;; amdgpu-corpus repo=ROCm/rocBLAS kind=compiled arch=gfx1100 opt=O3
	.text
	.amdgcn_target "amdgcn-amd-amdhsa--gfx1100"
	.amdhsa_code_object_version 6
	.section	.text._ZL34rocblas_gemvn_sm_mn_batched_kernelILi32ELi24EfPKffEviiT2_lPKT1_lilS5_lilS2_lPT3_lili,"axG",@progbits,_ZL34rocblas_gemvn_sm_mn_batched_kernelILi32ELi24EfPKffEviiT2_lPKT1_lilS5_lilS2_lPT3_lili,comdat
	.globl	_ZL34rocblas_gemvn_sm_mn_batched_kernelILi32ELi24EfPKffEviiT2_lPKT1_lilS5_lilS2_lPT3_lili ; -- Begin function _ZL34rocblas_gemvn_sm_mn_batched_kernelILi32ELi24EfPKffEviiT2_lPKT1_lilS5_lilS2_lPT3_lili
	.p2align	8
	.type	_ZL34rocblas_gemvn_sm_mn_batched_kernelILi32ELi24EfPKffEviiT2_lPKT1_lilS5_lilS2_lPT3_lili,@function
_ZL34rocblas_gemvn_sm_mn_batched_kernelILi32ELi24EfPKffEviiT2_lPKT1_lilS5_lilS2_lPT3_lili: ; @_ZL34rocblas_gemvn_sm_mn_batched_kernelILi32ELi24EfPKffEviiT2_lPKT1_lilS5_lilS2_lPT3_lili
; %bb.0:
	s_endpgm
	.section	.rodata,"a",@progbits
	.p2align	6, 0x0
	.amdhsa_kernel _ZL34rocblas_gemvn_sm_mn_batched_kernelILi32ELi24EfPKffEviiT2_lPKT1_lilS5_lilS2_lPT3_lili
		.amdhsa_group_segment_fixed_size 0
		.amdhsa_private_segment_fixed_size 0
		.amdhsa_kernarg_size 140
		.amdhsa_user_sgpr_count 15
		.amdhsa_user_sgpr_dispatch_ptr 0
		.amdhsa_user_sgpr_queue_ptr 0
		.amdhsa_user_sgpr_kernarg_segment_ptr 1
		.amdhsa_user_sgpr_dispatch_id 0
		.amdhsa_user_sgpr_private_segment_size 0
		.amdhsa_wavefront_size32 1
		.amdhsa_uses_dynamic_stack 0
		.amdhsa_enable_private_segment 0
		.amdhsa_system_sgpr_workgroup_id_x 1
		.amdhsa_system_sgpr_workgroup_id_y 0
		.amdhsa_system_sgpr_workgroup_id_z 0
		.amdhsa_system_sgpr_workgroup_info 0
		.amdhsa_system_vgpr_workitem_id 0
		.amdhsa_next_free_vgpr 1
		.amdhsa_next_free_sgpr 1
		.amdhsa_reserve_vcc 0
		.amdhsa_float_round_mode_32 0
		.amdhsa_float_round_mode_16_64 0
		.amdhsa_float_denorm_mode_32 3
		.amdhsa_float_denorm_mode_16_64 3
		.amdhsa_dx10_clamp 1
		.amdhsa_ieee_mode 1
		.amdhsa_fp16_overflow 0
		.amdhsa_workgroup_processor_mode 1
		.amdhsa_memory_ordered 1
		.amdhsa_forward_progress 0
		.amdhsa_shared_vgpr_count 0
		.amdhsa_exception_fp_ieee_invalid_op 0
		.amdhsa_exception_fp_denorm_src 0
		.amdhsa_exception_fp_ieee_div_zero 0
		.amdhsa_exception_fp_ieee_overflow 0
		.amdhsa_exception_fp_ieee_underflow 0
		.amdhsa_exception_fp_ieee_inexact 0
		.amdhsa_exception_int_div_zero 0
	.end_amdhsa_kernel
	.section	.text._ZL34rocblas_gemvn_sm_mn_batched_kernelILi32ELi24EfPKffEviiT2_lPKT1_lilS5_lilS2_lPT3_lili,"axG",@progbits,_ZL34rocblas_gemvn_sm_mn_batched_kernelILi32ELi24EfPKffEviiT2_lPKT1_lilS5_lilS2_lPT3_lili,comdat
.Lfunc_end0:
	.size	_ZL34rocblas_gemvn_sm_mn_batched_kernelILi32ELi24EfPKffEviiT2_lPKT1_lilS5_lilS2_lPT3_lili, .Lfunc_end0-_ZL34rocblas_gemvn_sm_mn_batched_kernelILi32ELi24EfPKffEviiT2_lPKT1_lilS5_lilS2_lPT3_lili
                                        ; -- End function
	.section	.AMDGPU.csdata,"",@progbits
; Kernel info:
; codeLenInByte = 4
; NumSgprs: 0
; NumVgprs: 0
; ScratchSize: 0
; MemoryBound: 0
; FloatMode: 240
; IeeeMode: 1
; LDSByteSize: 0 bytes/workgroup (compile time only)
; SGPRBlocks: 0
; VGPRBlocks: 0
; NumSGPRsForWavesPerEU: 1
; NumVGPRsForWavesPerEU: 1
; Occupancy: 12
; WaveLimiterHint : 0
; COMPUTE_PGM_RSRC2:SCRATCH_EN: 0
; COMPUTE_PGM_RSRC2:USER_SGPR: 15
; COMPUTE_PGM_RSRC2:TRAP_HANDLER: 0
; COMPUTE_PGM_RSRC2:TGID_X_EN: 1
; COMPUTE_PGM_RSRC2:TGID_Y_EN: 0
; COMPUTE_PGM_RSRC2:TGID_Z_EN: 0
; COMPUTE_PGM_RSRC2:TIDIG_COMP_CNT: 0
	.section	.text._ZL34rocblas_gemvn_sm_mn_batched_kernelILi32ELi24EfffEviiT2_lPKT1_lilS3_lilS0_lPT3_lili,"axG",@progbits,_ZL34rocblas_gemvn_sm_mn_batched_kernelILi32ELi24EfffEviiT2_lPKT1_lilS3_lilS0_lPT3_lili,comdat
	.globl	_ZL34rocblas_gemvn_sm_mn_batched_kernelILi32ELi24EfffEviiT2_lPKT1_lilS3_lilS0_lPT3_lili ; -- Begin function _ZL34rocblas_gemvn_sm_mn_batched_kernelILi32ELi24EfffEviiT2_lPKT1_lilS3_lilS0_lPT3_lili
	.p2align	8
	.type	_ZL34rocblas_gemvn_sm_mn_batched_kernelILi32ELi24EfffEviiT2_lPKT1_lilS3_lilS0_lPT3_lili,@function
_ZL34rocblas_gemvn_sm_mn_batched_kernelILi32ELi24EfffEviiT2_lPKT1_lilS3_lilS0_lPT3_lili: ; @_ZL34rocblas_gemvn_sm_mn_batched_kernelILi32ELi24EfffEviiT2_lPKT1_lilS3_lilS0_lPT3_lili
; %bb.0:
	s_endpgm
	.section	.rodata,"a",@progbits
	.p2align	6, 0x0
	.amdhsa_kernel _ZL34rocblas_gemvn_sm_mn_batched_kernelILi32ELi24EfffEviiT2_lPKT1_lilS3_lilS0_lPT3_lili
		.amdhsa_group_segment_fixed_size 0
		.amdhsa_private_segment_fixed_size 0
		.amdhsa_kernarg_size 140
		.amdhsa_user_sgpr_count 15
		.amdhsa_user_sgpr_dispatch_ptr 0
		.amdhsa_user_sgpr_queue_ptr 0
		.amdhsa_user_sgpr_kernarg_segment_ptr 1
		.amdhsa_user_sgpr_dispatch_id 0
		.amdhsa_user_sgpr_private_segment_size 0
		.amdhsa_wavefront_size32 1
		.amdhsa_uses_dynamic_stack 0
		.amdhsa_enable_private_segment 0
		.amdhsa_system_sgpr_workgroup_id_x 1
		.amdhsa_system_sgpr_workgroup_id_y 0
		.amdhsa_system_sgpr_workgroup_id_z 0
		.amdhsa_system_sgpr_workgroup_info 0
		.amdhsa_system_vgpr_workitem_id 0
		.amdhsa_next_free_vgpr 1
		.amdhsa_next_free_sgpr 1
		.amdhsa_reserve_vcc 0
		.amdhsa_float_round_mode_32 0
		.amdhsa_float_round_mode_16_64 0
		.amdhsa_float_denorm_mode_32 3
		.amdhsa_float_denorm_mode_16_64 3
		.amdhsa_dx10_clamp 1
		.amdhsa_ieee_mode 1
		.amdhsa_fp16_overflow 0
		.amdhsa_workgroup_processor_mode 1
		.amdhsa_memory_ordered 1
		.amdhsa_forward_progress 0
		.amdhsa_shared_vgpr_count 0
		.amdhsa_exception_fp_ieee_invalid_op 0
		.amdhsa_exception_fp_denorm_src 0
		.amdhsa_exception_fp_ieee_div_zero 0
		.amdhsa_exception_fp_ieee_overflow 0
		.amdhsa_exception_fp_ieee_underflow 0
		.amdhsa_exception_fp_ieee_inexact 0
		.amdhsa_exception_int_div_zero 0
	.end_amdhsa_kernel
	.section	.text._ZL34rocblas_gemvn_sm_mn_batched_kernelILi32ELi24EfffEviiT2_lPKT1_lilS3_lilS0_lPT3_lili,"axG",@progbits,_ZL34rocblas_gemvn_sm_mn_batched_kernelILi32ELi24EfffEviiT2_lPKT1_lilS3_lilS0_lPT3_lili,comdat
.Lfunc_end1:
	.size	_ZL34rocblas_gemvn_sm_mn_batched_kernelILi32ELi24EfffEviiT2_lPKT1_lilS3_lilS0_lPT3_lili, .Lfunc_end1-_ZL34rocblas_gemvn_sm_mn_batched_kernelILi32ELi24EfffEviiT2_lPKT1_lilS3_lilS0_lPT3_lili
                                        ; -- End function
	.section	.AMDGPU.csdata,"",@progbits
; Kernel info:
; codeLenInByte = 4
; NumSgprs: 0
; NumVgprs: 0
; ScratchSize: 0
; MemoryBound: 0
; FloatMode: 240
; IeeeMode: 1
; LDSByteSize: 0 bytes/workgroup (compile time only)
; SGPRBlocks: 0
; VGPRBlocks: 0
; NumSGPRsForWavesPerEU: 1
; NumVGPRsForWavesPerEU: 1
; Occupancy: 12
; WaveLimiterHint : 0
; COMPUTE_PGM_RSRC2:SCRATCH_EN: 0
; COMPUTE_PGM_RSRC2:USER_SGPR: 15
; COMPUTE_PGM_RSRC2:TRAP_HANDLER: 0
; COMPUTE_PGM_RSRC2:TGID_X_EN: 1
; COMPUTE_PGM_RSRC2:TGID_Y_EN: 0
; COMPUTE_PGM_RSRC2:TGID_Z_EN: 0
; COMPUTE_PGM_RSRC2:TIDIG_COMP_CNT: 0
	.section	.text._ZL20rocblas_gemvn_kernelILi64ELi4EifPKffEviiT3_lPKT2_lT1_lS5_lS6_lS2_lPT4_lS6_li,"axG",@progbits,_ZL20rocblas_gemvn_kernelILi64ELi4EifPKffEviiT3_lPKT2_lT1_lS5_lS6_lS2_lPT4_lS6_li,comdat
	.globl	_ZL20rocblas_gemvn_kernelILi64ELi4EifPKffEviiT3_lPKT2_lT1_lS5_lS6_lS2_lPT4_lS6_li ; -- Begin function _ZL20rocblas_gemvn_kernelILi64ELi4EifPKffEviiT3_lPKT2_lT1_lS5_lS6_lS2_lPT4_lS6_li
	.p2align	8
	.type	_ZL20rocblas_gemvn_kernelILi64ELi4EifPKffEviiT3_lPKT2_lT1_lS5_lS6_lS2_lPT4_lS6_li,@function
_ZL20rocblas_gemvn_kernelILi64ELi4EifPKffEviiT3_lPKT2_lT1_lS5_lS6_lS2_lPT4_lS6_li: ; @_ZL20rocblas_gemvn_kernelILi64ELi4EifPKffEviiT3_lPKT2_lT1_lS5_lS6_lS2_lPT4_lS6_li
; %bb.0:
	s_load_b64 s[2:3], s[0:1], 0x9c
	s_waitcnt lgkmcnt(0)
	s_lshr_b32 s4, s2, 16
	s_and_b32 s2, s2, 0xffff
	s_and_b32 s3, s3, 0xffff
	s_mul_i32 s2, s4, s2
	s_delay_alu instid0(SALU_CYCLE_1) | instskip(NEXT) | instid1(SALU_CYCLE_1)
	s_mul_i32 s2, s2, s3
	s_cmpk_lg_i32 s2, 0x100
	s_cbranch_scc1 .LBB2_50
; %bb.1:
	s_clause 0x1
	s_load_b256 s[16:23], s[0:1], 0x8
	s_load_b256 s[4:11], s[0:1], 0x50
	s_waitcnt lgkmcnt(0)
	s_mul_i32 s3, s15, s19
	s_mul_hi_u32 s12, s15, s18
	s_mul_i32 s2, s15, s18
	s_add_i32 s3, s12, s3
	s_mul_i32 s9, s15, s9
	s_lshl_b64 s[2:3], s[2:3], 2
	s_mul_hi_u32 s12, s15, s8
	s_add_u32 s2, s16, s2
	s_addc_u32 s3, s17, s3
	s_add_i32 s9, s12, s9
	s_mul_i32 s8, s15, s8
	s_mov_b32 s16, 0
	s_lshl_b64 s[8:9], s[8:9], 2
	s_delay_alu instid0(SALU_CYCLE_1)
	s_add_u32 s6, s6, s8
	s_addc_u32 s7, s7, s9
	s_load_b32 s13, s[2:3], 0x0
	s_load_b32 s12, s[6:7], 0x0
	s_waitcnt lgkmcnt(0)
	v_cmp_eq_f32_e64 s2, s13, 0
	v_cmp_eq_f32_e64 s3, s12, 1.0
	s_delay_alu instid0(VALU_DEP_1) | instskip(NEXT) | instid1(SALU_CYCLE_1)
	s_and_b32 s2, s2, s3
	s_and_b32 vcc_lo, exec_lo, s2
	s_cbranch_vccnz .LBB2_50
; %bb.2:
	s_clause 0x3
	s_load_b64 s[2:3], s[0:1], 0x80
	s_load_b64 s[8:9], s[0:1], 0x70
	s_load_b32 s17, s[0:1], 0x78
	s_load_b64 s[6:7], s[0:1], 0x0
	v_and_b32_e32 v1, 0x3ff, v0
	v_bfe_u32 v13, v0, 10, 10
	s_delay_alu instid0(VALU_DEP_1)
	v_lshl_add_u32 v0, v13, 6, v1
	s_waitcnt lgkmcnt(0)
	s_mul_i32 s3, s15, s3
	s_mul_hi_u32 s18, s15, s2
	s_mul_i32 s2, s15, s2
	s_add_i32 s3, s18, s3
	v_cmp_neq_f32_e64 s18, s13, 0
	s_lshl_b64 s[2:3], s[2:3], 2
	s_delay_alu instid0(SALU_CYCLE_1) | instskip(SKIP_2) | instid1(SALU_CYCLE_1)
	s_add_u32 s10, s10, s2
	s_addc_u32 s11, s11, s3
	s_lshl_b64 s[2:3], s[8:9], 2
	s_add_u32 s8, s10, s2
	v_cmp_gt_u32_e64 s2, 0x100, v0
	s_addc_u32 s9, s11, s3
	s_and_b32 vcc_lo, exec_lo, s18
	s_cbranch_vccnz .LBB2_9
; %bb.3:
	s_mov_b32 s3, 0
                                        ; implicit-def: $vgpr3
                                        ; implicit-def: $vgpr4_vgpr5
	s_and_saveexec_b32 s10, s2
	s_cbranch_execz .LBB2_10
; %bb.4:
	v_lshl_or_b32 v2, s14, 8, v0
	v_mov_b32_e32 v3, 0
	s_ashr_i32 s19, s6, 31
	s_mov_b32 s18, s6
	s_mov_b32 s11, 0
	s_mov_b32 s2, exec_lo
                                        ; implicit-def: $vgpr4_vgpr5
	v_cmpx_gt_i64_e64 s[18:19], v[2:3]
	s_cbranch_execz .LBB2_8
; %bb.5:
	v_mad_u64_u32 v[4:5], null, s17, v2, 0
	s_ashr_i32 s11, s17, 31
	s_delay_alu instid0(VALU_DEP_1) | instid1(SALU_CYCLE_1)
	v_mad_u64_u32 v[6:7], null, s11, v2, v[5:6]
	v_cmp_eq_f32_e64 s11, s12, 0
	s_delay_alu instid0(VALU_DEP_1) | instskip(NEXT) | instid1(VALU_DEP_2)
	s_and_b32 vcc_lo, exec_lo, s11
	v_mov_b32_e32 v5, v6
	s_cbranch_vccnz .LBB2_7
; %bb.6:
	s_delay_alu instid0(VALU_DEP_1) | instskip(NEXT) | instid1(VALU_DEP_1)
	v_lshlrev_b64 v[2:3], 2, v[4:5]
	v_add_co_u32 v2, vcc_lo, s8, v2
	s_delay_alu instid0(VALU_DEP_2)
	v_add_co_ci_u32_e32 v3, vcc_lo, s9, v3, vcc_lo
	global_load_b32 v2, v[2:3], off
	s_waitcnt vmcnt(0)
	v_mul_f32_e32 v3, s12, v2
.LBB2_7:
	s_mov_b32 s11, exec_lo
.LBB2_8:
	s_or_b32 exec_lo, exec_lo, s2
	s_delay_alu instid0(SALU_CYCLE_1) | instskip(SKIP_1) | instid1(SALU_CYCLE_1)
	s_and_b32 s16, s11, exec_lo
	s_or_b32 exec_lo, exec_lo, s10
	s_and_b32 vcc_lo, exec_lo, s3
	s_cbranch_vccnz .LBB2_11
	s_branch .LBB2_48
.LBB2_9:
                                        ; implicit-def: $vgpr3
                                        ; implicit-def: $vgpr4_vgpr5
	s_cbranch_execnz .LBB2_11
	s_branch .LBB2_48
.LBB2_10:
	s_or_b32 exec_lo, exec_lo, s10
	s_delay_alu instid0(SALU_CYCLE_1)
	s_and_b32 vcc_lo, exec_lo, s3
	s_cbranch_vccz .LBB2_48
.LBB2_11:
	s_clause 0x2
	s_load_b128 s[24:27], s[0:1], 0x30
	s_load_b32 s18, s[0:1], 0x28
	s_load_b64 s[2:3], s[0:1], 0x40
	s_mul_i32 s5, s15, s5
	v_dual_mov_b32 v14, 0 :: v_dual_lshlrev_b32 v19, 2, v13
	v_dual_mov_b32 v15, 0 :: v_dual_mov_b32 v16, 0
	v_mov_b32_e32 v17, 0
	s_waitcnt lgkmcnt(0)
	s_mul_i32 s11, s15, s25
	s_mul_hi_u32 s19, s15, s24
	s_mul_i32 s10, s15, s24
	s_add_i32 s11, s19, s11
	s_mul_hi_u32 s19, s15, s4
	s_lshl_b64 s[10:11], s[10:11], 2
	s_delay_alu instid0(SALU_CYCLE_1) | instskip(SKIP_4) | instid1(SALU_CYCLE_1)
	s_add_u32 s24, s20, s10
	s_mul_i32 s20, s15, s4
	s_load_b32 s4, s[0:1], 0x48
	s_addc_u32 s21, s21, s11
	s_lshl_b64 s[10:11], s[22:23], 2
	s_add_u32 s10, s24, s10
	s_addc_u32 s11, s21, s11
	s_add_i32 s21, s19, s5
	s_delay_alu instid0(SALU_CYCLE_1) | instskip(SKIP_4) | instid1(SALU_CYCLE_1)
	s_lshl_b64 s[0:1], s[20:21], 2
	s_mov_b32 s20, exec_lo
	s_add_u32 s5, s26, s0
	s_addc_u32 s19, s27, s1
	s_lshl_b64 s[0:1], s[2:3], 2
	s_add_u32 s15, s5, s0
	s_addc_u32 s19, s19, s1
	s_ashr_i32 s0, s7, 31
	s_lshl_b32 s5, s14, 8
	s_lshr_b32 s0, s0, 28
	v_add_nc_u32_e32 v18, s5, v1
	s_add_i32 s0, s7, s0
	s_delay_alu instid0(SALU_CYCLE_1) | instskip(NEXT) | instid1(SALU_CYCLE_1)
	s_and_b32 s14, s0, -16
	v_cmpx_gt_i32_e64 s14, v19
	s_cbranch_execz .LBB2_23
; %bb.12:
	v_mul_lo_u32 v3, s18, v19
	v_dual_mov_b32 v15, 0 :: v_dual_add_nc_u32 v2, 64, v18
	v_add_nc_u32_e32 v6, 2, v19
	v_dual_mov_b32 v14, 0 :: v_dual_add_nc_u32 v5, 0xc0, v18
	s_delay_alu instid0(VALU_DEP_3)
	v_cmp_gt_i32_e64 s0, s6, v2
	v_dual_mov_b32 v17, 0 :: v_dual_add_nc_u32 v4, 0x80, v18
	v_add3_u32 v20, v3, s18, v1
	v_mad_u64_u32 v[2:3], null, s18, v6, v[1:2]
	v_cmp_gt_i32_e64 s2, s6, v5
	v_mul_lo_u32 v5, v13, s18
	v_dual_mov_b32 v16, 0 :: v_dual_add_nc_u32 v7, 3, v19
	s_waitcnt lgkmcnt(0)
	v_mul_lo_u32 v8, v13, s4
	v_cmp_gt_i32_e64 s1, s6, v4
	v_mul_lo_u32 v22, s4, v6
	v_mad_u64_u32 v[3:4], null, s18, v7, v[1:2]
	v_lshl_add_u32 v21, v5, 2, v1
	v_mad_u64_u32 v[4:5], null, s4, v19, s[4:5]
	v_mul_lo_u32 v23, s4, v7
	v_cmp_gt_i32_e32 vcc_lo, s6, v18
	v_lshlrev_b32_e32 v24, 2, v8
	s_lshl_b32 s21, s18, 4
	s_lshl_b32 s23, s4, 4
	s_mov_b32 s22, 0
	s_mov_b32 s24, 0
	s_branch .LBB2_17
.LBB2_13:                               ;   in Loop: Header=BB2_17 Depth=1
	s_or_b32 exec_lo, exec_lo, s27
	s_waitcnt vmcnt(3)
	v_fmac_f32_e32 v16, v28, v40
	s_waitcnt vmcnt(2)
	s_delay_alu instid0(VALU_DEP_1) | instskip(SKIP_1) | instid1(VALU_DEP_1)
	v_fmac_f32_e32 v16, v27, v39
	s_waitcnt vmcnt(1)
	v_fmac_f32_e32 v16, v26, v38
	s_waitcnt vmcnt(0)
	s_delay_alu instid0(VALU_DEP_1)
	v_fmac_f32_e32 v16, v25, v37
.LBB2_14:                               ;   in Loop: Header=BB2_17 Depth=1
	s_or_b32 exec_lo, exec_lo, s26
	s_waitcnt vmcnt(3)
	v_fmac_f32_e32 v15, v28, v36
	s_waitcnt vmcnt(2)
	s_delay_alu instid0(VALU_DEP_1) | instskip(SKIP_1) | instid1(VALU_DEP_1)
	v_fmac_f32_e32 v15, v27, v35
	s_waitcnt vmcnt(1)
	v_fmac_f32_e32 v15, v26, v34
	s_waitcnt vmcnt(0)
	s_delay_alu instid0(VALU_DEP_1)
	v_fmac_f32_e32 v15, v25, v33
.LBB2_15:                               ;   in Loop: Header=BB2_17 Depth=1
	s_or_b32 exec_lo, exec_lo, s3
	s_waitcnt vmcnt(3)
	v_fmac_f32_e32 v14, v28, v32
	s_waitcnt vmcnt(2)
	s_delay_alu instid0(VALU_DEP_1) | instskip(SKIP_1) | instid1(VALU_DEP_1)
	v_fmac_f32_e32 v14, v27, v30
	s_waitcnt vmcnt(1)
	v_fmac_f32_e32 v14, v26, v29
	s_waitcnt vmcnt(0)
	s_delay_alu instid0(VALU_DEP_1)
	v_fmac_f32_e32 v14, v25, v31
.LBB2_16:                               ;   in Loop: Header=BB2_17 Depth=1
	s_or_b32 exec_lo, exec_lo, s25
	v_add_nc_u32_e32 v19, 16, v19
	v_add_nc_u32_e32 v20, s21, v20
	v_add_nc_u32_e32 v2, s21, v2
	v_add_nc_u32_e32 v3, s21, v3
	v_add_nc_u32_e32 v21, s21, v21
	v_cmp_le_i32_e64 s3, s14, v19
	s_add_i32 s24, s24, s23
	s_delay_alu instid0(VALU_DEP_1) | instskip(NEXT) | instid1(SALU_CYCLE_1)
	s_or_b32 s22, s3, s22
	s_and_not1_b32 exec_lo, exec_lo, s22
	s_cbranch_execz .LBB2_22
.LBB2_17:                               ; =>This Inner Loop Header: Depth=1
	s_and_saveexec_b32 s25, vcc_lo
	s_cbranch_execz .LBB2_16
; %bb.18:                               ;   in Loop: Header=BB2_17 Depth=1
	v_add_nc_u32_e32 v5, s24, v24
	v_add_nc_u32_e32 v7, s24, v4
	;; [unrolled: 1-line block ×5, first 2 shown]
	v_ashrrev_i32_e32 v6, 31, v5
	v_ashrrev_i32_e32 v8, 31, v7
	;; [unrolled: 1-line block ×5, first 2 shown]
	v_lshlrev_b64 v[5:6], 2, v[5:6]
	v_lshlrev_b64 v[7:8], 2, v[7:8]
	v_lshlrev_b64 v[9:10], 2, v[9:10]
	s_delay_alu instid0(VALU_DEP_3) | instskip(NEXT) | instid1(VALU_DEP_1)
	v_add_co_u32 v27, s3, s15, v5
	v_add_co_ci_u32_e64 v28, s3, s19, v6, s3
	s_delay_alu instid0(VALU_DEP_4)
	v_add_co_u32 v29, s3, s15, v7
	v_add_nc_u32_e32 v7, s5, v20
	v_add_co_ci_u32_e64 v30, s3, s19, v8, s3
	v_lshlrev_b64 v[5:6], 2, v[11:12]
	v_add_co_u32 v31, s3, s15, v9
	v_add_nc_u32_e32 v11, s5, v2
	v_add_co_ci_u32_e64 v32, s3, s19, v10, s3
	v_lshlrev_b64 v[9:10], 2, v[25:26]
	v_ashrrev_i32_e32 v8, 31, v7
	v_add_nc_u32_e32 v25, s5, v3
	v_add_co_u32 v33, s3, s15, v5
	v_ashrrev_i32_e32 v12, 31, v11
	v_add_co_ci_u32_e64 v34, s3, s19, v6, s3
	v_lshlrev_b64 v[7:8], 2, v[7:8]
	v_add_co_u32 v5, s3, s10, v9
	v_ashrrev_i32_e32 v26, 31, v25
	v_add_co_ci_u32_e64 v6, s3, s11, v10, s3
	v_lshlrev_b64 v[9:10], 2, v[11:12]
	v_add_co_u32 v7, s3, s10, v7
	s_delay_alu instid0(VALU_DEP_4) | instskip(SKIP_1) | instid1(VALU_DEP_4)
	v_lshlrev_b64 v[25:26], 2, v[25:26]
	v_add_co_ci_u32_e64 v8, s3, s11, v8, s3
	v_add_co_u32 v11, s3, s10, v9
	s_delay_alu instid0(VALU_DEP_1) | instskip(NEXT) | instid1(VALU_DEP_4)
	v_add_co_ci_u32_e64 v12, s3, s11, v10, s3
	v_add_co_u32 v9, s3, s10, v25
	s_delay_alu instid0(VALU_DEP_1)
	v_add_co_ci_u32_e64 v10, s3, s11, v26, s3
	s_clause 0x3
	global_load_b32 v28, v[27:28], off
	global_load_b32 v27, v[29:30], off
	;; [unrolled: 1-line block ×4, first 2 shown]
	s_clause 0x3
	global_load_b32 v32, v[5:6], off
	global_load_b32 v30, v[7:8], off
	;; [unrolled: 1-line block ×4, first 2 shown]
	s_and_saveexec_b32 s3, s0
	s_cbranch_execz .LBB2_15
; %bb.19:                               ;   in Loop: Header=BB2_17 Depth=1
	s_clause 0x3
	global_load_b32 v36, v[5:6], off offset:256
	global_load_b32 v35, v[7:8], off offset:256
	global_load_b32 v34, v[11:12], off offset:256
	global_load_b32 v33, v[9:10], off offset:256
	s_and_saveexec_b32 s26, s1
	s_cbranch_execz .LBB2_14
; %bb.20:                               ;   in Loop: Header=BB2_17 Depth=1
	s_clause 0x3
	global_load_b32 v40, v[5:6], off offset:512
	global_load_b32 v39, v[7:8], off offset:512
	global_load_b32 v38, v[11:12], off offset:512
	global_load_b32 v37, v[9:10], off offset:512
	;; [unrolled: 8-line block ×3, first 2 shown]
	s_waitcnt vmcnt(3)
	v_fmac_f32_e32 v17, v28, v5
	s_waitcnt vmcnt(2)
	s_delay_alu instid0(VALU_DEP_1) | instskip(SKIP_1) | instid1(VALU_DEP_1)
	v_fmac_f32_e32 v17, v27, v6
	s_waitcnt vmcnt(1)
	v_fmac_f32_e32 v17, v26, v7
	s_waitcnt vmcnt(0)
	s_delay_alu instid0(VALU_DEP_1)
	v_fmac_f32_e32 v17, v25, v8
	s_branch .LBB2_13
.LBB2_22:
	s_or_b32 exec_lo, exec_lo, s22
.LBB2_23:
	s_delay_alu instid0(SALU_CYCLE_1) | instskip(SKIP_1) | instid1(SALU_CYCLE_1)
	s_or_b32 exec_lo, exec_lo, s20
	s_sub_i32 s0, s7, s14
	s_cmp_lt_i32 s0, 1
	s_cbranch_scc1 .LBB2_41
; %bb.24:
	v_cmp_gt_i32_e32 vcc_lo, s7, v19
	v_dual_mov_b32 v12, 0 :: v_dual_mov_b32 v11, 0
	v_or_b32_e32 v2, 1, v19
	v_mov_b32_e32 v20, 0
	v_mov_b32_e32 v10, 0
	s_and_saveexec_b32 s1, vcc_lo
	s_cbranch_execz .LBB2_32
; %bb.25:
	s_waitcnt lgkmcnt(0)
	v_mul_lo_u32 v3, v19, s4
	v_dual_mov_b32 v11, 0 :: v_dual_mov_b32 v20, 0
	v_mov_b32_e32 v12, 0
	s_mov_b32 s2, exec_lo
	s_delay_alu instid0(VALU_DEP_3) | instskip(NEXT) | instid1(VALU_DEP_1)
	v_ashrrev_i32_e32 v4, 31, v3
	v_lshlrev_b64 v[3:4], 2, v[3:4]
	s_delay_alu instid0(VALU_DEP_1) | instskip(NEXT) | instid1(VALU_DEP_1)
	v_add_co_u32 v3, s0, s15, v3
	v_add_co_ci_u32_e64 v4, s0, s19, v4, s0
	global_load_b32 v10, v[3:4], off
	v_cmpx_gt_i32_e64 s7, v2
	s_cbranch_execz .LBB2_31
; %bb.26:
	v_mul_lo_u32 v3, v2, s4
	v_mov_b32_e32 v20, 0
	v_mov_b32_e32 v12, 0
	s_mov_b32 s3, exec_lo
	s_delay_alu instid0(VALU_DEP_3) | instskip(NEXT) | instid1(VALU_DEP_1)
	v_ashrrev_i32_e32 v4, 31, v3
	v_lshlrev_b64 v[3:4], 2, v[3:4]
	s_delay_alu instid0(VALU_DEP_1) | instskip(NEXT) | instid1(VALU_DEP_1)
	v_add_co_u32 v3, s0, s15, v3
	v_add_co_ci_u32_e64 v4, s0, s19, v4, s0
	global_load_b32 v11, v[3:4], off
	v_or_b32_e32 v3, 2, v19
	s_delay_alu instid0(VALU_DEP_1)
	v_cmpx_gt_i32_e64 s7, v3
	s_cbranch_execz .LBB2_30
; %bb.27:
	v_mul_lo_u32 v3, v3, s4
	v_mov_b32_e32 v12, 0
	s_mov_b32 s14, exec_lo
	s_delay_alu instid0(VALU_DEP_2) | instskip(NEXT) | instid1(VALU_DEP_1)
	v_ashrrev_i32_e32 v4, 31, v3
	v_lshlrev_b64 v[3:4], 2, v[3:4]
	s_delay_alu instid0(VALU_DEP_1) | instskip(NEXT) | instid1(VALU_DEP_1)
	v_add_co_u32 v3, s0, s15, v3
	v_add_co_ci_u32_e64 v4, s0, s19, v4, s0
	global_load_b32 v20, v[3:4], off
	v_or_b32_e32 v3, 3, v19
	s_delay_alu instid0(VALU_DEP_1)
	v_cmpx_gt_i32_e64 s7, v3
	s_cbranch_execz .LBB2_29
; %bb.28:
	v_mul_lo_u32 v3, v3, s4
	s_delay_alu instid0(VALU_DEP_1) | instskip(NEXT) | instid1(VALU_DEP_1)
	v_ashrrev_i32_e32 v4, 31, v3
	v_lshlrev_b64 v[3:4], 2, v[3:4]
	s_delay_alu instid0(VALU_DEP_1) | instskip(NEXT) | instid1(VALU_DEP_1)
	v_add_co_u32 v3, s0, s15, v3
	v_add_co_ci_u32_e64 v4, s0, s19, v4, s0
	global_load_b32 v12, v[3:4], off
.LBB2_29:
	s_or_b32 exec_lo, exec_lo, s14
.LBB2_30:
	s_delay_alu instid0(SALU_CYCLE_1)
	s_or_b32 exec_lo, exec_lo, s3
.LBB2_31:
	s_delay_alu instid0(SALU_CYCLE_1)
	s_or_b32 exec_lo, exec_lo, s2
.LBB2_32:
	s_delay_alu instid0(SALU_CYCLE_1) | instskip(NEXT) | instid1(SALU_CYCLE_1)
	s_or_b32 exec_lo, exec_lo, s1
	s_mov_b32 s1, exec_lo
	v_cmpx_gt_i32_e64 s6, v18
	s_cbranch_execz .LBB2_40
; %bb.33:
	v_mul_lo_u32 v3, v19, s18
	v_mul_lo_u32 v5, v2, s18
	v_or_b32_e32 v4, 2, v19
	v_or_b32_e32 v6, 3, v19
	s_mov_b32 s0, exec_lo
	s_delay_alu instid0(VALU_DEP_2)
	v_mul_lo_u32 v7, v4, s18
	v_cndmask_b32_e32 v3, 0, v3, vcc_lo
	v_cmp_gt_i32_e32 vcc_lo, s7, v2
	v_mul_lo_u32 v8, v6, s18
	v_cndmask_b32_e32 v5, 0, v5, vcc_lo
	v_cmp_gt_i32_e32 vcc_lo, s7, v4
	s_delay_alu instid0(VALU_DEP_2) | instskip(SKIP_2) | instid1(VALU_DEP_3)
	v_add_nc_u32_e32 v4, v5, v18
	v_dual_cndmask_b32 v7, 0, v7 :: v_dual_add_nc_u32 v2, v3, v18
	v_cmp_gt_i32_e32 vcc_lo, s7, v6
	v_ashrrev_i32_e32 v5, 31, v4
	s_delay_alu instid0(VALU_DEP_3) | instskip(SKIP_2) | instid1(VALU_DEP_4)
	v_ashrrev_i32_e32 v3, 31, v2
	v_cndmask_b32_e32 v8, 0, v8, vcc_lo
	v_add_nc_u32_e32 v6, v7, v18
	v_lshlrev_b64 v[4:5], 2, v[4:5]
	s_delay_alu instid0(VALU_DEP_4) | instskip(NEXT) | instid1(VALU_DEP_4)
	v_lshlrev_b64 v[2:3], 2, v[2:3]
	v_add_nc_u32_e32 v8, v8, v18
	s_delay_alu instid0(VALU_DEP_4) | instskip(NEXT) | instid1(VALU_DEP_2)
	v_ashrrev_i32_e32 v7, 31, v6
	v_ashrrev_i32_e32 v9, 31, v8
	s_delay_alu instid0(VALU_DEP_2)
	v_lshlrev_b64 v[21:22], 2, v[6:7]
	v_add_co_u32 v6, vcc_lo, s10, v2
	v_add_co_ci_u32_e32 v7, vcc_lo, s11, v3, vcc_lo
	v_add_co_u32 v2, vcc_lo, s10, v4
	v_add_co_ci_u32_e32 v3, vcc_lo, s11, v5, vcc_lo
	global_load_b32 v23, v[6:7], off
	v_add_co_u32 v4, vcc_lo, s10, v21
	v_add_co_ci_u32_e32 v5, vcc_lo, s11, v22, vcc_lo
	v_lshlrev_b64 v[8:9], 2, v[8:9]
	s_clause 0x1
	global_load_b32 v21, v[2:3], off
	global_load_b32 v22, v[4:5], off
	v_add_co_u32 v8, vcc_lo, s10, v8
	v_add_co_ci_u32_e32 v9, vcc_lo, s11, v9, vcc_lo
	global_load_b32 v19, v[8:9], off
	s_waitcnt vmcnt(3)
	v_fmac_f32_e32 v14, v10, v23
	s_waitcnt vmcnt(2)
	s_delay_alu instid0(VALU_DEP_1) | instskip(SKIP_1) | instid1(VALU_DEP_1)
	v_dual_fmac_f32 v14, v11, v21 :: v_dual_add_nc_u32 v21, 64, v18
	s_waitcnt vmcnt(1)
	v_fmac_f32_e32 v14, v20, v22
	s_delay_alu instid0(VALU_DEP_2)
	v_cmpx_gt_i32_e64 s6, v21
	s_cbranch_execz .LBB2_39
; %bb.34:
	s_clause 0x3
	global_load_b32 v22, v[6:7], off offset:256
	global_load_b32 v23, v[2:3], off offset:256
	;; [unrolled: 1-line block ×4, first 2 shown]
	s_mov_b32 s2, exec_lo
	s_waitcnt vmcnt(3)
	v_fmac_f32_e32 v15, v10, v22
	s_waitcnt vmcnt(2)
	s_delay_alu instid0(VALU_DEP_1) | instskip(SKIP_1) | instid1(VALU_DEP_1)
	v_dual_fmac_f32 v15, v11, v23 :: v_dual_add_nc_u32 v22, 0x80, v18
	s_waitcnt vmcnt(1)
	v_fmac_f32_e32 v15, v20, v24
	s_delay_alu instid0(VALU_DEP_2)
	v_cmpx_gt_i32_e64 s6, v22
	s_cbranch_execz .LBB2_38
; %bb.35:
	s_clause 0x3
	global_load_b32 v23, v[6:7], off offset:512
	global_load_b32 v24, v[2:3], off offset:512
	;; [unrolled: 1-line block ×4, first 2 shown]
	v_add_nc_u32_e32 v18, 0xc0, v18
	s_mov_b32 s3, exec_lo
	s_waitcnt vmcnt(3)
	v_fmac_f32_e32 v16, v10, v23
	s_waitcnt vmcnt(2)
	s_delay_alu instid0(VALU_DEP_1) | instskip(SKIP_1) | instid1(VALU_DEP_1)
	v_fmac_f32_e32 v16, v11, v24
	s_waitcnt vmcnt(1)
	v_fmac_f32_e32 v16, v20, v25
	v_cmpx_gt_i32_e64 s6, v18
	s_cbranch_execz .LBB2_37
; %bb.36:
	s_clause 0x3
	global_load_b32 v6, v[6:7], off offset:768
	global_load_b32 v2, v[2:3], off offset:768
	;; [unrolled: 1-line block ×4, first 2 shown]
	s_waitcnt vmcnt(3)
	v_fmac_f32_e32 v17, v10, v6
	s_waitcnt vmcnt(2)
	s_delay_alu instid0(VALU_DEP_1) | instskip(SKIP_1) | instid1(VALU_DEP_1)
	v_fmac_f32_e32 v17, v11, v2
	s_waitcnt vmcnt(1)
	v_fmac_f32_e32 v17, v20, v3
	s_waitcnt vmcnt(0)
	s_delay_alu instid0(VALU_DEP_1)
	v_fmac_f32_e32 v17, v12, v4
.LBB2_37:
	s_or_b32 exec_lo, exec_lo, s3
	s_waitcnt vmcnt(0)
	v_fmac_f32_e32 v16, v12, v22
.LBB2_38:
	s_or_b32 exec_lo, exec_lo, s2
	s_waitcnt vmcnt(0)
	v_fmac_f32_e32 v15, v12, v21
.LBB2_39:
	s_or_b32 exec_lo, exec_lo, s0
	s_waitcnt vmcnt(0)
	v_fmac_f32_e32 v14, v12, v19
.LBB2_40:
	s_or_b32 exec_lo, exec_lo, s1
.LBB2_41:
	v_lshlrev_b32_e32 v2, 8, v13
	s_mov_b32 s0, exec_lo
                                        ; implicit-def: $vgpr3
                                        ; implicit-def: $vgpr4_vgpr5
	s_delay_alu instid0(VALU_DEP_1)
	v_add_lshl_u32 v1, v2, v1, 2
	ds_store_2addr_stride64_b32 v1, v14, v15 offset1:1
	ds_store_2addr_stride64_b32 v1, v16, v17 offset0:2 offset1:3
	s_waitcnt vmcnt(0) lgkmcnt(0)
	s_barrier
	buffer_gl0_inv
	v_cmpx_gt_u32_e32 0x100, v0
	s_cbranch_execz .LBB2_47
; %bb.42:
	v_lshlrev_b32_e32 v5, 2, v0
	s_mov_b32 s2, s16
	s_mov_b32 s1, exec_lo
	ds_load_2addr_stride64_b32 v[1:2], v5 offset1:4
	ds_load_2addr_stride64_b32 v[3:4], v5 offset0:8 offset1:12
	s_waitcnt lgkmcnt(1)
	v_add_f32_e32 v1, v1, v2
	s_waitcnt lgkmcnt(0)
	s_delay_alu instid0(VALU_DEP_1) | instskip(SKIP_1) | instid1(VALU_DEP_2)
	v_add_f32_e32 v2, v3, v1
	v_or_b32_e32 v1, s5, v0
                                        ; implicit-def: $vgpr3
	v_add_f32_e32 v0, v4, v2
	ds_store_b32 v5, v0
                                        ; implicit-def: $vgpr4_vgpr5
	v_cmpx_gt_i32_e64 s6, v1
	s_cbranch_execz .LBB2_46
; %bb.43:
	v_mul_lo_u32 v4, v1, s17
	v_cmp_eq_f32_e64 s2, s12, 0
	v_mul_f32_e32 v3, s13, v0
	s_delay_alu instid0(VALU_DEP_2) | instskip(NEXT) | instid1(VALU_DEP_3)
	s_and_b32 vcc_lo, exec_lo, s2
	v_ashrrev_i32_e32 v5, 31, v4
	s_cbranch_vccnz .LBB2_45
; %bb.44:
	s_delay_alu instid0(VALU_DEP_1) | instskip(NEXT) | instid1(VALU_DEP_1)
	v_lshlrev_b64 v[0:1], 2, v[4:5]
	v_add_co_u32 v0, vcc_lo, s8, v0
	s_delay_alu instid0(VALU_DEP_2)
	v_add_co_ci_u32_e32 v1, vcc_lo, s9, v1, vcc_lo
	global_load_b32 v0, v[0:1], off
	s_waitcnt vmcnt(0)
	v_fmac_f32_e32 v3, s12, v0
.LBB2_45:
	s_or_b32 s2, s16, exec_lo
.LBB2_46:
	s_or_b32 exec_lo, exec_lo, s1
	s_delay_alu instid0(SALU_CYCLE_1) | instskip(SKIP_1) | instid1(SALU_CYCLE_1)
	s_and_not1_b32 s1, s16, exec_lo
	s_and_b32 s2, s2, exec_lo
	s_or_b32 s16, s1, s2
.LBB2_47:
	s_or_b32 exec_lo, exec_lo, s0
.LBB2_48:
	s_and_saveexec_b32 s0, s16
	s_cbranch_execz .LBB2_50
; %bb.49:
	v_lshlrev_b64 v[0:1], 2, v[4:5]
	s_delay_alu instid0(VALU_DEP_1) | instskip(NEXT) | instid1(VALU_DEP_2)
	v_add_co_u32 v0, vcc_lo, s8, v0
	v_add_co_ci_u32_e32 v1, vcc_lo, s9, v1, vcc_lo
	global_store_b32 v[0:1], v3, off
.LBB2_50:
	s_nop 0
	s_sendmsg sendmsg(MSG_DEALLOC_VGPRS)
	s_endpgm
	.section	.rodata,"a",@progbits
	.p2align	6, 0x0
	.amdhsa_kernel _ZL20rocblas_gemvn_kernelILi64ELi4EifPKffEviiT3_lPKT2_lT1_lS5_lS6_lS2_lPT4_lS6_li
		.amdhsa_group_segment_fixed_size 4096
		.amdhsa_private_segment_fixed_size 0
		.amdhsa_kernarg_size 400
		.amdhsa_user_sgpr_count 14
		.amdhsa_user_sgpr_dispatch_ptr 0
		.amdhsa_user_sgpr_queue_ptr 0
		.amdhsa_user_sgpr_kernarg_segment_ptr 1
		.amdhsa_user_sgpr_dispatch_id 0
		.amdhsa_user_sgpr_private_segment_size 0
		.amdhsa_wavefront_size32 1
		.amdhsa_uses_dynamic_stack 0
		.amdhsa_enable_private_segment 0
		.amdhsa_system_sgpr_workgroup_id_x 1
		.amdhsa_system_sgpr_workgroup_id_y 0
		.amdhsa_system_sgpr_workgroup_id_z 1
		.amdhsa_system_sgpr_workgroup_info 0
		.amdhsa_system_vgpr_workitem_id 1
		.amdhsa_next_free_vgpr 41
		.amdhsa_next_free_sgpr 28
		.amdhsa_reserve_vcc 1
		.amdhsa_float_round_mode_32 0
		.amdhsa_float_round_mode_16_64 0
		.amdhsa_float_denorm_mode_32 3
		.amdhsa_float_denorm_mode_16_64 3
		.amdhsa_dx10_clamp 1
		.amdhsa_ieee_mode 1
		.amdhsa_fp16_overflow 0
		.amdhsa_workgroup_processor_mode 1
		.amdhsa_memory_ordered 1
		.amdhsa_forward_progress 0
		.amdhsa_shared_vgpr_count 0
		.amdhsa_exception_fp_ieee_invalid_op 0
		.amdhsa_exception_fp_denorm_src 0
		.amdhsa_exception_fp_ieee_div_zero 0
		.amdhsa_exception_fp_ieee_overflow 0
		.amdhsa_exception_fp_ieee_underflow 0
		.amdhsa_exception_fp_ieee_inexact 0
		.amdhsa_exception_int_div_zero 0
	.end_amdhsa_kernel
	.section	.text._ZL20rocblas_gemvn_kernelILi64ELi4EifPKffEviiT3_lPKT2_lT1_lS5_lS6_lS2_lPT4_lS6_li,"axG",@progbits,_ZL20rocblas_gemvn_kernelILi64ELi4EifPKffEviiT3_lPKT2_lT1_lS5_lS6_lS2_lPT4_lS6_li,comdat
.Lfunc_end2:
	.size	_ZL20rocblas_gemvn_kernelILi64ELi4EifPKffEviiT3_lPKT2_lT1_lS5_lS6_lS2_lPT4_lS6_li, .Lfunc_end2-_ZL20rocblas_gemvn_kernelILi64ELi4EifPKffEviiT3_lPKT2_lT1_lS5_lS6_lS2_lPT4_lS6_li
                                        ; -- End function
	.section	.AMDGPU.csdata,"",@progbits
; Kernel info:
; codeLenInByte = 2912
; NumSgprs: 30
; NumVgprs: 41
; ScratchSize: 0
; MemoryBound: 0
; FloatMode: 240
; IeeeMode: 1
; LDSByteSize: 4096 bytes/workgroup (compile time only)
; SGPRBlocks: 3
; VGPRBlocks: 5
; NumSGPRsForWavesPerEU: 30
; NumVGPRsForWavesPerEU: 41
; Occupancy: 16
; WaveLimiterHint : 1
; COMPUTE_PGM_RSRC2:SCRATCH_EN: 0
; COMPUTE_PGM_RSRC2:USER_SGPR: 14
; COMPUTE_PGM_RSRC2:TRAP_HANDLER: 0
; COMPUTE_PGM_RSRC2:TGID_X_EN: 1
; COMPUTE_PGM_RSRC2:TGID_Y_EN: 0
; COMPUTE_PGM_RSRC2:TGID_Z_EN: 1
; COMPUTE_PGM_RSRC2:TIDIG_COMP_CNT: 1
	.section	.text._ZL20rocblas_gemvn_kernelILi64ELi4ElfPKffEviiT3_lPKT2_lT1_lS5_lS6_lS2_lPT4_lS6_li,"axG",@progbits,_ZL20rocblas_gemvn_kernelILi64ELi4ElfPKffEviiT3_lPKT2_lT1_lS5_lS6_lS2_lPT4_lS6_li,comdat
	.globl	_ZL20rocblas_gemvn_kernelILi64ELi4ElfPKffEviiT3_lPKT2_lT1_lS5_lS6_lS2_lPT4_lS6_li ; -- Begin function _ZL20rocblas_gemvn_kernelILi64ELi4ElfPKffEviiT3_lPKT2_lT1_lS5_lS6_lS2_lPT4_lS6_li
	.p2align	8
	.type	_ZL20rocblas_gemvn_kernelILi64ELi4ElfPKffEviiT3_lPKT2_lT1_lS5_lS6_lS2_lPT4_lS6_li,@function
_ZL20rocblas_gemvn_kernelILi64ELi4ElfPKffEviiT3_lPKT2_lT1_lS5_lS6_lS2_lPT4_lS6_li: ; @_ZL20rocblas_gemvn_kernelILi64ELi4ElfPKffEviiT3_lPKT2_lT1_lS5_lS6_lS2_lPT4_lS6_li
; %bb.0:
	s_load_b64 s[2:3], s[0:1], 0x9c
	s_waitcnt lgkmcnt(0)
	s_lshr_b32 s4, s2, 16
	s_and_b32 s2, s2, 0xffff
	s_and_b32 s3, s3, 0xffff
	s_mul_i32 s2, s4, s2
	s_delay_alu instid0(SALU_CYCLE_1) | instskip(NEXT) | instid1(SALU_CYCLE_1)
	s_mul_i32 s2, s2, s3
	s_cmpk_lg_i32 s2, 0x100
	s_cbranch_scc1 .LBB3_50
; %bb.1:
	s_clause 0x1
	s_load_b512 s[36:51], s[0:1], 0x8
	s_load_b512 s[16:31], s[0:1], 0x48
	s_waitcnt lgkmcnt(0)
	s_mul_i32 s3, s15, s39
	s_mul_hi_u32 s4, s15, s38
	s_mul_i32 s2, s15, s38
	s_add_i32 s3, s4, s3
	s_mul_i32 s4, s15, s23
	s_lshl_b64 s[2:3], s[2:3], 2
	s_mul_hi_u32 s5, s15, s22
	s_add_u32 s2, s36, s2
	s_addc_u32 s3, s37, s3
	s_add_i32 s5, s5, s4
	s_mul_i32 s4, s15, s22
	s_mov_b32 s23, 0
	s_lshl_b64 s[4:5], s[4:5], 2
	s_delay_alu instid0(SALU_CYCLE_1)
	s_add_u32 s4, s20, s4
	s_addc_u32 s5, s21, s5
	s_load_b32 s22, s[2:3], 0x0
	s_load_b32 s21, s[4:5], 0x0
	s_waitcnt lgkmcnt(0)
	v_cmp_eq_f32_e64 s2, s22, 0
	v_cmp_eq_f32_e64 s3, s21, 1.0
	s_delay_alu instid0(VALU_DEP_1) | instskip(NEXT) | instid1(SALU_CYCLE_1)
	s_and_b32 s2, s2, s3
	s_and_b32 vcc_lo, exec_lo, s2
	s_cbranch_vccnz .LBB3_50
; %bb.2:
	s_load_b64 s[6:7], s[0:1], 0x0
	v_and_b32_e32 v12, 0x3ff, v0
	v_bfe_u32 v13, v0, 10, 10
	s_mul_i32 s2, s15, s31
	s_mul_hi_u32 s3, s15, s30
	s_mul_i32 s0, s15, s30
	s_add_i32 s1, s3, s2
	v_lshl_add_u32 v11, v13, 6, v12
	s_lshl_b64 s[0:1], s[0:1], 2
	v_cmp_neq_f32_e64 s4, s22, 0
	s_add_u32 s2, s24, s0
	s_addc_u32 s3, s25, s1
	s_lshl_b64 s[0:1], s[26:27], 2
	s_delay_alu instid0(SALU_CYCLE_1)
	s_add_u32 s5, s2, s0
	v_cmp_gt_u32_e64 s0, 0x100, v11
	s_addc_u32 s20, s3, s1
	s_and_b32 vcc_lo, exec_lo, s4
	s_cbranch_vccnz .LBB3_9
; %bb.3:
	s_mov_b32 s1, 0
                                        ; implicit-def: $vgpr1
                                        ; implicit-def: $vgpr2_vgpr3
	s_and_saveexec_b32 s2, s0
	s_cbranch_execz .LBB3_10
; %bb.4:
	v_lshl_or_b32 v0, s14, 8, v11
	v_mov_b32_e32 v1, 0
	s_waitcnt lgkmcnt(0)
	s_ashr_i32 s9, s6, 31
	s_mov_b32 s8, s6
	s_mov_b32 s3, 0
	s_mov_b32 s0, exec_lo
                                        ; implicit-def: $vgpr2_vgpr3
	v_cmpx_gt_i64_e64 s[8:9], v[0:1]
	s_cbranch_execz .LBB3_8
; %bb.5:
	v_mad_u64_u32 v[2:3], null, v0, s28, 0
	v_cmp_eq_f32_e64 s3, s21, 0
	s_delay_alu instid0(VALU_DEP_1) | instskip(NEXT) | instid1(VALU_DEP_2)
	s_and_b32 vcc_lo, exec_lo, s3
	v_mad_u64_u32 v[4:5], null, v0, s29, v[3:4]
	s_delay_alu instid0(VALU_DEP_1)
	v_mov_b32_e32 v3, v4
	s_cbranch_vccnz .LBB3_7
; %bb.6:
	s_delay_alu instid0(VALU_DEP_1) | instskip(NEXT) | instid1(VALU_DEP_1)
	v_lshlrev_b64 v[0:1], 2, v[2:3]
	v_add_co_u32 v0, vcc_lo, s5, v0
	s_delay_alu instid0(VALU_DEP_2)
	v_add_co_ci_u32_e32 v1, vcc_lo, s20, v1, vcc_lo
	global_load_b32 v0, v[0:1], off
	s_waitcnt vmcnt(0)
	v_mul_f32_e32 v1, s21, v0
.LBB3_7:
	s_mov_b32 s3, exec_lo
.LBB3_8:
	s_or_b32 exec_lo, exec_lo, s0
	s_delay_alu instid0(SALU_CYCLE_1) | instskip(SKIP_1) | instid1(SALU_CYCLE_1)
	s_and_b32 s23, s3, exec_lo
	s_or_b32 exec_lo, exec_lo, s2
	s_and_b32 vcc_lo, exec_lo, s1
	s_cbranch_vccnz .LBB3_11
	s_branch .LBB3_48
.LBB3_9:
                                        ; implicit-def: $vgpr1
                                        ; implicit-def: $vgpr2_vgpr3
	s_cbranch_execnz .LBB3_11
	s_branch .LBB3_48
.LBB3_10:
	s_or_b32 exec_lo, exec_lo, s2
	s_delay_alu instid0(SALU_CYCLE_1)
	s_and_b32 vcc_lo, exec_lo, s1
	s_cbranch_vccz .LBB3_48
.LBB3_11:
	s_mul_i32 s0, s15, s47
	s_mul_hi_u32 s1, s15, s46
	s_lshl_b32 s24, s14, 8
	s_add_i32 s9, s1, s0
	s_waitcnt lgkmcnt(0)
	s_ashr_i32 s1, s7, 31
	v_dual_mov_b32 v14, 0 :: v_dual_lshlrev_b32 v15, 2, v13
	s_lshr_b32 s1, s1, 28
	v_dual_mov_b32 v17, 0 :: v_dual_add_nc_u32 v0, s24, v12
	v_mov_b32_e32 v16, 0
	v_mov_b32_e32 v18, 0
	s_mul_i32 s0, s15, s19
	s_mul_hi_u32 s2, s15, s18
	s_add_i32 s1, s7, s1
	s_mul_i32 s8, s15, s46
	s_and_b32 s25, s1, -16
	s_add_i32 s11, s2, s0
	s_mul_i32 s10, s15, s18
	s_mov_b32 s26, exec_lo
	v_cmpx_gt_i32_e64 s25, v15
	s_cbranch_execz .LBB3_23
; %bb.12:
	v_lshlrev_b32_e32 v14, 2, v13
	v_mad_u64_u32 v[2:3], null, s16, v13, 0
	v_add_nc_u32_e32 v17, 0x80, v0
	s_lshl_b64 s[0:1], s[10:11], 2
	s_delay_alu instid0(VALU_DEP_3)
	v_or_b32_e32 v18, 3, v14
	s_lshl_b64 s[12:13], s[50:51], 2
	s_add_u32 s4, s48, s0
	s_addc_u32 s27, s49, s1
	v_cmp_gt_i32_e64 s1, s6, v17
	v_mad_u64_u32 v[4:5], null, s44, v18, 0
	v_add_nc_u32_e32 v19, 0xc0, v0
	s_lshl_b64 s[18:19], s[42:43], 2
	s_lshl_b64 s[14:15], s[16:17], 6
	;; [unrolled: 1-line block ×3, first 2 shown]
	v_ashrrev_i32_e32 v1, 31, v0
	v_cmp_gt_i32_e64 s2, s6, v19
	s_delay_alu instid0(VALU_DEP_4) | instskip(SKIP_3) | instid1(VALU_DEP_4)
	v_mad_u64_u32 v[6:7], null, s17, v13, v[3:4]
	v_mad_u64_u32 v[7:8], null, s16, v18, 0
	v_add_nc_u32_e32 v16, 64, v0
	v_cmp_gt_i32_e32 vcc_lo, s6, v0
	v_mad_u64_u32 v[9:10], null, s45, v18, v[5:6]
	v_mov_b32_e32 v3, v6
	s_delay_alu instid0(VALU_DEP_4)
	v_cmp_gt_i32_e64 s0, s6, v16
	v_mad_u64_u32 v[29:30], null, s16, v14, s[16:17]
	v_mad_u64_u32 v[31:32], null, s44, v14, s[44:45]
	v_mov_b32_e32 v5, v9
	v_lshlrev_b64 v[16:17], 4, v[2:3]
	v_mov_b32_e32 v3, v8
	v_mad_u64_u32 v[9:10], null, s44, v13, 0
	s_delay_alu instid0(VALU_DEP_4) | instskip(SKIP_2) | instid1(VALU_DEP_1)
	v_lshlrev_b64 v[4:5], 2, v[4:5]
	v_lshlrev_b64 v[1:2], 2, v[0:1]
	v_add_co_u32 v19, s3, s4, v16
	v_add_co_ci_u32_e64 v20, s3, s27, v17, s3
	s_delay_alu instid0(VALU_DEP_4)
	v_mad_u64_u32 v[16:17], null, s17, v18, v[3:4]
	v_or_b32_e32 v18, 2, v14
	s_add_u32 s3, s40, s18
	s_addc_u32 s18, s41, s19
	v_mov_b32_e32 v3, v10
	s_add_u32 s19, s3, s30
	s_addc_u32 s18, s18, s31
	s_delay_alu instid0(VALU_DEP_3)
	v_mov_b32_e32 v8, v16
	v_mad_u64_u32 v[16:17], null, s44, v18, 0
	v_add_co_u32 v21, s3, s19, v4
	v_mad_u64_u32 v[23:24], null, s45, v13, v[3:4]
	v_add_co_ci_u32_e64 v22, s3, s18, v5, s3
	v_lshlrev_b64 v[4:5], 2, v[7:8]
	v_mad_u64_u32 v[27:28], null, s16, v18, 0
	s_delay_alu instid0(VALU_DEP_4) | instskip(NEXT) | instid1(VALU_DEP_3)
	v_dual_mov_b32 v3, v17 :: v_dual_mov_b32 v10, v23
	v_add_co_u32 v23, s3, s4, v4
	s_delay_alu instid0(VALU_DEP_2) | instskip(NEXT) | instid1(VALU_DEP_4)
	v_mad_u64_u32 v[7:8], null, s45, v18, v[3:4]
	v_mov_b32_e32 v6, v28
	v_add_co_ci_u32_e64 v24, s3, s27, v5, s3
	v_lshlrev_b64 v[4:5], 4, v[9:10]
	v_mov_b32_e32 v3, v30
	s_delay_alu instid0(VALU_DEP_4) | instskip(SKIP_1) | instid1(VALU_DEP_3)
	v_mad_u64_u32 v[25:26], null, s17, v18, v[6:7]
	v_mov_b32_e32 v17, v7
	v_mad_u64_u32 v[6:7], null, s17, v14, v[3:4]
	v_dual_mov_b32 v3, v32 :: v_dual_mov_b32 v18, 0
	s_delay_alu instid0(VALU_DEP_4) | instskip(SKIP_1) | instid1(VALU_DEP_1)
	v_mov_b32_e32 v28, v25
	v_add_co_u32 v25, s3, s19, v4
	v_add_co_ci_u32_e64 v26, s3, s18, v5, s3
	v_lshlrev_b64 v[4:5], 2, v[16:17]
	v_mov_b32_e32 v16, 0
	v_dual_mov_b32 v30, v6 :: v_dual_mov_b32 v17, 0
	s_delay_alu instid0(VALU_DEP_3) | instskip(SKIP_2) | instid1(VALU_DEP_4)
	v_mad_u64_u32 v[7:8], null, s45, v14, v[3:4]
	v_lshlrev_b64 v[8:9], 2, v[27:28]
	v_add_co_u32 v27, s3, s19, v4
	v_lshlrev_b64 v[3:4], 2, v[29:30]
	v_add_co_ci_u32_e64 v28, s3, s18, v5, s3
	v_mov_b32_e32 v32, v7
	v_add_co_u32 v29, s3, s4, v8
	s_delay_alu instid0(VALU_DEP_1) | instskip(NEXT) | instid1(VALU_DEP_3)
	v_add_co_ci_u32_e64 v30, s3, s27, v9, s3
	v_lshlrev_b64 v[5:6], 2, v[31:32]
	v_add_co_u32 v31, s3, s4, v3
	s_delay_alu instid0(VALU_DEP_1) | instskip(SKIP_1) | instid1(VALU_DEP_4)
	v_add_co_ci_u32_e64 v32, s3, s27, v4, s3
	v_mov_b32_e32 v14, 0
	v_add_co_u32 v33, s3, s19, v5
	s_delay_alu instid0(VALU_DEP_1)
	v_add_co_ci_u32_e64 v34, s3, s18, v6, s3
	s_lshl_b64 s[18:19], s[44:45], 6
	s_mov_b32 s27, 0
	s_branch .LBB3_17
.LBB3_13:                               ;   in Loop: Header=BB3_17 Depth=1
	s_or_b32 exec_lo, exec_lo, s31
	s_waitcnt vmcnt(3)
	v_fmac_f32_e32 v17, v36, v50
	s_waitcnt vmcnt(2)
	s_delay_alu instid0(VALU_DEP_1) | instskip(SKIP_1) | instid1(VALU_DEP_1)
	v_fmac_f32_e32 v17, v35, v49
	s_waitcnt vmcnt(1)
	v_fmac_f32_e32 v17, v37, v48
	s_waitcnt vmcnt(0)
	s_delay_alu instid0(VALU_DEP_1)
	v_fmac_f32_e32 v17, v38, v47
.LBB3_14:                               ;   in Loop: Header=BB3_17 Depth=1
	s_or_b32 exec_lo, exec_lo, s30
	s_waitcnt vmcnt(3)
	v_fmac_f32_e32 v16, v36, v46
	s_waitcnt vmcnt(2)
	s_delay_alu instid0(VALU_DEP_1) | instskip(SKIP_1) | instid1(VALU_DEP_1)
	v_fmac_f32_e32 v16, v35, v45
	s_waitcnt vmcnt(1)
	v_fmac_f32_e32 v16, v37, v44
	s_waitcnt vmcnt(0)
	s_delay_alu instid0(VALU_DEP_1)
	v_fmac_f32_e32 v16, v38, v43
.LBB3_15:                               ;   in Loop: Header=BB3_17 Depth=1
	s_or_b32 exec_lo, exec_lo, s3
	s_waitcnt vmcnt(3)
	v_fmac_f32_e32 v14, v36, v42
	s_waitcnt vmcnt(2)
	s_delay_alu instid0(VALU_DEP_1) | instskip(SKIP_1) | instid1(VALU_DEP_1)
	v_fmac_f32_e32 v14, v35, v40
	s_waitcnt vmcnt(1)
	v_fmac_f32_e32 v14, v37, v39
	s_waitcnt vmcnt(0)
	s_delay_alu instid0(VALU_DEP_1)
	v_fmac_f32_e32 v14, v38, v41
.LBB3_16:                               ;   in Loop: Header=BB3_17 Depth=1
	s_or_b32 exec_lo, exec_lo, s4
	v_add_co_u32 v19, s3, v19, s14
	s_delay_alu instid0(VALU_DEP_1) | instskip(SKIP_1) | instid1(VALU_DEP_1)
	v_add_co_ci_u32_e64 v20, s3, s15, v20, s3
	v_add_co_u32 v21, s3, v21, s18
	v_add_co_ci_u32_e64 v22, s3, s19, v22, s3
	v_add_co_u32 v23, s3, v23, s14
	s_delay_alu instid0(VALU_DEP_1) | instskip(SKIP_1) | instid1(VALU_DEP_1)
	v_add_co_ci_u32_e64 v24, s3, s15, v24, s3
	v_add_co_u32 v25, s3, v25, s18
	v_add_co_ci_u32_e64 v26, s3, s19, v26, s3
	v_add_co_u32 v27, s3, v27, s18
	s_delay_alu instid0(VALU_DEP_1) | instskip(SKIP_4) | instid1(VALU_DEP_1)
	v_add_co_ci_u32_e64 v28, s3, s19, v28, s3
	v_add_co_u32 v29, s3, v29, s14
	v_add_nc_u32_e32 v15, 16, v15
	v_add_co_ci_u32_e64 v30, s3, s15, v30, s3
	v_add_co_u32 v31, s3, v31, s14
	v_add_co_ci_u32_e64 v32, s3, s15, v32, s3
	s_delay_alu instid0(VALU_DEP_4) | instskip(SKIP_1) | instid1(VALU_DEP_1)
	v_cmp_le_i32_e64 s3, s25, v15
	v_add_co_u32 v33, s4, v33, s18
	v_add_co_ci_u32_e64 v34, s4, s19, v34, s4
	s_delay_alu instid0(VALU_DEP_3) | instskip(NEXT) | instid1(SALU_CYCLE_1)
	s_or_b32 s27, s3, s27
	s_and_not1_b32 exec_lo, exec_lo, s27
	s_cbranch_execz .LBB3_22
.LBB3_17:                               ; =>This Inner Loop Header: Depth=1
	s_and_saveexec_b32 s4, vcc_lo
	s_cbranch_execz .LBB3_16
; %bb.18:                               ;   in Loop: Header=BB3_17 Depth=1
	v_add_co_u32 v3, s3, v19, s12
	s_delay_alu instid0(VALU_DEP_1) | instskip(SKIP_1) | instid1(VALU_DEP_1)
	v_add_co_ci_u32_e64 v4, s3, s13, v20, s3
	v_add_co_u32 v5, s3, v31, s12
	v_add_co_ci_u32_e64 v6, s3, s13, v32, s3
	v_add_co_u32 v7, s3, v29, s12
	s_delay_alu instid0(VALU_DEP_1) | instskip(SKIP_1) | instid1(VALU_DEP_1)
	v_add_co_ci_u32_e64 v8, s3, s13, v30, s3
	v_add_co_u32 v38, s3, v23, s12
	v_add_co_ci_u32_e64 v39, s3, s13, v24, s3
	global_load_b32 v36, v[3:4], off
	global_load_b32 v35, v[5:6], off
	;; [unrolled: 1-line block ×3, first 2 shown]
	v_add_co_u32 v3, s3, v25, v1
	s_delay_alu instid0(VALU_DEP_1) | instskip(SKIP_1) | instid1(VALU_DEP_1)
	v_add_co_ci_u32_e64 v4, s3, v26, v2, s3
	v_add_co_u32 v5, s3, v33, v1
	v_add_co_ci_u32_e64 v6, s3, v34, v2, s3
	v_add_co_u32 v7, s3, v27, v1
	s_delay_alu instid0(VALU_DEP_1) | instskip(SKIP_1) | instid1(VALU_DEP_1)
	v_add_co_ci_u32_e64 v8, s3, v28, v2, s3
	v_add_co_u32 v9, s3, v21, v1
	v_add_co_ci_u32_e64 v10, s3, v22, v2, s3
	global_load_b32 v38, v[38:39], off
	global_load_b32 v42, v[3:4], off
	;; [unrolled: 1-line block ×5, first 2 shown]
	s_and_saveexec_b32 s3, s0
	s_cbranch_execz .LBB3_15
; %bb.19:                               ;   in Loop: Header=BB3_17 Depth=1
	global_load_b32 v46, v[3:4], off offset:256
	global_load_b32 v45, v[5:6], off offset:256
	global_load_b32 v44, v[7:8], off offset:256
	global_load_b32 v43, v[9:10], off offset:256
	s_and_saveexec_b32 s30, s1
	s_cbranch_execz .LBB3_14
; %bb.20:                               ;   in Loop: Header=BB3_17 Depth=1
	global_load_b32 v50, v[3:4], off offset:512
	global_load_b32 v49, v[5:6], off offset:512
	global_load_b32 v48, v[7:8], off offset:512
	global_load_b32 v47, v[9:10], off offset:512
	;; [unrolled: 7-line block ×3, first 2 shown]
	s_waitcnt vmcnt(3)
	v_fmac_f32_e32 v18, v36, v3
	s_waitcnt vmcnt(2)
	s_delay_alu instid0(VALU_DEP_1) | instskip(SKIP_1) | instid1(VALU_DEP_1)
	v_fmac_f32_e32 v18, v35, v4
	s_waitcnt vmcnt(1)
	v_fmac_f32_e32 v18, v37, v5
	s_waitcnt vmcnt(0)
	s_delay_alu instid0(VALU_DEP_1)
	v_fmac_f32_e32 v18, v38, v6
	s_branch .LBB3_13
.LBB3_22:
	s_or_b32 exec_lo, exec_lo, s27
.LBB3_23:
	s_delay_alu instid0(SALU_CYCLE_1) | instskip(SKIP_1) | instid1(SALU_CYCLE_1)
	s_or_b32 exec_lo, exec_lo, s26
	s_sub_i32 s0, s7, s25
	s_cmp_lt_i32 s0, 1
	s_cbranch_scc1 .LBB3_41
; %bb.24:
	v_cmp_gt_i32_e32 vcc_lo, s7, v15
	v_dual_mov_b32 v19, 0 :: v_dual_mov_b32 v20, 0
	v_or_b32_e32 v2, 1, v15
	v_dual_mov_b32 v10, 0 :: v_dual_mov_b32 v9, 0
	s_and_saveexec_b32 s1, vcc_lo
	s_cbranch_execz .LBB3_32
; %bb.25:
	v_mad_u64_u32 v[3:4], null, v15, s16, 0
	s_lshl_b64 s[2:3], s[10:11], 2
	v_dual_mov_b32 v20, 0 :: v_dual_mov_b32 v19, 0
	s_add_u32 s0, s48, s2
	s_addc_u32 s2, s49, s3
	s_lshl_b64 s[10:11], s[50:51], 2
	s_delay_alu instid0(VALU_DEP_2) | instskip(SKIP_3) | instid1(VALU_DEP_1)
	v_dual_mov_b32 v1, v4 :: v_dual_mov_b32 v10, 0
	s_add_u32 s3, s0, s10
	s_addc_u32 s4, s2, s11
	s_mov_b32 s2, exec_lo
	v_mad_u64_u32 v[4:5], null, v15, s17, v[1:2]
	s_delay_alu instid0(VALU_DEP_1) | instskip(NEXT) | instid1(VALU_DEP_1)
	v_lshlrev_b64 v[3:4], 2, v[3:4]
	v_add_co_u32 v3, s0, s3, v3
	s_delay_alu instid0(VALU_DEP_1)
	v_add_co_ci_u32_e64 v4, s0, s4, v4, s0
	global_load_b32 v9, v[3:4], off
	v_cmpx_gt_i32_e64 s7, v2
	s_cbranch_execz .LBB3_31
; %bb.26:
	v_mad_u64_u32 v[3:4], null, v2, s16, 0
	v_mov_b32_e32 v19, 0
	s_mov_b32 s10, exec_lo
	s_delay_alu instid0(VALU_DEP_2) | instskip(NEXT) | instid1(VALU_DEP_1)
	v_dual_mov_b32 v20, 0 :: v_dual_mov_b32 v1, v4
	v_mad_u64_u32 v[4:5], null, v2, s17, v[1:2]
	v_or_b32_e32 v1, 2, v15
	s_delay_alu instid0(VALU_DEP_2) | instskip(NEXT) | instid1(VALU_DEP_1)
	v_lshlrev_b64 v[3:4], 2, v[3:4]
	v_add_co_u32 v3, s0, s3, v3
	s_delay_alu instid0(VALU_DEP_1)
	v_add_co_ci_u32_e64 v4, s0, s4, v4, s0
	global_load_b32 v10, v[3:4], off
	v_cmpx_gt_i32_e64 s7, v1
	s_cbranch_execz .LBB3_30
; %bb.27:
	v_mad_u64_u32 v[3:4], null, v1, s16, 0
	s_mov_b32 s11, exec_lo
	v_mov_b32_e32 v19, 0
	s_delay_alu instid0(VALU_DEP_2) | instskip(SKIP_1) | instid1(VALU_DEP_2)
	v_mad_u64_u32 v[5:6], null, v1, s17, v[4:5]
	v_or_b32_e32 v1, 3, v15
	v_mov_b32_e32 v4, v5
	s_delay_alu instid0(VALU_DEP_1) | instskip(NEXT) | instid1(VALU_DEP_1)
	v_lshlrev_b64 v[3:4], 2, v[3:4]
	v_add_co_u32 v3, s0, s3, v3
	s_delay_alu instid0(VALU_DEP_1)
	v_add_co_ci_u32_e64 v4, s0, s4, v4, s0
	global_load_b32 v20, v[3:4], off
	v_cmpx_gt_i32_e64 s7, v1
	s_cbranch_execz .LBB3_29
; %bb.28:
	v_mad_u64_u32 v[3:4], null, v1, s16, 0
	s_delay_alu instid0(VALU_DEP_1) | instskip(NEXT) | instid1(VALU_DEP_1)
	v_mad_u64_u32 v[5:6], null, v1, s17, v[4:5]
	v_mov_b32_e32 v4, v5
	s_delay_alu instid0(VALU_DEP_1) | instskip(NEXT) | instid1(VALU_DEP_1)
	v_lshlrev_b64 v[3:4], 2, v[3:4]
	v_add_co_u32 v3, s0, s3, v3
	s_delay_alu instid0(VALU_DEP_1)
	v_add_co_ci_u32_e64 v4, s0, s4, v4, s0
	global_load_b32 v19, v[3:4], off
.LBB3_29:
	s_or_b32 exec_lo, exec_lo, s11
.LBB3_30:
	s_delay_alu instid0(SALU_CYCLE_1)
	s_or_b32 exec_lo, exec_lo, s10
.LBB3_31:
	s_delay_alu instid0(SALU_CYCLE_1)
	s_or_b32 exec_lo, exec_lo, s2
.LBB3_32:
	s_delay_alu instid0(SALU_CYCLE_1) | instskip(NEXT) | instid1(SALU_CYCLE_1)
	s_or_b32 exec_lo, exec_lo, s1
	s_mov_b32 s1, exec_lo
	v_cmpx_gt_i32_e64 s6, v0
	s_cbranch_execz .LBB3_40
; %bb.33:
	v_mad_u64_u32 v[3:4], null, v15, s44, 0
	v_mad_u64_u32 v[5:6], null, v2, s44, 0
	v_ashrrev_i32_e32 v1, 31, v0
	s_lshl_b64 s[2:3], s[8:9], 2
	v_or_b32_e32 v28, 2, v15
	s_add_u32 s0, s40, s2
	s_delay_alu instid0(VALU_DEP_4)
	v_cndmask_b32_e32 v3, 0, v3, vcc_lo
	v_lshlrev_b64 v[21:22], 2, v[0:1]
	v_mad_u64_u32 v[7:8], null, v15, s45, v[4:5]
	s_addc_u32 s4, s41, s3
	s_lshl_b64 s[2:3], s[42:43], 2
	v_or_b32_e32 v15, 3, v15
	s_add_u32 s2, s0, s2
	v_mov_b32_e32 v1, v6
	v_mad_u64_u32 v[23:24], null, v28, s44, 0
	s_delay_alu instid0(VALU_DEP_4) | instskip(SKIP_1) | instid1(VALU_DEP_4)
	v_cndmask_b32_e32 v4, 0, v7, vcc_lo
	v_cmp_gt_i32_e32 vcc_lo, s7, v2
	v_mad_u64_u32 v[25:26], null, v2, s45, v[1:2]
	s_addc_u32 s3, s4, s3
	v_mad_u64_u32 v[6:7], null, v15, s44, 0
	v_cndmask_b32_e32 v26, 0, v5, vcc_lo
	v_lshlrev_b64 v[3:4], 2, v[3:4]
	s_delay_alu instid0(VALU_DEP_4) | instskip(NEXT) | instid1(VALU_DEP_2)
	v_cndmask_b32_e32 v27, 0, v25, vcc_lo
	v_add_co_u32 v1, s0, s2, v3
	s_delay_alu instid0(VALU_DEP_1) | instskip(NEXT) | instid1(VALU_DEP_3)
	v_add_co_ci_u32_e64 v2, s0, s3, v4, s0
	v_lshlrev_b64 v[3:4], 2, v[26:27]
	s_delay_alu instid0(VALU_DEP_3) | instskip(NEXT) | instid1(VALU_DEP_3)
	v_add_co_u32 v1, vcc_lo, v1, v21
	v_add_co_ci_u32_e32 v2, vcc_lo, v2, v22, vcc_lo
	v_cmp_gt_i32_e32 vcc_lo, s7, v28
	v_mov_b32_e32 v5, v24
	v_add_co_u32 v3, s0, s2, v3
	s_delay_alu instid0(VALU_DEP_1) | instskip(NEXT) | instid1(VALU_DEP_3)
	v_add_co_ci_u32_e64 v4, s0, s3, v4, s0
	v_mad_u64_u32 v[24:25], null, v28, s45, v[5:6]
	v_mov_b32_e32 v5, v7
	v_cndmask_b32_e32 v7, 0, v23, vcc_lo
	s_mov_b32 s0, exec_lo
	s_delay_alu instid0(VALU_DEP_3)
	v_cndmask_b32_e32 v8, 0, v24, vcc_lo
	v_add_co_u32 v3, vcc_lo, v3, v21
	v_add_co_ci_u32_e32 v4, vcc_lo, v4, v22, vcc_lo
	v_mad_u64_u32 v[23:24], null, v15, s45, v[5:6]
	s_clause 0x1
	global_load_b32 v24, v[1:2], off
	global_load_b32 v25, v[3:4], off
	v_cmp_gt_i32_e32 vcc_lo, s7, v15
	s_waitcnt vmcnt(1)
	v_fmac_f32_e32 v14, v9, v24
	s_waitcnt vmcnt(0)
	s_delay_alu instid0(VALU_DEP_1) | instskip(SKIP_2) | instid1(VALU_DEP_2)
	v_fmac_f32_e32 v14, v10, v25
	v_lshlrev_b64 v[7:8], 2, v[7:8]
	v_dual_cndmask_b32 v5, 0, v6 :: v_dual_cndmask_b32 v6, 0, v23
	v_add_co_u32 v15, vcc_lo, s2, v7
	s_delay_alu instid0(VALU_DEP_3) | instskip(NEXT) | instid1(VALU_DEP_3)
	v_add_co_ci_u32_e32 v23, vcc_lo, s3, v8, vcc_lo
	v_lshlrev_b64 v[7:8], 2, v[5:6]
	s_delay_alu instid0(VALU_DEP_3) | instskip(NEXT) | instid1(VALU_DEP_3)
	v_add_co_u32 v5, vcc_lo, v15, v21
	v_add_co_ci_u32_e32 v6, vcc_lo, v23, v22, vcc_lo
	s_delay_alu instid0(VALU_DEP_3) | instskip(NEXT) | instid1(VALU_DEP_4)
	v_add_co_u32 v7, vcc_lo, s2, v7
	v_add_co_ci_u32_e32 v8, vcc_lo, s3, v8, vcc_lo
	global_load_b32 v23, v[5:6], off
	v_add_co_u32 v7, vcc_lo, v7, v21
	v_add_co_ci_u32_e32 v8, vcc_lo, v8, v22, vcc_lo
	v_add_nc_u32_e32 v21, 64, v0
	global_load_b32 v15, v[7:8], off
	s_waitcnt vmcnt(1)
	v_fmac_f32_e32 v14, v20, v23
	v_cmpx_gt_i32_e64 s6, v21
	s_cbranch_execz .LBB3_39
; %bb.34:
	s_clause 0x3
	global_load_b32 v22, v[1:2], off offset:256
	global_load_b32 v23, v[3:4], off offset:256
	;; [unrolled: 1-line block ×4, first 2 shown]
	s_mov_b32 s2, exec_lo
	s_waitcnt vmcnt(3)
	v_fmac_f32_e32 v16, v9, v22
	v_add_nc_u32_e32 v22, 0x80, v0
	s_waitcnt vmcnt(2)
	s_delay_alu instid0(VALU_DEP_2) | instskip(SKIP_1) | instid1(VALU_DEP_1)
	v_fmac_f32_e32 v16, v10, v23
	s_waitcnt vmcnt(1)
	v_fmac_f32_e32 v16, v20, v24
	v_cmpx_gt_i32_e64 s6, v22
	s_cbranch_execz .LBB3_38
; %bb.35:
	s_clause 0x3
	global_load_b32 v23, v[1:2], off offset:512
	global_load_b32 v24, v[3:4], off offset:512
	;; [unrolled: 1-line block ×4, first 2 shown]
	s_mov_b32 s3, exec_lo
	s_waitcnt vmcnt(3)
	v_dual_fmac_f32 v17, v9, v23 :: v_dual_add_nc_u32 v0, 0xc0, v0
	s_waitcnt vmcnt(2)
	s_delay_alu instid0(VALU_DEP_1) | instskip(SKIP_1) | instid1(VALU_DEP_1)
	v_fmac_f32_e32 v17, v10, v24
	s_waitcnt vmcnt(1)
	v_fmac_f32_e32 v17, v20, v25
	v_cmpx_gt_i32_e64 s6, v0
	s_cbranch_execz .LBB3_37
; %bb.36:
	s_clause 0x3
	global_load_b32 v0, v[1:2], off offset:768
	global_load_b32 v1, v[3:4], off offset:768
	;; [unrolled: 1-line block ×4, first 2 shown]
	s_waitcnt vmcnt(3)
	v_fmac_f32_e32 v18, v9, v0
	s_waitcnt vmcnt(2)
	s_delay_alu instid0(VALU_DEP_1) | instskip(SKIP_1) | instid1(VALU_DEP_1)
	v_fmac_f32_e32 v18, v10, v1
	s_waitcnt vmcnt(1)
	v_fmac_f32_e32 v18, v20, v2
	s_waitcnt vmcnt(0)
	s_delay_alu instid0(VALU_DEP_1)
	v_fmac_f32_e32 v18, v19, v3
.LBB3_37:
	s_or_b32 exec_lo, exec_lo, s3
	s_waitcnt vmcnt(0)
	v_fmac_f32_e32 v17, v19, v22
.LBB3_38:
	s_or_b32 exec_lo, exec_lo, s2
	s_waitcnt vmcnt(0)
	v_fmac_f32_e32 v16, v19, v21
.LBB3_39:
	s_or_b32 exec_lo, exec_lo, s0
	s_waitcnt vmcnt(0)
	v_fmac_f32_e32 v14, v19, v15
.LBB3_40:
	s_or_b32 exec_lo, exec_lo, s1
.LBB3_41:
	v_lshlrev_b32_e32 v0, 8, v13
	s_mov_b32 s0, exec_lo
                                        ; implicit-def: $vgpr1
                                        ; implicit-def: $vgpr2_vgpr3
	s_delay_alu instid0(VALU_DEP_1)
	v_add_lshl_u32 v0, v0, v12, 2
	ds_store_2addr_stride64_b32 v0, v14, v16 offset1:1
	ds_store_2addr_stride64_b32 v0, v17, v18 offset0:2 offset1:3
	s_waitcnt vmcnt(0) lgkmcnt(0)
	s_barrier
	buffer_gl0_inv
	v_cmpx_gt_u32_e32 0x100, v11
	s_cbranch_execz .LBB3_47
; %bb.42:
	v_lshlrev_b32_e32 v5, 2, v11
	v_or_b32_e32 v4, s24, v11
	s_mov_b32 s2, s23
	s_mov_b32 s1, exec_lo
	ds_load_2addr_stride64_b32 v[0:1], v5 offset1:4
	ds_load_2addr_stride64_b32 v[2:3], v5 offset0:8 offset1:12
	s_waitcnt lgkmcnt(1)
	v_add_f32_e32 v0, v0, v1
                                        ; implicit-def: $vgpr1
	s_waitcnt lgkmcnt(0)
	s_delay_alu instid0(VALU_DEP_1) | instskip(NEXT) | instid1(VALU_DEP_1)
	v_add_f32_e32 v0, v2, v0
	v_add_f32_e32 v0, v3, v0
                                        ; implicit-def: $vgpr2_vgpr3
	ds_store_b32 v5, v0
	v_cmpx_gt_i32_e64 s6, v4
	s_cbranch_execz .LBB3_46
; %bb.43:
	v_ashrrev_i32_e32 v1, 31, v4
	v_mul_lo_u32 v5, v4, s29
	v_mad_u64_u32 v[2:3], null, v4, s28, 0
	v_cmp_eq_f32_e64 s2, s21, 0
	s_delay_alu instid0(VALU_DEP_4) | instskip(SKIP_1) | instid1(VALU_DEP_3)
	v_mul_lo_u32 v4, v1, s28
	v_mul_f32_e32 v1, s22, v0
	s_and_b32 vcc_lo, exec_lo, s2
	s_delay_alu instid0(VALU_DEP_2)
	v_add3_u32 v3, v3, v5, v4
	s_cbranch_vccnz .LBB3_45
; %bb.44:
	s_delay_alu instid0(VALU_DEP_1) | instskip(NEXT) | instid1(VALU_DEP_1)
	v_lshlrev_b64 v[4:5], 2, v[2:3]
	v_add_co_u32 v4, vcc_lo, s5, v4
	s_delay_alu instid0(VALU_DEP_2)
	v_add_co_ci_u32_e32 v5, vcc_lo, s20, v5, vcc_lo
	global_load_b32 v0, v[4:5], off
	s_waitcnt vmcnt(0)
	v_fmac_f32_e32 v1, s21, v0
.LBB3_45:
	s_or_b32 s2, s23, exec_lo
.LBB3_46:
	s_or_b32 exec_lo, exec_lo, s1
	s_delay_alu instid0(SALU_CYCLE_1) | instskip(SKIP_1) | instid1(SALU_CYCLE_1)
	s_and_not1_b32 s1, s23, exec_lo
	s_and_b32 s2, s2, exec_lo
	s_or_b32 s23, s1, s2
.LBB3_47:
	s_or_b32 exec_lo, exec_lo, s0
.LBB3_48:
	s_and_saveexec_b32 s0, s23
	s_cbranch_execz .LBB3_50
; %bb.49:
	v_lshlrev_b64 v[2:3], 2, v[2:3]
	s_delay_alu instid0(VALU_DEP_1) | instskip(NEXT) | instid1(VALU_DEP_2)
	v_add_co_u32 v2, vcc_lo, s5, v2
	v_add_co_ci_u32_e32 v3, vcc_lo, s20, v3, vcc_lo
	global_store_b32 v[2:3], v1, off
.LBB3_50:
	s_nop 0
	s_sendmsg sendmsg(MSG_DEALLOC_VGPRS)
	s_endpgm
	.section	.rodata,"a",@progbits
	.p2align	6, 0x0
	.amdhsa_kernel _ZL20rocblas_gemvn_kernelILi64ELi4ElfPKffEviiT3_lPKT2_lT1_lS5_lS6_lS2_lPT4_lS6_li
		.amdhsa_group_segment_fixed_size 4096
		.amdhsa_private_segment_fixed_size 0
		.amdhsa_kernarg_size 400
		.amdhsa_user_sgpr_count 14
		.amdhsa_user_sgpr_dispatch_ptr 0
		.amdhsa_user_sgpr_queue_ptr 0
		.amdhsa_user_sgpr_kernarg_segment_ptr 1
		.amdhsa_user_sgpr_dispatch_id 0
		.amdhsa_user_sgpr_private_segment_size 0
		.amdhsa_wavefront_size32 1
		.amdhsa_uses_dynamic_stack 0
		.amdhsa_enable_private_segment 0
		.amdhsa_system_sgpr_workgroup_id_x 1
		.amdhsa_system_sgpr_workgroup_id_y 0
		.amdhsa_system_sgpr_workgroup_id_z 1
		.amdhsa_system_sgpr_workgroup_info 0
		.amdhsa_system_vgpr_workitem_id 1
		.amdhsa_next_free_vgpr 51
		.amdhsa_next_free_sgpr 52
		.amdhsa_reserve_vcc 1
		.amdhsa_float_round_mode_32 0
		.amdhsa_float_round_mode_16_64 0
		.amdhsa_float_denorm_mode_32 3
		.amdhsa_float_denorm_mode_16_64 3
		.amdhsa_dx10_clamp 1
		.amdhsa_ieee_mode 1
		.amdhsa_fp16_overflow 0
		.amdhsa_workgroup_processor_mode 1
		.amdhsa_memory_ordered 1
		.amdhsa_forward_progress 0
		.amdhsa_shared_vgpr_count 0
		.amdhsa_exception_fp_ieee_invalid_op 0
		.amdhsa_exception_fp_denorm_src 0
		.amdhsa_exception_fp_ieee_div_zero 0
		.amdhsa_exception_fp_ieee_overflow 0
		.amdhsa_exception_fp_ieee_underflow 0
		.amdhsa_exception_fp_ieee_inexact 0
		.amdhsa_exception_int_div_zero 0
	.end_amdhsa_kernel
	.section	.text._ZL20rocblas_gemvn_kernelILi64ELi4ElfPKffEviiT3_lPKT2_lT1_lS5_lS6_lS2_lPT4_lS6_li,"axG",@progbits,_ZL20rocblas_gemvn_kernelILi64ELi4ElfPKffEviiT3_lPKT2_lT1_lS5_lS6_lS2_lPT4_lS6_li,comdat
.Lfunc_end3:
	.size	_ZL20rocblas_gemvn_kernelILi64ELi4ElfPKffEviiT3_lPKT2_lT1_lS5_lS6_lS2_lPT4_lS6_li, .Lfunc_end3-_ZL20rocblas_gemvn_kernelILi64ELi4ElfPKffEviiT3_lPKT2_lT1_lS5_lS6_lS2_lPT4_lS6_li
                                        ; -- End function
	.section	.AMDGPU.csdata,"",@progbits
; Kernel info:
; codeLenInByte = 3360
; NumSgprs: 54
; NumVgprs: 51
; ScratchSize: 0
; MemoryBound: 0
; FloatMode: 240
; IeeeMode: 1
; LDSByteSize: 4096 bytes/workgroup (compile time only)
; SGPRBlocks: 6
; VGPRBlocks: 6
; NumSGPRsForWavesPerEU: 54
; NumVGPRsForWavesPerEU: 51
; Occupancy: 16
; WaveLimiterHint : 0
; COMPUTE_PGM_RSRC2:SCRATCH_EN: 0
; COMPUTE_PGM_RSRC2:USER_SGPR: 14
; COMPUTE_PGM_RSRC2:TRAP_HANDLER: 0
; COMPUTE_PGM_RSRC2:TGID_X_EN: 1
; COMPUTE_PGM_RSRC2:TGID_Y_EN: 0
; COMPUTE_PGM_RSRC2:TGID_Z_EN: 1
; COMPUTE_PGM_RSRC2:TIDIG_COMP_CNT: 1
	.section	.text._ZL20rocblas_gemvn_kernelILi64ELi4EifffEviiT3_lPKT2_lT1_lS3_lS4_lS0_lPT4_lS4_li,"axG",@progbits,_ZL20rocblas_gemvn_kernelILi64ELi4EifffEviiT3_lPKT2_lT1_lS3_lS4_lS0_lPT4_lS4_li,comdat
	.globl	_ZL20rocblas_gemvn_kernelILi64ELi4EifffEviiT3_lPKT2_lT1_lS3_lS4_lS0_lPT4_lS4_li ; -- Begin function _ZL20rocblas_gemvn_kernelILi64ELi4EifffEviiT3_lPKT2_lT1_lS3_lS4_lS0_lPT4_lS4_li
	.p2align	8
	.type	_ZL20rocblas_gemvn_kernelILi64ELi4EifffEviiT3_lPKT2_lT1_lS3_lS4_lS0_lPT4_lS4_li,@function
_ZL20rocblas_gemvn_kernelILi64ELi4EifffEviiT3_lPKT2_lT1_lS3_lS4_lS0_lPT4_lS4_li: ; @_ZL20rocblas_gemvn_kernelILi64ELi4EifffEviiT3_lPKT2_lT1_lS3_lS4_lS0_lPT4_lS4_li
; %bb.0:
	s_load_b64 s[2:3], s[0:1], 0x9c
	s_waitcnt lgkmcnt(0)
	s_lshr_b32 s4, s2, 16
	s_and_b32 s2, s2, 0xffff
	s_and_b32 s3, s3, 0xffff
	s_mul_i32 s2, s4, s2
	s_delay_alu instid0(SALU_CYCLE_1) | instskip(NEXT) | instid1(SALU_CYCLE_1)
	s_mul_i32 s2, s2, s3
	s_cmpk_lg_i32 s2, 0x100
	s_cbranch_scc1 .LBB4_50
; %bb.1:
	s_clause 0x1
	s_load_b128 s[4:7], s[0:1], 0x0
	s_load_b32 s13, s[0:1], 0x58
	s_mov_b32 s16, 0
	s_waitcnt lgkmcnt(0)
	v_cmp_eq_f32_e64 s2, s6, 0
	v_cmp_eq_f32_e64 s3, s13, 1.0
	s_delay_alu instid0(VALU_DEP_1) | instskip(NEXT) | instid1(SALU_CYCLE_1)
	s_and_b32 s2, s2, s3
	s_and_b32 vcc_lo, exec_lo, s2
	s_cbranch_vccnz .LBB4_50
; %bb.2:
	s_clause 0x2
	s_load_b64 s[2:3], s[0:1], 0x80
	s_load_b128 s[8:11], s[0:1], 0x68
	s_load_b32 s17, s[0:1], 0x78
	v_and_b32_e32 v1, 0x3ff, v0
	v_bfe_u32 v13, v0, 10, 10
	v_cmp_neq_f32_e64 s18, s6, 0
	s_delay_alu instid0(VALU_DEP_2)
	v_lshl_add_u32 v0, v13, 6, v1
	s_waitcnt lgkmcnt(0)
	s_mul_i32 s3, s15, s3
	s_mul_hi_u32 s7, s15, s2
	s_mul_i32 s2, s15, s2
	s_add_i32 s3, s7, s3
	s_delay_alu instid0(SALU_CYCLE_1) | instskip(NEXT) | instid1(SALU_CYCLE_1)
	s_lshl_b64 s[2:3], s[2:3], 2
	s_add_u32 s7, s8, s2
	s_addc_u32 s8, s9, s3
	s_lshl_b64 s[2:3], s[10:11], 2
	s_delay_alu instid0(SALU_CYCLE_1)
	s_add_u32 s7, s7, s2
	v_cmp_gt_u32_e64 s2, 0x100, v0
	s_addc_u32 s12, s8, s3
	s_and_b32 vcc_lo, exec_lo, s18
	s_cbranch_vccnz .LBB4_9
; %bb.3:
	s_mov_b32 s3, 0
                                        ; implicit-def: $vgpr3
                                        ; implicit-def: $vgpr4_vgpr5
	s_and_saveexec_b32 s8, s2
	s_cbranch_execz .LBB4_10
; %bb.4:
	v_lshl_or_b32 v2, s14, 8, v0
	v_mov_b32_e32 v3, 0
	s_ashr_i32 s11, s4, 31
	s_mov_b32 s10, s4
	s_mov_b32 s9, 0
	s_mov_b32 s2, exec_lo
                                        ; implicit-def: $vgpr4_vgpr5
	v_cmpx_gt_i64_e64 s[10:11], v[2:3]
	s_cbranch_execz .LBB4_8
; %bb.5:
	v_mad_u64_u32 v[4:5], null, s17, v2, 0
	s_ashr_i32 s9, s17, 31
	s_delay_alu instid0(VALU_DEP_1) | instid1(SALU_CYCLE_1)
	v_mad_u64_u32 v[6:7], null, s9, v2, v[5:6]
	v_cmp_eq_f32_e64 s9, s13, 0
	s_delay_alu instid0(VALU_DEP_1) | instskip(NEXT) | instid1(VALU_DEP_2)
	s_and_b32 vcc_lo, exec_lo, s9
	v_mov_b32_e32 v5, v6
	s_cbranch_vccnz .LBB4_7
; %bb.6:
	s_delay_alu instid0(VALU_DEP_1) | instskip(NEXT) | instid1(VALU_DEP_1)
	v_lshlrev_b64 v[2:3], 2, v[4:5]
	v_add_co_u32 v2, vcc_lo, s7, v2
	s_delay_alu instid0(VALU_DEP_2)
	v_add_co_ci_u32_e32 v3, vcc_lo, s12, v3, vcc_lo
	global_load_b32 v2, v[2:3], off
	s_waitcnt vmcnt(0)
	v_mul_f32_e32 v3, s13, v2
.LBB4_7:
	s_mov_b32 s9, exec_lo
.LBB4_8:
	s_or_b32 exec_lo, exec_lo, s2
	s_delay_alu instid0(SALU_CYCLE_1) | instskip(SKIP_1) | instid1(SALU_CYCLE_1)
	s_and_b32 s16, s9, exec_lo
	s_or_b32 exec_lo, exec_lo, s8
	s_and_b32 vcc_lo, exec_lo, s3
	s_cbranch_vccnz .LBB4_11
	s_branch .LBB4_48
.LBB4_9:
                                        ; implicit-def: $vgpr3
                                        ; implicit-def: $vgpr4_vgpr5
	s_cbranch_execnz .LBB4_11
	s_branch .LBB4_48
.LBB4_10:
	s_or_b32 exec_lo, exec_lo, s8
	s_delay_alu instid0(SALU_CYCLE_1)
	s_and_b32 vcc_lo, exec_lo, s3
	s_cbranch_vccz .LBB4_48
.LBB4_11:
	s_clause 0x4
	s_load_b128 s[8:11], s[0:1], 0x30
	s_load_b64 s[2:3], s[0:1], 0x50
	s_load_b128 s[20:23], s[0:1], 0x18
	s_load_b32 s19, s[0:1], 0x28
	s_load_b64 s[24:25], s[0:1], 0x40
	v_dual_mov_b32 v14, 0 :: v_dual_lshlrev_b32 v19, 2, v13
	v_dual_mov_b32 v15, 0 :: v_dual_mov_b32 v16, 0
	v_mov_b32_e32 v17, 0
	s_waitcnt lgkmcnt(0)
	s_mul_i32 s9, s15, s9
	s_mul_hi_u32 s18, s15, s8
	s_mul_i32 s8, s15, s8
	s_add_i32 s9, s18, s9
	s_mul_i32 s3, s15, s3
	s_lshl_b64 s[8:9], s[8:9], 2
	s_mul_hi_u32 s26, s15, s2
	s_add_u32 s18, s20, s8
	s_addc_u32 s20, s21, s9
	s_lshl_b64 s[8:9], s[22:23], 2
	s_mul_i32 s2, s15, s2
	s_add_u32 s15, s18, s8
	s_load_b32 s8, s[0:1], 0x48
	s_addc_u32 s18, s20, s9
	s_add_i32 s3, s26, s3
	s_mov_b32 s20, exec_lo
	s_lshl_b64 s[0:1], s[2:3], 2
	s_delay_alu instid0(SALU_CYCLE_1) | instskip(SKIP_2) | instid1(SALU_CYCLE_1)
	s_add_u32 s2, s10, s0
	s_addc_u32 s3, s11, s1
	s_lshl_b64 s[0:1], s[24:25], 2
	s_add_u32 s10, s2, s0
	s_addc_u32 s11, s3, s1
	s_ashr_i32 s0, s5, 31
	s_lshl_b32 s9, s14, 8
	s_lshr_b32 s0, s0, 28
	v_add_nc_u32_e32 v18, s9, v1
	s_add_i32 s0, s5, s0
	s_delay_alu instid0(SALU_CYCLE_1) | instskip(NEXT) | instid1(SALU_CYCLE_1)
	s_and_b32 s14, s0, -16
	v_cmpx_gt_i32_e64 s14, v19
	s_cbranch_execz .LBB4_23
; %bb.12:
	v_mul_lo_u32 v3, s19, v19
	v_dual_mov_b32 v15, 0 :: v_dual_add_nc_u32 v2, 64, v18
	v_add_nc_u32_e32 v6, 2, v19
	v_dual_mov_b32 v14, 0 :: v_dual_add_nc_u32 v5, 0xc0, v18
	s_delay_alu instid0(VALU_DEP_3)
	v_cmp_gt_i32_e64 s0, s4, v2
	v_dual_mov_b32 v17, 0 :: v_dual_add_nc_u32 v4, 0x80, v18
	v_add3_u32 v20, v3, s19, v1
	v_mad_u64_u32 v[2:3], null, s19, v6, v[1:2]
	v_cmp_gt_i32_e64 s2, s4, v5
	v_mul_lo_u32 v5, v13, s19
	v_dual_mov_b32 v16, 0 :: v_dual_add_nc_u32 v7, 3, v19
	s_waitcnt lgkmcnt(0)
	v_mul_lo_u32 v8, v13, s8
	v_cmp_gt_i32_e64 s1, s4, v4
	v_mul_lo_u32 v22, s8, v6
	v_mad_u64_u32 v[3:4], null, s19, v7, v[1:2]
	v_lshl_add_u32 v21, v5, 2, v1
	v_mad_u64_u32 v[4:5], null, s8, v19, s[8:9]
	v_mul_lo_u32 v23, s8, v7
	v_cmp_gt_i32_e32 vcc_lo, s4, v18
	v_lshlrev_b32_e32 v24, 2, v8
	s_lshl_b32 s21, s19, 4
	s_lshl_b32 s23, s8, 4
	s_mov_b32 s22, 0
	s_mov_b32 s24, 0
	s_branch .LBB4_17
.LBB4_13:                               ;   in Loop: Header=BB4_17 Depth=1
	s_or_b32 exec_lo, exec_lo, s27
	s_waitcnt vmcnt(3)
	v_fmac_f32_e32 v16, v28, v40
	s_waitcnt vmcnt(2)
	s_delay_alu instid0(VALU_DEP_1) | instskip(SKIP_1) | instid1(VALU_DEP_1)
	v_fmac_f32_e32 v16, v27, v39
	s_waitcnt vmcnt(1)
	v_fmac_f32_e32 v16, v26, v38
	s_waitcnt vmcnt(0)
	s_delay_alu instid0(VALU_DEP_1)
	v_fmac_f32_e32 v16, v25, v37
.LBB4_14:                               ;   in Loop: Header=BB4_17 Depth=1
	s_or_b32 exec_lo, exec_lo, s26
	s_waitcnt vmcnt(3)
	v_fmac_f32_e32 v15, v28, v36
	s_waitcnt vmcnt(2)
	s_delay_alu instid0(VALU_DEP_1) | instskip(SKIP_1) | instid1(VALU_DEP_1)
	v_fmac_f32_e32 v15, v27, v35
	s_waitcnt vmcnt(1)
	v_fmac_f32_e32 v15, v26, v34
	s_waitcnt vmcnt(0)
	s_delay_alu instid0(VALU_DEP_1)
	v_fmac_f32_e32 v15, v25, v33
.LBB4_15:                               ;   in Loop: Header=BB4_17 Depth=1
	s_or_b32 exec_lo, exec_lo, s3
	s_waitcnt vmcnt(3)
	v_fmac_f32_e32 v14, v28, v32
	s_waitcnt vmcnt(2)
	s_delay_alu instid0(VALU_DEP_1) | instskip(SKIP_1) | instid1(VALU_DEP_1)
	v_fmac_f32_e32 v14, v27, v30
	s_waitcnt vmcnt(1)
	v_fmac_f32_e32 v14, v26, v29
	s_waitcnt vmcnt(0)
	s_delay_alu instid0(VALU_DEP_1)
	v_fmac_f32_e32 v14, v25, v31
.LBB4_16:                               ;   in Loop: Header=BB4_17 Depth=1
	s_or_b32 exec_lo, exec_lo, s25
	v_add_nc_u32_e32 v19, 16, v19
	v_add_nc_u32_e32 v20, s21, v20
	;; [unrolled: 1-line block ×5, first 2 shown]
	v_cmp_le_i32_e64 s3, s14, v19
	s_add_i32 s24, s24, s23
	s_delay_alu instid0(VALU_DEP_1) | instskip(NEXT) | instid1(SALU_CYCLE_1)
	s_or_b32 s22, s3, s22
	s_and_not1_b32 exec_lo, exec_lo, s22
	s_cbranch_execz .LBB4_22
.LBB4_17:                               ; =>This Inner Loop Header: Depth=1
	s_and_saveexec_b32 s25, vcc_lo
	s_cbranch_execz .LBB4_16
; %bb.18:                               ;   in Loop: Header=BB4_17 Depth=1
	v_add_nc_u32_e32 v5, s24, v24
	v_add_nc_u32_e32 v7, s24, v4
	v_add_nc_u32_e32 v9, s24, v22
	v_add_nc_u32_e32 v11, s24, v23
	v_add_nc_u32_e32 v25, s9, v21
	v_ashrrev_i32_e32 v6, 31, v5
	v_ashrrev_i32_e32 v8, 31, v7
	;; [unrolled: 1-line block ×5, first 2 shown]
	v_lshlrev_b64 v[5:6], 2, v[5:6]
	v_lshlrev_b64 v[7:8], 2, v[7:8]
	;; [unrolled: 1-line block ×3, first 2 shown]
	s_delay_alu instid0(VALU_DEP_3) | instskip(NEXT) | instid1(VALU_DEP_1)
	v_add_co_u32 v27, s3, s10, v5
	v_add_co_ci_u32_e64 v28, s3, s11, v6, s3
	s_delay_alu instid0(VALU_DEP_4)
	v_add_co_u32 v29, s3, s10, v7
	v_add_nc_u32_e32 v7, s9, v20
	v_add_co_ci_u32_e64 v30, s3, s11, v8, s3
	v_lshlrev_b64 v[5:6], 2, v[11:12]
	v_add_co_u32 v31, s3, s10, v9
	v_add_nc_u32_e32 v11, s9, v2
	v_add_co_ci_u32_e64 v32, s3, s11, v10, s3
	v_lshlrev_b64 v[9:10], 2, v[25:26]
	v_ashrrev_i32_e32 v8, 31, v7
	v_add_nc_u32_e32 v25, s9, v3
	v_add_co_u32 v33, s3, s10, v5
	v_ashrrev_i32_e32 v12, 31, v11
	v_add_co_ci_u32_e64 v34, s3, s11, v6, s3
	v_lshlrev_b64 v[7:8], 2, v[7:8]
	v_add_co_u32 v5, s3, s15, v9
	v_ashrrev_i32_e32 v26, 31, v25
	v_add_co_ci_u32_e64 v6, s3, s18, v10, s3
	v_lshlrev_b64 v[9:10], 2, v[11:12]
	v_add_co_u32 v7, s3, s15, v7
	s_delay_alu instid0(VALU_DEP_4) | instskip(SKIP_1) | instid1(VALU_DEP_4)
	v_lshlrev_b64 v[25:26], 2, v[25:26]
	v_add_co_ci_u32_e64 v8, s3, s18, v8, s3
	v_add_co_u32 v11, s3, s15, v9
	s_delay_alu instid0(VALU_DEP_1) | instskip(NEXT) | instid1(VALU_DEP_4)
	v_add_co_ci_u32_e64 v12, s3, s18, v10, s3
	v_add_co_u32 v9, s3, s15, v25
	s_delay_alu instid0(VALU_DEP_1)
	v_add_co_ci_u32_e64 v10, s3, s18, v26, s3
	s_clause 0x3
	global_load_b32 v28, v[27:28], off
	global_load_b32 v27, v[29:30], off
	;; [unrolled: 1-line block ×4, first 2 shown]
	s_clause 0x3
	global_load_b32 v32, v[5:6], off
	global_load_b32 v30, v[7:8], off
	;; [unrolled: 1-line block ×4, first 2 shown]
	s_and_saveexec_b32 s3, s0
	s_cbranch_execz .LBB4_15
; %bb.19:                               ;   in Loop: Header=BB4_17 Depth=1
	s_clause 0x3
	global_load_b32 v36, v[5:6], off offset:256
	global_load_b32 v35, v[7:8], off offset:256
	global_load_b32 v34, v[11:12], off offset:256
	global_load_b32 v33, v[9:10], off offset:256
	s_and_saveexec_b32 s26, s1
	s_cbranch_execz .LBB4_14
; %bb.20:                               ;   in Loop: Header=BB4_17 Depth=1
	s_clause 0x3
	global_load_b32 v40, v[5:6], off offset:512
	global_load_b32 v39, v[7:8], off offset:512
	global_load_b32 v38, v[11:12], off offset:512
	global_load_b32 v37, v[9:10], off offset:512
	s_and_saveexec_b32 s27, s2
	s_cbranch_execz .LBB4_13
; %bb.21:                               ;   in Loop: Header=BB4_17 Depth=1
	s_clause 0x3
	global_load_b32 v5, v[5:6], off offset:768
	global_load_b32 v6, v[7:8], off offset:768
	global_load_b32 v7, v[11:12], off offset:768
	global_load_b32 v8, v[9:10], off offset:768
	s_waitcnt vmcnt(3)
	v_fmac_f32_e32 v17, v28, v5
	s_waitcnt vmcnt(2)
	s_delay_alu instid0(VALU_DEP_1) | instskip(SKIP_1) | instid1(VALU_DEP_1)
	v_fmac_f32_e32 v17, v27, v6
	s_waitcnt vmcnt(1)
	v_fmac_f32_e32 v17, v26, v7
	s_waitcnt vmcnt(0)
	s_delay_alu instid0(VALU_DEP_1)
	v_fmac_f32_e32 v17, v25, v8
	s_branch .LBB4_13
.LBB4_22:
	s_or_b32 exec_lo, exec_lo, s22
.LBB4_23:
	s_delay_alu instid0(SALU_CYCLE_1) | instskip(SKIP_1) | instid1(SALU_CYCLE_1)
	s_or_b32 exec_lo, exec_lo, s20
	s_sub_i32 s0, s5, s14
	s_cmp_lt_i32 s0, 1
	s_cbranch_scc1 .LBB4_41
; %bb.24:
	v_cmp_gt_i32_e32 vcc_lo, s5, v19
	v_dual_mov_b32 v12, 0 :: v_dual_mov_b32 v11, 0
	v_or_b32_e32 v2, 1, v19
	v_mov_b32_e32 v20, 0
	v_mov_b32_e32 v10, 0
	s_and_saveexec_b32 s1, vcc_lo
	s_cbranch_execz .LBB4_32
; %bb.25:
	s_waitcnt lgkmcnt(0)
	v_mul_lo_u32 v3, v19, s8
	v_dual_mov_b32 v11, 0 :: v_dual_mov_b32 v20, 0
	v_mov_b32_e32 v12, 0
	s_mov_b32 s2, exec_lo
	s_delay_alu instid0(VALU_DEP_3) | instskip(NEXT) | instid1(VALU_DEP_1)
	v_ashrrev_i32_e32 v4, 31, v3
	v_lshlrev_b64 v[3:4], 2, v[3:4]
	s_delay_alu instid0(VALU_DEP_1) | instskip(NEXT) | instid1(VALU_DEP_1)
	v_add_co_u32 v3, s0, s10, v3
	v_add_co_ci_u32_e64 v4, s0, s11, v4, s0
	global_load_b32 v10, v[3:4], off
	v_cmpx_gt_i32_e64 s5, v2
	s_cbranch_execz .LBB4_31
; %bb.26:
	v_mul_lo_u32 v3, v2, s8
	v_mov_b32_e32 v20, 0
	v_mov_b32_e32 v12, 0
	s_mov_b32 s3, exec_lo
	s_delay_alu instid0(VALU_DEP_3) | instskip(NEXT) | instid1(VALU_DEP_1)
	v_ashrrev_i32_e32 v4, 31, v3
	v_lshlrev_b64 v[3:4], 2, v[3:4]
	s_delay_alu instid0(VALU_DEP_1) | instskip(NEXT) | instid1(VALU_DEP_1)
	v_add_co_u32 v3, s0, s10, v3
	v_add_co_ci_u32_e64 v4, s0, s11, v4, s0
	global_load_b32 v11, v[3:4], off
	v_or_b32_e32 v3, 2, v19
	s_delay_alu instid0(VALU_DEP_1)
	v_cmpx_gt_i32_e64 s5, v3
	s_cbranch_execz .LBB4_30
; %bb.27:
	v_mul_lo_u32 v3, v3, s8
	v_mov_b32_e32 v12, 0
	s_mov_b32 s14, exec_lo
	s_delay_alu instid0(VALU_DEP_2) | instskip(NEXT) | instid1(VALU_DEP_1)
	v_ashrrev_i32_e32 v4, 31, v3
	v_lshlrev_b64 v[3:4], 2, v[3:4]
	s_delay_alu instid0(VALU_DEP_1) | instskip(NEXT) | instid1(VALU_DEP_1)
	v_add_co_u32 v3, s0, s10, v3
	v_add_co_ci_u32_e64 v4, s0, s11, v4, s0
	global_load_b32 v20, v[3:4], off
	v_or_b32_e32 v3, 3, v19
	s_delay_alu instid0(VALU_DEP_1)
	v_cmpx_gt_i32_e64 s5, v3
	s_cbranch_execz .LBB4_29
; %bb.28:
	v_mul_lo_u32 v3, v3, s8
	s_delay_alu instid0(VALU_DEP_1) | instskip(NEXT) | instid1(VALU_DEP_1)
	v_ashrrev_i32_e32 v4, 31, v3
	v_lshlrev_b64 v[3:4], 2, v[3:4]
	s_delay_alu instid0(VALU_DEP_1) | instskip(NEXT) | instid1(VALU_DEP_1)
	v_add_co_u32 v3, s0, s10, v3
	v_add_co_ci_u32_e64 v4, s0, s11, v4, s0
	global_load_b32 v12, v[3:4], off
.LBB4_29:
	s_or_b32 exec_lo, exec_lo, s14
.LBB4_30:
	s_delay_alu instid0(SALU_CYCLE_1)
	s_or_b32 exec_lo, exec_lo, s3
.LBB4_31:
	s_delay_alu instid0(SALU_CYCLE_1)
	s_or_b32 exec_lo, exec_lo, s2
.LBB4_32:
	s_delay_alu instid0(SALU_CYCLE_1) | instskip(NEXT) | instid1(SALU_CYCLE_1)
	s_or_b32 exec_lo, exec_lo, s1
	s_mov_b32 s1, exec_lo
	v_cmpx_gt_i32_e64 s4, v18
	s_cbranch_execz .LBB4_40
; %bb.33:
	v_mul_lo_u32 v3, v19, s19
	v_mul_lo_u32 v5, v2, s19
	v_or_b32_e32 v4, 2, v19
	v_or_b32_e32 v6, 3, v19
	s_mov_b32 s0, exec_lo
	s_delay_alu instid0(VALU_DEP_2)
	v_mul_lo_u32 v7, v4, s19
	v_cndmask_b32_e32 v3, 0, v3, vcc_lo
	v_cmp_gt_i32_e32 vcc_lo, s5, v2
	v_mul_lo_u32 v8, v6, s19
	v_cndmask_b32_e32 v5, 0, v5, vcc_lo
	v_cmp_gt_i32_e32 vcc_lo, s5, v4
	s_delay_alu instid0(VALU_DEP_2) | instskip(SKIP_2) | instid1(VALU_DEP_3)
	v_add_nc_u32_e32 v4, v5, v18
	v_dual_cndmask_b32 v7, 0, v7 :: v_dual_add_nc_u32 v2, v3, v18
	v_cmp_gt_i32_e32 vcc_lo, s5, v6
	v_ashrrev_i32_e32 v5, 31, v4
	s_delay_alu instid0(VALU_DEP_3) | instskip(SKIP_2) | instid1(VALU_DEP_4)
	v_ashrrev_i32_e32 v3, 31, v2
	v_cndmask_b32_e32 v8, 0, v8, vcc_lo
	v_add_nc_u32_e32 v6, v7, v18
	v_lshlrev_b64 v[4:5], 2, v[4:5]
	s_delay_alu instid0(VALU_DEP_4) | instskip(NEXT) | instid1(VALU_DEP_4)
	v_lshlrev_b64 v[2:3], 2, v[2:3]
	v_add_nc_u32_e32 v8, v8, v18
	s_delay_alu instid0(VALU_DEP_4) | instskip(NEXT) | instid1(VALU_DEP_2)
	v_ashrrev_i32_e32 v7, 31, v6
	v_ashrrev_i32_e32 v9, 31, v8
	s_delay_alu instid0(VALU_DEP_2)
	v_lshlrev_b64 v[21:22], 2, v[6:7]
	v_add_co_u32 v6, vcc_lo, s15, v2
	v_add_co_ci_u32_e32 v7, vcc_lo, s18, v3, vcc_lo
	v_add_co_u32 v2, vcc_lo, s15, v4
	v_add_co_ci_u32_e32 v3, vcc_lo, s18, v5, vcc_lo
	global_load_b32 v23, v[6:7], off
	v_add_co_u32 v4, vcc_lo, s15, v21
	v_add_co_ci_u32_e32 v5, vcc_lo, s18, v22, vcc_lo
	v_lshlrev_b64 v[8:9], 2, v[8:9]
	s_clause 0x1
	global_load_b32 v21, v[2:3], off
	global_load_b32 v22, v[4:5], off
	v_add_co_u32 v8, vcc_lo, s15, v8
	v_add_co_ci_u32_e32 v9, vcc_lo, s18, v9, vcc_lo
	global_load_b32 v19, v[8:9], off
	s_waitcnt vmcnt(3)
	v_fmac_f32_e32 v14, v10, v23
	s_waitcnt vmcnt(2)
	s_delay_alu instid0(VALU_DEP_1) | instskip(SKIP_1) | instid1(VALU_DEP_1)
	v_dual_fmac_f32 v14, v11, v21 :: v_dual_add_nc_u32 v21, 64, v18
	s_waitcnt vmcnt(1)
	v_fmac_f32_e32 v14, v20, v22
	s_delay_alu instid0(VALU_DEP_2)
	v_cmpx_gt_i32_e64 s4, v21
	s_cbranch_execz .LBB4_39
; %bb.34:
	s_clause 0x3
	global_load_b32 v22, v[6:7], off offset:256
	global_load_b32 v23, v[2:3], off offset:256
	;; [unrolled: 1-line block ×4, first 2 shown]
	s_mov_b32 s2, exec_lo
	s_waitcnt vmcnt(3)
	v_fmac_f32_e32 v15, v10, v22
	s_waitcnt vmcnt(2)
	s_delay_alu instid0(VALU_DEP_1) | instskip(SKIP_1) | instid1(VALU_DEP_1)
	v_dual_fmac_f32 v15, v11, v23 :: v_dual_add_nc_u32 v22, 0x80, v18
	s_waitcnt vmcnt(1)
	v_fmac_f32_e32 v15, v20, v24
	s_delay_alu instid0(VALU_DEP_2)
	v_cmpx_gt_i32_e64 s4, v22
	s_cbranch_execz .LBB4_38
; %bb.35:
	s_clause 0x3
	global_load_b32 v23, v[6:7], off offset:512
	global_load_b32 v24, v[2:3], off offset:512
	;; [unrolled: 1-line block ×4, first 2 shown]
	v_add_nc_u32_e32 v18, 0xc0, v18
	s_mov_b32 s3, exec_lo
	s_waitcnt vmcnt(3)
	v_fmac_f32_e32 v16, v10, v23
	s_waitcnt vmcnt(2)
	s_delay_alu instid0(VALU_DEP_1) | instskip(SKIP_1) | instid1(VALU_DEP_1)
	v_fmac_f32_e32 v16, v11, v24
	s_waitcnt vmcnt(1)
	v_fmac_f32_e32 v16, v20, v25
	v_cmpx_gt_i32_e64 s4, v18
	s_cbranch_execz .LBB4_37
; %bb.36:
	s_clause 0x3
	global_load_b32 v6, v[6:7], off offset:768
	global_load_b32 v2, v[2:3], off offset:768
	;; [unrolled: 1-line block ×4, first 2 shown]
	s_waitcnt vmcnt(3)
	v_fmac_f32_e32 v17, v10, v6
	s_waitcnt vmcnt(2)
	s_delay_alu instid0(VALU_DEP_1) | instskip(SKIP_1) | instid1(VALU_DEP_1)
	v_fmac_f32_e32 v17, v11, v2
	s_waitcnt vmcnt(1)
	v_fmac_f32_e32 v17, v20, v3
	s_waitcnt vmcnt(0)
	s_delay_alu instid0(VALU_DEP_1)
	v_fmac_f32_e32 v17, v12, v4
.LBB4_37:
	s_or_b32 exec_lo, exec_lo, s3
	s_waitcnt vmcnt(0)
	v_fmac_f32_e32 v16, v12, v22
.LBB4_38:
	s_or_b32 exec_lo, exec_lo, s2
	s_waitcnt vmcnt(0)
	v_fmac_f32_e32 v15, v12, v21
.LBB4_39:
	s_or_b32 exec_lo, exec_lo, s0
	s_waitcnt vmcnt(0)
	v_fmac_f32_e32 v14, v12, v19
.LBB4_40:
	s_or_b32 exec_lo, exec_lo, s1
.LBB4_41:
	v_lshlrev_b32_e32 v2, 8, v13
	s_mov_b32 s0, exec_lo
                                        ; implicit-def: $vgpr3
                                        ; implicit-def: $vgpr4_vgpr5
	s_delay_alu instid0(VALU_DEP_1)
	v_add_lshl_u32 v1, v2, v1, 2
	ds_store_2addr_stride64_b32 v1, v14, v15 offset1:1
	ds_store_2addr_stride64_b32 v1, v16, v17 offset0:2 offset1:3
	s_waitcnt vmcnt(0) lgkmcnt(0)
	s_barrier
	buffer_gl0_inv
	v_cmpx_gt_u32_e32 0x100, v0
	s_cbranch_execz .LBB4_47
; %bb.42:
	v_lshlrev_b32_e32 v5, 2, v0
	s_mov_b32 s2, s16
	s_mov_b32 s1, exec_lo
	ds_load_2addr_stride64_b32 v[1:2], v5 offset1:4
	ds_load_2addr_stride64_b32 v[3:4], v5 offset0:8 offset1:12
	s_waitcnt lgkmcnt(1)
	v_add_f32_e32 v1, v1, v2
	s_waitcnt lgkmcnt(0)
	s_delay_alu instid0(VALU_DEP_1) | instskip(SKIP_1) | instid1(VALU_DEP_2)
	v_add_f32_e32 v2, v3, v1
	v_or_b32_e32 v1, s9, v0
                                        ; implicit-def: $vgpr3
	v_add_f32_e32 v0, v4, v2
	ds_store_b32 v5, v0
                                        ; implicit-def: $vgpr4_vgpr5
	v_cmpx_gt_i32_e64 s4, v1
	s_cbranch_execz .LBB4_46
; %bb.43:
	v_mul_lo_u32 v4, v1, s17
	v_cmp_eq_f32_e64 s2, s13, 0
	v_mul_f32_e32 v3, s6, v0
	s_delay_alu instid0(VALU_DEP_2) | instskip(NEXT) | instid1(VALU_DEP_3)
	s_and_b32 vcc_lo, exec_lo, s2
	v_ashrrev_i32_e32 v5, 31, v4
	s_cbranch_vccnz .LBB4_45
; %bb.44:
	s_delay_alu instid0(VALU_DEP_1) | instskip(NEXT) | instid1(VALU_DEP_1)
	v_lshlrev_b64 v[0:1], 2, v[4:5]
	v_add_co_u32 v0, vcc_lo, s7, v0
	s_delay_alu instid0(VALU_DEP_2)
	v_add_co_ci_u32_e32 v1, vcc_lo, s12, v1, vcc_lo
	global_load_b32 v0, v[0:1], off
	s_waitcnt vmcnt(0)
	v_fmac_f32_e32 v3, s13, v0
.LBB4_45:
	s_or_b32 s2, s16, exec_lo
.LBB4_46:
	s_or_b32 exec_lo, exec_lo, s1
	s_delay_alu instid0(SALU_CYCLE_1) | instskip(SKIP_1) | instid1(SALU_CYCLE_1)
	s_and_not1_b32 s1, s16, exec_lo
	s_and_b32 s2, s2, exec_lo
	s_or_b32 s16, s1, s2
.LBB4_47:
	s_or_b32 exec_lo, exec_lo, s0
.LBB4_48:
	s_and_saveexec_b32 s0, s16
	s_cbranch_execz .LBB4_50
; %bb.49:
	v_lshlrev_b64 v[0:1], 2, v[4:5]
	s_delay_alu instid0(VALU_DEP_1) | instskip(NEXT) | instid1(VALU_DEP_2)
	v_add_co_u32 v0, vcc_lo, s7, v0
	v_add_co_ci_u32_e32 v1, vcc_lo, s12, v1, vcc_lo
	global_store_b32 v[0:1], v3, off
.LBB4_50:
	s_nop 0
	s_sendmsg sendmsg(MSG_DEALLOC_VGPRS)
	s_endpgm
	.section	.rodata,"a",@progbits
	.p2align	6, 0x0
	.amdhsa_kernel _ZL20rocblas_gemvn_kernelILi64ELi4EifffEviiT3_lPKT2_lT1_lS3_lS4_lS0_lPT4_lS4_li
		.amdhsa_group_segment_fixed_size 4096
		.amdhsa_private_segment_fixed_size 0
		.amdhsa_kernarg_size 400
		.amdhsa_user_sgpr_count 14
		.amdhsa_user_sgpr_dispatch_ptr 0
		.amdhsa_user_sgpr_queue_ptr 0
		.amdhsa_user_sgpr_kernarg_segment_ptr 1
		.amdhsa_user_sgpr_dispatch_id 0
		.amdhsa_user_sgpr_private_segment_size 0
		.amdhsa_wavefront_size32 1
		.amdhsa_uses_dynamic_stack 0
		.amdhsa_enable_private_segment 0
		.amdhsa_system_sgpr_workgroup_id_x 1
		.amdhsa_system_sgpr_workgroup_id_y 0
		.amdhsa_system_sgpr_workgroup_id_z 1
		.amdhsa_system_sgpr_workgroup_info 0
		.amdhsa_system_vgpr_workitem_id 1
		.amdhsa_next_free_vgpr 41
		.amdhsa_next_free_sgpr 28
		.amdhsa_reserve_vcc 1
		.amdhsa_float_round_mode_32 0
		.amdhsa_float_round_mode_16_64 0
		.amdhsa_float_denorm_mode_32 3
		.amdhsa_float_denorm_mode_16_64 3
		.amdhsa_dx10_clamp 1
		.amdhsa_ieee_mode 1
		.amdhsa_fp16_overflow 0
		.amdhsa_workgroup_processor_mode 1
		.amdhsa_memory_ordered 1
		.amdhsa_forward_progress 0
		.amdhsa_shared_vgpr_count 0
		.amdhsa_exception_fp_ieee_invalid_op 0
		.amdhsa_exception_fp_denorm_src 0
		.amdhsa_exception_fp_ieee_div_zero 0
		.amdhsa_exception_fp_ieee_overflow 0
		.amdhsa_exception_fp_ieee_underflow 0
		.amdhsa_exception_fp_ieee_inexact 0
		.amdhsa_exception_int_div_zero 0
	.end_amdhsa_kernel
	.section	.text._ZL20rocblas_gemvn_kernelILi64ELi4EifffEviiT3_lPKT2_lT1_lS3_lS4_lS0_lPT4_lS4_li,"axG",@progbits,_ZL20rocblas_gemvn_kernelILi64ELi4EifffEviiT3_lPKT2_lT1_lS3_lS4_lS0_lPT4_lS4_li,comdat
.Lfunc_end4:
	.size	_ZL20rocblas_gemvn_kernelILi64ELi4EifffEviiT3_lPKT2_lT1_lS3_lS4_lS0_lPT4_lS4_li, .Lfunc_end4-_ZL20rocblas_gemvn_kernelILi64ELi4EifffEviiT3_lPKT2_lT1_lS3_lS4_lS0_lPT4_lS4_li
                                        ; -- End function
	.section	.AMDGPU.csdata,"",@progbits
; Kernel info:
; codeLenInByte = 2840
; NumSgprs: 30
; NumVgprs: 41
; ScratchSize: 0
; MemoryBound: 0
; FloatMode: 240
; IeeeMode: 1
; LDSByteSize: 4096 bytes/workgroup (compile time only)
; SGPRBlocks: 3
; VGPRBlocks: 5
; NumSGPRsForWavesPerEU: 30
; NumVGPRsForWavesPerEU: 41
; Occupancy: 16
; WaveLimiterHint : 1
; COMPUTE_PGM_RSRC2:SCRATCH_EN: 0
; COMPUTE_PGM_RSRC2:USER_SGPR: 14
; COMPUTE_PGM_RSRC2:TRAP_HANDLER: 0
; COMPUTE_PGM_RSRC2:TGID_X_EN: 1
; COMPUTE_PGM_RSRC2:TGID_Y_EN: 0
; COMPUTE_PGM_RSRC2:TGID_Z_EN: 1
; COMPUTE_PGM_RSRC2:TIDIG_COMP_CNT: 1
	.section	.text._ZL20rocblas_gemvn_kernelILi64ELi4ElfffEviiT3_lPKT2_lT1_lS3_lS4_lS0_lPT4_lS4_li,"axG",@progbits,_ZL20rocblas_gemvn_kernelILi64ELi4ElfffEviiT3_lPKT2_lT1_lS3_lS4_lS0_lPT4_lS4_li,comdat
	.globl	_ZL20rocblas_gemvn_kernelILi64ELi4ElfffEviiT3_lPKT2_lT1_lS3_lS4_lS0_lPT4_lS4_li ; -- Begin function _ZL20rocblas_gemvn_kernelILi64ELi4ElfffEviiT3_lPKT2_lT1_lS3_lS4_lS0_lPT4_lS4_li
	.p2align	8
	.type	_ZL20rocblas_gemvn_kernelILi64ELi4ElfffEviiT3_lPKT2_lT1_lS3_lS4_lS0_lPT4_lS4_li,@function
_ZL20rocblas_gemvn_kernelILi64ELi4ElfffEviiT3_lPKT2_lT1_lS3_lS4_lS0_lPT4_lS4_li: ; @_ZL20rocblas_gemvn_kernelILi64ELi4ElfffEviiT3_lPKT2_lT1_lS3_lS4_lS0_lPT4_lS4_li
; %bb.0:
	s_load_b64 s[2:3], s[0:1], 0x9c
	s_waitcnt lgkmcnt(0)
	s_lshr_b32 s4, s2, 16
	s_and_b32 s2, s2, 0xffff
	s_and_b32 s3, s3, 0xffff
	s_mul_i32 s2, s4, s2
	s_delay_alu instid0(SALU_CYCLE_1) | instskip(NEXT) | instid1(SALU_CYCLE_1)
	s_mul_i32 s2, s2, s3
	s_cmpk_lg_i32 s2, 0x100
	s_cbranch_scc1 .LBB5_50
; %bb.1:
	s_clause 0x1
	s_load_b128 s[36:39], s[0:1], 0x0
	s_load_b32 s34, s[0:1], 0x58
	s_mov_b32 s35, 0
	s_waitcnt lgkmcnt(0)
	v_cmp_eq_f32_e64 s2, s38, 0
	v_cmp_eq_f32_e64 s3, s34, 1.0
	s_delay_alu instid0(VALU_DEP_1) | instskip(NEXT) | instid1(SALU_CYCLE_1)
	s_and_b32 s2, s2, s3
	s_and_b32 vcc_lo, exec_lo, s2
	s_cbranch_vccnz .LBB5_50
; %bb.2:
	s_load_b256 s[4:11], s[0:1], 0x68
	v_and_b32_e32 v12, 0x3ff, v0
	v_bfe_u32 v13, v0, 10, 10
	s_delay_alu instid0(VALU_DEP_1)
	v_lshl_add_u32 v11, v13, 6, v12
	s_waitcnt lgkmcnt(0)
	s_mul_i32 s3, s15, s11
	s_mul_hi_u32 s11, s15, s10
	s_mul_i32 s2, s15, s10
	s_add_i32 s3, s11, s3
	v_cmp_neq_f32_e64 s10, s38, 0
	s_lshl_b64 s[2:3], s[2:3], 2
	s_delay_alu instid0(SALU_CYCLE_1) | instskip(SKIP_2) | instid1(SALU_CYCLE_1)
	s_add_u32 s4, s4, s2
	s_addc_u32 s11, s5, s3
	s_lshl_b64 s[2:3], s[6:7], 2
	s_add_u32 s5, s4, s2
	v_cmp_gt_u32_e64 s2, 0x100, v11
	s_addc_u32 s33, s11, s3
	s_and_b32 vcc_lo, exec_lo, s10
	s_cbranch_vccnz .LBB5_9
; %bb.3:
	s_mov_b32 s3, 0
                                        ; implicit-def: $vgpr1
                                        ; implicit-def: $vgpr2_vgpr3
	s_and_saveexec_b32 s4, s2
	s_cbranch_execz .LBB5_10
; %bb.4:
	v_lshl_or_b32 v0, s14, 8, v11
	v_mov_b32_e32 v1, 0
	s_ashr_i32 s7, s36, 31
	s_mov_b32 s6, s36
                                        ; implicit-def: $vgpr2_vgpr3
	s_delay_alu instid0(VALU_DEP_1) | instid1(SALU_CYCLE_1)
	v_cmp_gt_i64_e32 vcc_lo, s[6:7], v[0:1]
	s_mov_b32 s6, 0
	s_and_saveexec_b32 s2, vcc_lo
	s_cbranch_execz .LBB5_8
; %bb.5:
	v_mad_u64_u32 v[2:3], null, v0, s8, 0
	v_cmp_eq_f32_e64 s6, s34, 0
	s_delay_alu instid0(VALU_DEP_1) | instskip(NEXT) | instid1(VALU_DEP_2)
	s_and_b32 vcc_lo, exec_lo, s6
	v_mad_u64_u32 v[4:5], null, v0, s9, v[3:4]
	s_delay_alu instid0(VALU_DEP_1)
	v_mov_b32_e32 v3, v4
	s_cbranch_vccnz .LBB5_7
; %bb.6:
	s_delay_alu instid0(VALU_DEP_1) | instskip(NEXT) | instid1(VALU_DEP_1)
	v_lshlrev_b64 v[0:1], 2, v[2:3]
	v_add_co_u32 v0, vcc_lo, s5, v0
	s_delay_alu instid0(VALU_DEP_2)
	v_add_co_ci_u32_e32 v1, vcc_lo, s33, v1, vcc_lo
	global_load_b32 v0, v[0:1], off
	s_waitcnt vmcnt(0)
	v_mul_f32_e32 v1, s34, v0
.LBB5_7:
	s_mov_b32 s6, exec_lo
.LBB5_8:
	s_or_b32 exec_lo, exec_lo, s2
	s_delay_alu instid0(SALU_CYCLE_1) | instskip(SKIP_1) | instid1(SALU_CYCLE_1)
	s_and_b32 s35, s6, exec_lo
	s_or_b32 exec_lo, exec_lo, s4
	s_and_b32 vcc_lo, exec_lo, s3
	s_cbranch_vccnz .LBB5_11
	s_branch .LBB5_48
.LBB5_9:
                                        ; implicit-def: $vgpr1
                                        ; implicit-def: $vgpr2_vgpr3
	s_cbranch_execnz .LBB5_11
	s_branch .LBB5_48
.LBB5_10:
	s_or_b32 exec_lo, exec_lo, s4
	s_delay_alu instid0(SALU_CYCLE_1)
	s_and_b32 vcc_lo, exec_lo, s3
	s_cbranch_vccz .LBB5_48
.LBB5_11:
	s_load_b512 s[16:31], s[0:1], 0x18
	s_ashr_i32 s0, s37, 31
	s_lshl_b32 s39, s14, 8
	s_lshr_b32 s0, s0, 28
	v_dual_mov_b32 v15, 0 :: v_dual_lshlrev_b32 v16, 2, v13
	s_add_i32 s0, s37, s0
	v_dual_mov_b32 v14, 0 :: v_dual_mov_b32 v17, 0
	v_mov_b32_e32 v18, 0
	v_add_nc_u32_e32 v0, s39, v12
	s_and_b32 s40, s0, -16
	s_waitcnt lgkmcnt(0)
	s_mul_i32 s0, s15, s23
	s_mul_hi_u32 s1, s15, s22
	s_mul_i32 s2, s15, s31
	s_mul_hi_u32 s3, s15, s30
	s_mul_i32 s6, s15, s22
	s_add_i32 s7, s1, s0
	s_add_i32 s11, s3, s2
	s_mul_i32 s10, s15, s30
	s_mov_b32 s30, exec_lo
	v_cmpx_gt_i32_e64 s40, v16
	s_cbranch_execz .LBB5_23
; %bb.12:
	v_lshlrev_b32_e32 v29, 2, v13
	v_mad_u64_u32 v[2:3], null, s28, v13, 0
	v_add_nc_u32_e32 v15, 0x80, v0
	s_lshl_b64 s[0:1], s[10:11], 2
	s_delay_alu instid0(VALU_DEP_3)
	v_or_b32_e32 v17, 3, v29
	s_lshl_b64 s[12:13], s[26:27], 2
	s_add_u32 s4, s24, s0
	s_addc_u32 s31, s25, s1
	v_cmp_gt_i32_e64 s1, s36, v15
	v_mad_u64_u32 v[4:5], null, s20, v17, 0
	s_lshl_b64 s[22:23], s[18:19], 2
	s_lshl_b64 s[14:15], s[28:29], 6
	;; [unrolled: 1-line block ×3, first 2 shown]
	v_ashrrev_i32_e32 v1, 31, v0
	v_cmp_gt_i32_e32 vcc_lo, s36, v0
	s_delay_alu instid0(VALU_DEP_3) | instskip(SKIP_3) | instid1(VALU_DEP_4)
	v_mad_u64_u32 v[6:7], null, s29, v13, v[3:4]
	v_add_nc_u32_e32 v14, 64, v0
	v_mad_u64_u32 v[7:8], null, s28, v17, 0
	v_add_nc_u32_e32 v18, 0xc0, v0
	v_mad_u64_u32 v[9:10], null, s21, v17, v[5:6]
	v_mov_b32_e32 v3, v6
	v_cmp_gt_i32_e64 s0, s36, v14
	s_delay_alu instid0(VALU_DEP_2)
	v_lshlrev_b64 v[14:15], 4, v[2:3]
	v_mov_b32_e32 v3, v8
	v_mov_b32_e32 v5, v9
	v_mad_u64_u32 v[9:10], null, s20, v13, 0
	v_cmp_gt_i32_e64 s2, s36, v18
	v_add_co_u32 v19, s3, s4, v14
	s_delay_alu instid0(VALU_DEP_4) | instskip(SKIP_4) | instid1(VALU_DEP_2)
	v_lshlrev_b64 v[4:5], 2, v[4:5]
	v_add_co_ci_u32_e64 v20, s3, s31, v15, s3
	s_add_u32 s3, s16, s22
	s_addc_u32 s22, s17, s23
	s_add_u32 s23, s3, s42
	v_mad_u64_u32 v[14:15], null, s29, v17, v[3:4]
	v_mov_b32_e32 v3, v10
	s_addc_u32 s22, s22, s43
	v_add_co_u32 v21, s3, s23, v4
	s_delay_alu instid0(VALU_DEP_1) | instskip(NEXT) | instid1(VALU_DEP_4)
	v_add_co_ci_u32_e64 v22, s3, s22, v5, s3
	v_mov_b32_e32 v8, v14
	v_or_b32_e32 v23, 2, v29
	v_mad_u64_u32 v[17:18], null, s21, v13, v[3:4]
	v_mad_u64_u32 v[31:32], null, s20, v29, s[20:21]
	s_delay_alu instid0(VALU_DEP_3)
	v_mad_u64_u32 v[14:15], null, s20, v23, 0
	v_lshlrev_b64 v[4:5], 2, v[7:8]
	v_mad_u64_u32 v[27:28], null, s28, v23, 0
	v_mov_b32_e32 v10, v17
	v_mad_u64_u32 v[17:18], null, s28, v29, s[28:29]
	v_mov_b32_e32 v3, v15
	v_lshlrev_b64 v[1:2], 2, v[0:1]
	v_mov_b32_e32 v6, v28
	s_delay_alu instid0(VALU_DEP_3) | instskip(SKIP_1) | instid1(VALU_DEP_2)
	v_mad_u64_u32 v[7:8], null, s21, v23, v[3:4]
	v_mov_b32_e32 v3, v18
	v_mad_u64_u32 v[25:26], null, s29, v23, v[6:7]
	v_add_co_u32 v23, s3, s4, v4
	s_delay_alu instid0(VALU_DEP_1) | instskip(SKIP_1) | instid1(VALU_DEP_4)
	v_add_co_ci_u32_e64 v24, s3, s31, v5, s3
	v_lshlrev_b64 v[4:5], 4, v[9:10]
	v_dual_mov_b32 v15, v7 :: v_dual_mov_b32 v28, v25
	s_delay_alu instid0(VALU_DEP_2) | instskip(SKIP_1) | instid1(VALU_DEP_4)
	v_add_co_u32 v25, s3, s23, v4
	v_mad_u64_u32 v[6:7], null, s29, v29, v[3:4]
	v_add_co_ci_u32_e64 v26, s3, s22, v5, s3
	s_delay_alu instid0(VALU_DEP_4) | instskip(SKIP_1) | instid1(VALU_DEP_4)
	v_lshlrev_b64 v[4:5], 2, v[14:15]
	v_dual_mov_b32 v14, 0 :: v_dual_mov_b32 v3, v32
	v_dual_mov_b32 v15, 0 :: v_dual_mov_b32 v18, v6
	s_delay_alu instid0(VALU_DEP_2) | instskip(SKIP_2) | instid1(VALU_DEP_4)
	v_mad_u64_u32 v[7:8], null, s21, v29, v[3:4]
	v_lshlrev_b64 v[8:9], 2, v[27:28]
	v_add_co_u32 v27, s3, s23, v4
	v_lshlrev_b64 v[3:4], 2, v[17:18]
	v_mov_b32_e32 v18, 0
	v_add_co_ci_u32_e64 v28, s3, s22, v5, s3
	v_mov_b32_e32 v32, v7
	v_add_co_u32 v29, s3, s4, v8
	s_delay_alu instid0(VALU_DEP_1) | instskip(NEXT) | instid1(VALU_DEP_3)
	v_add_co_ci_u32_e64 v30, s3, s31, v9, s3
	v_lshlrev_b64 v[5:6], 2, v[31:32]
	v_add_co_u32 v31, s3, s4, v3
	s_delay_alu instid0(VALU_DEP_1) | instskip(SKIP_1) | instid1(VALU_DEP_4)
	v_add_co_ci_u32_e64 v32, s3, s31, v4, s3
	v_mov_b32_e32 v17, 0
	v_add_co_u32 v33, s3, s23, v5
	s_delay_alu instid0(VALU_DEP_1)
	v_add_co_ci_u32_e64 v34, s3, s22, v6, s3
	s_lshl_b64 s[22:23], s[20:21], 6
	s_mov_b32 s31, 0
	s_branch .LBB5_17
.LBB5_13:                               ;   in Loop: Header=BB5_17 Depth=1
	s_or_b32 exec_lo, exec_lo, s42
	s_waitcnt vmcnt(3)
	v_fmac_f32_e32 v17, v36, v50
	s_waitcnt vmcnt(2)
	s_delay_alu instid0(VALU_DEP_1) | instskip(SKIP_1) | instid1(VALU_DEP_1)
	v_fmac_f32_e32 v17, v35, v49
	s_waitcnt vmcnt(1)
	v_fmac_f32_e32 v17, v37, v48
	s_waitcnt vmcnt(0)
	s_delay_alu instid0(VALU_DEP_1)
	v_fmac_f32_e32 v17, v38, v47
.LBB5_14:                               ;   in Loop: Header=BB5_17 Depth=1
	s_or_b32 exec_lo, exec_lo, s41
	s_waitcnt vmcnt(3)
	v_fmac_f32_e32 v15, v36, v46
	s_waitcnt vmcnt(2)
	s_delay_alu instid0(VALU_DEP_1) | instskip(SKIP_1) | instid1(VALU_DEP_1)
	v_fmac_f32_e32 v15, v35, v45
	s_waitcnt vmcnt(1)
	v_fmac_f32_e32 v15, v37, v44
	s_waitcnt vmcnt(0)
	s_delay_alu instid0(VALU_DEP_1)
	v_fmac_f32_e32 v15, v38, v43
.LBB5_15:                               ;   in Loop: Header=BB5_17 Depth=1
	s_or_b32 exec_lo, exec_lo, s3
	s_waitcnt vmcnt(3)
	v_fmac_f32_e32 v14, v36, v42
	s_waitcnt vmcnt(2)
	s_delay_alu instid0(VALU_DEP_1) | instskip(SKIP_1) | instid1(VALU_DEP_1)
	v_fmac_f32_e32 v14, v35, v40
	s_waitcnt vmcnt(1)
	v_fmac_f32_e32 v14, v37, v39
	s_waitcnt vmcnt(0)
	s_delay_alu instid0(VALU_DEP_1)
	v_fmac_f32_e32 v14, v38, v41
.LBB5_16:                               ;   in Loop: Header=BB5_17 Depth=1
	s_or_b32 exec_lo, exec_lo, s4
	v_add_co_u32 v19, s3, v19, s14
	s_delay_alu instid0(VALU_DEP_1) | instskip(SKIP_1) | instid1(VALU_DEP_1)
	v_add_co_ci_u32_e64 v20, s3, s15, v20, s3
	v_add_co_u32 v21, s3, v21, s22
	v_add_co_ci_u32_e64 v22, s3, s23, v22, s3
	v_add_co_u32 v23, s3, v23, s14
	s_delay_alu instid0(VALU_DEP_1) | instskip(SKIP_1) | instid1(VALU_DEP_1)
	v_add_co_ci_u32_e64 v24, s3, s15, v24, s3
	v_add_co_u32 v25, s3, v25, s22
	v_add_co_ci_u32_e64 v26, s3, s23, v26, s3
	v_add_co_u32 v27, s3, v27, s22
	s_delay_alu instid0(VALU_DEP_1) | instskip(SKIP_4) | instid1(VALU_DEP_1)
	v_add_co_ci_u32_e64 v28, s3, s23, v28, s3
	v_add_co_u32 v29, s3, v29, s14
	v_add_nc_u32_e32 v16, 16, v16
	v_add_co_ci_u32_e64 v30, s3, s15, v30, s3
	v_add_co_u32 v31, s3, v31, s14
	v_add_co_ci_u32_e64 v32, s3, s15, v32, s3
	s_delay_alu instid0(VALU_DEP_4) | instskip(SKIP_1) | instid1(VALU_DEP_1)
	v_cmp_le_i32_e64 s3, s40, v16
	v_add_co_u32 v33, s4, v33, s22
	v_add_co_ci_u32_e64 v34, s4, s23, v34, s4
	s_delay_alu instid0(VALU_DEP_3) | instskip(NEXT) | instid1(SALU_CYCLE_1)
	s_or_b32 s31, s3, s31
	s_and_not1_b32 exec_lo, exec_lo, s31
	s_cbranch_execz .LBB5_22
.LBB5_17:                               ; =>This Inner Loop Header: Depth=1
	s_and_saveexec_b32 s4, vcc_lo
	s_cbranch_execz .LBB5_16
; %bb.18:                               ;   in Loop: Header=BB5_17 Depth=1
	v_add_co_u32 v3, s3, v19, s12
	s_delay_alu instid0(VALU_DEP_1) | instskip(SKIP_1) | instid1(VALU_DEP_1)
	v_add_co_ci_u32_e64 v4, s3, s13, v20, s3
	v_add_co_u32 v5, s3, v31, s12
	v_add_co_ci_u32_e64 v6, s3, s13, v32, s3
	v_add_co_u32 v7, s3, v29, s12
	s_delay_alu instid0(VALU_DEP_1) | instskip(SKIP_1) | instid1(VALU_DEP_1)
	v_add_co_ci_u32_e64 v8, s3, s13, v30, s3
	v_add_co_u32 v38, s3, v23, s12
	v_add_co_ci_u32_e64 v39, s3, s13, v24, s3
	global_load_b32 v36, v[3:4], off
	global_load_b32 v35, v[5:6], off
	;; [unrolled: 1-line block ×3, first 2 shown]
	v_add_co_u32 v3, s3, v25, v1
	s_delay_alu instid0(VALU_DEP_1) | instskip(SKIP_1) | instid1(VALU_DEP_1)
	v_add_co_ci_u32_e64 v4, s3, v26, v2, s3
	v_add_co_u32 v5, s3, v33, v1
	v_add_co_ci_u32_e64 v6, s3, v34, v2, s3
	v_add_co_u32 v7, s3, v27, v1
	s_delay_alu instid0(VALU_DEP_1) | instskip(SKIP_1) | instid1(VALU_DEP_1)
	v_add_co_ci_u32_e64 v8, s3, v28, v2, s3
	v_add_co_u32 v9, s3, v21, v1
	v_add_co_ci_u32_e64 v10, s3, v22, v2, s3
	global_load_b32 v38, v[38:39], off
	global_load_b32 v42, v[3:4], off
	;; [unrolled: 1-line block ×5, first 2 shown]
	s_and_saveexec_b32 s3, s0
	s_cbranch_execz .LBB5_15
; %bb.19:                               ;   in Loop: Header=BB5_17 Depth=1
	global_load_b32 v46, v[3:4], off offset:256
	global_load_b32 v45, v[5:6], off offset:256
	global_load_b32 v44, v[7:8], off offset:256
	global_load_b32 v43, v[9:10], off offset:256
	s_and_saveexec_b32 s41, s1
	s_cbranch_execz .LBB5_14
; %bb.20:                               ;   in Loop: Header=BB5_17 Depth=1
	global_load_b32 v50, v[3:4], off offset:512
	global_load_b32 v49, v[5:6], off offset:512
	global_load_b32 v48, v[7:8], off offset:512
	global_load_b32 v47, v[9:10], off offset:512
	;; [unrolled: 7-line block ×3, first 2 shown]
	s_waitcnt vmcnt(3)
	v_fmac_f32_e32 v18, v36, v3
	s_waitcnt vmcnt(2)
	s_delay_alu instid0(VALU_DEP_1) | instskip(SKIP_1) | instid1(VALU_DEP_1)
	v_fmac_f32_e32 v18, v35, v4
	s_waitcnt vmcnt(1)
	v_fmac_f32_e32 v18, v37, v5
	s_waitcnt vmcnt(0)
	s_delay_alu instid0(VALU_DEP_1)
	v_fmac_f32_e32 v18, v38, v6
	s_branch .LBB5_13
.LBB5_22:
	s_or_b32 exec_lo, exec_lo, s31
.LBB5_23:
	s_delay_alu instid0(SALU_CYCLE_1) | instskip(SKIP_1) | instid1(SALU_CYCLE_1)
	s_or_b32 exec_lo, exec_lo, s30
	s_sub_i32 s0, s37, s40
	s_cmp_lt_i32 s0, 1
	s_cbranch_scc1 .LBB5_41
; %bb.24:
	v_cmp_gt_i32_e32 vcc_lo, s37, v16
	v_dual_mov_b32 v19, 0 :: v_dual_mov_b32 v20, 0
	v_or_b32_e32 v2, 1, v16
	v_dual_mov_b32 v10, 0 :: v_dual_mov_b32 v9, 0
	s_and_saveexec_b32 s1, vcc_lo
	s_cbranch_execz .LBB5_32
; %bb.25:
	v_mad_u64_u32 v[3:4], null, v16, s28, 0
	s_lshl_b64 s[2:3], s[10:11], 2
	v_dual_mov_b32 v20, 0 :: v_dual_mov_b32 v19, 0
	s_add_u32 s0, s24, s2
	s_addc_u32 s2, s25, s3
	s_lshl_b64 s[10:11], s[26:27], 2
	s_delay_alu instid0(VALU_DEP_2) | instskip(SKIP_3) | instid1(VALU_DEP_1)
	v_dual_mov_b32 v1, v4 :: v_dual_mov_b32 v10, 0
	s_add_u32 s3, s0, s10
	s_addc_u32 s4, s2, s11
	s_mov_b32 s2, exec_lo
	v_mad_u64_u32 v[4:5], null, v16, s29, v[1:2]
	s_delay_alu instid0(VALU_DEP_1) | instskip(NEXT) | instid1(VALU_DEP_1)
	v_lshlrev_b64 v[3:4], 2, v[3:4]
	v_add_co_u32 v3, s0, s3, v3
	s_delay_alu instid0(VALU_DEP_1)
	v_add_co_ci_u32_e64 v4, s0, s4, v4, s0
	global_load_b32 v9, v[3:4], off
	v_cmpx_gt_i32_e64 s37, v2
	s_cbranch_execz .LBB5_31
; %bb.26:
	v_mad_u64_u32 v[3:4], null, v2, s28, 0
	v_mov_b32_e32 v19, 0
	s_mov_b32 s10, exec_lo
	s_delay_alu instid0(VALU_DEP_2) | instskip(NEXT) | instid1(VALU_DEP_1)
	v_dual_mov_b32 v20, 0 :: v_dual_mov_b32 v1, v4
	v_mad_u64_u32 v[4:5], null, v2, s29, v[1:2]
	v_or_b32_e32 v1, 2, v16
	s_delay_alu instid0(VALU_DEP_2) | instskip(NEXT) | instid1(VALU_DEP_1)
	v_lshlrev_b64 v[3:4], 2, v[3:4]
	v_add_co_u32 v3, s0, s3, v3
	s_delay_alu instid0(VALU_DEP_1)
	v_add_co_ci_u32_e64 v4, s0, s4, v4, s0
	global_load_b32 v10, v[3:4], off
	v_cmpx_gt_i32_e64 s37, v1
	s_cbranch_execz .LBB5_30
; %bb.27:
	v_mad_u64_u32 v[3:4], null, v1, s28, 0
	s_mov_b32 s11, exec_lo
	v_mov_b32_e32 v19, 0
	s_delay_alu instid0(VALU_DEP_2) | instskip(SKIP_1) | instid1(VALU_DEP_2)
	v_mad_u64_u32 v[5:6], null, v1, s29, v[4:5]
	v_or_b32_e32 v1, 3, v16
	v_mov_b32_e32 v4, v5
	s_delay_alu instid0(VALU_DEP_1) | instskip(NEXT) | instid1(VALU_DEP_1)
	v_lshlrev_b64 v[3:4], 2, v[3:4]
	v_add_co_u32 v3, s0, s3, v3
	s_delay_alu instid0(VALU_DEP_1)
	v_add_co_ci_u32_e64 v4, s0, s4, v4, s0
	global_load_b32 v20, v[3:4], off
	v_cmpx_gt_i32_e64 s37, v1
	s_cbranch_execz .LBB5_29
; %bb.28:
	v_mad_u64_u32 v[3:4], null, v1, s28, 0
	s_delay_alu instid0(VALU_DEP_1) | instskip(NEXT) | instid1(VALU_DEP_1)
	v_mad_u64_u32 v[5:6], null, v1, s29, v[4:5]
	v_mov_b32_e32 v4, v5
	s_delay_alu instid0(VALU_DEP_1) | instskip(NEXT) | instid1(VALU_DEP_1)
	v_lshlrev_b64 v[3:4], 2, v[3:4]
	v_add_co_u32 v3, s0, s3, v3
	s_delay_alu instid0(VALU_DEP_1)
	v_add_co_ci_u32_e64 v4, s0, s4, v4, s0
	global_load_b32 v19, v[3:4], off
.LBB5_29:
	s_or_b32 exec_lo, exec_lo, s11
.LBB5_30:
	s_delay_alu instid0(SALU_CYCLE_1)
	s_or_b32 exec_lo, exec_lo, s10
.LBB5_31:
	s_delay_alu instid0(SALU_CYCLE_1)
	s_or_b32 exec_lo, exec_lo, s2
.LBB5_32:
	s_delay_alu instid0(SALU_CYCLE_1) | instskip(NEXT) | instid1(SALU_CYCLE_1)
	s_or_b32 exec_lo, exec_lo, s1
	s_mov_b32 s1, exec_lo
	v_cmpx_gt_i32_e64 s36, v0
	s_cbranch_execz .LBB5_40
; %bb.33:
	v_mad_u64_u32 v[3:4], null, v16, s20, 0
	v_mad_u64_u32 v[5:6], null, v2, s20, 0
	v_ashrrev_i32_e32 v1, 31, v0
	s_lshl_b64 s[2:3], s[6:7], 2
	v_or_b32_e32 v28, 2, v16
	s_add_u32 s0, s16, s2
	s_delay_alu instid0(VALU_DEP_4)
	v_cndmask_b32_e32 v3, 0, v3, vcc_lo
	v_lshlrev_b64 v[21:22], 2, v[0:1]
	v_mad_u64_u32 v[7:8], null, v16, s21, v[4:5]
	s_addc_u32 s4, s17, s3
	s_lshl_b64 s[2:3], s[18:19], 2
	v_or_b32_e32 v16, 3, v16
	s_add_u32 s2, s0, s2
	v_mov_b32_e32 v1, v6
	v_mad_u64_u32 v[23:24], null, v28, s20, 0
	s_delay_alu instid0(VALU_DEP_4) | instskip(SKIP_1) | instid1(VALU_DEP_4)
	v_cndmask_b32_e32 v4, 0, v7, vcc_lo
	v_cmp_gt_i32_e32 vcc_lo, s37, v2
	v_mad_u64_u32 v[25:26], null, v2, s21, v[1:2]
	s_addc_u32 s3, s4, s3
	v_mad_u64_u32 v[6:7], null, v16, s20, 0
	v_cndmask_b32_e32 v26, 0, v5, vcc_lo
	v_lshlrev_b64 v[3:4], 2, v[3:4]
	s_delay_alu instid0(VALU_DEP_4) | instskip(NEXT) | instid1(VALU_DEP_2)
	v_cndmask_b32_e32 v27, 0, v25, vcc_lo
	v_add_co_u32 v1, s0, s2, v3
	s_delay_alu instid0(VALU_DEP_1) | instskip(NEXT) | instid1(VALU_DEP_3)
	v_add_co_ci_u32_e64 v2, s0, s3, v4, s0
	v_lshlrev_b64 v[3:4], 2, v[26:27]
	s_delay_alu instid0(VALU_DEP_3) | instskip(NEXT) | instid1(VALU_DEP_3)
	v_add_co_u32 v1, vcc_lo, v1, v21
	v_add_co_ci_u32_e32 v2, vcc_lo, v2, v22, vcc_lo
	v_cmp_gt_i32_e32 vcc_lo, s37, v28
	v_mov_b32_e32 v5, v24
	v_add_co_u32 v3, s0, s2, v3
	s_delay_alu instid0(VALU_DEP_1) | instskip(NEXT) | instid1(VALU_DEP_3)
	v_add_co_ci_u32_e64 v4, s0, s3, v4, s0
	v_mad_u64_u32 v[24:25], null, v28, s21, v[5:6]
	v_mov_b32_e32 v5, v7
	v_cndmask_b32_e32 v7, 0, v23, vcc_lo
	s_mov_b32 s0, exec_lo
	s_delay_alu instid0(VALU_DEP_3)
	v_cndmask_b32_e32 v8, 0, v24, vcc_lo
	v_add_co_u32 v3, vcc_lo, v3, v21
	v_add_co_ci_u32_e32 v4, vcc_lo, v4, v22, vcc_lo
	v_mad_u64_u32 v[23:24], null, v16, s21, v[5:6]
	s_clause 0x1
	global_load_b32 v24, v[1:2], off
	global_load_b32 v25, v[3:4], off
	v_cmp_gt_i32_e32 vcc_lo, s37, v16
	s_waitcnt vmcnt(1)
	v_fmac_f32_e32 v14, v9, v24
	s_waitcnt vmcnt(0)
	s_delay_alu instid0(VALU_DEP_1) | instskip(SKIP_2) | instid1(VALU_DEP_2)
	v_fmac_f32_e32 v14, v10, v25
	v_lshlrev_b64 v[7:8], 2, v[7:8]
	v_dual_cndmask_b32 v5, 0, v6 :: v_dual_cndmask_b32 v6, 0, v23
	v_add_co_u32 v16, vcc_lo, s2, v7
	s_delay_alu instid0(VALU_DEP_3) | instskip(NEXT) | instid1(VALU_DEP_3)
	v_add_co_ci_u32_e32 v23, vcc_lo, s3, v8, vcc_lo
	v_lshlrev_b64 v[7:8], 2, v[5:6]
	s_delay_alu instid0(VALU_DEP_3) | instskip(NEXT) | instid1(VALU_DEP_3)
	v_add_co_u32 v5, vcc_lo, v16, v21
	v_add_co_ci_u32_e32 v6, vcc_lo, v23, v22, vcc_lo
	s_delay_alu instid0(VALU_DEP_3) | instskip(NEXT) | instid1(VALU_DEP_4)
	v_add_co_u32 v7, vcc_lo, s2, v7
	v_add_co_ci_u32_e32 v8, vcc_lo, s3, v8, vcc_lo
	global_load_b32 v23, v[5:6], off
	v_add_co_u32 v7, vcc_lo, v7, v21
	v_add_co_ci_u32_e32 v8, vcc_lo, v8, v22, vcc_lo
	v_add_nc_u32_e32 v21, 64, v0
	global_load_b32 v16, v[7:8], off
	s_waitcnt vmcnt(1)
	v_fmac_f32_e32 v14, v20, v23
	v_cmpx_gt_i32_e64 s36, v21
	s_cbranch_execz .LBB5_39
; %bb.34:
	s_clause 0x3
	global_load_b32 v22, v[1:2], off offset:256
	global_load_b32 v23, v[3:4], off offset:256
	;; [unrolled: 1-line block ×4, first 2 shown]
	s_mov_b32 s2, exec_lo
	s_waitcnt vmcnt(3)
	v_dual_fmac_f32 v15, v9, v22 :: v_dual_add_nc_u32 v22, 0x80, v0
	s_waitcnt vmcnt(2)
	s_delay_alu instid0(VALU_DEP_1) | instskip(SKIP_1) | instid1(VALU_DEP_1)
	v_fmac_f32_e32 v15, v10, v23
	s_waitcnt vmcnt(1)
	v_fmac_f32_e32 v15, v20, v24
	v_cmpx_gt_i32_e64 s36, v22
	s_cbranch_execz .LBB5_38
; %bb.35:
	s_clause 0x3
	global_load_b32 v23, v[1:2], off offset:512
	global_load_b32 v24, v[3:4], off offset:512
	;; [unrolled: 1-line block ×4, first 2 shown]
	s_mov_b32 s3, exec_lo
	s_waitcnt vmcnt(3)
	v_dual_fmac_f32 v17, v9, v23 :: v_dual_add_nc_u32 v0, 0xc0, v0
	s_waitcnt vmcnt(2)
	s_delay_alu instid0(VALU_DEP_1) | instskip(SKIP_1) | instid1(VALU_DEP_1)
	v_fmac_f32_e32 v17, v10, v24
	s_waitcnt vmcnt(1)
	v_fmac_f32_e32 v17, v20, v25
	v_cmpx_gt_i32_e64 s36, v0
	s_cbranch_execz .LBB5_37
; %bb.36:
	s_clause 0x3
	global_load_b32 v0, v[1:2], off offset:768
	global_load_b32 v1, v[3:4], off offset:768
	;; [unrolled: 1-line block ×4, first 2 shown]
	s_waitcnt vmcnt(3)
	v_fmac_f32_e32 v18, v9, v0
	s_waitcnt vmcnt(2)
	s_delay_alu instid0(VALU_DEP_1) | instskip(SKIP_1) | instid1(VALU_DEP_1)
	v_fmac_f32_e32 v18, v10, v1
	s_waitcnt vmcnt(1)
	v_fmac_f32_e32 v18, v20, v2
	s_waitcnt vmcnt(0)
	s_delay_alu instid0(VALU_DEP_1)
	v_fmac_f32_e32 v18, v19, v3
.LBB5_37:
	s_or_b32 exec_lo, exec_lo, s3
	s_waitcnt vmcnt(0)
	v_fmac_f32_e32 v17, v19, v22
.LBB5_38:
	s_or_b32 exec_lo, exec_lo, s2
	s_waitcnt vmcnt(0)
	v_fmac_f32_e32 v15, v19, v21
.LBB5_39:
	s_or_b32 exec_lo, exec_lo, s0
	s_waitcnt vmcnt(0)
	v_fmac_f32_e32 v14, v19, v16
.LBB5_40:
	s_or_b32 exec_lo, exec_lo, s1
.LBB5_41:
	v_lshlrev_b32_e32 v0, 8, v13
	s_mov_b32 s0, exec_lo
                                        ; implicit-def: $vgpr1
                                        ; implicit-def: $vgpr2_vgpr3
	s_delay_alu instid0(VALU_DEP_1)
	v_add_lshl_u32 v0, v0, v12, 2
	ds_store_2addr_stride64_b32 v0, v14, v15 offset1:1
	ds_store_2addr_stride64_b32 v0, v17, v18 offset0:2 offset1:3
	s_waitcnt vmcnt(0) lgkmcnt(0)
	s_barrier
	buffer_gl0_inv
	v_cmpx_gt_u32_e32 0x100, v11
	s_cbranch_execz .LBB5_47
; %bb.42:
	v_lshlrev_b32_e32 v5, 2, v11
	v_or_b32_e32 v4, s39, v11
	s_mov_b32 s2, s35
	s_mov_b32 s1, exec_lo
	ds_load_2addr_stride64_b32 v[0:1], v5 offset1:4
	ds_load_2addr_stride64_b32 v[2:3], v5 offset0:8 offset1:12
	s_waitcnt lgkmcnt(1)
	v_add_f32_e32 v0, v0, v1
                                        ; implicit-def: $vgpr1
	s_waitcnt lgkmcnt(0)
	s_delay_alu instid0(VALU_DEP_1) | instskip(NEXT) | instid1(VALU_DEP_1)
	v_add_f32_e32 v0, v2, v0
	v_add_f32_e32 v0, v3, v0
                                        ; implicit-def: $vgpr2_vgpr3
	ds_store_b32 v5, v0
	v_cmpx_gt_i32_e64 s36, v4
	s_cbranch_execz .LBB5_46
; %bb.43:
	v_ashrrev_i32_e32 v1, 31, v4
	v_mul_lo_u32 v5, v4, s9
	v_mad_u64_u32 v[2:3], null, v4, s8, 0
	v_cmp_eq_f32_e64 s2, s34, 0
	s_delay_alu instid0(VALU_DEP_4) | instskip(SKIP_1) | instid1(VALU_DEP_3)
	v_mul_lo_u32 v4, v1, s8
	v_mul_f32_e32 v1, s38, v0
	s_and_b32 vcc_lo, exec_lo, s2
	s_delay_alu instid0(VALU_DEP_2)
	v_add3_u32 v3, v3, v5, v4
	s_cbranch_vccnz .LBB5_45
; %bb.44:
	s_delay_alu instid0(VALU_DEP_1) | instskip(NEXT) | instid1(VALU_DEP_1)
	v_lshlrev_b64 v[4:5], 2, v[2:3]
	v_add_co_u32 v4, vcc_lo, s5, v4
	s_delay_alu instid0(VALU_DEP_2)
	v_add_co_ci_u32_e32 v5, vcc_lo, s33, v5, vcc_lo
	global_load_b32 v0, v[4:5], off
	s_waitcnt vmcnt(0)
	v_fmac_f32_e32 v1, s34, v0
.LBB5_45:
	s_or_b32 s2, s35, exec_lo
.LBB5_46:
	s_or_b32 exec_lo, exec_lo, s1
	s_delay_alu instid0(SALU_CYCLE_1) | instskip(SKIP_1) | instid1(SALU_CYCLE_1)
	s_and_not1_b32 s1, s35, exec_lo
	s_and_b32 s2, s2, exec_lo
	s_or_b32 s35, s1, s2
.LBB5_47:
	s_or_b32 exec_lo, exec_lo, s0
.LBB5_48:
	s_and_saveexec_b32 s0, s35
	s_cbranch_execz .LBB5_50
; %bb.49:
	v_lshlrev_b64 v[2:3], 2, v[2:3]
	s_delay_alu instid0(VALU_DEP_1) | instskip(NEXT) | instid1(VALU_DEP_2)
	v_add_co_u32 v2, vcc_lo, s5, v2
	v_add_co_ci_u32_e32 v3, vcc_lo, s33, v3, vcc_lo
	global_store_b32 v[2:3], v1, off
.LBB5_50:
	s_nop 0
	s_sendmsg sendmsg(MSG_DEALLOC_VGPRS)
	s_endpgm
	.section	.rodata,"a",@progbits
	.p2align	6, 0x0
	.amdhsa_kernel _ZL20rocblas_gemvn_kernelILi64ELi4ElfffEviiT3_lPKT2_lT1_lS3_lS4_lS0_lPT4_lS4_li
		.amdhsa_group_segment_fixed_size 4096
		.amdhsa_private_segment_fixed_size 0
		.amdhsa_kernarg_size 400
		.amdhsa_user_sgpr_count 14
		.amdhsa_user_sgpr_dispatch_ptr 0
		.amdhsa_user_sgpr_queue_ptr 0
		.amdhsa_user_sgpr_kernarg_segment_ptr 1
		.amdhsa_user_sgpr_dispatch_id 0
		.amdhsa_user_sgpr_private_segment_size 0
		.amdhsa_wavefront_size32 1
		.amdhsa_uses_dynamic_stack 0
		.amdhsa_enable_private_segment 0
		.amdhsa_system_sgpr_workgroup_id_x 1
		.amdhsa_system_sgpr_workgroup_id_y 0
		.amdhsa_system_sgpr_workgroup_id_z 1
		.amdhsa_system_sgpr_workgroup_info 0
		.amdhsa_system_vgpr_workitem_id 1
		.amdhsa_next_free_vgpr 51
		.amdhsa_next_free_sgpr 44
		.amdhsa_reserve_vcc 1
		.amdhsa_float_round_mode_32 0
		.amdhsa_float_round_mode_16_64 0
		.amdhsa_float_denorm_mode_32 3
		.amdhsa_float_denorm_mode_16_64 3
		.amdhsa_dx10_clamp 1
		.amdhsa_ieee_mode 1
		.amdhsa_fp16_overflow 0
		.amdhsa_workgroup_processor_mode 1
		.amdhsa_memory_ordered 1
		.amdhsa_forward_progress 0
		.amdhsa_shared_vgpr_count 0
		.amdhsa_exception_fp_ieee_invalid_op 0
		.amdhsa_exception_fp_denorm_src 0
		.amdhsa_exception_fp_ieee_div_zero 0
		.amdhsa_exception_fp_ieee_overflow 0
		.amdhsa_exception_fp_ieee_underflow 0
		.amdhsa_exception_fp_ieee_inexact 0
		.amdhsa_exception_int_div_zero 0
	.end_amdhsa_kernel
	.section	.text._ZL20rocblas_gemvn_kernelILi64ELi4ElfffEviiT3_lPKT2_lT1_lS3_lS4_lS0_lPT4_lS4_li,"axG",@progbits,_ZL20rocblas_gemvn_kernelILi64ELi4ElfffEviiT3_lPKT2_lT1_lS3_lS4_lS0_lPT4_lS4_li,comdat
.Lfunc_end5:
	.size	_ZL20rocblas_gemvn_kernelILi64ELi4ElfffEviiT3_lPKT2_lT1_lS3_lS4_lS0_lPT4_lS4_li, .Lfunc_end5-_ZL20rocblas_gemvn_kernelILi64ELi4ElfffEviiT3_lPKT2_lT1_lS3_lS4_lS0_lPT4_lS4_li
                                        ; -- End function
	.section	.AMDGPU.csdata,"",@progbits
; Kernel info:
; codeLenInByte = 3292
; NumSgprs: 46
; NumVgprs: 51
; ScratchSize: 0
; MemoryBound: 0
; FloatMode: 240
; IeeeMode: 1
; LDSByteSize: 4096 bytes/workgroup (compile time only)
; SGPRBlocks: 5
; VGPRBlocks: 6
; NumSGPRsForWavesPerEU: 46
; NumVGPRsForWavesPerEU: 51
; Occupancy: 16
; WaveLimiterHint : 1
; COMPUTE_PGM_RSRC2:SCRATCH_EN: 0
; COMPUTE_PGM_RSRC2:USER_SGPR: 14
; COMPUTE_PGM_RSRC2:TRAP_HANDLER: 0
; COMPUTE_PGM_RSRC2:TGID_X_EN: 1
; COMPUTE_PGM_RSRC2:TGID_Y_EN: 0
; COMPUTE_PGM_RSRC2:TGID_Z_EN: 1
; COMPUTE_PGM_RSRC2:TIDIG_COMP_CNT: 1
	.section	.text._ZL24rocblas_gemv_scal_kernelILi256EPKfPfEviT0_lT1_lili,"axG",@progbits,_ZL24rocblas_gemv_scal_kernelILi256EPKfPfEviT0_lT1_lili,comdat
	.globl	_ZL24rocblas_gemv_scal_kernelILi256EPKfPfEviT0_lT1_lili ; -- Begin function _ZL24rocblas_gemv_scal_kernelILi256EPKfPfEviT0_lT1_lili
	.p2align	8
	.type	_ZL24rocblas_gemv_scal_kernelILi256EPKfPfEviT0_lT1_lili,@function
_ZL24rocblas_gemv_scal_kernelILi256EPKfPfEviT0_lT1_lili: ; @_ZL24rocblas_gemv_scal_kernelILi256EPKfPfEviT0_lT1_lili
; %bb.0:
	s_load_b256 s[4:11], s[0:1], 0x8
	s_waitcnt lgkmcnt(0)
	s_mul_i32 s2, s15, s7
	s_mul_hi_u32 s3, s15, s6
	s_delay_alu instid0(SALU_CYCLE_1) | instskip(SKIP_1) | instid1(SALU_CYCLE_1)
	s_add_i32 s3, s3, s2
	s_mul_i32 s2, s15, s6
	s_lshl_b64 s[2:3], s[2:3], 2
	s_delay_alu instid0(SALU_CYCLE_1) | instskip(SKIP_4) | instid1(VALU_DEP_1)
	s_add_u32 s2, s4, s2
	s_addc_u32 s3, s5, s3
	s_load_b32 s2, s[2:3], 0x0
	s_waitcnt lgkmcnt(0)
	v_cmp_eq_f32_e64 s3, s2, 1.0
	s_and_b32 vcc_lo, exec_lo, s3
	s_cbranch_vccnz .LBB6_5
; %bb.1:
	s_clause 0x1
	s_load_b32 s3, s[0:1], 0x4c
	s_load_b32 s4, s[0:1], 0x0
	s_waitcnt lgkmcnt(0)
	s_and_b32 s3, s3, 0xffff
	s_ashr_i32 s5, s4, 31
	v_mad_u64_u32 v[1:2], null, s14, s3, v[0:1]
	v_mov_b32_e32 v2, 0
	s_mov_b32 s3, exec_lo
	s_delay_alu instid0(VALU_DEP_1)
	v_cmpx_gt_i64_e64 s[4:5], v[1:2]
	s_cbranch_execz .LBB6_5
; %bb.2:
	s_clause 0x1
	s_load_b32 s3, s[0:1], 0x28
	s_load_b64 s[0:1], s[0:1], 0x30
	v_cmp_eq_f32_e64 s5, s2, 0
	s_waitcnt lgkmcnt(0)
	v_mad_u64_u32 v[3:4], null, v1, s3, 0
	s_ashr_i32 s3, s3, 31
	s_mul_i32 s1, s15, s1
	s_delay_alu instid0(VALU_DEP_1) | instskip(NEXT) | instid1(VALU_DEP_1)
	v_mov_b32_e32 v0, v4
	v_mad_u64_u32 v[4:5], null, v1, s3, v[0:1]
	s_mul_hi_u32 s3, s15, s0
	s_mul_i32 s0, s15, s0
	s_add_i32 s1, s3, s1
	s_delay_alu instid0(SALU_CYCLE_1) | instskip(NEXT) | instid1(SALU_CYCLE_1)
	s_lshl_b64 s[0:1], s[0:1], 2
	s_add_u32 s3, s8, s0
	s_delay_alu instid0(VALU_DEP_1) | instskip(SKIP_2) | instid1(SALU_CYCLE_1)
	v_lshlrev_b64 v[0:1], 2, v[3:4]
	s_addc_u32 s4, s9, s1
	s_lshl_b64 s[0:1], s[10:11], 2
	s_add_u32 s0, s3, s0
	s_addc_u32 s1, s4, s1
	s_delay_alu instid0(VALU_DEP_1)
	v_add_co_u32 v0, vcc_lo, s0, v0
	v_add_co_ci_u32_e32 v1, vcc_lo, s1, v1, vcc_lo
	s_and_b32 vcc_lo, exec_lo, s5
	s_cbranch_vccnz .LBB6_4
; %bb.3:
	global_load_b32 v2, v[0:1], off
	s_waitcnt vmcnt(0)
	v_mul_f32_e32 v2, s2, v2
.LBB6_4:
	global_store_b32 v[0:1], v2, off
.LBB6_5:
	s_nop 0
	s_sendmsg sendmsg(MSG_DEALLOC_VGPRS)
	s_endpgm
	.section	.rodata,"a",@progbits
	.p2align	6, 0x0
	.amdhsa_kernel _ZL24rocblas_gemv_scal_kernelILi256EPKfPfEviT0_lT1_lili
		.amdhsa_group_segment_fixed_size 0
		.amdhsa_private_segment_fixed_size 0
		.amdhsa_kernarg_size 320
		.amdhsa_user_sgpr_count 14
		.amdhsa_user_sgpr_dispatch_ptr 0
		.amdhsa_user_sgpr_queue_ptr 0
		.amdhsa_user_sgpr_kernarg_segment_ptr 1
		.amdhsa_user_sgpr_dispatch_id 0
		.amdhsa_user_sgpr_private_segment_size 0
		.amdhsa_wavefront_size32 1
		.amdhsa_uses_dynamic_stack 0
		.amdhsa_enable_private_segment 0
		.amdhsa_system_sgpr_workgroup_id_x 1
		.amdhsa_system_sgpr_workgroup_id_y 0
		.amdhsa_system_sgpr_workgroup_id_z 1
		.amdhsa_system_sgpr_workgroup_info 0
		.amdhsa_system_vgpr_workitem_id 0
		.amdhsa_next_free_vgpr 6
		.amdhsa_next_free_sgpr 16
		.amdhsa_reserve_vcc 1
		.amdhsa_float_round_mode_32 0
		.amdhsa_float_round_mode_16_64 0
		.amdhsa_float_denorm_mode_32 3
		.amdhsa_float_denorm_mode_16_64 3
		.amdhsa_dx10_clamp 1
		.amdhsa_ieee_mode 1
		.amdhsa_fp16_overflow 0
		.amdhsa_workgroup_processor_mode 1
		.amdhsa_memory_ordered 1
		.amdhsa_forward_progress 0
		.amdhsa_shared_vgpr_count 0
		.amdhsa_exception_fp_ieee_invalid_op 0
		.amdhsa_exception_fp_denorm_src 0
		.amdhsa_exception_fp_ieee_div_zero 0
		.amdhsa_exception_fp_ieee_overflow 0
		.amdhsa_exception_fp_ieee_underflow 0
		.amdhsa_exception_fp_ieee_inexact 0
		.amdhsa_exception_int_div_zero 0
	.end_amdhsa_kernel
	.section	.text._ZL24rocblas_gemv_scal_kernelILi256EPKfPfEviT0_lT1_lili,"axG",@progbits,_ZL24rocblas_gemv_scal_kernelILi256EPKfPfEviT0_lT1_lili,comdat
.Lfunc_end6:
	.size	_ZL24rocblas_gemv_scal_kernelILi256EPKfPfEviT0_lT1_lili, .Lfunc_end6-_ZL24rocblas_gemv_scal_kernelILi256EPKfPfEviT0_lT1_lili
                                        ; -- End function
	.section	.AMDGPU.csdata,"",@progbits
; Kernel info:
; codeLenInByte = 320
; NumSgprs: 18
; NumVgprs: 6
; ScratchSize: 0
; MemoryBound: 0
; FloatMode: 240
; IeeeMode: 1
; LDSByteSize: 0 bytes/workgroup (compile time only)
; SGPRBlocks: 2
; VGPRBlocks: 0
; NumSGPRsForWavesPerEU: 18
; NumVGPRsForWavesPerEU: 6
; Occupancy: 16
; WaveLimiterHint : 0
; COMPUTE_PGM_RSRC2:SCRATCH_EN: 0
; COMPUTE_PGM_RSRC2:USER_SGPR: 14
; COMPUTE_PGM_RSRC2:TRAP_HANDLER: 0
; COMPUTE_PGM_RSRC2:TGID_X_EN: 1
; COMPUTE_PGM_RSRC2:TGID_Y_EN: 0
; COMPUTE_PGM_RSRC2:TGID_Z_EN: 1
; COMPUTE_PGM_RSRC2:TIDIG_COMP_CNT: 0
	.section	.text._ZL24rocblas_gemv_scal_kernelILi256EfPfEviT0_lT1_lili,"axG",@progbits,_ZL24rocblas_gemv_scal_kernelILi256EfPfEviT0_lT1_lili,comdat
	.globl	_ZL24rocblas_gemv_scal_kernelILi256EfPfEviT0_lT1_lili ; -- Begin function _ZL24rocblas_gemv_scal_kernelILi256EfPfEviT0_lT1_lili
	.p2align	8
	.type	_ZL24rocblas_gemv_scal_kernelILi256EfPfEviT0_lT1_lili,@function
_ZL24rocblas_gemv_scal_kernelILi256EfPfEviT0_lT1_lili: ; @_ZL24rocblas_gemv_scal_kernelILi256EfPfEviT0_lT1_lili
; %bb.0:
	s_load_b64 s[2:3], s[0:1], 0x0
	s_waitcnt lgkmcnt(0)
	v_cmp_eq_f32_e64 s4, s3, 1.0
	s_delay_alu instid0(VALU_DEP_1)
	s_and_b32 vcc_lo, exec_lo, s4
	s_cbranch_vccnz .LBB7_5
; %bb.1:
	s_load_b32 s4, s[0:1], 0x44
	s_ashr_i32 s5, s2, 31
	s_waitcnt lgkmcnt(0)
	s_and_b32 s4, s4, 0xffff
	s_delay_alu instid0(SALU_CYCLE_1) | instskip(SKIP_3) | instid1(VALU_DEP_1)
	v_mad_u64_u32 v[1:2], null, s14, s4, v[0:1]
	v_mov_b32_e32 v2, 0
	s_mov_b32 s4, s2
	s_mov_b32 s2, exec_lo
	v_cmpx_gt_i64_e64 s[4:5], v[1:2]
	s_cbranch_execz .LBB7_5
; %bb.2:
	s_clause 0x2
	s_load_b32 s2, s[0:1], 0x20
	s_load_b64 s[8:9], s[0:1], 0x28
	s_load_b128 s[4:7], s[0:1], 0x10
	s_waitcnt lgkmcnt(0)
	v_mad_u64_u32 v[3:4], null, v1, s2, 0
	s_ashr_i32 s0, s2, 31
	s_mul_i32 s1, s15, s9
	s_mul_hi_u32 s2, s15, s8
	s_delay_alu instid0(SALU_CYCLE_1) | instskip(NEXT) | instid1(VALU_DEP_1)
	s_add_i32 s1, s2, s1
	v_mov_b32_e32 v0, v4
	s_delay_alu instid0(VALU_DEP_1) | instskip(SKIP_1) | instid1(SALU_CYCLE_1)
	v_mad_u64_u32 v[4:5], null, v1, s0, v[0:1]
	s_mul_i32 s0, s15, s8
	s_lshl_b64 s[0:1], s[0:1], 2
	s_delay_alu instid0(SALU_CYCLE_1) | instskip(SKIP_1) | instid1(VALU_DEP_1)
	s_add_u32 s2, s4, s0
	s_addc_u32 s4, s5, s1
	v_lshlrev_b64 v[0:1], 2, v[3:4]
	s_lshl_b64 s[0:1], s[6:7], 2
	v_cmp_eq_f32_e64 s5, s3, 0
	s_add_u32 s0, s2, s0
	s_addc_u32 s1, s4, s1
	s_delay_alu instid0(VALU_DEP_2)
	v_add_co_u32 v0, vcc_lo, s0, v0
	v_add_co_ci_u32_e32 v1, vcc_lo, s1, v1, vcc_lo
	s_and_b32 vcc_lo, exec_lo, s5
	s_cbranch_vccnz .LBB7_4
; %bb.3:
	global_load_b32 v2, v[0:1], off
	s_waitcnt vmcnt(0)
	v_mul_f32_e32 v2, s3, v2
.LBB7_4:
	global_store_b32 v[0:1], v2, off
.LBB7_5:
	s_nop 0
	s_sendmsg sendmsg(MSG_DEALLOC_VGPRS)
	s_endpgm
	.section	.rodata,"a",@progbits
	.p2align	6, 0x0
	.amdhsa_kernel _ZL24rocblas_gemv_scal_kernelILi256EfPfEviT0_lT1_lili
		.amdhsa_group_segment_fixed_size 0
		.amdhsa_private_segment_fixed_size 0
		.amdhsa_kernarg_size 312
		.amdhsa_user_sgpr_count 14
		.amdhsa_user_sgpr_dispatch_ptr 0
		.amdhsa_user_sgpr_queue_ptr 0
		.amdhsa_user_sgpr_kernarg_segment_ptr 1
		.amdhsa_user_sgpr_dispatch_id 0
		.amdhsa_user_sgpr_private_segment_size 0
		.amdhsa_wavefront_size32 1
		.amdhsa_uses_dynamic_stack 0
		.amdhsa_enable_private_segment 0
		.amdhsa_system_sgpr_workgroup_id_x 1
		.amdhsa_system_sgpr_workgroup_id_y 0
		.amdhsa_system_sgpr_workgroup_id_z 1
		.amdhsa_system_sgpr_workgroup_info 0
		.amdhsa_system_vgpr_workitem_id 0
		.amdhsa_next_free_vgpr 6
		.amdhsa_next_free_sgpr 16
		.amdhsa_reserve_vcc 1
		.amdhsa_float_round_mode_32 0
		.amdhsa_float_round_mode_16_64 0
		.amdhsa_float_denorm_mode_32 3
		.amdhsa_float_denorm_mode_16_64 3
		.amdhsa_dx10_clamp 1
		.amdhsa_ieee_mode 1
		.amdhsa_fp16_overflow 0
		.amdhsa_workgroup_processor_mode 1
		.amdhsa_memory_ordered 1
		.amdhsa_forward_progress 0
		.amdhsa_shared_vgpr_count 0
		.amdhsa_exception_fp_ieee_invalid_op 0
		.amdhsa_exception_fp_denorm_src 0
		.amdhsa_exception_fp_ieee_div_zero 0
		.amdhsa_exception_fp_ieee_overflow 0
		.amdhsa_exception_fp_ieee_underflow 0
		.amdhsa_exception_fp_ieee_inexact 0
		.amdhsa_exception_int_div_zero 0
	.end_amdhsa_kernel
	.section	.text._ZL24rocblas_gemv_scal_kernelILi256EfPfEviT0_lT1_lili,"axG",@progbits,_ZL24rocblas_gemv_scal_kernelILi256EfPfEviT0_lT1_lili,comdat
.Lfunc_end7:
	.size	_ZL24rocblas_gemv_scal_kernelILi256EfPfEviT0_lT1_lili, .Lfunc_end7-_ZL24rocblas_gemv_scal_kernelILi256EfPfEviT0_lT1_lili
                                        ; -- End function
	.section	.AMDGPU.csdata,"",@progbits
; Kernel info:
; codeLenInByte = 276
; NumSgprs: 18
; NumVgprs: 6
; ScratchSize: 0
; MemoryBound: 0
; FloatMode: 240
; IeeeMode: 1
; LDSByteSize: 0 bytes/workgroup (compile time only)
; SGPRBlocks: 2
; VGPRBlocks: 0
; NumSGPRsForWavesPerEU: 18
; NumVGPRsForWavesPerEU: 6
; Occupancy: 16
; WaveLimiterHint : 0
; COMPUTE_PGM_RSRC2:SCRATCH_EN: 0
; COMPUTE_PGM_RSRC2:USER_SGPR: 14
; COMPUTE_PGM_RSRC2:TRAP_HANDLER: 0
; COMPUTE_PGM_RSRC2:TGID_X_EN: 1
; COMPUTE_PGM_RSRC2:TGID_Y_EN: 0
; COMPUTE_PGM_RSRC2:TGID_Z_EN: 1
; COMPUTE_PGM_RSRC2:TIDIG_COMP_CNT: 0
	.section	.text._ZL36rocblas_gemvn_double_buffered_kernelILi128ELi8ELi8EfPKffEviiT3_lPKT2_lilS5_lilPT4_lili,"axG",@progbits,_ZL36rocblas_gemvn_double_buffered_kernelILi128ELi8ELi8EfPKffEviiT3_lPKT2_lilS5_lilPT4_lili,comdat
	.globl	_ZL36rocblas_gemvn_double_buffered_kernelILi128ELi8ELi8EfPKffEviiT3_lPKT2_lilS5_lilPT4_lili ; -- Begin function _ZL36rocblas_gemvn_double_buffered_kernelILi128ELi8ELi8EfPKffEviiT3_lPKT2_lilS5_lilPT4_lili
	.p2align	8
	.type	_ZL36rocblas_gemvn_double_buffered_kernelILi128ELi8ELi8EfPKffEviiT3_lPKT2_lilS5_lilPT4_lili,@function
_ZL36rocblas_gemvn_double_buffered_kernelILi128ELi8ELi8EfPKffEviiT3_lPKT2_lilS5_lilPT4_lili: ; @_ZL36rocblas_gemvn_double_buffered_kernelILi128ELi8ELi8EfPKffEviiT3_lPKT2_lilS5_lilPT4_lili
; %bb.0:
	s_load_b256 s[4:11], s[0:1], 0x8
	s_waitcnt lgkmcnt(0)
	s_mul_i32 s2, s15, s7
	s_mul_hi_u32 s3, s15, s6
	s_delay_alu instid0(SALU_CYCLE_1) | instskip(SKIP_1) | instid1(SALU_CYCLE_1)
	s_add_i32 s3, s3, s2
	s_mul_i32 s2, s15, s6
	s_lshl_b64 s[2:3], s[2:3], 2
	s_delay_alu instid0(SALU_CYCLE_1) | instskip(SKIP_4) | instid1(VALU_DEP_1)
	s_add_u32 s2, s4, s2
	s_addc_u32 s3, s5, s3
	s_load_b32 s26, s[2:3], 0x0
	s_waitcnt lgkmcnt(0)
	v_cmp_eq_f32_e64 s2, s26, 0
	s_and_b32 vcc_lo, exec_lo, s2
	s_cbranch_vccnz .LBB8_11
; %bb.1:
	s_clause 0x1
	s_load_b32 s2, s[0:1], 0x84
	s_load_b32 s3, s[0:1], 0x4
	s_waitcnt lgkmcnt(0)
	v_cvt_f32_u32_e32 v1, s2
	s_ashr_i32 s5, s3, 31
	s_sub_i32 s6, 0, s2
	s_lshr_b32 s5, s5, 25
	s_delay_alu instid0(SALU_CYCLE_1) | instskip(SKIP_4) | instid1(VALU_DEP_1)
	s_add_i32 s3, s3, s5
	v_rcp_iflag_f32_e32 v1, v1
	s_ashr_i32 s3, s3, 7
	s_waitcnt_depctr 0xfff
	v_mul_f32_e32 v1, 0x4f7ffffe, v1
	v_cvt_u32_f32_e32 v1, v1
	s_delay_alu instid0(VALU_DEP_1) | instskip(NEXT) | instid1(VALU_DEP_1)
	v_readfirstlane_b32 s4, v1
	s_mul_i32 s6, s6, s4
	s_delay_alu instid0(SALU_CYCLE_1) | instskip(NEXT) | instid1(SALU_CYCLE_1)
	s_mul_hi_u32 s5, s4, s6
	s_add_i32 s4, s4, s5
	s_delay_alu instid0(SALU_CYCLE_1) | instskip(NEXT) | instid1(SALU_CYCLE_1)
	s_mul_hi_u32 s4, s3, s4
	s_mul_i32 s5, s4, s2
	s_add_i32 s6, s4, 1
	s_sub_i32 s5, s3, s5
	s_delay_alu instid0(SALU_CYCLE_1)
	s_sub_i32 s7, s5, s2
	s_cmp_ge_u32 s5, s2
	s_cselect_b32 s4, s6, s4
	s_cselect_b32 s5, s7, s5
	s_add_i32 s6, s4, 1
	s_cmp_ge_u32 s5, s2
	s_cselect_b32 s16, s6, s4
	s_delay_alu instid0(SALU_CYCLE_1) | instskip(NEXT) | instid1(SALU_CYCLE_1)
	s_mul_i32 s2, s16, s2
	s_sub_i32 s17, s3, s2
	s_delay_alu instid0(SALU_CYCLE_1) | instskip(SKIP_1) | instid1(SALU_CYCLE_1)
	s_cmp_lt_u32 s14, s17
	s_cselect_b32 s2, -1, 0
	s_cmp_lg_u32 s2, 0
	s_addc_u32 s27, s16, 0
	s_delay_alu instid0(SALU_CYCLE_1)
	s_cmp_eq_u32 s27, 0
	s_cbranch_scc1 .LBB8_11
; %bb.2:
	s_clause 0x1
	s_load_b128 s[4:7], s[0:1], 0x50
	s_load_b64 s[2:3], s[0:1], 0x60
	v_dual_mov_b32 v1, 0 :: v_dual_and_b32 v20, 0x3ff, v0
	v_bfe_u32 v21, v0, 10, 10
	s_lshl_b32 s12, s13, 7
	s_delay_alu instid0(VALU_DEP_2) | instskip(SKIP_1) | instid1(VALU_DEP_2)
	v_dual_mov_b32 v33, 0 :: v_dual_and_b32 v0, 63, v20
	s_ashr_i32 s13, s12, 31
	v_lshl_add_u32 v2, v21, 7, v20
	s_cmp_lt_i32 s27, 1
	s_delay_alu instid0(VALU_DEP_2) | instskip(NEXT) | instid1(VALU_DEP_2)
	v_lshlrev_b32_e32 v23, 2, v0
	v_lshrrev_b32_e32 v22, 6, v2
	s_cbranch_scc1 .LBB8_8
; %bb.3:
	v_cvt_f64_i32_e32 v[3:4], s14
	v_cvt_f64_u32_e32 v[5:6], s17
	s_mul_i32 s16, s16, s14
	s_waitcnt lgkmcnt(0)
	s_mul_i32 s5, s5, s15
	v_cvt_f64_u32_e32 v[7:8], s16
	s_clause 0x2
	s_load_b128 s[16:19], s[0:1], 0x30
	s_load_b32 s22, s[0:1], 0x28
	s_load_b32 s20, s[0:1], 0x48
	v_mov_b32_e32 v1, 0
	s_waitcnt lgkmcnt(0)
	s_mul_i32 s14, s15, s17
	s_mul_hi_u32 s17, s15, s16
	s_mul_i32 s16, s15, s16
	s_add_i32 s17, s17, s14
	s_ashr_i32 s23, s22, 31
	s_lshl_b64 s[28:29], s[16:17], 2
	s_ashr_i32 s21, s20, 31
	s_add_u32 s14, s8, s28
	s_addc_u32 s16, s9, s29
	s_lshl_b64 s[30:31], s[10:11], 2
	s_delay_alu instid0(SALU_CYCLE_1) | instskip(SKIP_2) | instid1(SALU_CYCLE_1)
	s_add_u32 s10, s14, s30
	s_addc_u32 s11, s16, s31
	s_lshl_b64 s[34:35], s[12:13], 2
	s_add_u32 s13, s10, s34
	s_delay_alu instid0(VALU_DEP_3) | instskip(SKIP_2) | instid1(VALU_DEP_2)
	v_min_f64 v[3:4], v[3:4], v[5:6]
	v_lshlrev_b32_e32 v6, 3, v22
	s_addc_u32 s16, s11, s35
	v_add_f64 v[3:4], v[3:4], v[7:8]
	s_delay_alu instid0(VALU_DEP_1) | instskip(NEXT) | instid1(VALU_DEP_3)
	v_cvt_i32_f64_e32 v5, v[3:4]
	v_mad_i64_i32 v[3:4], null, s22, v6, v[0:1]
	v_lshrrev_b32_e32 v0, 1, v2
	s_delay_alu instid0(VALU_DEP_1) | instskip(NEXT) | instid1(VALU_DEP_3)
	v_and_b32_e32 v0, 0x1ffe0, v0
	v_lshlrev_b64 v[3:4], 2, v[3:4]
	v_readfirstlane_b32 s14, v5
	s_delay_alu instid0(VALU_DEP_1) | instskip(NEXT) | instid1(SALU_CYCLE_1)
	s_lshl_b32 s36, s14, 7
	s_mul_hi_i32 s11, s36, s22
	s_mul_i32 s10, s36, s22
	s_ashr_i32 s37, s36, 31
	s_lshl_b64 s[10:11], s[10:11], 2
	s_delay_alu instid0(SALU_CYCLE_1)
	s_add_u32 s10, s13, s10
	s_addc_u32 s11, s16, s11
	v_add_co_u32 v3, vcc_lo, s10, v3
	v_add_co_ci_u32_e32 v4, vcc_lo, s11, v4, vcc_lo
	s_lshl_b64 s[10:11], s[22:23], 2
	s_lshl_b32 s24, s20, 7
	s_delay_alu instid0(VALU_DEP_2) | instskip(NEXT) | instid1(VALU_DEP_2)
	v_add_co_u32 v5, vcc_lo, v3, s10
	v_add_co_ci_u32_e32 v6, vcc_lo, s11, v4, vcc_lo
	s_clause 0x1
	global_load_b32 v32, v[3:4], off
	global_load_b32 v30, v[5:6], off
	v_add_co_u32 v7, vcc_lo, v5, s10
	v_add_co_ci_u32_e32 v8, vcc_lo, s11, v6, vcc_lo
	s_lshl_b64 s[36:37], s[36:37], 2
	s_delay_alu instid0(VALU_DEP_2) | instskip(NEXT) | instid1(VALU_DEP_2)
	v_add_co_u32 v9, vcc_lo, v7, s10
	v_add_co_ci_u32_e32 v10, vcc_lo, s11, v8, vcc_lo
	global_load_b32 v31, v[7:8], off
	v_add_co_u32 v11, vcc_lo, v9, s10
	v_add_co_ci_u32_e32 v12, vcc_lo, s11, v10, vcc_lo
	s_lshl_b64 s[16:17], s[22:23], 9
	s_delay_alu instid0(VALU_DEP_2) | instskip(NEXT) | instid1(VALU_DEP_2)
	v_add_co_u32 v13, vcc_lo, v11, s10
	v_add_co_ci_u32_e32 v14, vcc_lo, s11, v12, vcc_lo
	s_add_i32 s13, s27, -1
	s_delay_alu instid0(VALU_DEP_2) | instskip(NEXT) | instid1(VALU_DEP_2)
	v_add_co_u32 v3, vcc_lo, v13, s10
	v_add_co_ci_u32_e32 v4, vcc_lo, s11, v14, vcc_lo
	s_ashr_i32 s25, s24, 31
	s_delay_alu instid0(VALU_DEP_2) | instskip(NEXT) | instid1(VALU_DEP_2)
	v_add_co_u32 v5, vcc_lo, v3, s10
	v_add_co_ci_u32_e32 v6, vcc_lo, s11, v4, vcc_lo
	global_load_b32 v29, v[9:10], off
	global_load_b32 v28, v[11:12], off
	;; [unrolled: 1-line block ×5, first 2 shown]
	v_add_co_u32 v33, s14, v0, s36
	s_add_u32 s8, s8, s34
	s_addc_u32 s9, s9, s35
	v_add_co_ci_u32_e64 v34, null, 0, s37, s14
	s_add_u32 s8, s8, s30
	s_addc_u32 s9, s9, s31
	s_add_u32 s8, s8, s28
	s_addc_u32 s9, s9, s29
	v_mul_lo_u32 v0, v33, s23
	v_mad_u64_u32 v[4:5], null, v33, s22, s[8:9]
	v_mul_lo_u32 v2, v34, s22
	v_add_co_u32 v6, vcc_lo, 0x200, v33
	v_add_co_ci_u32_e32 v7, vcc_lo, 0, v34, vcc_lo
	s_load_b64 s[28:29], s[0:1], 0x40
	s_mov_b32 s14, 0
	s_delay_alu instid0(VALU_DEP_3)
	v_add3_u32 v5, v2, v5, v0
	v_mad_u64_u32 v[2:3], null, v6, s22, s[8:9]
	v_mul_lo_u32 v6, v6, s23
	v_mul_lo_u32 v7, v7, s22
	v_add_co_u32 v0, vcc_lo, 0x100, v4
	v_add_co_ci_u32_e32 v24, vcc_lo, 0, v5, vcc_lo
	v_add_co_u32 v8, vcc_lo, 0x208, v33
	s_delay_alu instid0(VALU_DEP_4) | instskip(SKIP_1) | instid1(VALU_DEP_3)
	v_add3_u32 v3, v7, v3, v6
	v_add_co_ci_u32_e32 v6, vcc_lo, 0, v34, vcc_lo
	v_mad_u64_u32 v[4:5], null, v8, s22, s[8:9]
	v_mul_lo_u32 v35, v8, s23
	v_add_co_u32 v8, vcc_lo, 0x20c, v33
	v_add_co_ci_u32_e32 v9, vcc_lo, 0, v34, vcc_lo
	v_add_co_u32 v10, vcc_lo, 0x210, v33
	v_add_co_ci_u32_e32 v11, vcc_lo, 0, v34, vcc_lo
	;; [unrolled: 2-line block ×5, first 2 shown]
	v_add_co_u32 v18, vcc_lo, 0x204, v33
	v_mul_lo_u32 v36, v6, s22
	v_mad_u64_u32 v[6:7], null, v8, s22, s[8:9]
	v_mul_lo_u32 v37, v8, s23
	v_mul_lo_u32 v38, v9, s22
	v_mad_u64_u32 v[8:9], null, v10, s22, s[8:9]
	v_mul_lo_u32 v39, v10, s23
	;; [unrolled: 3-line block ×5, first 2 shown]
	v_mul_lo_u32 v46, v17, s22
	v_mad_u64_u32 v[16:17], null, v18, s22, s[8:9]
	s_mul_hi_u32 s8, s4, s15
	s_mul_i32 s4, s4, s15
	s_add_i32 s5, s8, s5
	s_waitcnt lgkmcnt(0)
	s_lshl_b64 s[8:9], s[28:29], 2
	s_lshl_b64 s[4:5], s[4:5], 2
	v_add_co_ci_u32_e32 v19, vcc_lo, 0, v34, vcc_lo
	s_add_u32 s8, s18, s8
	s_addc_u32 s9, s19, s9
	s_add_u32 s4, s8, s4
	s_addc_u32 s5, s9, s5
	v_mul_lo_u32 v47, v18, s23
	v_mul_lo_u32 v48, v19, s22
	v_mad_u64_u32 v[18:19], null, v33, s20, s[4:5]
	v_mul_lo_u32 v33, v33, s21
	v_mul_lo_u32 v34, v34, s20
	v_add3_u32 v5, v36, v5, v35
	v_add3_u32 v7, v38, v7, v37
	;; [unrolled: 1-line block ×8, first 2 shown]
	v_mov_b32_e32 v33, v1
	s_lshl_b64 s[4:5], s[24:25], 2
	s_lshl_b64 s[8:9], s[20:21], 2
	s_waitcnt vmcnt(6)
	v_dual_mov_b32 v34, v32 :: v_dual_mov_b32 v35, v30
	s_waitcnt vmcnt(4)
	v_dual_mov_b32 v36, v31 :: v_dual_mov_b32 v37, v29
	;; [unrolled: 2-line block ×4, first 2 shown]
.LBB8_4:                                ; =>This Inner Loop Header: Depth=1
	v_add_co_u32 v42, vcc_lo, v0, v23
	v_add_co_ci_u32_e32 v43, vcc_lo, 0, v24, vcc_lo
	s_cmp_eq_u32 s13, s14
	s_delay_alu instid0(VALU_DEP_2) | instskip(NEXT) | instid1(VALU_DEP_2)
	v_add_co_u32 v44, vcc_lo, v42, s10
	v_add_co_ci_u32_e32 v45, vcc_lo, s11, v43, vcc_lo
	s_delay_alu instid0(VALU_DEP_2) | instskip(NEXT) | instid1(VALU_DEP_2)
	v_add_co_u32 v46, vcc_lo, v44, s10
	v_add_co_ci_u32_e32 v47, vcc_lo, s11, v45, vcc_lo
	;; [unrolled: 3-line block ×5, first 2 shown]
	v_add_co_u32 v56, vcc_lo, v18, s8
	v_add_co_ci_u32_e32 v57, vcc_lo, s9, v19, vcc_lo
	s_clause 0x5
	global_load_b32 v49, v[42:43], off
	global_load_b32 v48, v[44:45], off
	;; [unrolled: 1-line block ×6, first 2 shown]
	v_add_co_u32 v50, vcc_lo, v56, s8
	v_add_co_ci_u32_e32 v51, vcc_lo, s9, v57, vcc_lo
	v_add_co_u32 v52, vcc_lo, v54, s10
	v_add_co_ci_u32_e32 v53, vcc_lo, s11, v55, vcc_lo
	s_delay_alu instid0(VALU_DEP_4) | instskip(NEXT) | instid1(VALU_DEP_4)
	v_add_co_u32 v58, vcc_lo, v50, s8
	v_add_co_ci_u32_e32 v59, vcc_lo, s9, v51, vcc_lo
	global_load_b32 v44, v[52:53], off
	v_add_co_u32 v60, vcc_lo, v58, s8
	v_add_co_ci_u32_e32 v61, vcc_lo, s9, v59, vcc_lo
	v_add_co_u32 v52, vcc_lo, v52, s10
	v_add_co_ci_u32_e32 v53, vcc_lo, s11, v53, vcc_lo
	s_delay_alu instid0(VALU_DEP_4) | instskip(NEXT) | instid1(VALU_DEP_4)
	v_add_co_u32 v62, vcc_lo, v60, s8
	v_add_co_ci_u32_e32 v63, vcc_lo, s9, v61, vcc_lo
	global_load_b32 v46, v[52:53], off
	v_add_co_u32 v64, vcc_lo, v62, s8
	v_add_co_ci_u32_e32 v65, vcc_lo, s9, v63, vcc_lo
	global_load_b32 v55, v[18:19], off
	v_add_co_u32 v66, vcc_lo, v64, s8
	v_add_co_ci_u32_e32 v67, vcc_lo, s9, v65, vcc_lo
	s_clause 0x5
	global_load_b32 v57, v[56:57], off
	global_load_b32 v56, v[50:51], off
	;; [unrolled: 1-line block ×7, first 2 shown]
	s_cbranch_scc1 .LBB8_6
; %bb.5:                                ;   in Loop: Header=BB8_4 Depth=1
	v_add_co_u32 v34, vcc_lo, v2, v23
	v_add_co_ci_u32_e32 v35, vcc_lo, 0, v3, vcc_lo
	v_add_co_u32 v36, vcc_lo, v16, v23
	v_add_co_ci_u32_e32 v37, vcc_lo, 0, v17, vcc_lo
	;; [unrolled: 2-line block ×3, first 2 shown]
	global_load_b32 v34, v[34:35], off
	global_load_b32 v35, v[36:37], off
	;; [unrolled: 1-line block ×3, first 2 shown]
	v_add_co_u32 v37, vcc_lo, v6, v23
	v_add_co_ci_u32_e32 v38, vcc_lo, 0, v7, vcc_lo
	v_add_co_u32 v39, vcc_lo, v8, v23
	v_add_co_ci_u32_e32 v40, vcc_lo, 0, v9, vcc_lo
	;; [unrolled: 2-line block ×5, first 2 shown]
	global_load_b32 v37, v[37:38], off
	global_load_b32 v38, v[39:40], off
	;; [unrolled: 1-line block ×5, first 2 shown]
.LBB8_6:                                ;   in Loop: Header=BB8_4 Depth=1
	s_waitcnt vmcnt(7)
	v_fmac_f32_e32 v33, v32, v55
	v_fmac_f32_e32 v1, v49, v55
	v_add_co_u32 v0, vcc_lo, v0, s16
	v_add_co_ci_u32_e32 v24, vcc_lo, s17, v24, vcc_lo
	s_waitcnt vmcnt(6)
	v_fmac_f32_e32 v33, v30, v57
	v_fmac_f32_e32 v1, v48, v57
	v_add_co_u32 v2, vcc_lo, v2, s16
	v_add_co_ci_u32_e32 v3, vcc_lo, s17, v3, vcc_lo
	;; [unrolled: 5-line block ×4, first 2 shown]
	v_add_co_u32 v8, vcc_lo, v8, s16
	s_waitcnt vmcnt(3)
	v_fmac_f32_e32 v33, v28, v53
	v_fmac_f32_e32 v1, v43, v53
	v_add_co_ci_u32_e32 v9, vcc_lo, s17, v9, vcc_lo
	v_add_co_u32 v10, vcc_lo, v10, s16
	v_add_co_ci_u32_e32 v11, vcc_lo, s17, v11, vcc_lo
	v_add_co_u32 v12, vcc_lo, v12, s16
	s_waitcnt vmcnt(2)
	v_fmac_f32_e32 v33, v27, v52
	v_fmac_f32_e32 v1, v42, v52
	v_add_co_ci_u32_e32 v13, vcc_lo, s17, v13, vcc_lo
	v_add_co_u32 v14, vcc_lo, v14, s16
	v_add_co_ci_u32_e32 v15, vcc_lo, s17, v15, vcc_lo
	s_waitcnt vmcnt(1)
	v_fmac_f32_e32 v33, v26, v51
	v_fmac_f32_e32 v1, v44, v51
	v_add_co_u32 v16, vcc_lo, v16, s16
	v_add_co_ci_u32_e32 v17, vcc_lo, s17, v17, vcc_lo
	v_add_co_u32 v18, vcc_lo, v18, s4
	s_waitcnt vmcnt(0)
	v_fmac_f32_e32 v33, v25, v50
	v_fmac_f32_e32 v1, v46, v50
	v_add_co_ci_u32_e32 v19, vcc_lo, s5, v19, vcc_lo
	s_add_i32 s14, s14, 1
	s_delay_alu instid0(SALU_CYCLE_1)
	s_cmp_lt_i32 s14, s27
	s_cbranch_scc0 .LBB8_8
; %bb.7:                                ;   in Loop: Header=BB8_4 Depth=1
	v_dual_mov_b32 v32, v34 :: v_dual_mov_b32 v31, v36
	v_dual_mov_b32 v30, v35 :: v_dual_mov_b32 v29, v37
	;; [unrolled: 1-line block ×4, first 2 shown]
	s_branch .LBB8_4
.LBB8_8:
	s_delay_alu instid0(VALU_DEP_1)
	v_lshl_or_b32 v0, v22, 9, v23
	s_waitcnt lgkmcnt(0)
	s_mov_b32 s4, 0
	s_mov_b32 s5, exec_lo
	ds_store_2addr_stride64_b32 v0, v33, v1 offset1:1
	s_waitcnt lgkmcnt(0)
	s_barrier
	buffer_gl0_inv
	v_cmpx_eq_u32_e32 0, v21
	s_cbranch_execz .LBB8_11
; %bb.9:
	s_clause 0x1
	s_load_b64 s[8:9], s[0:1], 0x70
	s_load_b32 s5, s[0:1], 0x68
	v_lshlrev_b32_e32 v2, 2, v20
	s_waitcnt lgkmcnt(0)
	s_mul_i32 s1, s15, s9
	s_mul_hi_u32 s9, s15, s8
	v_mad_i64_i32 v[0:1], null, s5, v20, 0
	s_mul_i32 s0, s15, s8
	s_add_i32 s1, s9, s1
	s_mul_hi_i32 s9, s5, s12
	s_lshl_b64 s[0:1], s[0:1], 2
	s_mul_i32 s8, s5, s12
	s_add_u32 s5, s6, s0
	s_addc_u32 s6, s7, s1
	s_lshl_b64 s[0:1], s[2:3], 2
	v_lshlrev_b64 v[0:1], 2, v[0:1]
	s_add_u32 s2, s5, s0
	s_addc_u32 s3, s6, s1
	s_lshl_b64 s[0:1], s[8:9], 2
	s_delay_alu instid0(SALU_CYCLE_1)
	s_add_u32 s0, s2, s0
	s_addc_u32 s1, s3, s1
	v_add_co_u32 v0, vcc_lo, s0, v0
	v_add_co_ci_u32_e32 v1, vcc_lo, s1, v1, vcc_lo
	global_load_b32 v3, v[0:1], off
	ds_load_2addr_stride64_b32 v[4:5], v2 offset1:2
	ds_load_2addr_stride64_b32 v[6:7], v2 offset0:4 offset1:6
	ds_load_2addr_stride64_b32 v[8:9], v2 offset0:8 offset1:10
	s_waitcnt lgkmcnt(2)
	v_add_f32_e32 v4, 0, v4
	s_delay_alu instid0(VALU_DEP_1) | instskip(SKIP_1) | instid1(VALU_DEP_1)
	v_add_f32_e32 v4, v4, v5
	s_waitcnt lgkmcnt(1)
	v_add_f32_e32 v6, v4, v6
	ds_load_2addr_stride64_b32 v[4:5], v2 offset0:12 offset1:14
	v_add_f32_e32 v6, v6, v7
	s_waitcnt lgkmcnt(1)
	s_delay_alu instid0(VALU_DEP_1) | instskip(SKIP_3) | instid1(VALU_DEP_1)
	v_add_f32_e32 v8, v6, v8
	ds_load_2addr_stride64_b32 v[6:7], v2 offset0:16 offset1:18
	v_add_f32_e32 v8, v8, v9
	s_waitcnt lgkmcnt(1)
	v_add_f32_e32 v4, v8, v4
	ds_load_2addr_stride64_b32 v[8:9], v2 offset0:20 offset1:22
	v_add_f32_e32 v4, v4, v5
	s_waitcnt lgkmcnt(1)
	s_delay_alu instid0(VALU_DEP_1) | instskip(SKIP_3) | instid1(VALU_DEP_1)
	v_add_f32_e32 v6, v4, v6
	ds_load_2addr_stride64_b32 v[4:5], v2 offset0:24 offset1:26
	v_add_f32_e32 v6, v6, v7
	s_waitcnt lgkmcnt(1)
	v_add_f32_e32 v8, v6, v8
	ds_load_2addr_stride64_b32 v[6:7], v2 offset0:28 offset1:30
	v_add_f32_e32 v2, v8, v9
	s_waitcnt lgkmcnt(1)
	s_delay_alu instid0(VALU_DEP_1) | instskip(NEXT) | instid1(VALU_DEP_1)
	v_add_f32_e32 v2, v2, v4
	v_add_f32_e32 v2, v2, v5
	s_waitcnt lgkmcnt(0)
	s_delay_alu instid0(VALU_DEP_1) | instskip(NEXT) | instid1(VALU_DEP_1)
	v_add_f32_e32 v2, v2, v6
	v_add_f32_e32 v2, v2, v7
	s_delay_alu instid0(VALU_DEP_1)
	v_mul_f32_e32 v4, s26, v2
.LBB8_10:                               ; =>This Inner Loop Header: Depth=1
	s_waitcnt vmcnt(0)
	s_delay_alu instid0(VALU_DEP_1)
	v_add_f32_e32 v2, v3, v4
	global_atomic_cmpswap_b32 v2, v[0:1], v[2:3], off glc
	s_waitcnt vmcnt(0)
	v_cmp_eq_u32_e32 vcc_lo, v2, v3
	v_mov_b32_e32 v3, v2
	s_or_b32 s4, vcc_lo, s4
	s_delay_alu instid0(SALU_CYCLE_1)
	s_and_not1_b32 exec_lo, exec_lo, s4
	s_cbranch_execnz .LBB8_10
.LBB8_11:
	s_endpgm
	.section	.rodata,"a",@progbits
	.p2align	6, 0x0
	.amdhsa_kernel _ZL36rocblas_gemvn_double_buffered_kernelILi128ELi8ELi8EfPKffEviiT3_lPKT2_lilS5_lilPT4_lili
		.amdhsa_group_segment_fixed_size 8192
		.amdhsa_private_segment_fixed_size 0
		.amdhsa_kernarg_size 384
		.amdhsa_user_sgpr_count 13
		.amdhsa_user_sgpr_dispatch_ptr 0
		.amdhsa_user_sgpr_queue_ptr 0
		.amdhsa_user_sgpr_kernarg_segment_ptr 1
		.amdhsa_user_sgpr_dispatch_id 0
		.amdhsa_user_sgpr_private_segment_size 0
		.amdhsa_wavefront_size32 1
		.amdhsa_uses_dynamic_stack 0
		.amdhsa_enable_private_segment 0
		.amdhsa_system_sgpr_workgroup_id_x 1
		.amdhsa_system_sgpr_workgroup_id_y 1
		.amdhsa_system_sgpr_workgroup_id_z 1
		.amdhsa_system_sgpr_workgroup_info 0
		.amdhsa_system_vgpr_workitem_id 1
		.amdhsa_next_free_vgpr 68
		.amdhsa_next_free_sgpr 38
		.amdhsa_reserve_vcc 1
		.amdhsa_float_round_mode_32 0
		.amdhsa_float_round_mode_16_64 0
		.amdhsa_float_denorm_mode_32 3
		.amdhsa_float_denorm_mode_16_64 3
		.amdhsa_dx10_clamp 1
		.amdhsa_ieee_mode 1
		.amdhsa_fp16_overflow 0
		.amdhsa_workgroup_processor_mode 1
		.amdhsa_memory_ordered 1
		.amdhsa_forward_progress 0
		.amdhsa_shared_vgpr_count 0
		.amdhsa_exception_fp_ieee_invalid_op 0
		.amdhsa_exception_fp_denorm_src 0
		.amdhsa_exception_fp_ieee_div_zero 0
		.amdhsa_exception_fp_ieee_overflow 0
		.amdhsa_exception_fp_ieee_underflow 0
		.amdhsa_exception_fp_ieee_inexact 0
		.amdhsa_exception_int_div_zero 0
	.end_amdhsa_kernel
	.section	.text._ZL36rocblas_gemvn_double_buffered_kernelILi128ELi8ELi8EfPKffEviiT3_lPKT2_lilS5_lilPT4_lili,"axG",@progbits,_ZL36rocblas_gemvn_double_buffered_kernelILi128ELi8ELi8EfPKffEviiT3_lPKT2_lilS5_lilPT4_lili,comdat
.Lfunc_end8:
	.size	_ZL36rocblas_gemvn_double_buffered_kernelILi128ELi8ELi8EfPKffEviiT3_lPKT2_lilS5_lilPT4_lili, .Lfunc_end8-_ZL36rocblas_gemvn_double_buffered_kernelILi128ELi8ELi8EfPKffEviiT3_lPKT2_lilS5_lilPT4_lili
                                        ; -- End function
	.section	.AMDGPU.csdata,"",@progbits
; Kernel info:
; codeLenInByte = 2620
; NumSgprs: 40
; NumVgprs: 68
; ScratchSize: 0
; MemoryBound: 0
; FloatMode: 240
; IeeeMode: 1
; LDSByteSize: 8192 bytes/workgroup (compile time only)
; SGPRBlocks: 4
; VGPRBlocks: 8
; NumSGPRsForWavesPerEU: 40
; NumVGPRsForWavesPerEU: 68
; Occupancy: 16
; WaveLimiterHint : 0
; COMPUTE_PGM_RSRC2:SCRATCH_EN: 0
; COMPUTE_PGM_RSRC2:USER_SGPR: 13
; COMPUTE_PGM_RSRC2:TRAP_HANDLER: 0
; COMPUTE_PGM_RSRC2:TGID_X_EN: 1
; COMPUTE_PGM_RSRC2:TGID_Y_EN: 1
; COMPUTE_PGM_RSRC2:TGID_Z_EN: 1
; COMPUTE_PGM_RSRC2:TIDIG_COMP_CNT: 1
	.section	.text._ZL36rocblas_gemvn_double_buffered_kernelILi128ELi8ELi8EfffEviiT3_lPKT2_lilS3_lilPT4_lili,"axG",@progbits,_ZL36rocblas_gemvn_double_buffered_kernelILi128ELi8ELi8EfffEviiT3_lPKT2_lilS3_lilPT4_lili,comdat
	.globl	_ZL36rocblas_gemvn_double_buffered_kernelILi128ELi8ELi8EfffEviiT3_lPKT2_lilS3_lilPT4_lili ; -- Begin function _ZL36rocblas_gemvn_double_buffered_kernelILi128ELi8ELi8EfffEviiT3_lPKT2_lilS3_lilPT4_lili
	.p2align	8
	.type	_ZL36rocblas_gemvn_double_buffered_kernelILi128ELi8ELi8EfffEviiT3_lPKT2_lilS3_lilPT4_lili,@function
_ZL36rocblas_gemvn_double_buffered_kernelILi128ELi8ELi8EfffEviiT3_lPKT2_lilS3_lilPT4_lili: ; @_ZL36rocblas_gemvn_double_buffered_kernelILi128ELi8ELi8EfffEviiT3_lPKT2_lilS3_lilPT4_lili
; %bb.0:
	s_load_b64 s[2:3], s[0:1], 0x4
	s_waitcnt lgkmcnt(0)
	v_cmp_eq_f32_e64 s4, s3, 0
	s_delay_alu instid0(VALU_DEP_1)
	s_and_b32 vcc_lo, exec_lo, s4
	s_cbranch_vccnz .LBB9_11
; %bb.1:
	s_load_b32 s4, s[0:1], 0x84
	s_ashr_i32 s6, s2, 31
	s_delay_alu instid0(SALU_CYCLE_1) | instskip(NEXT) | instid1(SALU_CYCLE_1)
	s_lshr_b32 s6, s6, 25
	s_add_i32 s2, s2, s6
	s_delay_alu instid0(SALU_CYCLE_1) | instskip(SKIP_3) | instid1(VALU_DEP_1)
	s_ashr_i32 s2, s2, 7
	s_waitcnt lgkmcnt(0)
	v_cvt_f32_u32_e32 v1, s4
	s_sub_i32 s7, 0, s4
	v_rcp_iflag_f32_e32 v1, v1
	s_waitcnt_depctr 0xfff
	v_mul_f32_e32 v1, 0x4f7ffffe, v1
	s_delay_alu instid0(VALU_DEP_1) | instskip(NEXT) | instid1(VALU_DEP_1)
	v_cvt_u32_f32_e32 v1, v1
	v_readfirstlane_b32 s5, v1
	s_delay_alu instid0(VALU_DEP_1) | instskip(NEXT) | instid1(SALU_CYCLE_1)
	s_mul_i32 s7, s7, s5
	s_mul_hi_u32 s6, s5, s7
	s_delay_alu instid0(SALU_CYCLE_1) | instskip(NEXT) | instid1(SALU_CYCLE_1)
	s_add_i32 s5, s5, s6
	s_mul_hi_u32 s5, s2, s5
	s_delay_alu instid0(SALU_CYCLE_1) | instskip(SKIP_2) | instid1(SALU_CYCLE_1)
	s_mul_i32 s6, s5, s4
	s_add_i32 s7, s5, 1
	s_sub_i32 s6, s2, s6
	s_sub_i32 s8, s6, s4
	s_cmp_ge_u32 s6, s4
	s_cselect_b32 s5, s7, s5
	s_cselect_b32 s6, s8, s6
	s_add_i32 s7, s5, 1
	s_cmp_ge_u32 s6, s4
	s_cselect_b32 s8, s7, s5
	s_delay_alu instid0(SALU_CYCLE_1) | instskip(NEXT) | instid1(SALU_CYCLE_1)
	s_mul_i32 s4, s8, s4
	s_sub_i32 s9, s2, s4
	s_delay_alu instid0(SALU_CYCLE_1) | instskip(SKIP_1) | instid1(SALU_CYCLE_1)
	s_cmp_lt_u32 s14, s9
	s_cselect_b32 s2, -1, 0
	s_cmp_lg_u32 s2, 0
	s_addc_u32 s2, s8, 0
	s_delay_alu instid0(SALU_CYCLE_1)
	s_cmp_eq_u32 s2, 0
	s_cbranch_scc1 .LBB9_11
; %bb.2:
	s_clause 0x1
	s_load_b128 s[4:7], s[0:1], 0x50
	s_load_b64 s[20:21], s[0:1], 0x60
	v_dual_mov_b32 v1, 0 :: v_dual_and_b32 v20, 0x3ff, v0
	v_bfe_u32 v21, v0, 10, 10
	s_lshl_b32 s12, s13, 7
	s_delay_alu instid0(VALU_DEP_2) | instskip(SKIP_1) | instid1(VALU_DEP_2)
	v_dual_mov_b32 v33, 0 :: v_dual_and_b32 v0, 63, v20
	s_ashr_i32 s13, s12, 31
	v_lshl_add_u32 v2, v21, 7, v20
	s_cmp_lt_i32 s2, 1
	s_mov_b32 s30, 0
	v_lshlrev_b32_e32 v23, 2, v0
	s_delay_alu instid0(VALU_DEP_2)
	v_lshrrev_b32_e32 v22, 6, v2
	s_cbranch_scc1 .LBB9_8
; %bb.3:
	v_cvt_f64_i32_e32 v[3:4], s14
	v_cvt_f64_u32_e32 v[5:6], s9
	s_mul_i32 s8, s8, s14
	s_waitcnt lgkmcnt(0)
	s_mul_i32 s5, s5, s15
	v_cvt_f64_u32_e32 v[7:8], s8
	s_clause 0x4
	s_load_b128 s[8:11], s[0:1], 0x30
	s_load_b32 s26, s[0:1], 0x28
	s_load_b32 s22, s[0:1], 0x48
	s_load_b128 s[16:19], s[0:1], 0x18
	s_load_b64 s[24:25], s[0:1], 0x40
	v_mov_b32_e32 v1, 0
	s_waitcnt lgkmcnt(0)
	s_mul_i32 s9, s15, s9
	s_mul_hi_u32 s14, s15, s8
	s_mul_i32 s8, s15, s8
	s_add_i32 s9, s14, s9
	s_ashr_i32 s27, s26, 31
	s_lshl_b64 s[34:35], s[8:9], 2
	s_ashr_i32 s23, s22, 31
	s_add_u32 s8, s16, s34
	s_addc_u32 s9, s17, s35
	s_lshl_b64 s[36:37], s[18:19], 2
	s_delay_alu instid0(SALU_CYCLE_1) | instskip(SKIP_2) | instid1(SALU_CYCLE_1)
	s_add_u32 s8, s8, s36
	s_addc_u32 s9, s9, s37
	s_lshl_b64 s[38:39], s[12:13], 2
	s_add_u32 s13, s8, s38
	s_addc_u32 s18, s9, s39
	s_delay_alu instid0(VALU_DEP_3) | instskip(SKIP_1) | instid1(VALU_DEP_2)
	v_min_f64 v[3:4], v[3:4], v[5:6]
	v_lshlrev_b32_e32 v6, 3, v22
	v_add_f64 v[3:4], v[3:4], v[7:8]
	s_delay_alu instid0(VALU_DEP_1) | instskip(NEXT) | instid1(VALU_DEP_3)
	v_cvt_i32_f64_e32 v5, v[3:4]
	v_mad_i64_i32 v[3:4], null, s26, v6, v[0:1]
	v_lshrrev_b32_e32 v0, 1, v2
	s_delay_alu instid0(VALU_DEP_1) | instskip(NEXT) | instid1(VALU_DEP_3)
	v_and_b32_e32 v0, 0x1ffe0, v0
	v_lshlrev_b64 v[3:4], 2, v[3:4]
	v_readfirstlane_b32 s14, v5
	s_delay_alu instid0(VALU_DEP_1) | instskip(NEXT) | instid1(SALU_CYCLE_1)
	s_lshl_b32 s40, s14, 7
	s_mul_hi_i32 s9, s40, s26
	s_mul_i32 s8, s40, s26
	s_ashr_i32 s41, s40, 31
	s_lshl_b64 s[8:9], s[8:9], 2
	s_delay_alu instid0(SALU_CYCLE_1)
	s_add_u32 s8, s13, s8
	s_addc_u32 s9, s18, s9
	v_add_co_u32 v3, vcc_lo, s8, v3
	v_add_co_ci_u32_e32 v4, vcc_lo, s9, v4, vcc_lo
	s_lshl_b64 s[8:9], s[26:27], 2
	s_lshl_b64 s[40:41], s[40:41], 2
	s_delay_alu instid0(VALU_DEP_2) | instskip(NEXT) | instid1(VALU_DEP_2)
	v_add_co_u32 v5, vcc_lo, v3, s8
	v_add_co_ci_u32_e32 v6, vcc_lo, s9, v4, vcc_lo
	s_clause 0x1
	global_load_b32 v32, v[3:4], off
	global_load_b32 v30, v[5:6], off
	v_add_co_u32 v7, vcc_lo, v5, s8
	v_add_co_ci_u32_e32 v8, vcc_lo, s9, v6, vcc_lo
	s_lshl_b32 s28, s22, 7
	s_delay_alu instid0(VALU_DEP_2) | instskip(NEXT) | instid1(VALU_DEP_2)
	v_add_co_u32 v9, vcc_lo, v7, s8
	v_add_co_ci_u32_e32 v10, vcc_lo, s9, v8, vcc_lo
	global_load_b32 v31, v[7:8], off
	v_add_co_u32 v11, vcc_lo, v9, s8
	v_add_co_ci_u32_e32 v12, vcc_lo, s9, v10, vcc_lo
	v_add_co_u32 v33, s14, v0, s40
	s_delay_alu instid0(VALU_DEP_3) | instskip(NEXT) | instid1(VALU_DEP_3)
	v_add_co_u32 v13, vcc_lo, v11, s8
	v_add_co_ci_u32_e32 v14, vcc_lo, s9, v12, vcc_lo
	s_lshl_b64 s[18:19], s[26:27], 9
	s_delay_alu instid0(VALU_DEP_2) | instskip(NEXT) | instid1(VALU_DEP_2)
	v_add_co_u32 v3, vcc_lo, v13, s8
	v_add_co_ci_u32_e32 v4, vcc_lo, s9, v14, vcc_lo
	s_add_i32 s13, s2, -1
	s_delay_alu instid0(VALU_DEP_2) | instskip(NEXT) | instid1(VALU_DEP_2)
	v_add_co_u32 v5, vcc_lo, v3, s8
	v_add_co_ci_u32_e32 v6, vcc_lo, s9, v4, vcc_lo
	global_load_b32 v29, v[9:10], off
	global_load_b32 v28, v[11:12], off
	;; [unrolled: 1-line block ×5, first 2 shown]
	s_ashr_i32 s29, s28, 31
	v_add_co_ci_u32_e64 v34, null, 0, s41, s14
	s_add_u32 s14, s16, s38
	s_addc_u32 s16, s17, s39
	s_add_u32 s14, s14, s36
	s_addc_u32 s17, s16, s37
	;; [unrolled: 2-line block ×3, first 2 shown]
	v_mul_lo_u32 v0, v33, s27
	v_mad_u64_u32 v[4:5], null, v33, s26, s[16:17]
	v_mul_lo_u32 v2, v34, s26
	v_add_co_u32 v6, vcc_lo, 0x200, v33
	v_add_co_ci_u32_e32 v7, vcc_lo, 0, v34, vcc_lo
	s_mul_hi_u32 s14, s4, s15
	s_mul_i32 s4, s4, s15
	s_add_i32 s5, s14, s5
	s_delay_alu instid0(VALU_DEP_3)
	v_add3_u32 v5, v2, v5, v0
	v_mad_u64_u32 v[2:3], null, v6, s26, s[16:17]
	v_mul_lo_u32 v6, v6, s27
	v_mul_lo_u32 v7, v7, s26
	v_add_co_u32 v0, vcc_lo, 0x100, v4
	v_add_co_ci_u32_e32 v24, vcc_lo, 0, v5, vcc_lo
	v_add_co_u32 v8, vcc_lo, 0x208, v33
	s_lshl_b64 s[4:5], s[4:5], 2
	s_delay_alu instid0(VALU_DEP_4) | instskip(SKIP_1) | instid1(VALU_DEP_3)
	v_add3_u32 v3, v7, v3, v6
	v_add_co_ci_u32_e32 v6, vcc_lo, 0, v34, vcc_lo
	v_mad_u64_u32 v[4:5], null, v8, s26, s[16:17]
	v_mul_lo_u32 v35, v8, s27
	v_add_co_u32 v8, vcc_lo, 0x20c, v33
	v_add_co_ci_u32_e32 v9, vcc_lo, 0, v34, vcc_lo
	v_add_co_u32 v10, vcc_lo, 0x210, v33
	v_add_co_ci_u32_e32 v11, vcc_lo, 0, v34, vcc_lo
	v_add_co_u32 v12, vcc_lo, 0x214, v33
	v_add_co_ci_u32_e32 v13, vcc_lo, 0, v34, vcc_lo
	v_add_co_u32 v14, vcc_lo, 0x218, v33
	v_add_co_ci_u32_e32 v15, vcc_lo, 0, v34, vcc_lo
	v_add_co_u32 v16, vcc_lo, 0x21c, v33
	v_add_co_ci_u32_e32 v17, vcc_lo, 0, v34, vcc_lo
	v_add_co_u32 v18, vcc_lo, 0x204, v33
	v_mul_lo_u32 v36, v6, s26
	v_mad_u64_u32 v[6:7], null, v8, s26, s[16:17]
	v_mul_lo_u32 v37, v8, s27
	v_mul_lo_u32 v38, v9, s26
	v_mad_u64_u32 v[8:9], null, v10, s26, s[16:17]
	v_mul_lo_u32 v39, v10, s27
	;; [unrolled: 3-line block ×5, first 2 shown]
	v_mul_lo_u32 v46, v17, s26
	v_mad_u64_u32 v[16:17], null, v18, s26, s[16:17]
	s_lshl_b64 s[16:17], s[24:25], 2
	v_add_co_ci_u32_e32 v19, vcc_lo, 0, v34, vcc_lo
	s_add_u32 s10, s10, s16
	s_addc_u32 s11, s11, s17
	s_add_u32 s4, s10, s4
	s_addc_u32 s5, s11, s5
	v_mul_lo_u32 v47, v18, s27
	v_mul_lo_u32 v48, v19, s26
	v_mad_u64_u32 v[18:19], null, v33, s22, s[4:5]
	v_mul_lo_u32 v33, v33, s23
	v_mul_lo_u32 v34, v34, s22
	v_add3_u32 v5, v36, v5, v35
	v_add3_u32 v7, v38, v7, v37
	;; [unrolled: 1-line block ×8, first 2 shown]
	v_mov_b32_e32 v33, v1
	s_lshl_b64 s[4:5], s[28:29], 2
	s_lshl_b64 s[10:11], s[22:23], 2
	s_waitcnt vmcnt(6)
	v_dual_mov_b32 v34, v32 :: v_dual_mov_b32 v35, v30
	s_waitcnt vmcnt(4)
	v_dual_mov_b32 v36, v31 :: v_dual_mov_b32 v37, v29
	;; [unrolled: 2-line block ×4, first 2 shown]
.LBB9_4:                                ; =>This Inner Loop Header: Depth=1
	v_add_co_u32 v42, vcc_lo, v0, v23
	v_add_co_ci_u32_e32 v43, vcc_lo, 0, v24, vcc_lo
	s_cmp_eq_u32 s13, s30
	s_delay_alu instid0(VALU_DEP_2) | instskip(NEXT) | instid1(VALU_DEP_2)
	v_add_co_u32 v44, vcc_lo, v42, s8
	v_add_co_ci_u32_e32 v45, vcc_lo, s9, v43, vcc_lo
	s_delay_alu instid0(VALU_DEP_2) | instskip(NEXT) | instid1(VALU_DEP_2)
	v_add_co_u32 v46, vcc_lo, v44, s8
	v_add_co_ci_u32_e32 v47, vcc_lo, s9, v45, vcc_lo
	;; [unrolled: 3-line block ×5, first 2 shown]
	v_add_co_u32 v56, vcc_lo, v18, s10
	v_add_co_ci_u32_e32 v57, vcc_lo, s11, v19, vcc_lo
	s_clause 0x5
	global_load_b32 v49, v[42:43], off
	global_load_b32 v48, v[44:45], off
	;; [unrolled: 1-line block ×6, first 2 shown]
	v_add_co_u32 v50, vcc_lo, v56, s10
	v_add_co_ci_u32_e32 v51, vcc_lo, s11, v57, vcc_lo
	v_add_co_u32 v52, vcc_lo, v54, s8
	v_add_co_ci_u32_e32 v53, vcc_lo, s9, v55, vcc_lo
	s_delay_alu instid0(VALU_DEP_4) | instskip(NEXT) | instid1(VALU_DEP_4)
	v_add_co_u32 v58, vcc_lo, v50, s10
	v_add_co_ci_u32_e32 v59, vcc_lo, s11, v51, vcc_lo
	global_load_b32 v44, v[52:53], off
	v_add_co_u32 v60, vcc_lo, v58, s10
	v_add_co_ci_u32_e32 v61, vcc_lo, s11, v59, vcc_lo
	v_add_co_u32 v52, vcc_lo, v52, s8
	v_add_co_ci_u32_e32 v53, vcc_lo, s9, v53, vcc_lo
	s_delay_alu instid0(VALU_DEP_4) | instskip(NEXT) | instid1(VALU_DEP_4)
	v_add_co_u32 v62, vcc_lo, v60, s10
	v_add_co_ci_u32_e32 v63, vcc_lo, s11, v61, vcc_lo
	global_load_b32 v46, v[52:53], off
	v_add_co_u32 v64, vcc_lo, v62, s10
	v_add_co_ci_u32_e32 v65, vcc_lo, s11, v63, vcc_lo
	global_load_b32 v55, v[18:19], off
	v_add_co_u32 v66, vcc_lo, v64, s10
	v_add_co_ci_u32_e32 v67, vcc_lo, s11, v65, vcc_lo
	s_clause 0x5
	global_load_b32 v57, v[56:57], off
	global_load_b32 v56, v[50:51], off
	;; [unrolled: 1-line block ×7, first 2 shown]
	s_cbranch_scc1 .LBB9_6
; %bb.5:                                ;   in Loop: Header=BB9_4 Depth=1
	v_add_co_u32 v34, vcc_lo, v2, v23
	v_add_co_ci_u32_e32 v35, vcc_lo, 0, v3, vcc_lo
	v_add_co_u32 v36, vcc_lo, v16, v23
	v_add_co_ci_u32_e32 v37, vcc_lo, 0, v17, vcc_lo
	;; [unrolled: 2-line block ×3, first 2 shown]
	global_load_b32 v34, v[34:35], off
	global_load_b32 v35, v[36:37], off
	;; [unrolled: 1-line block ×3, first 2 shown]
	v_add_co_u32 v37, vcc_lo, v6, v23
	v_add_co_ci_u32_e32 v38, vcc_lo, 0, v7, vcc_lo
	v_add_co_u32 v39, vcc_lo, v8, v23
	v_add_co_ci_u32_e32 v40, vcc_lo, 0, v9, vcc_lo
	;; [unrolled: 2-line block ×5, first 2 shown]
	global_load_b32 v37, v[37:38], off
	global_load_b32 v38, v[39:40], off
	;; [unrolled: 1-line block ×5, first 2 shown]
.LBB9_6:                                ;   in Loop: Header=BB9_4 Depth=1
	s_waitcnt vmcnt(7)
	v_fmac_f32_e32 v33, v32, v55
	v_fmac_f32_e32 v1, v49, v55
	v_add_co_u32 v0, vcc_lo, v0, s18
	v_add_co_ci_u32_e32 v24, vcc_lo, s19, v24, vcc_lo
	s_waitcnt vmcnt(6)
	v_fmac_f32_e32 v33, v30, v57
	v_fmac_f32_e32 v1, v48, v57
	v_add_co_u32 v2, vcc_lo, v2, s18
	v_add_co_ci_u32_e32 v3, vcc_lo, s19, v3, vcc_lo
	s_waitcnt vmcnt(5)
	v_fmac_f32_e32 v33, v31, v56
	v_fmac_f32_e32 v1, v47, v56
	v_add_co_u32 v4, vcc_lo, v4, s18
	v_add_co_ci_u32_e32 v5, vcc_lo, s19, v5, vcc_lo
	s_waitcnt vmcnt(4)
	v_fmac_f32_e32 v33, v29, v54
	v_fmac_f32_e32 v1, v45, v54
	v_add_co_u32 v6, vcc_lo, v6, s18
	v_add_co_ci_u32_e32 v7, vcc_lo, s19, v7, vcc_lo
	v_add_co_u32 v8, vcc_lo, v8, s18
	s_waitcnt vmcnt(3)
	v_fmac_f32_e32 v33, v28, v53
	v_fmac_f32_e32 v1, v43, v53
	v_add_co_ci_u32_e32 v9, vcc_lo, s19, v9, vcc_lo
	v_add_co_u32 v10, vcc_lo, v10, s18
	v_add_co_ci_u32_e32 v11, vcc_lo, s19, v11, vcc_lo
	v_add_co_u32 v12, vcc_lo, v12, s18
	s_waitcnt vmcnt(2)
	v_fmac_f32_e32 v33, v27, v52
	v_fmac_f32_e32 v1, v42, v52
	v_add_co_ci_u32_e32 v13, vcc_lo, s19, v13, vcc_lo
	v_add_co_u32 v14, vcc_lo, v14, s18
	v_add_co_ci_u32_e32 v15, vcc_lo, s19, v15, vcc_lo
	s_waitcnt vmcnt(1)
	v_fmac_f32_e32 v33, v26, v51
	v_fmac_f32_e32 v1, v44, v51
	v_add_co_u32 v16, vcc_lo, v16, s18
	v_add_co_ci_u32_e32 v17, vcc_lo, s19, v17, vcc_lo
	v_add_co_u32 v18, vcc_lo, v18, s4
	s_waitcnt vmcnt(0)
	v_fmac_f32_e32 v33, v25, v50
	v_fmac_f32_e32 v1, v46, v50
	v_add_co_ci_u32_e32 v19, vcc_lo, s5, v19, vcc_lo
	s_add_i32 s30, s30, 1
	s_delay_alu instid0(SALU_CYCLE_1)
	s_cmp_lt_i32 s30, s2
	s_cbranch_scc0 .LBB9_8
; %bb.7:                                ;   in Loop: Header=BB9_4 Depth=1
	v_dual_mov_b32 v32, v34 :: v_dual_mov_b32 v31, v36
	v_dual_mov_b32 v30, v35 :: v_dual_mov_b32 v29, v37
	;; [unrolled: 1-line block ×4, first 2 shown]
	s_branch .LBB9_4
.LBB9_8:
	s_delay_alu instid0(VALU_DEP_1)
	v_lshl_or_b32 v0, v22, 9, v23
	s_mov_b32 s2, 0
	s_waitcnt lgkmcnt(0)
	s_mov_b32 s4, exec_lo
	ds_store_2addr_stride64_b32 v0, v33, v1 offset1:1
	s_waitcnt lgkmcnt(0)
	s_barrier
	buffer_gl0_inv
	v_cmpx_eq_u32_e32 0, v21
	s_cbranch_execz .LBB9_11
; %bb.9:
	s_clause 0x1
	s_load_b64 s[4:5], s[0:1], 0x70
	s_load_b32 s8, s[0:1], 0x68
	v_lshlrev_b32_e32 v2, 2, v20
	s_waitcnt lgkmcnt(0)
	s_mul_i32 s1, s15, s5
	s_mul_hi_u32 s5, s15, s4
	v_mad_i64_i32 v[0:1], null, s8, v20, 0
	s_mul_i32 s0, s15, s4
	s_add_i32 s1, s5, s1
	s_mul_hi_i32 s5, s8, s12
	s_lshl_b64 s[0:1], s[0:1], 2
	s_mul_i32 s4, s8, s12
	s_add_u32 s6, s6, s0
	s_addc_u32 s7, s7, s1
	s_lshl_b64 s[0:1], s[20:21], 2
	v_lshlrev_b64 v[0:1], 2, v[0:1]
	s_add_u32 s6, s6, s0
	s_addc_u32 s7, s7, s1
	s_lshl_b64 s[0:1], s[4:5], 2
	s_delay_alu instid0(SALU_CYCLE_1)
	s_add_u32 s0, s6, s0
	s_addc_u32 s1, s7, s1
	v_add_co_u32 v0, vcc_lo, s0, v0
	v_add_co_ci_u32_e32 v1, vcc_lo, s1, v1, vcc_lo
	global_load_b32 v3, v[0:1], off
	ds_load_2addr_stride64_b32 v[4:5], v2 offset1:2
	ds_load_2addr_stride64_b32 v[6:7], v2 offset0:4 offset1:6
	ds_load_2addr_stride64_b32 v[8:9], v2 offset0:8 offset1:10
	s_waitcnt lgkmcnt(2)
	v_add_f32_e32 v4, 0, v4
	s_delay_alu instid0(VALU_DEP_1) | instskip(SKIP_1) | instid1(VALU_DEP_1)
	v_add_f32_e32 v4, v4, v5
	s_waitcnt lgkmcnt(1)
	v_add_f32_e32 v6, v4, v6
	ds_load_2addr_stride64_b32 v[4:5], v2 offset0:12 offset1:14
	v_add_f32_e32 v6, v6, v7
	s_waitcnt lgkmcnt(1)
	s_delay_alu instid0(VALU_DEP_1) | instskip(SKIP_3) | instid1(VALU_DEP_1)
	v_add_f32_e32 v8, v6, v8
	ds_load_2addr_stride64_b32 v[6:7], v2 offset0:16 offset1:18
	v_add_f32_e32 v8, v8, v9
	s_waitcnt lgkmcnt(1)
	v_add_f32_e32 v4, v8, v4
	ds_load_2addr_stride64_b32 v[8:9], v2 offset0:20 offset1:22
	v_add_f32_e32 v4, v4, v5
	s_waitcnt lgkmcnt(1)
	s_delay_alu instid0(VALU_DEP_1) | instskip(SKIP_3) | instid1(VALU_DEP_1)
	v_add_f32_e32 v6, v4, v6
	ds_load_2addr_stride64_b32 v[4:5], v2 offset0:24 offset1:26
	v_add_f32_e32 v6, v6, v7
	s_waitcnt lgkmcnt(1)
	v_add_f32_e32 v8, v6, v8
	ds_load_2addr_stride64_b32 v[6:7], v2 offset0:28 offset1:30
	v_add_f32_e32 v2, v8, v9
	s_waitcnt lgkmcnt(1)
	s_delay_alu instid0(VALU_DEP_1) | instskip(NEXT) | instid1(VALU_DEP_1)
	v_add_f32_e32 v2, v2, v4
	v_add_f32_e32 v2, v2, v5
	s_waitcnt lgkmcnt(0)
	s_delay_alu instid0(VALU_DEP_1) | instskip(NEXT) | instid1(VALU_DEP_1)
	v_add_f32_e32 v2, v2, v6
	v_add_f32_e32 v2, v2, v7
	s_delay_alu instid0(VALU_DEP_1)
	v_mul_f32_e32 v4, s3, v2
.LBB9_10:                               ; =>This Inner Loop Header: Depth=1
	s_waitcnt vmcnt(0)
	s_delay_alu instid0(VALU_DEP_1)
	v_add_f32_e32 v2, v3, v4
	global_atomic_cmpswap_b32 v2, v[0:1], v[2:3], off glc
	s_waitcnt vmcnt(0)
	v_cmp_eq_u32_e32 vcc_lo, v2, v3
	v_mov_b32_e32 v3, v2
	s_or_b32 s2, vcc_lo, s2
	s_delay_alu instid0(SALU_CYCLE_1)
	s_and_not1_b32 exec_lo, exec_lo, s2
	s_cbranch_execnz .LBB9_10
.LBB9_11:
	s_endpgm
	.section	.rodata,"a",@progbits
	.p2align	6, 0x0
	.amdhsa_kernel _ZL36rocblas_gemvn_double_buffered_kernelILi128ELi8ELi8EfffEviiT3_lPKT2_lilS3_lilPT4_lili
		.amdhsa_group_segment_fixed_size 8192
		.amdhsa_private_segment_fixed_size 0
		.amdhsa_kernarg_size 384
		.amdhsa_user_sgpr_count 13
		.amdhsa_user_sgpr_dispatch_ptr 0
		.amdhsa_user_sgpr_queue_ptr 0
		.amdhsa_user_sgpr_kernarg_segment_ptr 1
		.amdhsa_user_sgpr_dispatch_id 0
		.amdhsa_user_sgpr_private_segment_size 0
		.amdhsa_wavefront_size32 1
		.amdhsa_uses_dynamic_stack 0
		.amdhsa_enable_private_segment 0
		.amdhsa_system_sgpr_workgroup_id_x 1
		.amdhsa_system_sgpr_workgroup_id_y 1
		.amdhsa_system_sgpr_workgroup_id_z 1
		.amdhsa_system_sgpr_workgroup_info 0
		.amdhsa_system_vgpr_workitem_id 1
		.amdhsa_next_free_vgpr 68
		.amdhsa_next_free_sgpr 42
		.amdhsa_reserve_vcc 1
		.amdhsa_float_round_mode_32 0
		.amdhsa_float_round_mode_16_64 0
		.amdhsa_float_denorm_mode_32 3
		.amdhsa_float_denorm_mode_16_64 3
		.amdhsa_dx10_clamp 1
		.amdhsa_ieee_mode 1
		.amdhsa_fp16_overflow 0
		.amdhsa_workgroup_processor_mode 1
		.amdhsa_memory_ordered 1
		.amdhsa_forward_progress 0
		.amdhsa_shared_vgpr_count 0
		.amdhsa_exception_fp_ieee_invalid_op 0
		.amdhsa_exception_fp_denorm_src 0
		.amdhsa_exception_fp_ieee_div_zero 0
		.amdhsa_exception_fp_ieee_overflow 0
		.amdhsa_exception_fp_ieee_underflow 0
		.amdhsa_exception_fp_ieee_inexact 0
		.amdhsa_exception_int_div_zero 0
	.end_amdhsa_kernel
	.section	.text._ZL36rocblas_gemvn_double_buffered_kernelILi128ELi8ELi8EfffEviiT3_lPKT2_lilS3_lilPT4_lili,"axG",@progbits,_ZL36rocblas_gemvn_double_buffered_kernelILi128ELi8ELi8EfffEviiT3_lPKT2_lilS3_lilPT4_lili,comdat
.Lfunc_end9:
	.size	_ZL36rocblas_gemvn_double_buffered_kernelILi128ELi8ELi8EfffEviiT3_lPKT2_lilS3_lilPT4_lili, .Lfunc_end9-_ZL36rocblas_gemvn_double_buffered_kernelILi128ELi8ELi8EfffEviiT3_lPKT2_lilS3_lilPT4_lili
                                        ; -- End function
	.section	.AMDGPU.csdata,"",@progbits
; Kernel info:
; codeLenInByte = 2572
; NumSgprs: 44
; NumVgprs: 68
; ScratchSize: 0
; MemoryBound: 0
; FloatMode: 240
; IeeeMode: 1
; LDSByteSize: 8192 bytes/workgroup (compile time only)
; SGPRBlocks: 5
; VGPRBlocks: 8
; NumSGPRsForWavesPerEU: 44
; NumVGPRsForWavesPerEU: 68
; Occupancy: 16
; WaveLimiterHint : 0
; COMPUTE_PGM_RSRC2:SCRATCH_EN: 0
; COMPUTE_PGM_RSRC2:USER_SGPR: 13
; COMPUTE_PGM_RSRC2:TRAP_HANDLER: 0
; COMPUTE_PGM_RSRC2:TGID_X_EN: 1
; COMPUTE_PGM_RSRC2:TGID_Y_EN: 1
; COMPUTE_PGM_RSRC2:TGID_Z_EN: 1
; COMPUTE_PGM_RSRC2:TIDIG_COMP_CNT: 1
	.section	.text._ZL20rocblas_gemvn_kernelILi32ELi16EifPKffEviiT3_lPKT2_lT1_lS5_lS6_lS2_lPT4_lS6_li,"axG",@progbits,_ZL20rocblas_gemvn_kernelILi32ELi16EifPKffEviiT3_lPKT2_lT1_lS5_lS6_lS2_lPT4_lS6_li,comdat
	.globl	_ZL20rocblas_gemvn_kernelILi32ELi16EifPKffEviiT3_lPKT2_lT1_lS5_lS6_lS2_lPT4_lS6_li ; -- Begin function _ZL20rocblas_gemvn_kernelILi32ELi16EifPKffEviiT3_lPKT2_lT1_lS5_lS6_lS2_lPT4_lS6_li
	.p2align	8
	.type	_ZL20rocblas_gemvn_kernelILi32ELi16EifPKffEviiT3_lPKT2_lT1_lS5_lS6_lS2_lPT4_lS6_li,@function
_ZL20rocblas_gemvn_kernelILi32ELi16EifPKffEviiT3_lPKT2_lT1_lS5_lS6_lS2_lPT4_lS6_li: ; @_ZL20rocblas_gemvn_kernelILi32ELi16EifPKffEviiT3_lPKT2_lT1_lS5_lS6_lS2_lPT4_lS6_li
; %bb.0:
	s_load_b64 s[2:3], s[0:1], 0x9c
	s_waitcnt lgkmcnt(0)
	s_lshr_b32 s4, s2, 16
	s_and_b32 s2, s2, 0xffff
	s_and_b32 s3, s3, 0xffff
	s_mul_i32 s2, s4, s2
	s_delay_alu instid0(SALU_CYCLE_1) | instskip(NEXT) | instid1(SALU_CYCLE_1)
	s_mul_i32 s2, s2, s3
	s_cmpk_lg_i32 s2, 0x200
	s_cbranch_scc1 .LBB10_50
; %bb.1:
	s_clause 0x1
	s_load_b256 s[16:23], s[0:1], 0x8
	s_load_b256 s[4:11], s[0:1], 0x50
	s_waitcnt lgkmcnt(0)
	s_mul_i32 s3, s15, s19
	s_mul_hi_u32 s12, s15, s18
	s_mul_i32 s2, s15, s18
	s_add_i32 s3, s12, s3
	s_mul_i32 s9, s15, s9
	s_lshl_b64 s[2:3], s[2:3], 2
	s_mul_hi_u32 s12, s15, s8
	s_add_u32 s2, s16, s2
	s_addc_u32 s3, s17, s3
	s_add_i32 s9, s12, s9
	s_mul_i32 s8, s15, s8
	s_mov_b32 s16, 0
	s_lshl_b64 s[8:9], s[8:9], 2
	s_delay_alu instid0(SALU_CYCLE_1)
	s_add_u32 s6, s6, s8
	s_addc_u32 s7, s7, s9
	s_load_b32 s13, s[2:3], 0x0
	s_load_b32 s12, s[6:7], 0x0
	s_waitcnt lgkmcnt(0)
	v_cmp_eq_f32_e64 s2, s13, 0
	v_cmp_eq_f32_e64 s3, s12, 1.0
	s_delay_alu instid0(VALU_DEP_1) | instskip(NEXT) | instid1(SALU_CYCLE_1)
	s_and_b32 s2, s2, s3
	s_and_b32 vcc_lo, exec_lo, s2
	s_cbranch_vccnz .LBB10_50
; %bb.2:
	s_clause 0x3
	s_load_b64 s[2:3], s[0:1], 0x80
	s_load_b64 s[8:9], s[0:1], 0x70
	s_load_b32 s17, s[0:1], 0x78
	s_load_b64 s[6:7], s[0:1], 0x0
	v_and_b32_e32 v1, 0x3ff, v0
	v_bfe_u32 v13, v0, 10, 10
	s_delay_alu instid0(VALU_DEP_1)
	v_lshl_add_u32 v0, v13, 5, v1
	s_waitcnt lgkmcnt(0)
	s_mul_i32 s3, s15, s3
	s_mul_hi_u32 s18, s15, s2
	s_mul_i32 s2, s15, s2
	s_add_i32 s3, s18, s3
	v_cmp_neq_f32_e64 s18, s13, 0
	s_lshl_b64 s[2:3], s[2:3], 2
	s_delay_alu instid0(SALU_CYCLE_1) | instskip(SKIP_2) | instid1(SALU_CYCLE_1)
	s_add_u32 s10, s10, s2
	s_addc_u32 s11, s11, s3
	s_lshl_b64 s[2:3], s[8:9], 2
	s_add_u32 s8, s10, s2
	v_cmp_gt_u32_e64 s2, 0x80, v0
	s_addc_u32 s9, s11, s3
	s_and_b32 vcc_lo, exec_lo, s18
	s_cbranch_vccnz .LBB10_9
; %bb.3:
	s_mov_b32 s3, 0
                                        ; implicit-def: $vgpr3
                                        ; implicit-def: $vgpr4_vgpr5
	s_and_saveexec_b32 s10, s2
	s_cbranch_execz .LBB10_10
; %bb.4:
	v_lshl_or_b32 v2, s14, 7, v0
	v_mov_b32_e32 v3, 0
	s_ashr_i32 s19, s6, 31
	s_mov_b32 s18, s6
	s_mov_b32 s11, 0
	s_mov_b32 s2, exec_lo
                                        ; implicit-def: $vgpr4_vgpr5
	v_cmpx_gt_i64_e64 s[18:19], v[2:3]
	s_cbranch_execz .LBB10_8
; %bb.5:
	v_mad_u64_u32 v[4:5], null, s17, v2, 0
	s_ashr_i32 s11, s17, 31
	s_delay_alu instid0(VALU_DEP_1) | instid1(SALU_CYCLE_1)
	v_mad_u64_u32 v[6:7], null, s11, v2, v[5:6]
	v_cmp_eq_f32_e64 s11, s12, 0
	s_delay_alu instid0(VALU_DEP_1) | instskip(NEXT) | instid1(VALU_DEP_2)
	s_and_b32 vcc_lo, exec_lo, s11
	v_mov_b32_e32 v5, v6
	s_cbranch_vccnz .LBB10_7
; %bb.6:
	s_delay_alu instid0(VALU_DEP_1) | instskip(NEXT) | instid1(VALU_DEP_1)
	v_lshlrev_b64 v[2:3], 2, v[4:5]
	v_add_co_u32 v2, vcc_lo, s8, v2
	s_delay_alu instid0(VALU_DEP_2)
	v_add_co_ci_u32_e32 v3, vcc_lo, s9, v3, vcc_lo
	global_load_b32 v2, v[2:3], off
	s_waitcnt vmcnt(0)
	v_mul_f32_e32 v3, s12, v2
.LBB10_7:
	s_mov_b32 s11, exec_lo
.LBB10_8:
	s_or_b32 exec_lo, exec_lo, s2
	s_delay_alu instid0(SALU_CYCLE_1) | instskip(SKIP_1) | instid1(SALU_CYCLE_1)
	s_and_b32 s16, s11, exec_lo
	s_or_b32 exec_lo, exec_lo, s10
	s_and_b32 vcc_lo, exec_lo, s3
	s_cbranch_vccnz .LBB10_11
	s_branch .LBB10_48
.LBB10_9:
                                        ; implicit-def: $vgpr3
                                        ; implicit-def: $vgpr4_vgpr5
	s_cbranch_execnz .LBB10_11
	s_branch .LBB10_48
.LBB10_10:
	s_or_b32 exec_lo, exec_lo, s10
	s_delay_alu instid0(SALU_CYCLE_1)
	s_and_b32 vcc_lo, exec_lo, s3
	s_cbranch_vccz .LBB10_48
.LBB10_11:
	s_clause 0x2
	s_load_b128 s[24:27], s[0:1], 0x30
	s_load_b32 s18, s[0:1], 0x28
	s_load_b64 s[2:3], s[0:1], 0x40
	s_mul_i32 s5, s15, s5
	v_dual_mov_b32 v14, 0 :: v_dual_lshlrev_b32 v19, 2, v13
	v_dual_mov_b32 v15, 0 :: v_dual_mov_b32 v16, 0
	v_mov_b32_e32 v17, 0
	s_waitcnt lgkmcnt(0)
	s_mul_i32 s11, s15, s25
	s_mul_hi_u32 s19, s15, s24
	s_mul_i32 s10, s15, s24
	s_add_i32 s11, s19, s11
	s_mul_hi_u32 s19, s15, s4
	s_lshl_b64 s[10:11], s[10:11], 2
	s_delay_alu instid0(SALU_CYCLE_1) | instskip(SKIP_4) | instid1(SALU_CYCLE_1)
	s_add_u32 s24, s20, s10
	s_mul_i32 s20, s15, s4
	s_load_b32 s4, s[0:1], 0x48
	s_addc_u32 s21, s21, s11
	s_lshl_b64 s[10:11], s[22:23], 2
	s_add_u32 s10, s24, s10
	s_addc_u32 s11, s21, s11
	s_add_i32 s21, s19, s5
	s_delay_alu instid0(SALU_CYCLE_1) | instskip(SKIP_4) | instid1(SALU_CYCLE_1)
	s_lshl_b64 s[0:1], s[20:21], 2
	s_mov_b32 s20, exec_lo
	s_add_u32 s5, s26, s0
	s_addc_u32 s19, s27, s1
	s_lshl_b64 s[0:1], s[2:3], 2
	s_add_u32 s15, s5, s0
	s_addc_u32 s19, s19, s1
	s_ashr_i32 s0, s7, 31
	s_lshl_b32 s5, s14, 7
	s_lshr_b32 s0, s0, 26
	v_add_nc_u32_e32 v18, s5, v1
	s_add_i32 s0, s7, s0
	s_delay_alu instid0(SALU_CYCLE_1) | instskip(NEXT) | instid1(SALU_CYCLE_1)
	s_and_b32 s14, s0, 0xffffffc0
	v_cmpx_gt_i32_e64 s14, v19
	s_cbranch_execz .LBB10_23
; %bb.12:
	v_mul_lo_u32 v3, s18, v19
	v_dual_mov_b32 v15, 0 :: v_dual_add_nc_u32 v2, 32, v18
	v_add_nc_u32_e32 v6, 2, v19
	v_dual_mov_b32 v14, 0 :: v_dual_add_nc_u32 v5, 0x60, v18
	s_delay_alu instid0(VALU_DEP_3)
	v_cmp_gt_i32_e64 s0, s6, v2
	v_dual_mov_b32 v17, 0 :: v_dual_add_nc_u32 v4, 64, v18
	v_add3_u32 v20, v3, s18, v1
	v_mad_u64_u32 v[2:3], null, s18, v6, v[1:2]
	v_cmp_gt_i32_e64 s2, s6, v5
	v_mul_lo_u32 v5, v13, s18
	v_dual_mov_b32 v16, 0 :: v_dual_add_nc_u32 v7, 3, v19
	s_waitcnt lgkmcnt(0)
	v_mul_lo_u32 v8, v13, s4
	v_cmp_gt_i32_e64 s1, s6, v4
	v_mul_lo_u32 v22, s4, v6
	v_mad_u64_u32 v[3:4], null, s18, v7, v[1:2]
	v_lshl_add_u32 v21, v5, 2, v1
	v_mad_u64_u32 v[4:5], null, s4, v19, s[4:5]
	v_mul_lo_u32 v23, s4, v7
	v_cmp_gt_i32_e32 vcc_lo, s6, v18
	v_lshlrev_b32_e32 v24, 2, v8
	s_lshl_b32 s21, s18, 6
	s_lshl_b32 s23, s4, 6
	s_mov_b32 s22, 0
	s_mov_b32 s24, 0
	s_branch .LBB10_17
.LBB10_13:                              ;   in Loop: Header=BB10_17 Depth=1
	s_or_b32 exec_lo, exec_lo, s27
	s_waitcnt vmcnt(3)
	v_fmac_f32_e32 v16, v28, v40
	s_waitcnt vmcnt(2)
	s_delay_alu instid0(VALU_DEP_1) | instskip(SKIP_1) | instid1(VALU_DEP_1)
	v_fmac_f32_e32 v16, v27, v39
	s_waitcnt vmcnt(1)
	v_fmac_f32_e32 v16, v26, v38
	s_waitcnt vmcnt(0)
	s_delay_alu instid0(VALU_DEP_1)
	v_fmac_f32_e32 v16, v25, v37
.LBB10_14:                              ;   in Loop: Header=BB10_17 Depth=1
	s_or_b32 exec_lo, exec_lo, s26
	s_waitcnt vmcnt(3)
	v_fmac_f32_e32 v15, v28, v36
	s_waitcnt vmcnt(2)
	s_delay_alu instid0(VALU_DEP_1) | instskip(SKIP_1) | instid1(VALU_DEP_1)
	v_fmac_f32_e32 v15, v27, v35
	s_waitcnt vmcnt(1)
	v_fmac_f32_e32 v15, v26, v34
	s_waitcnt vmcnt(0)
	s_delay_alu instid0(VALU_DEP_1)
	v_fmac_f32_e32 v15, v25, v33
.LBB10_15:                              ;   in Loop: Header=BB10_17 Depth=1
	s_or_b32 exec_lo, exec_lo, s3
	s_waitcnt vmcnt(3)
	v_fmac_f32_e32 v14, v28, v32
	s_waitcnt vmcnt(2)
	s_delay_alu instid0(VALU_DEP_1) | instskip(SKIP_1) | instid1(VALU_DEP_1)
	v_fmac_f32_e32 v14, v27, v30
	s_waitcnt vmcnt(1)
	v_fmac_f32_e32 v14, v26, v29
	s_waitcnt vmcnt(0)
	s_delay_alu instid0(VALU_DEP_1)
	v_fmac_f32_e32 v14, v25, v31
.LBB10_16:                              ;   in Loop: Header=BB10_17 Depth=1
	s_or_b32 exec_lo, exec_lo, s25
	v_add_nc_u32_e32 v19, 64, v19
	v_add_nc_u32_e32 v20, s21, v20
	;; [unrolled: 1-line block ×5, first 2 shown]
	v_cmp_le_i32_e64 s3, s14, v19
	s_add_i32 s24, s24, s23
	s_delay_alu instid0(VALU_DEP_1) | instskip(NEXT) | instid1(SALU_CYCLE_1)
	s_or_b32 s22, s3, s22
	s_and_not1_b32 exec_lo, exec_lo, s22
	s_cbranch_execz .LBB10_22
.LBB10_17:                              ; =>This Inner Loop Header: Depth=1
	s_and_saveexec_b32 s25, vcc_lo
	s_cbranch_execz .LBB10_16
; %bb.18:                               ;   in Loop: Header=BB10_17 Depth=1
	v_add_nc_u32_e32 v5, s24, v24
	v_add_nc_u32_e32 v7, s24, v4
	;; [unrolled: 1-line block ×5, first 2 shown]
	v_ashrrev_i32_e32 v6, 31, v5
	v_ashrrev_i32_e32 v8, 31, v7
	;; [unrolled: 1-line block ×5, first 2 shown]
	v_lshlrev_b64 v[5:6], 2, v[5:6]
	v_lshlrev_b64 v[7:8], 2, v[7:8]
	;; [unrolled: 1-line block ×3, first 2 shown]
	s_delay_alu instid0(VALU_DEP_3) | instskip(NEXT) | instid1(VALU_DEP_1)
	v_add_co_u32 v27, s3, s15, v5
	v_add_co_ci_u32_e64 v28, s3, s19, v6, s3
	s_delay_alu instid0(VALU_DEP_4)
	v_add_co_u32 v29, s3, s15, v7
	v_add_nc_u32_e32 v7, s5, v20
	v_add_co_ci_u32_e64 v30, s3, s19, v8, s3
	v_lshlrev_b64 v[5:6], 2, v[11:12]
	v_add_co_u32 v31, s3, s15, v9
	v_add_nc_u32_e32 v11, s5, v2
	v_add_co_ci_u32_e64 v32, s3, s19, v10, s3
	v_lshlrev_b64 v[9:10], 2, v[25:26]
	v_ashrrev_i32_e32 v8, 31, v7
	v_add_nc_u32_e32 v25, s5, v3
	v_add_co_u32 v33, s3, s15, v5
	v_ashrrev_i32_e32 v12, 31, v11
	v_add_co_ci_u32_e64 v34, s3, s19, v6, s3
	v_lshlrev_b64 v[7:8], 2, v[7:8]
	v_add_co_u32 v5, s3, s10, v9
	v_ashrrev_i32_e32 v26, 31, v25
	v_add_co_ci_u32_e64 v6, s3, s11, v10, s3
	v_lshlrev_b64 v[9:10], 2, v[11:12]
	v_add_co_u32 v7, s3, s10, v7
	s_delay_alu instid0(VALU_DEP_4) | instskip(SKIP_1) | instid1(VALU_DEP_4)
	v_lshlrev_b64 v[25:26], 2, v[25:26]
	v_add_co_ci_u32_e64 v8, s3, s11, v8, s3
	v_add_co_u32 v11, s3, s10, v9
	s_delay_alu instid0(VALU_DEP_1) | instskip(NEXT) | instid1(VALU_DEP_4)
	v_add_co_ci_u32_e64 v12, s3, s11, v10, s3
	v_add_co_u32 v9, s3, s10, v25
	s_delay_alu instid0(VALU_DEP_1)
	v_add_co_ci_u32_e64 v10, s3, s11, v26, s3
	s_clause 0x3
	global_load_b32 v28, v[27:28], off
	global_load_b32 v27, v[29:30], off
	;; [unrolled: 1-line block ×4, first 2 shown]
	s_clause 0x3
	global_load_b32 v32, v[5:6], off
	global_load_b32 v30, v[7:8], off
	;; [unrolled: 1-line block ×4, first 2 shown]
	s_and_saveexec_b32 s3, s0
	s_cbranch_execz .LBB10_15
; %bb.19:                               ;   in Loop: Header=BB10_17 Depth=1
	s_clause 0x3
	global_load_b32 v36, v[5:6], off offset:128
	global_load_b32 v35, v[7:8], off offset:128
	global_load_b32 v34, v[11:12], off offset:128
	global_load_b32 v33, v[9:10], off offset:128
	s_and_saveexec_b32 s26, s1
	s_cbranch_execz .LBB10_14
; %bb.20:                               ;   in Loop: Header=BB10_17 Depth=1
	s_clause 0x3
	global_load_b32 v40, v[5:6], off offset:256
	global_load_b32 v39, v[7:8], off offset:256
	global_load_b32 v38, v[11:12], off offset:256
	global_load_b32 v37, v[9:10], off offset:256
	;; [unrolled: 8-line block ×3, first 2 shown]
	s_waitcnt vmcnt(3)
	v_fmac_f32_e32 v17, v28, v5
	s_waitcnt vmcnt(2)
	s_delay_alu instid0(VALU_DEP_1) | instskip(SKIP_1) | instid1(VALU_DEP_1)
	v_fmac_f32_e32 v17, v27, v6
	s_waitcnt vmcnt(1)
	v_fmac_f32_e32 v17, v26, v7
	s_waitcnt vmcnt(0)
	s_delay_alu instid0(VALU_DEP_1)
	v_fmac_f32_e32 v17, v25, v8
	s_branch .LBB10_13
.LBB10_22:
	s_or_b32 exec_lo, exec_lo, s22
.LBB10_23:
	s_delay_alu instid0(SALU_CYCLE_1) | instskip(SKIP_1) | instid1(SALU_CYCLE_1)
	s_or_b32 exec_lo, exec_lo, s20
	s_sub_i32 s0, s7, s14
	s_cmp_lt_i32 s0, 1
	s_cbranch_scc1 .LBB10_41
; %bb.24:
	v_cmp_gt_i32_e32 vcc_lo, s7, v19
	v_dual_mov_b32 v12, 0 :: v_dual_mov_b32 v11, 0
	v_or_b32_e32 v2, 1, v19
	v_mov_b32_e32 v20, 0
	v_mov_b32_e32 v10, 0
	s_and_saveexec_b32 s1, vcc_lo
	s_cbranch_execz .LBB10_32
; %bb.25:
	s_waitcnt lgkmcnt(0)
	v_mul_lo_u32 v3, v19, s4
	v_dual_mov_b32 v11, 0 :: v_dual_mov_b32 v20, 0
	v_mov_b32_e32 v12, 0
	s_mov_b32 s2, exec_lo
	s_delay_alu instid0(VALU_DEP_3) | instskip(NEXT) | instid1(VALU_DEP_1)
	v_ashrrev_i32_e32 v4, 31, v3
	v_lshlrev_b64 v[3:4], 2, v[3:4]
	s_delay_alu instid0(VALU_DEP_1) | instskip(NEXT) | instid1(VALU_DEP_1)
	v_add_co_u32 v3, s0, s15, v3
	v_add_co_ci_u32_e64 v4, s0, s19, v4, s0
	global_load_b32 v10, v[3:4], off
	v_cmpx_gt_i32_e64 s7, v2
	s_cbranch_execz .LBB10_31
; %bb.26:
	v_mul_lo_u32 v3, v2, s4
	v_mov_b32_e32 v20, 0
	v_mov_b32_e32 v12, 0
	s_mov_b32 s3, exec_lo
	s_delay_alu instid0(VALU_DEP_3) | instskip(NEXT) | instid1(VALU_DEP_1)
	v_ashrrev_i32_e32 v4, 31, v3
	v_lshlrev_b64 v[3:4], 2, v[3:4]
	s_delay_alu instid0(VALU_DEP_1) | instskip(NEXT) | instid1(VALU_DEP_1)
	v_add_co_u32 v3, s0, s15, v3
	v_add_co_ci_u32_e64 v4, s0, s19, v4, s0
	global_load_b32 v11, v[3:4], off
	v_or_b32_e32 v3, 2, v19
	s_delay_alu instid0(VALU_DEP_1)
	v_cmpx_gt_i32_e64 s7, v3
	s_cbranch_execz .LBB10_30
; %bb.27:
	v_mul_lo_u32 v3, v3, s4
	v_mov_b32_e32 v12, 0
	s_mov_b32 s14, exec_lo
	s_delay_alu instid0(VALU_DEP_2) | instskip(NEXT) | instid1(VALU_DEP_1)
	v_ashrrev_i32_e32 v4, 31, v3
	v_lshlrev_b64 v[3:4], 2, v[3:4]
	s_delay_alu instid0(VALU_DEP_1) | instskip(NEXT) | instid1(VALU_DEP_1)
	v_add_co_u32 v3, s0, s15, v3
	v_add_co_ci_u32_e64 v4, s0, s19, v4, s0
	global_load_b32 v20, v[3:4], off
	v_or_b32_e32 v3, 3, v19
	s_delay_alu instid0(VALU_DEP_1)
	v_cmpx_gt_i32_e64 s7, v3
	s_cbranch_execz .LBB10_29
; %bb.28:
	v_mul_lo_u32 v3, v3, s4
	s_delay_alu instid0(VALU_DEP_1) | instskip(NEXT) | instid1(VALU_DEP_1)
	v_ashrrev_i32_e32 v4, 31, v3
	v_lshlrev_b64 v[3:4], 2, v[3:4]
	s_delay_alu instid0(VALU_DEP_1) | instskip(NEXT) | instid1(VALU_DEP_1)
	v_add_co_u32 v3, s0, s15, v3
	v_add_co_ci_u32_e64 v4, s0, s19, v4, s0
	global_load_b32 v12, v[3:4], off
.LBB10_29:
	s_or_b32 exec_lo, exec_lo, s14
.LBB10_30:
	s_delay_alu instid0(SALU_CYCLE_1)
	s_or_b32 exec_lo, exec_lo, s3
.LBB10_31:
	s_delay_alu instid0(SALU_CYCLE_1)
	s_or_b32 exec_lo, exec_lo, s2
.LBB10_32:
	s_delay_alu instid0(SALU_CYCLE_1) | instskip(NEXT) | instid1(SALU_CYCLE_1)
	s_or_b32 exec_lo, exec_lo, s1
	s_mov_b32 s1, exec_lo
	v_cmpx_gt_i32_e64 s6, v18
	s_cbranch_execz .LBB10_40
; %bb.33:
	v_mul_lo_u32 v3, v19, s18
	v_mul_lo_u32 v5, v2, s18
	v_or_b32_e32 v4, 2, v19
	v_or_b32_e32 v6, 3, v19
	s_mov_b32 s0, exec_lo
	s_delay_alu instid0(VALU_DEP_2)
	v_mul_lo_u32 v7, v4, s18
	v_cndmask_b32_e32 v3, 0, v3, vcc_lo
	v_cmp_gt_i32_e32 vcc_lo, s7, v2
	v_mul_lo_u32 v8, v6, s18
	v_cndmask_b32_e32 v5, 0, v5, vcc_lo
	v_cmp_gt_i32_e32 vcc_lo, s7, v4
	s_delay_alu instid0(VALU_DEP_2) | instskip(SKIP_2) | instid1(VALU_DEP_3)
	v_add_nc_u32_e32 v4, v5, v18
	v_dual_cndmask_b32 v7, 0, v7 :: v_dual_add_nc_u32 v2, v3, v18
	v_cmp_gt_i32_e32 vcc_lo, s7, v6
	v_ashrrev_i32_e32 v5, 31, v4
	s_delay_alu instid0(VALU_DEP_3) | instskip(SKIP_2) | instid1(VALU_DEP_4)
	v_ashrrev_i32_e32 v3, 31, v2
	v_cndmask_b32_e32 v8, 0, v8, vcc_lo
	v_add_nc_u32_e32 v6, v7, v18
	v_lshlrev_b64 v[4:5], 2, v[4:5]
	s_delay_alu instid0(VALU_DEP_4) | instskip(NEXT) | instid1(VALU_DEP_4)
	v_lshlrev_b64 v[2:3], 2, v[2:3]
	v_add_nc_u32_e32 v8, v8, v18
	s_delay_alu instid0(VALU_DEP_4) | instskip(NEXT) | instid1(VALU_DEP_2)
	v_ashrrev_i32_e32 v7, 31, v6
	v_ashrrev_i32_e32 v9, 31, v8
	s_delay_alu instid0(VALU_DEP_2)
	v_lshlrev_b64 v[21:22], 2, v[6:7]
	v_add_co_u32 v6, vcc_lo, s10, v2
	v_add_co_ci_u32_e32 v7, vcc_lo, s11, v3, vcc_lo
	v_add_co_u32 v2, vcc_lo, s10, v4
	v_add_co_ci_u32_e32 v3, vcc_lo, s11, v5, vcc_lo
	global_load_b32 v23, v[6:7], off
	v_add_co_u32 v4, vcc_lo, s10, v21
	v_add_co_ci_u32_e32 v5, vcc_lo, s11, v22, vcc_lo
	v_lshlrev_b64 v[8:9], 2, v[8:9]
	s_clause 0x1
	global_load_b32 v21, v[2:3], off
	global_load_b32 v22, v[4:5], off
	v_add_co_u32 v8, vcc_lo, s10, v8
	v_add_co_ci_u32_e32 v9, vcc_lo, s11, v9, vcc_lo
	global_load_b32 v19, v[8:9], off
	s_waitcnt vmcnt(3)
	v_fmac_f32_e32 v14, v10, v23
	s_waitcnt vmcnt(2)
	s_delay_alu instid0(VALU_DEP_1) | instskip(SKIP_1) | instid1(VALU_DEP_1)
	v_dual_fmac_f32 v14, v11, v21 :: v_dual_add_nc_u32 v21, 32, v18
	s_waitcnt vmcnt(1)
	v_fmac_f32_e32 v14, v20, v22
	s_delay_alu instid0(VALU_DEP_2)
	v_cmpx_gt_i32_e64 s6, v21
	s_cbranch_execz .LBB10_39
; %bb.34:
	s_clause 0x3
	global_load_b32 v22, v[6:7], off offset:128
	global_load_b32 v23, v[2:3], off offset:128
	;; [unrolled: 1-line block ×4, first 2 shown]
	s_mov_b32 s2, exec_lo
	s_waitcnt vmcnt(3)
	v_fmac_f32_e32 v15, v10, v22
	s_waitcnt vmcnt(2)
	s_delay_alu instid0(VALU_DEP_1) | instskip(SKIP_1) | instid1(VALU_DEP_1)
	v_dual_fmac_f32 v15, v11, v23 :: v_dual_add_nc_u32 v22, 64, v18
	s_waitcnt vmcnt(1)
	v_fmac_f32_e32 v15, v20, v24
	s_delay_alu instid0(VALU_DEP_2)
	v_cmpx_gt_i32_e64 s6, v22
	s_cbranch_execz .LBB10_38
; %bb.35:
	s_clause 0x3
	global_load_b32 v23, v[6:7], off offset:256
	global_load_b32 v24, v[2:3], off offset:256
	;; [unrolled: 1-line block ×4, first 2 shown]
	v_add_nc_u32_e32 v18, 0x60, v18
	s_mov_b32 s3, exec_lo
	s_waitcnt vmcnt(3)
	v_fmac_f32_e32 v16, v10, v23
	s_waitcnt vmcnt(2)
	s_delay_alu instid0(VALU_DEP_1) | instskip(SKIP_1) | instid1(VALU_DEP_1)
	v_fmac_f32_e32 v16, v11, v24
	s_waitcnt vmcnt(1)
	v_fmac_f32_e32 v16, v20, v25
	v_cmpx_gt_i32_e64 s6, v18
	s_cbranch_execz .LBB10_37
; %bb.36:
	s_clause 0x3
	global_load_b32 v6, v[6:7], off offset:384
	global_load_b32 v2, v[2:3], off offset:384
	global_load_b32 v3, v[4:5], off offset:384
	global_load_b32 v4, v[8:9], off offset:384
	s_waitcnt vmcnt(3)
	v_fmac_f32_e32 v17, v10, v6
	s_waitcnt vmcnt(2)
	s_delay_alu instid0(VALU_DEP_1) | instskip(SKIP_1) | instid1(VALU_DEP_1)
	v_fmac_f32_e32 v17, v11, v2
	s_waitcnt vmcnt(1)
	v_fmac_f32_e32 v17, v20, v3
	s_waitcnt vmcnt(0)
	s_delay_alu instid0(VALU_DEP_1)
	v_fmac_f32_e32 v17, v12, v4
.LBB10_37:
	s_or_b32 exec_lo, exec_lo, s3
	s_waitcnt vmcnt(0)
	v_fmac_f32_e32 v16, v12, v22
.LBB10_38:
	s_or_b32 exec_lo, exec_lo, s2
	s_waitcnt vmcnt(0)
	v_fmac_f32_e32 v15, v12, v21
.LBB10_39:
	s_or_b32 exec_lo, exec_lo, s0
	s_waitcnt vmcnt(0)
	v_fmac_f32_e32 v14, v12, v19
.LBB10_40:
	s_or_b32 exec_lo, exec_lo, s1
.LBB10_41:
	v_lshlrev_b32_e32 v2, 7, v13
	s_mov_b32 s0, exec_lo
                                        ; implicit-def: $vgpr3
                                        ; implicit-def: $vgpr4_vgpr5
	s_delay_alu instid0(VALU_DEP_1)
	v_add_lshl_u32 v1, v2, v1, 2
	ds_store_2addr_b32 v1, v14, v15 offset1:32
	ds_store_2addr_b32 v1, v16, v17 offset0:64 offset1:96
	s_waitcnt vmcnt(0) lgkmcnt(0)
	s_barrier
	buffer_gl0_inv
	v_cmpx_gt_u32_e32 0x80, v0
	s_cbranch_execz .LBB10_47
; %bb.42:
	v_lshlrev_b32_e32 v7, 2, v0
	s_mov_b32 s2, s16
	s_mov_b32 s1, exec_lo
	ds_load_2addr_stride64_b32 v[1:2], v7 offset1:2
	ds_load_2addr_stride64_b32 v[3:4], v7 offset0:4 offset1:6
	ds_load_2addr_stride64_b32 v[5:6], v7 offset0:8 offset1:10
	s_waitcnt lgkmcnt(2)
	v_add_f32_e32 v8, v1, v2
	ds_load_2addr_stride64_b32 v[1:2], v7 offset0:12 offset1:14
	s_waitcnt lgkmcnt(2)
	v_add_f32_e32 v3, v3, v8
	s_delay_alu instid0(VALU_DEP_1) | instskip(SKIP_3) | instid1(VALU_DEP_1)
	v_add_f32_e32 v8, v4, v3
	ds_load_2addr_stride64_b32 v[3:4], v7 offset0:16 offset1:18
	s_waitcnt lgkmcnt(2)
	v_add_f32_e32 v5, v5, v8
	v_add_f32_e32 v8, v6, v5
	ds_load_2addr_stride64_b32 v[5:6], v7 offset0:20 offset1:22
	s_waitcnt lgkmcnt(2)
	v_add_f32_e32 v1, v1, v8
	s_delay_alu instid0(VALU_DEP_1) | instskip(SKIP_1) | instid1(VALU_DEP_1)
	v_add_f32_e32 v1, v2, v1
	s_waitcnt lgkmcnt(1)
	v_add_f32_e32 v3, v3, v1
	ds_load_2addr_stride64_b32 v[1:2], v7 offset0:24 offset1:26
	v_add_f32_e32 v3, v4, v3
	s_waitcnt lgkmcnt(1)
	s_delay_alu instid0(VALU_DEP_1) | instskip(SKIP_3) | instid1(VALU_DEP_1)
	v_add_f32_e32 v5, v5, v3
	ds_load_2addr_stride64_b32 v[3:4], v7 offset0:28 offset1:30
	v_add_f32_e32 v5, v6, v5
	s_waitcnt lgkmcnt(1)
	v_add_f32_e32 v1, v1, v5
	s_delay_alu instid0(VALU_DEP_1) | instskip(SKIP_1) | instid1(VALU_DEP_1)
	v_add_f32_e32 v1, v2, v1
	s_waitcnt lgkmcnt(0)
	v_add_f32_e32 v2, v3, v1
	v_or_b32_e32 v1, s5, v0
                                        ; implicit-def: $vgpr3
	s_delay_alu instid0(VALU_DEP_2)
	v_add_f32_e32 v0, v4, v2
                                        ; implicit-def: $vgpr4_vgpr5
	ds_store_b32 v7, v0
	v_cmpx_gt_i32_e64 s6, v1
	s_cbranch_execz .LBB10_46
; %bb.43:
	v_mul_lo_u32 v4, v1, s17
	v_cmp_eq_f32_e64 s2, s12, 0
	v_mul_f32_e32 v3, s13, v0
	s_delay_alu instid0(VALU_DEP_2) | instskip(NEXT) | instid1(VALU_DEP_3)
	s_and_b32 vcc_lo, exec_lo, s2
	v_ashrrev_i32_e32 v5, 31, v4
	s_cbranch_vccnz .LBB10_45
; %bb.44:
	s_delay_alu instid0(VALU_DEP_1) | instskip(NEXT) | instid1(VALU_DEP_1)
	v_lshlrev_b64 v[0:1], 2, v[4:5]
	v_add_co_u32 v0, vcc_lo, s8, v0
	s_delay_alu instid0(VALU_DEP_2)
	v_add_co_ci_u32_e32 v1, vcc_lo, s9, v1, vcc_lo
	global_load_b32 v0, v[0:1], off
	s_waitcnt vmcnt(0)
	v_fmac_f32_e32 v3, s12, v0
.LBB10_45:
	s_or_b32 s2, s16, exec_lo
.LBB10_46:
	s_or_b32 exec_lo, exec_lo, s1
	s_delay_alu instid0(SALU_CYCLE_1) | instskip(SKIP_1) | instid1(SALU_CYCLE_1)
	s_and_not1_b32 s1, s16, exec_lo
	s_and_b32 s2, s2, exec_lo
	s_or_b32 s16, s1, s2
.LBB10_47:
	s_or_b32 exec_lo, exec_lo, s0
.LBB10_48:
	s_and_saveexec_b32 s0, s16
	s_cbranch_execz .LBB10_50
; %bb.49:
	v_lshlrev_b64 v[0:1], 2, v[4:5]
	s_delay_alu instid0(VALU_DEP_1) | instskip(NEXT) | instid1(VALU_DEP_2)
	v_add_co_u32 v0, vcc_lo, s8, v0
	v_add_co_ci_u32_e32 v1, vcc_lo, s9, v1, vcc_lo
	global_store_b32 v[0:1], v3, off
.LBB10_50:
	s_nop 0
	s_sendmsg sendmsg(MSG_DEALLOC_VGPRS)
	s_endpgm
	.section	.rodata,"a",@progbits
	.p2align	6, 0x0
	.amdhsa_kernel _ZL20rocblas_gemvn_kernelILi32ELi16EifPKffEviiT3_lPKT2_lT1_lS5_lS6_lS2_lPT4_lS6_li
		.amdhsa_group_segment_fixed_size 8192
		.amdhsa_private_segment_fixed_size 0
		.amdhsa_kernarg_size 400
		.amdhsa_user_sgpr_count 14
		.amdhsa_user_sgpr_dispatch_ptr 0
		.amdhsa_user_sgpr_queue_ptr 0
		.amdhsa_user_sgpr_kernarg_segment_ptr 1
		.amdhsa_user_sgpr_dispatch_id 0
		.amdhsa_user_sgpr_private_segment_size 0
		.amdhsa_wavefront_size32 1
		.amdhsa_uses_dynamic_stack 0
		.amdhsa_enable_private_segment 0
		.amdhsa_system_sgpr_workgroup_id_x 1
		.amdhsa_system_sgpr_workgroup_id_y 0
		.amdhsa_system_sgpr_workgroup_id_z 1
		.amdhsa_system_sgpr_workgroup_info 0
		.amdhsa_system_vgpr_workitem_id 1
		.amdhsa_next_free_vgpr 41
		.amdhsa_next_free_sgpr 28
		.amdhsa_reserve_vcc 1
		.amdhsa_float_round_mode_32 0
		.amdhsa_float_round_mode_16_64 0
		.amdhsa_float_denorm_mode_32 3
		.amdhsa_float_denorm_mode_16_64 3
		.amdhsa_dx10_clamp 1
		.amdhsa_ieee_mode 1
		.amdhsa_fp16_overflow 0
		.amdhsa_workgroup_processor_mode 1
		.amdhsa_memory_ordered 1
		.amdhsa_forward_progress 0
		.amdhsa_shared_vgpr_count 0
		.amdhsa_exception_fp_ieee_invalid_op 0
		.amdhsa_exception_fp_denorm_src 0
		.amdhsa_exception_fp_ieee_div_zero 0
		.amdhsa_exception_fp_ieee_overflow 0
		.amdhsa_exception_fp_ieee_underflow 0
		.amdhsa_exception_fp_ieee_inexact 0
		.amdhsa_exception_int_div_zero 0
	.end_amdhsa_kernel
	.section	.text._ZL20rocblas_gemvn_kernelILi32ELi16EifPKffEviiT3_lPKT2_lT1_lS5_lS6_lS2_lPT4_lS6_li,"axG",@progbits,_ZL20rocblas_gemvn_kernelILi32ELi16EifPKffEviiT3_lPKT2_lT1_lS5_lS6_lS2_lPT4_lS6_li,comdat
.Lfunc_end10:
	.size	_ZL20rocblas_gemvn_kernelILi32ELi16EifPKffEviiT3_lPKT2_lT1_lS5_lS6_lS2_lPT4_lS6_li, .Lfunc_end10-_ZL20rocblas_gemvn_kernelILi32ELi16EifPKffEviiT3_lPKT2_lT1_lS5_lS6_lS2_lPT4_lS6_li
                                        ; -- End function
	.section	.AMDGPU.csdata,"",@progbits
; Kernel info:
; codeLenInByte = 3044
; NumSgprs: 30
; NumVgprs: 41
; ScratchSize: 0
; MemoryBound: 0
; FloatMode: 240
; IeeeMode: 1
; LDSByteSize: 8192 bytes/workgroup (compile time only)
; SGPRBlocks: 3
; VGPRBlocks: 5
; NumSGPRsForWavesPerEU: 30
; NumVGPRsForWavesPerEU: 41
; Occupancy: 16
; WaveLimiterHint : 1
; COMPUTE_PGM_RSRC2:SCRATCH_EN: 0
; COMPUTE_PGM_RSRC2:USER_SGPR: 14
; COMPUTE_PGM_RSRC2:TRAP_HANDLER: 0
; COMPUTE_PGM_RSRC2:TGID_X_EN: 1
; COMPUTE_PGM_RSRC2:TGID_Y_EN: 0
; COMPUTE_PGM_RSRC2:TGID_Z_EN: 1
; COMPUTE_PGM_RSRC2:TIDIG_COMP_CNT: 1
	.section	.text._ZL20rocblas_gemvn_kernelILi32ELi16ElfPKffEviiT3_lPKT2_lT1_lS5_lS6_lS2_lPT4_lS6_li,"axG",@progbits,_ZL20rocblas_gemvn_kernelILi32ELi16ElfPKffEviiT3_lPKT2_lT1_lS5_lS6_lS2_lPT4_lS6_li,comdat
	.globl	_ZL20rocblas_gemvn_kernelILi32ELi16ElfPKffEviiT3_lPKT2_lT1_lS5_lS6_lS2_lPT4_lS6_li ; -- Begin function _ZL20rocblas_gemvn_kernelILi32ELi16ElfPKffEviiT3_lPKT2_lT1_lS5_lS6_lS2_lPT4_lS6_li
	.p2align	8
	.type	_ZL20rocblas_gemvn_kernelILi32ELi16ElfPKffEviiT3_lPKT2_lT1_lS5_lS6_lS2_lPT4_lS6_li,@function
_ZL20rocblas_gemvn_kernelILi32ELi16ElfPKffEviiT3_lPKT2_lT1_lS5_lS6_lS2_lPT4_lS6_li: ; @_ZL20rocblas_gemvn_kernelILi32ELi16ElfPKffEviiT3_lPKT2_lT1_lS5_lS6_lS2_lPT4_lS6_li
; %bb.0:
	s_load_b64 s[2:3], s[0:1], 0x9c
	s_waitcnt lgkmcnt(0)
	s_lshr_b32 s4, s2, 16
	s_and_b32 s2, s2, 0xffff
	s_and_b32 s3, s3, 0xffff
	s_mul_i32 s2, s4, s2
	s_delay_alu instid0(SALU_CYCLE_1) | instskip(NEXT) | instid1(SALU_CYCLE_1)
	s_mul_i32 s2, s2, s3
	s_cmpk_lg_i32 s2, 0x200
	s_cbranch_scc1 .LBB11_50
; %bb.1:
	s_clause 0x1
	s_load_b512 s[36:51], s[0:1], 0x8
	s_load_b512 s[16:31], s[0:1], 0x48
	s_waitcnt lgkmcnt(0)
	s_mul_i32 s3, s15, s39
	s_mul_hi_u32 s4, s15, s38
	s_mul_i32 s2, s15, s38
	s_add_i32 s3, s4, s3
	s_mul_i32 s4, s15, s23
	s_lshl_b64 s[2:3], s[2:3], 2
	s_mul_hi_u32 s5, s15, s22
	s_add_u32 s2, s36, s2
	s_addc_u32 s3, s37, s3
	s_add_i32 s5, s5, s4
	s_mul_i32 s4, s15, s22
	s_mov_b32 s23, 0
	s_lshl_b64 s[4:5], s[4:5], 2
	s_delay_alu instid0(SALU_CYCLE_1)
	s_add_u32 s4, s20, s4
	s_addc_u32 s5, s21, s5
	s_load_b32 s22, s[2:3], 0x0
	s_load_b32 s21, s[4:5], 0x0
	s_waitcnt lgkmcnt(0)
	v_cmp_eq_f32_e64 s2, s22, 0
	v_cmp_eq_f32_e64 s3, s21, 1.0
	s_delay_alu instid0(VALU_DEP_1) | instskip(NEXT) | instid1(SALU_CYCLE_1)
	s_and_b32 s2, s2, s3
	s_and_b32 vcc_lo, exec_lo, s2
	s_cbranch_vccnz .LBB11_50
; %bb.2:
	s_load_b64 s[6:7], s[0:1], 0x0
	v_and_b32_e32 v12, 0x3ff, v0
	v_bfe_u32 v13, v0, 10, 10
	s_mul_i32 s2, s15, s31
	s_mul_hi_u32 s3, s15, s30
	s_mul_i32 s0, s15, s30
	s_add_i32 s1, s3, s2
	v_lshl_add_u32 v11, v13, 5, v12
	s_lshl_b64 s[0:1], s[0:1], 2
	v_cmp_neq_f32_e64 s4, s22, 0
	s_add_u32 s2, s24, s0
	s_addc_u32 s3, s25, s1
	s_lshl_b64 s[0:1], s[26:27], 2
	s_delay_alu instid0(SALU_CYCLE_1)
	s_add_u32 s5, s2, s0
	v_cmp_gt_u32_e64 s0, 0x80, v11
	s_addc_u32 s20, s3, s1
	s_and_b32 vcc_lo, exec_lo, s4
	s_cbranch_vccnz .LBB11_9
; %bb.3:
	s_mov_b32 s1, 0
                                        ; implicit-def: $vgpr1
                                        ; implicit-def: $vgpr2_vgpr3
	s_and_saveexec_b32 s2, s0
	s_cbranch_execz .LBB11_10
; %bb.4:
	v_lshl_or_b32 v0, s14, 7, v11
	v_mov_b32_e32 v1, 0
	s_waitcnt lgkmcnt(0)
	s_ashr_i32 s9, s6, 31
	s_mov_b32 s8, s6
	s_mov_b32 s3, 0
	s_mov_b32 s0, exec_lo
                                        ; implicit-def: $vgpr2_vgpr3
	v_cmpx_gt_i64_e64 s[8:9], v[0:1]
	s_cbranch_execz .LBB11_8
; %bb.5:
	v_mad_u64_u32 v[2:3], null, v0, s28, 0
	v_cmp_eq_f32_e64 s3, s21, 0
	s_delay_alu instid0(VALU_DEP_1) | instskip(NEXT) | instid1(VALU_DEP_2)
	s_and_b32 vcc_lo, exec_lo, s3
	v_mad_u64_u32 v[4:5], null, v0, s29, v[3:4]
	s_delay_alu instid0(VALU_DEP_1)
	v_mov_b32_e32 v3, v4
	s_cbranch_vccnz .LBB11_7
; %bb.6:
	s_delay_alu instid0(VALU_DEP_1) | instskip(NEXT) | instid1(VALU_DEP_1)
	v_lshlrev_b64 v[0:1], 2, v[2:3]
	v_add_co_u32 v0, vcc_lo, s5, v0
	s_delay_alu instid0(VALU_DEP_2)
	v_add_co_ci_u32_e32 v1, vcc_lo, s20, v1, vcc_lo
	global_load_b32 v0, v[0:1], off
	s_waitcnt vmcnt(0)
	v_mul_f32_e32 v1, s21, v0
.LBB11_7:
	s_mov_b32 s3, exec_lo
.LBB11_8:
	s_or_b32 exec_lo, exec_lo, s0
	s_delay_alu instid0(SALU_CYCLE_1) | instskip(SKIP_1) | instid1(SALU_CYCLE_1)
	s_and_b32 s23, s3, exec_lo
	s_or_b32 exec_lo, exec_lo, s2
	s_and_b32 vcc_lo, exec_lo, s1
	s_cbranch_vccnz .LBB11_11
	s_branch .LBB11_48
.LBB11_9:
                                        ; implicit-def: $vgpr1
                                        ; implicit-def: $vgpr2_vgpr3
	s_cbranch_execnz .LBB11_11
	s_branch .LBB11_48
.LBB11_10:
	s_or_b32 exec_lo, exec_lo, s2
	s_delay_alu instid0(SALU_CYCLE_1)
	s_and_b32 vcc_lo, exec_lo, s1
	s_cbranch_vccz .LBB11_48
.LBB11_11:
	s_mul_i32 s0, s15, s47
	s_mul_hi_u32 s1, s15, s46
	s_lshl_b32 s24, s14, 7
	s_add_i32 s9, s1, s0
	s_waitcnt lgkmcnt(0)
	s_ashr_i32 s1, s7, 31
	v_dual_mov_b32 v14, 0 :: v_dual_lshlrev_b32 v15, 2, v13
	s_lshr_b32 s1, s1, 26
	v_dual_mov_b32 v17, 0 :: v_dual_add_nc_u32 v0, s24, v12
	v_mov_b32_e32 v16, 0
	v_mov_b32_e32 v18, 0
	s_mul_i32 s0, s15, s19
	s_mul_hi_u32 s2, s15, s18
	s_add_i32 s25, s7, s1
	s_mul_i32 s8, s15, s46
	s_and_not1_b32 s25, s25, 63
	s_add_i32 s11, s2, s0
	s_mul_i32 s10, s15, s18
	s_mov_b32 s26, exec_lo
	v_cmpx_gt_i32_e64 s25, v15
	s_cbranch_execz .LBB11_23
; %bb.12:
	v_lshlrev_b32_e32 v14, 2, v13
	v_mad_u64_u32 v[2:3], null, s16, v13, 0
	v_add_nc_u32_e32 v17, 64, v0
	s_lshl_b64 s[0:1], s[10:11], 2
	s_delay_alu instid0(VALU_DEP_3)
	v_or_b32_e32 v18, 3, v14
	s_lshl_b64 s[12:13], s[50:51], 2
	s_add_u32 s4, s48, s0
	s_addc_u32 s27, s49, s1
	v_cmp_gt_i32_e64 s1, s6, v17
	v_mad_u64_u32 v[4:5], null, s44, v18, 0
	v_add_nc_u32_e32 v19, 0x60, v0
	s_lshl_b64 s[18:19], s[42:43], 2
	s_lshl_b64 s[14:15], s[16:17], 8
	;; [unrolled: 1-line block ×3, first 2 shown]
	v_ashrrev_i32_e32 v1, 31, v0
	v_cmp_gt_i32_e64 s2, s6, v19
	s_delay_alu instid0(VALU_DEP_4) | instskip(SKIP_3) | instid1(VALU_DEP_4)
	v_mad_u64_u32 v[6:7], null, s17, v13, v[3:4]
	v_mad_u64_u32 v[7:8], null, s16, v18, 0
	v_add_nc_u32_e32 v16, 32, v0
	v_cmp_gt_i32_e32 vcc_lo, s6, v0
	v_mad_u64_u32 v[9:10], null, s45, v18, v[5:6]
	v_mov_b32_e32 v3, v6
	s_delay_alu instid0(VALU_DEP_4)
	v_cmp_gt_i32_e64 s0, s6, v16
	v_mad_u64_u32 v[29:30], null, s16, v14, s[16:17]
	v_mad_u64_u32 v[31:32], null, s44, v14, s[44:45]
	v_mov_b32_e32 v5, v9
	v_lshlrev_b64 v[16:17], 4, v[2:3]
	v_mov_b32_e32 v3, v8
	v_mad_u64_u32 v[9:10], null, s44, v13, 0
	s_delay_alu instid0(VALU_DEP_4) | instskip(SKIP_2) | instid1(VALU_DEP_1)
	v_lshlrev_b64 v[4:5], 2, v[4:5]
	v_lshlrev_b64 v[1:2], 2, v[0:1]
	v_add_co_u32 v19, s3, s4, v16
	v_add_co_ci_u32_e64 v20, s3, s27, v17, s3
	s_delay_alu instid0(VALU_DEP_4)
	v_mad_u64_u32 v[16:17], null, s17, v18, v[3:4]
	v_or_b32_e32 v18, 2, v14
	s_add_u32 s3, s40, s18
	s_addc_u32 s18, s41, s19
	v_mov_b32_e32 v3, v10
	s_add_u32 s19, s3, s30
	s_addc_u32 s18, s18, s31
	s_delay_alu instid0(VALU_DEP_3)
	v_mov_b32_e32 v8, v16
	v_mad_u64_u32 v[16:17], null, s44, v18, 0
	v_add_co_u32 v21, s3, s19, v4
	v_mad_u64_u32 v[23:24], null, s45, v13, v[3:4]
	v_add_co_ci_u32_e64 v22, s3, s18, v5, s3
	v_lshlrev_b64 v[4:5], 2, v[7:8]
	v_mad_u64_u32 v[27:28], null, s16, v18, 0
	s_delay_alu instid0(VALU_DEP_4) | instskip(NEXT) | instid1(VALU_DEP_3)
	v_dual_mov_b32 v3, v17 :: v_dual_mov_b32 v10, v23
	v_add_co_u32 v23, s3, s4, v4
	s_delay_alu instid0(VALU_DEP_2) | instskip(NEXT) | instid1(VALU_DEP_4)
	v_mad_u64_u32 v[7:8], null, s45, v18, v[3:4]
	v_mov_b32_e32 v6, v28
	v_add_co_ci_u32_e64 v24, s3, s27, v5, s3
	v_lshlrev_b64 v[4:5], 4, v[9:10]
	v_mov_b32_e32 v3, v30
	s_delay_alu instid0(VALU_DEP_4) | instskip(SKIP_1) | instid1(VALU_DEP_3)
	v_mad_u64_u32 v[25:26], null, s17, v18, v[6:7]
	v_mov_b32_e32 v17, v7
	v_mad_u64_u32 v[6:7], null, s17, v14, v[3:4]
	v_dual_mov_b32 v3, v32 :: v_dual_mov_b32 v18, 0
	s_delay_alu instid0(VALU_DEP_4) | instskip(SKIP_1) | instid1(VALU_DEP_1)
	v_mov_b32_e32 v28, v25
	v_add_co_u32 v25, s3, s19, v4
	v_add_co_ci_u32_e64 v26, s3, s18, v5, s3
	v_lshlrev_b64 v[4:5], 2, v[16:17]
	v_mov_b32_e32 v16, 0
	v_dual_mov_b32 v30, v6 :: v_dual_mov_b32 v17, 0
	s_delay_alu instid0(VALU_DEP_3) | instskip(SKIP_2) | instid1(VALU_DEP_4)
	v_mad_u64_u32 v[7:8], null, s45, v14, v[3:4]
	v_lshlrev_b64 v[8:9], 2, v[27:28]
	v_add_co_u32 v27, s3, s19, v4
	v_lshlrev_b64 v[3:4], 2, v[29:30]
	v_add_co_ci_u32_e64 v28, s3, s18, v5, s3
	v_mov_b32_e32 v32, v7
	v_add_co_u32 v29, s3, s4, v8
	s_delay_alu instid0(VALU_DEP_1) | instskip(NEXT) | instid1(VALU_DEP_3)
	v_add_co_ci_u32_e64 v30, s3, s27, v9, s3
	v_lshlrev_b64 v[5:6], 2, v[31:32]
	v_add_co_u32 v31, s3, s4, v3
	s_delay_alu instid0(VALU_DEP_1) | instskip(SKIP_1) | instid1(VALU_DEP_4)
	v_add_co_ci_u32_e64 v32, s3, s27, v4, s3
	v_mov_b32_e32 v14, 0
	v_add_co_u32 v33, s3, s19, v5
	s_delay_alu instid0(VALU_DEP_1)
	v_add_co_ci_u32_e64 v34, s3, s18, v6, s3
	s_lshl_b64 s[18:19], s[44:45], 8
	s_mov_b32 s27, 0
	s_branch .LBB11_17
.LBB11_13:                              ;   in Loop: Header=BB11_17 Depth=1
	s_or_b32 exec_lo, exec_lo, s31
	s_waitcnt vmcnt(3)
	v_fmac_f32_e32 v17, v36, v50
	s_waitcnt vmcnt(2)
	s_delay_alu instid0(VALU_DEP_1) | instskip(SKIP_1) | instid1(VALU_DEP_1)
	v_fmac_f32_e32 v17, v35, v49
	s_waitcnt vmcnt(1)
	v_fmac_f32_e32 v17, v37, v48
	s_waitcnt vmcnt(0)
	s_delay_alu instid0(VALU_DEP_1)
	v_fmac_f32_e32 v17, v38, v47
.LBB11_14:                              ;   in Loop: Header=BB11_17 Depth=1
	s_or_b32 exec_lo, exec_lo, s30
	s_waitcnt vmcnt(3)
	v_fmac_f32_e32 v16, v36, v46
	s_waitcnt vmcnt(2)
	s_delay_alu instid0(VALU_DEP_1) | instskip(SKIP_1) | instid1(VALU_DEP_1)
	v_fmac_f32_e32 v16, v35, v45
	s_waitcnt vmcnt(1)
	v_fmac_f32_e32 v16, v37, v44
	s_waitcnt vmcnt(0)
	s_delay_alu instid0(VALU_DEP_1)
	v_fmac_f32_e32 v16, v38, v43
.LBB11_15:                              ;   in Loop: Header=BB11_17 Depth=1
	s_or_b32 exec_lo, exec_lo, s3
	s_waitcnt vmcnt(3)
	v_fmac_f32_e32 v14, v36, v42
	s_waitcnt vmcnt(2)
	s_delay_alu instid0(VALU_DEP_1) | instskip(SKIP_1) | instid1(VALU_DEP_1)
	v_fmac_f32_e32 v14, v35, v40
	s_waitcnt vmcnt(1)
	v_fmac_f32_e32 v14, v37, v39
	s_waitcnt vmcnt(0)
	s_delay_alu instid0(VALU_DEP_1)
	v_fmac_f32_e32 v14, v38, v41
.LBB11_16:                              ;   in Loop: Header=BB11_17 Depth=1
	s_or_b32 exec_lo, exec_lo, s4
	v_add_co_u32 v19, s3, v19, s14
	s_delay_alu instid0(VALU_DEP_1) | instskip(SKIP_1) | instid1(VALU_DEP_1)
	v_add_co_ci_u32_e64 v20, s3, s15, v20, s3
	v_add_co_u32 v21, s3, v21, s18
	v_add_co_ci_u32_e64 v22, s3, s19, v22, s3
	v_add_co_u32 v23, s3, v23, s14
	s_delay_alu instid0(VALU_DEP_1) | instskip(SKIP_1) | instid1(VALU_DEP_1)
	v_add_co_ci_u32_e64 v24, s3, s15, v24, s3
	v_add_co_u32 v25, s3, v25, s18
	v_add_co_ci_u32_e64 v26, s3, s19, v26, s3
	v_add_co_u32 v27, s3, v27, s18
	s_delay_alu instid0(VALU_DEP_1) | instskip(SKIP_4) | instid1(VALU_DEP_1)
	v_add_co_ci_u32_e64 v28, s3, s19, v28, s3
	v_add_co_u32 v29, s3, v29, s14
	v_add_nc_u32_e32 v15, 64, v15
	v_add_co_ci_u32_e64 v30, s3, s15, v30, s3
	v_add_co_u32 v31, s3, v31, s14
	v_add_co_ci_u32_e64 v32, s3, s15, v32, s3
	s_delay_alu instid0(VALU_DEP_4) | instskip(SKIP_1) | instid1(VALU_DEP_1)
	v_cmp_le_i32_e64 s3, s25, v15
	v_add_co_u32 v33, s4, v33, s18
	v_add_co_ci_u32_e64 v34, s4, s19, v34, s4
	s_delay_alu instid0(VALU_DEP_3) | instskip(NEXT) | instid1(SALU_CYCLE_1)
	s_or_b32 s27, s3, s27
	s_and_not1_b32 exec_lo, exec_lo, s27
	s_cbranch_execz .LBB11_22
.LBB11_17:                              ; =>This Inner Loop Header: Depth=1
	s_and_saveexec_b32 s4, vcc_lo
	s_cbranch_execz .LBB11_16
; %bb.18:                               ;   in Loop: Header=BB11_17 Depth=1
	v_add_co_u32 v3, s3, v19, s12
	s_delay_alu instid0(VALU_DEP_1) | instskip(SKIP_1) | instid1(VALU_DEP_1)
	v_add_co_ci_u32_e64 v4, s3, s13, v20, s3
	v_add_co_u32 v5, s3, v31, s12
	v_add_co_ci_u32_e64 v6, s3, s13, v32, s3
	v_add_co_u32 v7, s3, v29, s12
	s_delay_alu instid0(VALU_DEP_1) | instskip(SKIP_1) | instid1(VALU_DEP_1)
	v_add_co_ci_u32_e64 v8, s3, s13, v30, s3
	v_add_co_u32 v38, s3, v23, s12
	v_add_co_ci_u32_e64 v39, s3, s13, v24, s3
	global_load_b32 v36, v[3:4], off
	global_load_b32 v35, v[5:6], off
	;; [unrolled: 1-line block ×3, first 2 shown]
	v_add_co_u32 v3, s3, v25, v1
	s_delay_alu instid0(VALU_DEP_1) | instskip(SKIP_1) | instid1(VALU_DEP_1)
	v_add_co_ci_u32_e64 v4, s3, v26, v2, s3
	v_add_co_u32 v5, s3, v33, v1
	v_add_co_ci_u32_e64 v6, s3, v34, v2, s3
	v_add_co_u32 v7, s3, v27, v1
	s_delay_alu instid0(VALU_DEP_1) | instskip(SKIP_1) | instid1(VALU_DEP_1)
	v_add_co_ci_u32_e64 v8, s3, v28, v2, s3
	v_add_co_u32 v9, s3, v21, v1
	v_add_co_ci_u32_e64 v10, s3, v22, v2, s3
	global_load_b32 v38, v[38:39], off
	global_load_b32 v42, v[3:4], off
	;; [unrolled: 1-line block ×5, first 2 shown]
	s_and_saveexec_b32 s3, s0
	s_cbranch_execz .LBB11_15
; %bb.19:                               ;   in Loop: Header=BB11_17 Depth=1
	global_load_b32 v46, v[3:4], off offset:128
	global_load_b32 v45, v[5:6], off offset:128
	global_load_b32 v44, v[7:8], off offset:128
	global_load_b32 v43, v[9:10], off offset:128
	s_and_saveexec_b32 s30, s1
	s_cbranch_execz .LBB11_14
; %bb.20:                               ;   in Loop: Header=BB11_17 Depth=1
	global_load_b32 v50, v[3:4], off offset:256
	global_load_b32 v49, v[5:6], off offset:256
	global_load_b32 v48, v[7:8], off offset:256
	global_load_b32 v47, v[9:10], off offset:256
	;; [unrolled: 7-line block ×3, first 2 shown]
	s_waitcnt vmcnt(3)
	v_fmac_f32_e32 v18, v36, v3
	s_waitcnt vmcnt(2)
	s_delay_alu instid0(VALU_DEP_1) | instskip(SKIP_1) | instid1(VALU_DEP_1)
	v_fmac_f32_e32 v18, v35, v4
	s_waitcnt vmcnt(1)
	v_fmac_f32_e32 v18, v37, v5
	s_waitcnt vmcnt(0)
	s_delay_alu instid0(VALU_DEP_1)
	v_fmac_f32_e32 v18, v38, v6
	s_branch .LBB11_13
.LBB11_22:
	s_or_b32 exec_lo, exec_lo, s27
.LBB11_23:
	s_delay_alu instid0(SALU_CYCLE_1) | instskip(SKIP_1) | instid1(SALU_CYCLE_1)
	s_or_b32 exec_lo, exec_lo, s26
	s_sub_i32 s0, s7, s25
	s_cmp_lt_i32 s0, 1
	s_cbranch_scc1 .LBB11_41
; %bb.24:
	v_cmp_gt_i32_e32 vcc_lo, s7, v15
	v_dual_mov_b32 v19, 0 :: v_dual_mov_b32 v20, 0
	v_or_b32_e32 v2, 1, v15
	v_dual_mov_b32 v10, 0 :: v_dual_mov_b32 v9, 0
	s_and_saveexec_b32 s1, vcc_lo
	s_cbranch_execz .LBB11_32
; %bb.25:
	v_mad_u64_u32 v[3:4], null, v15, s16, 0
	s_lshl_b64 s[2:3], s[10:11], 2
	v_dual_mov_b32 v20, 0 :: v_dual_mov_b32 v19, 0
	s_add_u32 s0, s48, s2
	s_addc_u32 s2, s49, s3
	s_lshl_b64 s[10:11], s[50:51], 2
	s_delay_alu instid0(VALU_DEP_2) | instskip(SKIP_3) | instid1(VALU_DEP_1)
	v_dual_mov_b32 v1, v4 :: v_dual_mov_b32 v10, 0
	s_add_u32 s3, s0, s10
	s_addc_u32 s4, s2, s11
	s_mov_b32 s2, exec_lo
	v_mad_u64_u32 v[4:5], null, v15, s17, v[1:2]
	s_delay_alu instid0(VALU_DEP_1) | instskip(NEXT) | instid1(VALU_DEP_1)
	v_lshlrev_b64 v[3:4], 2, v[3:4]
	v_add_co_u32 v3, s0, s3, v3
	s_delay_alu instid0(VALU_DEP_1)
	v_add_co_ci_u32_e64 v4, s0, s4, v4, s0
	global_load_b32 v9, v[3:4], off
	v_cmpx_gt_i32_e64 s7, v2
	s_cbranch_execz .LBB11_31
; %bb.26:
	v_mad_u64_u32 v[3:4], null, v2, s16, 0
	v_mov_b32_e32 v19, 0
	s_mov_b32 s10, exec_lo
	s_delay_alu instid0(VALU_DEP_2) | instskip(NEXT) | instid1(VALU_DEP_1)
	v_dual_mov_b32 v20, 0 :: v_dual_mov_b32 v1, v4
	v_mad_u64_u32 v[4:5], null, v2, s17, v[1:2]
	v_or_b32_e32 v1, 2, v15
	s_delay_alu instid0(VALU_DEP_2) | instskip(NEXT) | instid1(VALU_DEP_1)
	v_lshlrev_b64 v[3:4], 2, v[3:4]
	v_add_co_u32 v3, s0, s3, v3
	s_delay_alu instid0(VALU_DEP_1)
	v_add_co_ci_u32_e64 v4, s0, s4, v4, s0
	global_load_b32 v10, v[3:4], off
	v_cmpx_gt_i32_e64 s7, v1
	s_cbranch_execz .LBB11_30
; %bb.27:
	v_mad_u64_u32 v[3:4], null, v1, s16, 0
	s_mov_b32 s11, exec_lo
	v_mov_b32_e32 v19, 0
	s_delay_alu instid0(VALU_DEP_2) | instskip(SKIP_1) | instid1(VALU_DEP_2)
	v_mad_u64_u32 v[5:6], null, v1, s17, v[4:5]
	v_or_b32_e32 v1, 3, v15
	v_mov_b32_e32 v4, v5
	s_delay_alu instid0(VALU_DEP_1) | instskip(NEXT) | instid1(VALU_DEP_1)
	v_lshlrev_b64 v[3:4], 2, v[3:4]
	v_add_co_u32 v3, s0, s3, v3
	s_delay_alu instid0(VALU_DEP_1)
	v_add_co_ci_u32_e64 v4, s0, s4, v4, s0
	global_load_b32 v20, v[3:4], off
	v_cmpx_gt_i32_e64 s7, v1
	s_cbranch_execz .LBB11_29
; %bb.28:
	v_mad_u64_u32 v[3:4], null, v1, s16, 0
	s_delay_alu instid0(VALU_DEP_1) | instskip(NEXT) | instid1(VALU_DEP_1)
	v_mad_u64_u32 v[5:6], null, v1, s17, v[4:5]
	v_mov_b32_e32 v4, v5
	s_delay_alu instid0(VALU_DEP_1) | instskip(NEXT) | instid1(VALU_DEP_1)
	v_lshlrev_b64 v[3:4], 2, v[3:4]
	v_add_co_u32 v3, s0, s3, v3
	s_delay_alu instid0(VALU_DEP_1)
	v_add_co_ci_u32_e64 v4, s0, s4, v4, s0
	global_load_b32 v19, v[3:4], off
.LBB11_29:
	s_or_b32 exec_lo, exec_lo, s11
.LBB11_30:
	s_delay_alu instid0(SALU_CYCLE_1)
	s_or_b32 exec_lo, exec_lo, s10
.LBB11_31:
	s_delay_alu instid0(SALU_CYCLE_1)
	s_or_b32 exec_lo, exec_lo, s2
.LBB11_32:
	s_delay_alu instid0(SALU_CYCLE_1) | instskip(NEXT) | instid1(SALU_CYCLE_1)
	s_or_b32 exec_lo, exec_lo, s1
	s_mov_b32 s1, exec_lo
	v_cmpx_gt_i32_e64 s6, v0
	s_cbranch_execz .LBB11_40
; %bb.33:
	v_mad_u64_u32 v[3:4], null, v15, s44, 0
	v_mad_u64_u32 v[5:6], null, v2, s44, 0
	v_ashrrev_i32_e32 v1, 31, v0
	s_lshl_b64 s[2:3], s[8:9], 2
	v_or_b32_e32 v28, 2, v15
	s_add_u32 s0, s40, s2
	s_delay_alu instid0(VALU_DEP_4)
	v_cndmask_b32_e32 v3, 0, v3, vcc_lo
	v_lshlrev_b64 v[21:22], 2, v[0:1]
	v_mad_u64_u32 v[7:8], null, v15, s45, v[4:5]
	s_addc_u32 s4, s41, s3
	s_lshl_b64 s[2:3], s[42:43], 2
	v_or_b32_e32 v15, 3, v15
	s_add_u32 s2, s0, s2
	v_mov_b32_e32 v1, v6
	v_mad_u64_u32 v[23:24], null, v28, s44, 0
	s_delay_alu instid0(VALU_DEP_4) | instskip(SKIP_1) | instid1(VALU_DEP_4)
	v_cndmask_b32_e32 v4, 0, v7, vcc_lo
	v_cmp_gt_i32_e32 vcc_lo, s7, v2
	v_mad_u64_u32 v[25:26], null, v2, s45, v[1:2]
	s_addc_u32 s3, s4, s3
	v_mad_u64_u32 v[6:7], null, v15, s44, 0
	v_cndmask_b32_e32 v26, 0, v5, vcc_lo
	v_lshlrev_b64 v[3:4], 2, v[3:4]
	s_delay_alu instid0(VALU_DEP_4) | instskip(NEXT) | instid1(VALU_DEP_2)
	v_cndmask_b32_e32 v27, 0, v25, vcc_lo
	v_add_co_u32 v1, s0, s2, v3
	s_delay_alu instid0(VALU_DEP_1) | instskip(NEXT) | instid1(VALU_DEP_3)
	v_add_co_ci_u32_e64 v2, s0, s3, v4, s0
	v_lshlrev_b64 v[3:4], 2, v[26:27]
	s_delay_alu instid0(VALU_DEP_3) | instskip(NEXT) | instid1(VALU_DEP_3)
	v_add_co_u32 v1, vcc_lo, v1, v21
	v_add_co_ci_u32_e32 v2, vcc_lo, v2, v22, vcc_lo
	v_cmp_gt_i32_e32 vcc_lo, s7, v28
	v_mov_b32_e32 v5, v24
	v_add_co_u32 v3, s0, s2, v3
	s_delay_alu instid0(VALU_DEP_1) | instskip(NEXT) | instid1(VALU_DEP_3)
	v_add_co_ci_u32_e64 v4, s0, s3, v4, s0
	v_mad_u64_u32 v[24:25], null, v28, s45, v[5:6]
	v_mov_b32_e32 v5, v7
	v_cndmask_b32_e32 v7, 0, v23, vcc_lo
	s_mov_b32 s0, exec_lo
	s_delay_alu instid0(VALU_DEP_3)
	v_cndmask_b32_e32 v8, 0, v24, vcc_lo
	v_add_co_u32 v3, vcc_lo, v3, v21
	v_add_co_ci_u32_e32 v4, vcc_lo, v4, v22, vcc_lo
	v_mad_u64_u32 v[23:24], null, v15, s45, v[5:6]
	s_clause 0x1
	global_load_b32 v24, v[1:2], off
	global_load_b32 v25, v[3:4], off
	v_cmp_gt_i32_e32 vcc_lo, s7, v15
	s_waitcnt vmcnt(1)
	v_fmac_f32_e32 v14, v9, v24
	s_waitcnt vmcnt(0)
	s_delay_alu instid0(VALU_DEP_1) | instskip(SKIP_2) | instid1(VALU_DEP_2)
	v_fmac_f32_e32 v14, v10, v25
	v_lshlrev_b64 v[7:8], 2, v[7:8]
	v_dual_cndmask_b32 v5, 0, v6 :: v_dual_cndmask_b32 v6, 0, v23
	v_add_co_u32 v15, vcc_lo, s2, v7
	s_delay_alu instid0(VALU_DEP_3) | instskip(NEXT) | instid1(VALU_DEP_3)
	v_add_co_ci_u32_e32 v23, vcc_lo, s3, v8, vcc_lo
	v_lshlrev_b64 v[7:8], 2, v[5:6]
	s_delay_alu instid0(VALU_DEP_3) | instskip(NEXT) | instid1(VALU_DEP_3)
	v_add_co_u32 v5, vcc_lo, v15, v21
	v_add_co_ci_u32_e32 v6, vcc_lo, v23, v22, vcc_lo
	s_delay_alu instid0(VALU_DEP_3) | instskip(NEXT) | instid1(VALU_DEP_4)
	v_add_co_u32 v7, vcc_lo, s2, v7
	v_add_co_ci_u32_e32 v8, vcc_lo, s3, v8, vcc_lo
	global_load_b32 v23, v[5:6], off
	v_add_co_u32 v7, vcc_lo, v7, v21
	v_add_co_ci_u32_e32 v8, vcc_lo, v8, v22, vcc_lo
	v_add_nc_u32_e32 v21, 32, v0
	global_load_b32 v15, v[7:8], off
	s_waitcnt vmcnt(1)
	v_fmac_f32_e32 v14, v20, v23
	v_cmpx_gt_i32_e64 s6, v21
	s_cbranch_execz .LBB11_39
; %bb.34:
	s_clause 0x3
	global_load_b32 v22, v[1:2], off offset:128
	global_load_b32 v23, v[3:4], off offset:128
	;; [unrolled: 1-line block ×4, first 2 shown]
	s_mov_b32 s2, exec_lo
	s_waitcnt vmcnt(3)
	v_fmac_f32_e32 v16, v9, v22
	v_add_nc_u32_e32 v22, 64, v0
	s_waitcnt vmcnt(2)
	s_delay_alu instid0(VALU_DEP_2) | instskip(SKIP_1) | instid1(VALU_DEP_1)
	v_fmac_f32_e32 v16, v10, v23
	s_waitcnt vmcnt(1)
	v_fmac_f32_e32 v16, v20, v24
	v_cmpx_gt_i32_e64 s6, v22
	s_cbranch_execz .LBB11_38
; %bb.35:
	s_clause 0x3
	global_load_b32 v23, v[1:2], off offset:256
	global_load_b32 v24, v[3:4], off offset:256
	;; [unrolled: 1-line block ×4, first 2 shown]
	s_mov_b32 s3, exec_lo
	s_waitcnt vmcnt(3)
	v_dual_fmac_f32 v17, v9, v23 :: v_dual_add_nc_u32 v0, 0x60, v0
	s_waitcnt vmcnt(2)
	s_delay_alu instid0(VALU_DEP_1) | instskip(SKIP_1) | instid1(VALU_DEP_1)
	v_fmac_f32_e32 v17, v10, v24
	s_waitcnt vmcnt(1)
	v_fmac_f32_e32 v17, v20, v25
	v_cmpx_gt_i32_e64 s6, v0
	s_cbranch_execz .LBB11_37
; %bb.36:
	s_clause 0x3
	global_load_b32 v0, v[1:2], off offset:384
	global_load_b32 v1, v[3:4], off offset:384
	;; [unrolled: 1-line block ×4, first 2 shown]
	s_waitcnt vmcnt(3)
	v_fmac_f32_e32 v18, v9, v0
	s_waitcnt vmcnt(2)
	s_delay_alu instid0(VALU_DEP_1) | instskip(SKIP_1) | instid1(VALU_DEP_1)
	v_fmac_f32_e32 v18, v10, v1
	s_waitcnt vmcnt(1)
	v_fmac_f32_e32 v18, v20, v2
	s_waitcnt vmcnt(0)
	s_delay_alu instid0(VALU_DEP_1)
	v_fmac_f32_e32 v18, v19, v3
.LBB11_37:
	s_or_b32 exec_lo, exec_lo, s3
	s_waitcnt vmcnt(0)
	v_fmac_f32_e32 v17, v19, v22
.LBB11_38:
	s_or_b32 exec_lo, exec_lo, s2
	s_waitcnt vmcnt(0)
	v_fmac_f32_e32 v16, v19, v21
.LBB11_39:
	s_or_b32 exec_lo, exec_lo, s0
	s_waitcnt vmcnt(0)
	v_fmac_f32_e32 v14, v19, v15
.LBB11_40:
	s_or_b32 exec_lo, exec_lo, s1
.LBB11_41:
	v_lshlrev_b32_e32 v0, 7, v13
	s_mov_b32 s0, exec_lo
                                        ; implicit-def: $vgpr1
                                        ; implicit-def: $vgpr2_vgpr3
	s_delay_alu instid0(VALU_DEP_1)
	v_add_lshl_u32 v0, v0, v12, 2
	ds_store_2addr_b32 v0, v14, v16 offset1:32
	ds_store_2addr_b32 v0, v17, v18 offset0:64 offset1:96
	s_waitcnt vmcnt(0) lgkmcnt(0)
	s_barrier
	buffer_gl0_inv
	v_cmpx_gt_u32_e32 0x80, v11
	s_cbranch_execz .LBB11_47
; %bb.42:
	v_lshlrev_b32_e32 v6, 2, v11
	s_mov_b32 s2, s23
	s_mov_b32 s1, exec_lo
	ds_load_2addr_stride64_b32 v[0:1], v6 offset1:2
	ds_load_2addr_stride64_b32 v[2:3], v6 offset0:4 offset1:6
	ds_load_2addr_stride64_b32 v[4:5], v6 offset0:8 offset1:10
	s_waitcnt lgkmcnt(2)
	v_add_f32_e32 v7, v0, v1
	ds_load_2addr_stride64_b32 v[0:1], v6 offset0:12 offset1:14
	s_waitcnt lgkmcnt(2)
	v_add_f32_e32 v2, v2, v7
	s_delay_alu instid0(VALU_DEP_1) | instskip(SKIP_3) | instid1(VALU_DEP_1)
	v_add_f32_e32 v7, v3, v2
	ds_load_2addr_stride64_b32 v[2:3], v6 offset0:16 offset1:18
	s_waitcnt lgkmcnt(2)
	v_add_f32_e32 v4, v4, v7
	v_add_f32_e32 v7, v5, v4
	ds_load_2addr_stride64_b32 v[4:5], v6 offset0:20 offset1:22
	s_waitcnt lgkmcnt(2)
	v_add_f32_e32 v0, v0, v7
	s_delay_alu instid0(VALU_DEP_1) | instskip(SKIP_1) | instid1(VALU_DEP_1)
	v_add_f32_e32 v0, v1, v0
	s_waitcnt lgkmcnt(1)
	v_add_f32_e32 v2, v2, v0
	ds_load_2addr_stride64_b32 v[0:1], v6 offset0:24 offset1:26
	v_add_f32_e32 v2, v3, v2
	s_waitcnt lgkmcnt(1)
	s_delay_alu instid0(VALU_DEP_1) | instskip(SKIP_3) | instid1(VALU_DEP_1)
	v_add_f32_e32 v4, v4, v2
	ds_load_2addr_stride64_b32 v[2:3], v6 offset0:28 offset1:30
	v_add_f32_e32 v4, v5, v4
	s_waitcnt lgkmcnt(1)
	v_add_f32_e32 v0, v0, v4
	v_or_b32_e32 v4, s24, v11
	s_delay_alu instid0(VALU_DEP_2) | instskip(SKIP_1) | instid1(VALU_DEP_1)
	v_add_f32_e32 v0, v1, v0
                                        ; implicit-def: $vgpr1
	s_waitcnt lgkmcnt(0)
	v_add_f32_e32 v0, v2, v0
	s_delay_alu instid0(VALU_DEP_1)
	v_add_f32_e32 v0, v3, v0
                                        ; implicit-def: $vgpr2_vgpr3
	ds_store_b32 v6, v0
	v_cmpx_gt_i32_e64 s6, v4
	s_cbranch_execz .LBB11_46
; %bb.43:
	v_ashrrev_i32_e32 v1, 31, v4
	v_mul_lo_u32 v5, v4, s29
	v_mad_u64_u32 v[2:3], null, v4, s28, 0
	v_cmp_eq_f32_e64 s2, s21, 0
	s_delay_alu instid0(VALU_DEP_4) | instskip(SKIP_1) | instid1(VALU_DEP_3)
	v_mul_lo_u32 v4, v1, s28
	v_mul_f32_e32 v1, s22, v0
	s_and_b32 vcc_lo, exec_lo, s2
	s_delay_alu instid0(VALU_DEP_2)
	v_add3_u32 v3, v3, v5, v4
	s_cbranch_vccnz .LBB11_45
; %bb.44:
	s_delay_alu instid0(VALU_DEP_1) | instskip(NEXT) | instid1(VALU_DEP_1)
	v_lshlrev_b64 v[4:5], 2, v[2:3]
	v_add_co_u32 v4, vcc_lo, s5, v4
	s_delay_alu instid0(VALU_DEP_2)
	v_add_co_ci_u32_e32 v5, vcc_lo, s20, v5, vcc_lo
	global_load_b32 v0, v[4:5], off
	s_waitcnt vmcnt(0)
	v_fmac_f32_e32 v1, s21, v0
.LBB11_45:
	s_or_b32 s2, s23, exec_lo
.LBB11_46:
	s_or_b32 exec_lo, exec_lo, s1
	s_delay_alu instid0(SALU_CYCLE_1) | instskip(SKIP_1) | instid1(SALU_CYCLE_1)
	s_and_not1_b32 s1, s23, exec_lo
	s_and_b32 s2, s2, exec_lo
	s_or_b32 s23, s1, s2
.LBB11_47:
	s_or_b32 exec_lo, exec_lo, s0
.LBB11_48:
	s_and_saveexec_b32 s0, s23
	s_cbranch_execz .LBB11_50
; %bb.49:
	v_lshlrev_b64 v[2:3], 2, v[2:3]
	s_delay_alu instid0(VALU_DEP_1) | instskip(NEXT) | instid1(VALU_DEP_2)
	v_add_co_u32 v2, vcc_lo, s5, v2
	v_add_co_ci_u32_e32 v3, vcc_lo, s20, v3, vcc_lo
	global_store_b32 v[2:3], v1, off
.LBB11_50:
	s_nop 0
	s_sendmsg sendmsg(MSG_DEALLOC_VGPRS)
	s_endpgm
	.section	.rodata,"a",@progbits
	.p2align	6, 0x0
	.amdhsa_kernel _ZL20rocblas_gemvn_kernelILi32ELi16ElfPKffEviiT3_lPKT2_lT1_lS5_lS6_lS2_lPT4_lS6_li
		.amdhsa_group_segment_fixed_size 8192
		.amdhsa_private_segment_fixed_size 0
		.amdhsa_kernarg_size 400
		.amdhsa_user_sgpr_count 14
		.amdhsa_user_sgpr_dispatch_ptr 0
		.amdhsa_user_sgpr_queue_ptr 0
		.amdhsa_user_sgpr_kernarg_segment_ptr 1
		.amdhsa_user_sgpr_dispatch_id 0
		.amdhsa_user_sgpr_private_segment_size 0
		.amdhsa_wavefront_size32 1
		.amdhsa_uses_dynamic_stack 0
		.amdhsa_enable_private_segment 0
		.amdhsa_system_sgpr_workgroup_id_x 1
		.amdhsa_system_sgpr_workgroup_id_y 0
		.amdhsa_system_sgpr_workgroup_id_z 1
		.amdhsa_system_sgpr_workgroup_info 0
		.amdhsa_system_vgpr_workitem_id 1
		.amdhsa_next_free_vgpr 51
		.amdhsa_next_free_sgpr 52
		.amdhsa_reserve_vcc 1
		.amdhsa_float_round_mode_32 0
		.amdhsa_float_round_mode_16_64 0
		.amdhsa_float_denorm_mode_32 3
		.amdhsa_float_denorm_mode_16_64 3
		.amdhsa_dx10_clamp 1
		.amdhsa_ieee_mode 1
		.amdhsa_fp16_overflow 0
		.amdhsa_workgroup_processor_mode 1
		.amdhsa_memory_ordered 1
		.amdhsa_forward_progress 0
		.amdhsa_shared_vgpr_count 0
		.amdhsa_exception_fp_ieee_invalid_op 0
		.amdhsa_exception_fp_denorm_src 0
		.amdhsa_exception_fp_ieee_div_zero 0
		.amdhsa_exception_fp_ieee_overflow 0
		.amdhsa_exception_fp_ieee_underflow 0
		.amdhsa_exception_fp_ieee_inexact 0
		.amdhsa_exception_int_div_zero 0
	.end_amdhsa_kernel
	.section	.text._ZL20rocblas_gemvn_kernelILi32ELi16ElfPKffEviiT3_lPKT2_lT1_lS5_lS6_lS2_lPT4_lS6_li,"axG",@progbits,_ZL20rocblas_gemvn_kernelILi32ELi16ElfPKffEviiT3_lPKT2_lT1_lS5_lS6_lS2_lPT4_lS6_li,comdat
.Lfunc_end11:
	.size	_ZL20rocblas_gemvn_kernelILi32ELi16ElfPKffEviiT3_lPKT2_lT1_lS5_lS6_lS2_lPT4_lS6_li, .Lfunc_end11-_ZL20rocblas_gemvn_kernelILi32ELi16ElfPKffEviiT3_lPKT2_lT1_lS5_lS6_lS2_lPT4_lS6_li
                                        ; -- End function
	.section	.AMDGPU.csdata,"",@progbits
; Kernel info:
; codeLenInByte = 3488
; NumSgprs: 54
; NumVgprs: 51
; ScratchSize: 0
; MemoryBound: 0
; FloatMode: 240
; IeeeMode: 1
; LDSByteSize: 8192 bytes/workgroup (compile time only)
; SGPRBlocks: 6
; VGPRBlocks: 6
; NumSGPRsForWavesPerEU: 54
; NumVGPRsForWavesPerEU: 51
; Occupancy: 16
; WaveLimiterHint : 0
; COMPUTE_PGM_RSRC2:SCRATCH_EN: 0
; COMPUTE_PGM_RSRC2:USER_SGPR: 14
; COMPUTE_PGM_RSRC2:TRAP_HANDLER: 0
; COMPUTE_PGM_RSRC2:TGID_X_EN: 1
; COMPUTE_PGM_RSRC2:TGID_Y_EN: 0
; COMPUTE_PGM_RSRC2:TGID_Z_EN: 1
; COMPUTE_PGM_RSRC2:TIDIG_COMP_CNT: 1
	.section	.text._ZL20rocblas_gemvn_kernelILi32ELi16EifffEviiT3_lPKT2_lT1_lS3_lS4_lS0_lPT4_lS4_li,"axG",@progbits,_ZL20rocblas_gemvn_kernelILi32ELi16EifffEviiT3_lPKT2_lT1_lS3_lS4_lS0_lPT4_lS4_li,comdat
	.globl	_ZL20rocblas_gemvn_kernelILi32ELi16EifffEviiT3_lPKT2_lT1_lS3_lS4_lS0_lPT4_lS4_li ; -- Begin function _ZL20rocblas_gemvn_kernelILi32ELi16EifffEviiT3_lPKT2_lT1_lS3_lS4_lS0_lPT4_lS4_li
	.p2align	8
	.type	_ZL20rocblas_gemvn_kernelILi32ELi16EifffEviiT3_lPKT2_lT1_lS3_lS4_lS0_lPT4_lS4_li,@function
_ZL20rocblas_gemvn_kernelILi32ELi16EifffEviiT3_lPKT2_lT1_lS3_lS4_lS0_lPT4_lS4_li: ; @_ZL20rocblas_gemvn_kernelILi32ELi16EifffEviiT3_lPKT2_lT1_lS3_lS4_lS0_lPT4_lS4_li
; %bb.0:
	s_load_b64 s[2:3], s[0:1], 0x9c
	s_waitcnt lgkmcnt(0)
	s_lshr_b32 s4, s2, 16
	s_and_b32 s2, s2, 0xffff
	s_and_b32 s3, s3, 0xffff
	s_mul_i32 s2, s4, s2
	s_delay_alu instid0(SALU_CYCLE_1) | instskip(NEXT) | instid1(SALU_CYCLE_1)
	s_mul_i32 s2, s2, s3
	s_cmpk_lg_i32 s2, 0x200
	s_cbranch_scc1 .LBB12_50
; %bb.1:
	s_clause 0x1
	s_load_b128 s[4:7], s[0:1], 0x0
	s_load_b32 s13, s[0:1], 0x58
	s_mov_b32 s16, 0
	s_waitcnt lgkmcnt(0)
	v_cmp_eq_f32_e64 s2, s6, 0
	v_cmp_eq_f32_e64 s3, s13, 1.0
	s_delay_alu instid0(VALU_DEP_1) | instskip(NEXT) | instid1(SALU_CYCLE_1)
	s_and_b32 s2, s2, s3
	s_and_b32 vcc_lo, exec_lo, s2
	s_cbranch_vccnz .LBB12_50
; %bb.2:
	s_clause 0x2
	s_load_b64 s[2:3], s[0:1], 0x80
	s_load_b128 s[8:11], s[0:1], 0x68
	s_load_b32 s17, s[0:1], 0x78
	v_and_b32_e32 v1, 0x3ff, v0
	v_bfe_u32 v13, v0, 10, 10
	v_cmp_neq_f32_e64 s18, s6, 0
	s_delay_alu instid0(VALU_DEP_2)
	v_lshl_add_u32 v0, v13, 5, v1
	s_waitcnt lgkmcnt(0)
	s_mul_i32 s3, s15, s3
	s_mul_hi_u32 s7, s15, s2
	s_mul_i32 s2, s15, s2
	s_add_i32 s3, s7, s3
	s_delay_alu instid0(SALU_CYCLE_1) | instskip(NEXT) | instid1(SALU_CYCLE_1)
	s_lshl_b64 s[2:3], s[2:3], 2
	s_add_u32 s7, s8, s2
	s_addc_u32 s8, s9, s3
	s_lshl_b64 s[2:3], s[10:11], 2
	s_delay_alu instid0(SALU_CYCLE_1)
	s_add_u32 s7, s7, s2
	v_cmp_gt_u32_e64 s2, 0x80, v0
	s_addc_u32 s12, s8, s3
	s_and_b32 vcc_lo, exec_lo, s18
	s_cbranch_vccnz .LBB12_9
; %bb.3:
	s_mov_b32 s3, 0
                                        ; implicit-def: $vgpr3
                                        ; implicit-def: $vgpr4_vgpr5
	s_and_saveexec_b32 s8, s2
	s_cbranch_execz .LBB12_10
; %bb.4:
	v_lshl_or_b32 v2, s14, 7, v0
	v_mov_b32_e32 v3, 0
	s_ashr_i32 s11, s4, 31
	s_mov_b32 s10, s4
	s_mov_b32 s9, 0
	s_mov_b32 s2, exec_lo
                                        ; implicit-def: $vgpr4_vgpr5
	v_cmpx_gt_i64_e64 s[10:11], v[2:3]
	s_cbranch_execz .LBB12_8
; %bb.5:
	v_mad_u64_u32 v[4:5], null, s17, v2, 0
	s_ashr_i32 s9, s17, 31
	s_delay_alu instid0(VALU_DEP_1) | instid1(SALU_CYCLE_1)
	v_mad_u64_u32 v[6:7], null, s9, v2, v[5:6]
	v_cmp_eq_f32_e64 s9, s13, 0
	s_delay_alu instid0(VALU_DEP_1) | instskip(NEXT) | instid1(VALU_DEP_2)
	s_and_b32 vcc_lo, exec_lo, s9
	v_mov_b32_e32 v5, v6
	s_cbranch_vccnz .LBB12_7
; %bb.6:
	s_delay_alu instid0(VALU_DEP_1) | instskip(NEXT) | instid1(VALU_DEP_1)
	v_lshlrev_b64 v[2:3], 2, v[4:5]
	v_add_co_u32 v2, vcc_lo, s7, v2
	s_delay_alu instid0(VALU_DEP_2)
	v_add_co_ci_u32_e32 v3, vcc_lo, s12, v3, vcc_lo
	global_load_b32 v2, v[2:3], off
	s_waitcnt vmcnt(0)
	v_mul_f32_e32 v3, s13, v2
.LBB12_7:
	s_mov_b32 s9, exec_lo
.LBB12_8:
	s_or_b32 exec_lo, exec_lo, s2
	s_delay_alu instid0(SALU_CYCLE_1) | instskip(SKIP_1) | instid1(SALU_CYCLE_1)
	s_and_b32 s16, s9, exec_lo
	s_or_b32 exec_lo, exec_lo, s8
	s_and_b32 vcc_lo, exec_lo, s3
	s_cbranch_vccnz .LBB12_11
	s_branch .LBB12_48
.LBB12_9:
                                        ; implicit-def: $vgpr3
                                        ; implicit-def: $vgpr4_vgpr5
	s_cbranch_execnz .LBB12_11
	s_branch .LBB12_48
.LBB12_10:
	s_or_b32 exec_lo, exec_lo, s8
	s_delay_alu instid0(SALU_CYCLE_1)
	s_and_b32 vcc_lo, exec_lo, s3
	s_cbranch_vccz .LBB12_48
.LBB12_11:
	s_clause 0x4
	s_load_b128 s[8:11], s[0:1], 0x30
	s_load_b64 s[2:3], s[0:1], 0x50
	s_load_b128 s[20:23], s[0:1], 0x18
	s_load_b32 s19, s[0:1], 0x28
	s_load_b64 s[24:25], s[0:1], 0x40
	v_dual_mov_b32 v14, 0 :: v_dual_lshlrev_b32 v19, 2, v13
	v_dual_mov_b32 v15, 0 :: v_dual_mov_b32 v16, 0
	v_mov_b32_e32 v17, 0
	s_waitcnt lgkmcnt(0)
	s_mul_i32 s9, s15, s9
	s_mul_hi_u32 s18, s15, s8
	s_mul_i32 s8, s15, s8
	s_add_i32 s9, s18, s9
	s_mul_i32 s3, s15, s3
	s_lshl_b64 s[8:9], s[8:9], 2
	s_mul_hi_u32 s26, s15, s2
	s_add_u32 s18, s20, s8
	s_addc_u32 s20, s21, s9
	s_lshl_b64 s[8:9], s[22:23], 2
	s_mul_i32 s2, s15, s2
	s_add_u32 s15, s18, s8
	s_load_b32 s8, s[0:1], 0x48
	s_addc_u32 s18, s20, s9
	s_add_i32 s3, s26, s3
	s_mov_b32 s20, exec_lo
	s_lshl_b64 s[0:1], s[2:3], 2
	s_delay_alu instid0(SALU_CYCLE_1) | instskip(SKIP_2) | instid1(SALU_CYCLE_1)
	s_add_u32 s2, s10, s0
	s_addc_u32 s3, s11, s1
	s_lshl_b64 s[0:1], s[24:25], 2
	s_add_u32 s10, s2, s0
	s_addc_u32 s11, s3, s1
	s_ashr_i32 s0, s5, 31
	s_lshl_b32 s9, s14, 7
	s_lshr_b32 s0, s0, 26
	v_add_nc_u32_e32 v18, s9, v1
	s_add_i32 s0, s5, s0
	s_delay_alu instid0(SALU_CYCLE_1) | instskip(NEXT) | instid1(SALU_CYCLE_1)
	s_and_b32 s14, s0, 0xffffffc0
	v_cmpx_gt_i32_e64 s14, v19
	s_cbranch_execz .LBB12_23
; %bb.12:
	v_mul_lo_u32 v3, s19, v19
	v_dual_mov_b32 v15, 0 :: v_dual_add_nc_u32 v2, 32, v18
	v_add_nc_u32_e32 v6, 2, v19
	v_dual_mov_b32 v14, 0 :: v_dual_add_nc_u32 v5, 0x60, v18
	s_delay_alu instid0(VALU_DEP_3)
	v_cmp_gt_i32_e64 s0, s4, v2
	v_dual_mov_b32 v17, 0 :: v_dual_add_nc_u32 v4, 64, v18
	v_add3_u32 v20, v3, s19, v1
	v_mad_u64_u32 v[2:3], null, s19, v6, v[1:2]
	v_cmp_gt_i32_e64 s2, s4, v5
	v_mul_lo_u32 v5, v13, s19
	v_dual_mov_b32 v16, 0 :: v_dual_add_nc_u32 v7, 3, v19
	s_waitcnt lgkmcnt(0)
	v_mul_lo_u32 v8, v13, s8
	v_cmp_gt_i32_e64 s1, s4, v4
	v_mul_lo_u32 v22, s8, v6
	v_mad_u64_u32 v[3:4], null, s19, v7, v[1:2]
	v_lshl_add_u32 v21, v5, 2, v1
	v_mad_u64_u32 v[4:5], null, s8, v19, s[8:9]
	v_mul_lo_u32 v23, s8, v7
	v_cmp_gt_i32_e32 vcc_lo, s4, v18
	v_lshlrev_b32_e32 v24, 2, v8
	s_lshl_b32 s21, s19, 6
	s_lshl_b32 s23, s8, 6
	s_mov_b32 s22, 0
	s_mov_b32 s24, 0
	s_branch .LBB12_17
.LBB12_13:                              ;   in Loop: Header=BB12_17 Depth=1
	s_or_b32 exec_lo, exec_lo, s27
	s_waitcnt vmcnt(3)
	v_fmac_f32_e32 v16, v28, v40
	s_waitcnt vmcnt(2)
	s_delay_alu instid0(VALU_DEP_1) | instskip(SKIP_1) | instid1(VALU_DEP_1)
	v_fmac_f32_e32 v16, v27, v39
	s_waitcnt vmcnt(1)
	v_fmac_f32_e32 v16, v26, v38
	s_waitcnt vmcnt(0)
	s_delay_alu instid0(VALU_DEP_1)
	v_fmac_f32_e32 v16, v25, v37
.LBB12_14:                              ;   in Loop: Header=BB12_17 Depth=1
	s_or_b32 exec_lo, exec_lo, s26
	s_waitcnt vmcnt(3)
	v_fmac_f32_e32 v15, v28, v36
	s_waitcnt vmcnt(2)
	s_delay_alu instid0(VALU_DEP_1) | instskip(SKIP_1) | instid1(VALU_DEP_1)
	v_fmac_f32_e32 v15, v27, v35
	s_waitcnt vmcnt(1)
	v_fmac_f32_e32 v15, v26, v34
	s_waitcnt vmcnt(0)
	s_delay_alu instid0(VALU_DEP_1)
	v_fmac_f32_e32 v15, v25, v33
.LBB12_15:                              ;   in Loop: Header=BB12_17 Depth=1
	s_or_b32 exec_lo, exec_lo, s3
	s_waitcnt vmcnt(3)
	v_fmac_f32_e32 v14, v28, v32
	s_waitcnt vmcnt(2)
	s_delay_alu instid0(VALU_DEP_1) | instskip(SKIP_1) | instid1(VALU_DEP_1)
	v_fmac_f32_e32 v14, v27, v30
	s_waitcnt vmcnt(1)
	v_fmac_f32_e32 v14, v26, v29
	s_waitcnt vmcnt(0)
	s_delay_alu instid0(VALU_DEP_1)
	v_fmac_f32_e32 v14, v25, v31
.LBB12_16:                              ;   in Loop: Header=BB12_17 Depth=1
	s_or_b32 exec_lo, exec_lo, s25
	v_add_nc_u32_e32 v19, 64, v19
	v_add_nc_u32_e32 v20, s21, v20
	;; [unrolled: 1-line block ×5, first 2 shown]
	v_cmp_le_i32_e64 s3, s14, v19
	s_add_i32 s24, s24, s23
	s_delay_alu instid0(VALU_DEP_1) | instskip(NEXT) | instid1(SALU_CYCLE_1)
	s_or_b32 s22, s3, s22
	s_and_not1_b32 exec_lo, exec_lo, s22
	s_cbranch_execz .LBB12_22
.LBB12_17:                              ; =>This Inner Loop Header: Depth=1
	s_and_saveexec_b32 s25, vcc_lo
	s_cbranch_execz .LBB12_16
; %bb.18:                               ;   in Loop: Header=BB12_17 Depth=1
	v_add_nc_u32_e32 v5, s24, v24
	v_add_nc_u32_e32 v7, s24, v4
	;; [unrolled: 1-line block ×5, first 2 shown]
	v_ashrrev_i32_e32 v6, 31, v5
	v_ashrrev_i32_e32 v8, 31, v7
	;; [unrolled: 1-line block ×5, first 2 shown]
	v_lshlrev_b64 v[5:6], 2, v[5:6]
	v_lshlrev_b64 v[7:8], 2, v[7:8]
	;; [unrolled: 1-line block ×3, first 2 shown]
	s_delay_alu instid0(VALU_DEP_3) | instskip(NEXT) | instid1(VALU_DEP_1)
	v_add_co_u32 v27, s3, s10, v5
	v_add_co_ci_u32_e64 v28, s3, s11, v6, s3
	s_delay_alu instid0(VALU_DEP_4)
	v_add_co_u32 v29, s3, s10, v7
	v_add_nc_u32_e32 v7, s9, v20
	v_add_co_ci_u32_e64 v30, s3, s11, v8, s3
	v_lshlrev_b64 v[5:6], 2, v[11:12]
	v_add_co_u32 v31, s3, s10, v9
	v_add_nc_u32_e32 v11, s9, v2
	v_add_co_ci_u32_e64 v32, s3, s11, v10, s3
	v_lshlrev_b64 v[9:10], 2, v[25:26]
	v_ashrrev_i32_e32 v8, 31, v7
	v_add_nc_u32_e32 v25, s9, v3
	v_add_co_u32 v33, s3, s10, v5
	v_ashrrev_i32_e32 v12, 31, v11
	v_add_co_ci_u32_e64 v34, s3, s11, v6, s3
	v_lshlrev_b64 v[7:8], 2, v[7:8]
	v_add_co_u32 v5, s3, s15, v9
	v_ashrrev_i32_e32 v26, 31, v25
	v_add_co_ci_u32_e64 v6, s3, s18, v10, s3
	v_lshlrev_b64 v[9:10], 2, v[11:12]
	v_add_co_u32 v7, s3, s15, v7
	s_delay_alu instid0(VALU_DEP_4) | instskip(SKIP_1) | instid1(VALU_DEP_4)
	v_lshlrev_b64 v[25:26], 2, v[25:26]
	v_add_co_ci_u32_e64 v8, s3, s18, v8, s3
	v_add_co_u32 v11, s3, s15, v9
	s_delay_alu instid0(VALU_DEP_1) | instskip(NEXT) | instid1(VALU_DEP_4)
	v_add_co_ci_u32_e64 v12, s3, s18, v10, s3
	v_add_co_u32 v9, s3, s15, v25
	s_delay_alu instid0(VALU_DEP_1)
	v_add_co_ci_u32_e64 v10, s3, s18, v26, s3
	s_clause 0x3
	global_load_b32 v28, v[27:28], off
	global_load_b32 v27, v[29:30], off
	;; [unrolled: 1-line block ×4, first 2 shown]
	s_clause 0x3
	global_load_b32 v32, v[5:6], off
	global_load_b32 v30, v[7:8], off
	;; [unrolled: 1-line block ×4, first 2 shown]
	s_and_saveexec_b32 s3, s0
	s_cbranch_execz .LBB12_15
; %bb.19:                               ;   in Loop: Header=BB12_17 Depth=1
	s_clause 0x3
	global_load_b32 v36, v[5:6], off offset:128
	global_load_b32 v35, v[7:8], off offset:128
	global_load_b32 v34, v[11:12], off offset:128
	global_load_b32 v33, v[9:10], off offset:128
	s_and_saveexec_b32 s26, s1
	s_cbranch_execz .LBB12_14
; %bb.20:                               ;   in Loop: Header=BB12_17 Depth=1
	s_clause 0x3
	global_load_b32 v40, v[5:6], off offset:256
	global_load_b32 v39, v[7:8], off offset:256
	global_load_b32 v38, v[11:12], off offset:256
	global_load_b32 v37, v[9:10], off offset:256
	;; [unrolled: 8-line block ×3, first 2 shown]
	s_waitcnt vmcnt(3)
	v_fmac_f32_e32 v17, v28, v5
	s_waitcnt vmcnt(2)
	s_delay_alu instid0(VALU_DEP_1) | instskip(SKIP_1) | instid1(VALU_DEP_1)
	v_fmac_f32_e32 v17, v27, v6
	s_waitcnt vmcnt(1)
	v_fmac_f32_e32 v17, v26, v7
	s_waitcnt vmcnt(0)
	s_delay_alu instid0(VALU_DEP_1)
	v_fmac_f32_e32 v17, v25, v8
	s_branch .LBB12_13
.LBB12_22:
	s_or_b32 exec_lo, exec_lo, s22
.LBB12_23:
	s_delay_alu instid0(SALU_CYCLE_1) | instskip(SKIP_1) | instid1(SALU_CYCLE_1)
	s_or_b32 exec_lo, exec_lo, s20
	s_sub_i32 s0, s5, s14
	s_cmp_lt_i32 s0, 1
	s_cbranch_scc1 .LBB12_41
; %bb.24:
	v_cmp_gt_i32_e32 vcc_lo, s5, v19
	v_dual_mov_b32 v12, 0 :: v_dual_mov_b32 v11, 0
	v_or_b32_e32 v2, 1, v19
	v_mov_b32_e32 v20, 0
	v_mov_b32_e32 v10, 0
	s_and_saveexec_b32 s1, vcc_lo
	s_cbranch_execz .LBB12_32
; %bb.25:
	s_waitcnt lgkmcnt(0)
	v_mul_lo_u32 v3, v19, s8
	v_dual_mov_b32 v11, 0 :: v_dual_mov_b32 v20, 0
	v_mov_b32_e32 v12, 0
	s_mov_b32 s2, exec_lo
	s_delay_alu instid0(VALU_DEP_3) | instskip(NEXT) | instid1(VALU_DEP_1)
	v_ashrrev_i32_e32 v4, 31, v3
	v_lshlrev_b64 v[3:4], 2, v[3:4]
	s_delay_alu instid0(VALU_DEP_1) | instskip(NEXT) | instid1(VALU_DEP_1)
	v_add_co_u32 v3, s0, s10, v3
	v_add_co_ci_u32_e64 v4, s0, s11, v4, s0
	global_load_b32 v10, v[3:4], off
	v_cmpx_gt_i32_e64 s5, v2
	s_cbranch_execz .LBB12_31
; %bb.26:
	v_mul_lo_u32 v3, v2, s8
	v_mov_b32_e32 v20, 0
	v_mov_b32_e32 v12, 0
	s_mov_b32 s3, exec_lo
	s_delay_alu instid0(VALU_DEP_3) | instskip(NEXT) | instid1(VALU_DEP_1)
	v_ashrrev_i32_e32 v4, 31, v3
	v_lshlrev_b64 v[3:4], 2, v[3:4]
	s_delay_alu instid0(VALU_DEP_1) | instskip(NEXT) | instid1(VALU_DEP_1)
	v_add_co_u32 v3, s0, s10, v3
	v_add_co_ci_u32_e64 v4, s0, s11, v4, s0
	global_load_b32 v11, v[3:4], off
	v_or_b32_e32 v3, 2, v19
	s_delay_alu instid0(VALU_DEP_1)
	v_cmpx_gt_i32_e64 s5, v3
	s_cbranch_execz .LBB12_30
; %bb.27:
	v_mul_lo_u32 v3, v3, s8
	v_mov_b32_e32 v12, 0
	s_mov_b32 s14, exec_lo
	s_delay_alu instid0(VALU_DEP_2) | instskip(NEXT) | instid1(VALU_DEP_1)
	v_ashrrev_i32_e32 v4, 31, v3
	v_lshlrev_b64 v[3:4], 2, v[3:4]
	s_delay_alu instid0(VALU_DEP_1) | instskip(NEXT) | instid1(VALU_DEP_1)
	v_add_co_u32 v3, s0, s10, v3
	v_add_co_ci_u32_e64 v4, s0, s11, v4, s0
	global_load_b32 v20, v[3:4], off
	v_or_b32_e32 v3, 3, v19
	s_delay_alu instid0(VALU_DEP_1)
	v_cmpx_gt_i32_e64 s5, v3
	s_cbranch_execz .LBB12_29
; %bb.28:
	v_mul_lo_u32 v3, v3, s8
	s_delay_alu instid0(VALU_DEP_1) | instskip(NEXT) | instid1(VALU_DEP_1)
	v_ashrrev_i32_e32 v4, 31, v3
	v_lshlrev_b64 v[3:4], 2, v[3:4]
	s_delay_alu instid0(VALU_DEP_1) | instskip(NEXT) | instid1(VALU_DEP_1)
	v_add_co_u32 v3, s0, s10, v3
	v_add_co_ci_u32_e64 v4, s0, s11, v4, s0
	global_load_b32 v12, v[3:4], off
.LBB12_29:
	s_or_b32 exec_lo, exec_lo, s14
.LBB12_30:
	s_delay_alu instid0(SALU_CYCLE_1)
	s_or_b32 exec_lo, exec_lo, s3
.LBB12_31:
	s_delay_alu instid0(SALU_CYCLE_1)
	s_or_b32 exec_lo, exec_lo, s2
.LBB12_32:
	s_delay_alu instid0(SALU_CYCLE_1) | instskip(NEXT) | instid1(SALU_CYCLE_1)
	s_or_b32 exec_lo, exec_lo, s1
	s_mov_b32 s1, exec_lo
	v_cmpx_gt_i32_e64 s4, v18
	s_cbranch_execz .LBB12_40
; %bb.33:
	v_mul_lo_u32 v3, v19, s19
	v_mul_lo_u32 v5, v2, s19
	v_or_b32_e32 v4, 2, v19
	v_or_b32_e32 v6, 3, v19
	s_mov_b32 s0, exec_lo
	s_delay_alu instid0(VALU_DEP_2)
	v_mul_lo_u32 v7, v4, s19
	v_cndmask_b32_e32 v3, 0, v3, vcc_lo
	v_cmp_gt_i32_e32 vcc_lo, s5, v2
	v_mul_lo_u32 v8, v6, s19
	v_cndmask_b32_e32 v5, 0, v5, vcc_lo
	v_cmp_gt_i32_e32 vcc_lo, s5, v4
	s_delay_alu instid0(VALU_DEP_2) | instskip(SKIP_2) | instid1(VALU_DEP_3)
	v_add_nc_u32_e32 v4, v5, v18
	v_dual_cndmask_b32 v7, 0, v7 :: v_dual_add_nc_u32 v2, v3, v18
	v_cmp_gt_i32_e32 vcc_lo, s5, v6
	v_ashrrev_i32_e32 v5, 31, v4
	s_delay_alu instid0(VALU_DEP_3) | instskip(SKIP_2) | instid1(VALU_DEP_4)
	v_ashrrev_i32_e32 v3, 31, v2
	v_cndmask_b32_e32 v8, 0, v8, vcc_lo
	v_add_nc_u32_e32 v6, v7, v18
	v_lshlrev_b64 v[4:5], 2, v[4:5]
	s_delay_alu instid0(VALU_DEP_4) | instskip(NEXT) | instid1(VALU_DEP_4)
	v_lshlrev_b64 v[2:3], 2, v[2:3]
	v_add_nc_u32_e32 v8, v8, v18
	s_delay_alu instid0(VALU_DEP_4) | instskip(NEXT) | instid1(VALU_DEP_2)
	v_ashrrev_i32_e32 v7, 31, v6
	v_ashrrev_i32_e32 v9, 31, v8
	s_delay_alu instid0(VALU_DEP_2)
	v_lshlrev_b64 v[21:22], 2, v[6:7]
	v_add_co_u32 v6, vcc_lo, s15, v2
	v_add_co_ci_u32_e32 v7, vcc_lo, s18, v3, vcc_lo
	v_add_co_u32 v2, vcc_lo, s15, v4
	v_add_co_ci_u32_e32 v3, vcc_lo, s18, v5, vcc_lo
	global_load_b32 v23, v[6:7], off
	v_add_co_u32 v4, vcc_lo, s15, v21
	v_add_co_ci_u32_e32 v5, vcc_lo, s18, v22, vcc_lo
	v_lshlrev_b64 v[8:9], 2, v[8:9]
	s_clause 0x1
	global_load_b32 v21, v[2:3], off
	global_load_b32 v22, v[4:5], off
	v_add_co_u32 v8, vcc_lo, s15, v8
	v_add_co_ci_u32_e32 v9, vcc_lo, s18, v9, vcc_lo
	global_load_b32 v19, v[8:9], off
	s_waitcnt vmcnt(3)
	v_fmac_f32_e32 v14, v10, v23
	s_waitcnt vmcnt(2)
	s_delay_alu instid0(VALU_DEP_1) | instskip(SKIP_1) | instid1(VALU_DEP_1)
	v_dual_fmac_f32 v14, v11, v21 :: v_dual_add_nc_u32 v21, 32, v18
	s_waitcnt vmcnt(1)
	v_fmac_f32_e32 v14, v20, v22
	s_delay_alu instid0(VALU_DEP_2)
	v_cmpx_gt_i32_e64 s4, v21
	s_cbranch_execz .LBB12_39
; %bb.34:
	s_clause 0x3
	global_load_b32 v22, v[6:7], off offset:128
	global_load_b32 v23, v[2:3], off offset:128
	global_load_b32 v24, v[4:5], off offset:128
	global_load_b32 v21, v[8:9], off offset:128
	s_mov_b32 s2, exec_lo
	s_waitcnt vmcnt(3)
	v_fmac_f32_e32 v15, v10, v22
	s_waitcnt vmcnt(2)
	s_delay_alu instid0(VALU_DEP_1) | instskip(SKIP_1) | instid1(VALU_DEP_1)
	v_dual_fmac_f32 v15, v11, v23 :: v_dual_add_nc_u32 v22, 64, v18
	s_waitcnt vmcnt(1)
	v_fmac_f32_e32 v15, v20, v24
	s_delay_alu instid0(VALU_DEP_2)
	v_cmpx_gt_i32_e64 s4, v22
	s_cbranch_execz .LBB12_38
; %bb.35:
	s_clause 0x3
	global_load_b32 v23, v[6:7], off offset:256
	global_load_b32 v24, v[2:3], off offset:256
	;; [unrolled: 1-line block ×4, first 2 shown]
	v_add_nc_u32_e32 v18, 0x60, v18
	s_mov_b32 s3, exec_lo
	s_waitcnt vmcnt(3)
	v_fmac_f32_e32 v16, v10, v23
	s_waitcnt vmcnt(2)
	s_delay_alu instid0(VALU_DEP_1) | instskip(SKIP_1) | instid1(VALU_DEP_1)
	v_fmac_f32_e32 v16, v11, v24
	s_waitcnt vmcnt(1)
	v_fmac_f32_e32 v16, v20, v25
	v_cmpx_gt_i32_e64 s4, v18
	s_cbranch_execz .LBB12_37
; %bb.36:
	s_clause 0x3
	global_load_b32 v6, v[6:7], off offset:384
	global_load_b32 v2, v[2:3], off offset:384
	;; [unrolled: 1-line block ×4, first 2 shown]
	s_waitcnt vmcnt(3)
	v_fmac_f32_e32 v17, v10, v6
	s_waitcnt vmcnt(2)
	s_delay_alu instid0(VALU_DEP_1) | instskip(SKIP_1) | instid1(VALU_DEP_1)
	v_fmac_f32_e32 v17, v11, v2
	s_waitcnt vmcnt(1)
	v_fmac_f32_e32 v17, v20, v3
	s_waitcnt vmcnt(0)
	s_delay_alu instid0(VALU_DEP_1)
	v_fmac_f32_e32 v17, v12, v4
.LBB12_37:
	s_or_b32 exec_lo, exec_lo, s3
	s_waitcnt vmcnt(0)
	v_fmac_f32_e32 v16, v12, v22
.LBB12_38:
	s_or_b32 exec_lo, exec_lo, s2
	s_waitcnt vmcnt(0)
	v_fmac_f32_e32 v15, v12, v21
.LBB12_39:
	s_or_b32 exec_lo, exec_lo, s0
	s_waitcnt vmcnt(0)
	v_fmac_f32_e32 v14, v12, v19
.LBB12_40:
	s_or_b32 exec_lo, exec_lo, s1
.LBB12_41:
	v_lshlrev_b32_e32 v2, 7, v13
	s_mov_b32 s0, exec_lo
                                        ; implicit-def: $vgpr3
                                        ; implicit-def: $vgpr4_vgpr5
	s_delay_alu instid0(VALU_DEP_1)
	v_add_lshl_u32 v1, v2, v1, 2
	ds_store_2addr_b32 v1, v14, v15 offset1:32
	ds_store_2addr_b32 v1, v16, v17 offset0:64 offset1:96
	s_waitcnt vmcnt(0) lgkmcnt(0)
	s_barrier
	buffer_gl0_inv
	v_cmpx_gt_u32_e32 0x80, v0
	s_cbranch_execz .LBB12_47
; %bb.42:
	v_lshlrev_b32_e32 v7, 2, v0
	s_mov_b32 s2, s16
	s_mov_b32 s1, exec_lo
	ds_load_2addr_stride64_b32 v[1:2], v7 offset1:2
	ds_load_2addr_stride64_b32 v[3:4], v7 offset0:4 offset1:6
	ds_load_2addr_stride64_b32 v[5:6], v7 offset0:8 offset1:10
	s_waitcnt lgkmcnt(2)
	v_add_f32_e32 v8, v1, v2
	ds_load_2addr_stride64_b32 v[1:2], v7 offset0:12 offset1:14
	s_waitcnt lgkmcnt(2)
	v_add_f32_e32 v3, v3, v8
	s_delay_alu instid0(VALU_DEP_1) | instskip(SKIP_3) | instid1(VALU_DEP_1)
	v_add_f32_e32 v8, v4, v3
	ds_load_2addr_stride64_b32 v[3:4], v7 offset0:16 offset1:18
	s_waitcnt lgkmcnt(2)
	v_add_f32_e32 v5, v5, v8
	v_add_f32_e32 v8, v6, v5
	ds_load_2addr_stride64_b32 v[5:6], v7 offset0:20 offset1:22
	s_waitcnt lgkmcnt(2)
	v_add_f32_e32 v1, v1, v8
	s_delay_alu instid0(VALU_DEP_1) | instskip(SKIP_1) | instid1(VALU_DEP_1)
	v_add_f32_e32 v1, v2, v1
	s_waitcnt lgkmcnt(1)
	v_add_f32_e32 v3, v3, v1
	ds_load_2addr_stride64_b32 v[1:2], v7 offset0:24 offset1:26
	v_add_f32_e32 v3, v4, v3
	s_waitcnt lgkmcnt(1)
	s_delay_alu instid0(VALU_DEP_1) | instskip(SKIP_3) | instid1(VALU_DEP_1)
	v_add_f32_e32 v5, v5, v3
	ds_load_2addr_stride64_b32 v[3:4], v7 offset0:28 offset1:30
	v_add_f32_e32 v5, v6, v5
	s_waitcnt lgkmcnt(1)
	v_add_f32_e32 v1, v1, v5
	s_delay_alu instid0(VALU_DEP_1) | instskip(SKIP_1) | instid1(VALU_DEP_1)
	v_add_f32_e32 v1, v2, v1
	s_waitcnt lgkmcnt(0)
	v_add_f32_e32 v2, v3, v1
	v_or_b32_e32 v1, s9, v0
                                        ; implicit-def: $vgpr3
	s_delay_alu instid0(VALU_DEP_2)
	v_add_f32_e32 v0, v4, v2
                                        ; implicit-def: $vgpr4_vgpr5
	ds_store_b32 v7, v0
	v_cmpx_gt_i32_e64 s4, v1
	s_cbranch_execz .LBB12_46
; %bb.43:
	v_mul_lo_u32 v4, v1, s17
	v_cmp_eq_f32_e64 s2, s13, 0
	v_mul_f32_e32 v3, s6, v0
	s_delay_alu instid0(VALU_DEP_2) | instskip(NEXT) | instid1(VALU_DEP_3)
	s_and_b32 vcc_lo, exec_lo, s2
	v_ashrrev_i32_e32 v5, 31, v4
	s_cbranch_vccnz .LBB12_45
; %bb.44:
	s_delay_alu instid0(VALU_DEP_1) | instskip(NEXT) | instid1(VALU_DEP_1)
	v_lshlrev_b64 v[0:1], 2, v[4:5]
	v_add_co_u32 v0, vcc_lo, s7, v0
	s_delay_alu instid0(VALU_DEP_2)
	v_add_co_ci_u32_e32 v1, vcc_lo, s12, v1, vcc_lo
	global_load_b32 v0, v[0:1], off
	s_waitcnt vmcnt(0)
	v_fmac_f32_e32 v3, s13, v0
.LBB12_45:
	s_or_b32 s2, s16, exec_lo
.LBB12_46:
	s_or_b32 exec_lo, exec_lo, s1
	s_delay_alu instid0(SALU_CYCLE_1) | instskip(SKIP_1) | instid1(SALU_CYCLE_1)
	s_and_not1_b32 s1, s16, exec_lo
	s_and_b32 s2, s2, exec_lo
	s_or_b32 s16, s1, s2
.LBB12_47:
	s_or_b32 exec_lo, exec_lo, s0
.LBB12_48:
	s_and_saveexec_b32 s0, s16
	s_cbranch_execz .LBB12_50
; %bb.49:
	v_lshlrev_b64 v[0:1], 2, v[4:5]
	s_delay_alu instid0(VALU_DEP_1) | instskip(NEXT) | instid1(VALU_DEP_2)
	v_add_co_u32 v0, vcc_lo, s7, v0
	v_add_co_ci_u32_e32 v1, vcc_lo, s12, v1, vcc_lo
	global_store_b32 v[0:1], v3, off
.LBB12_50:
	s_nop 0
	s_sendmsg sendmsg(MSG_DEALLOC_VGPRS)
	s_endpgm
	.section	.rodata,"a",@progbits
	.p2align	6, 0x0
	.amdhsa_kernel _ZL20rocblas_gemvn_kernelILi32ELi16EifffEviiT3_lPKT2_lT1_lS3_lS4_lS0_lPT4_lS4_li
		.amdhsa_group_segment_fixed_size 8192
		.amdhsa_private_segment_fixed_size 0
		.amdhsa_kernarg_size 400
		.amdhsa_user_sgpr_count 14
		.amdhsa_user_sgpr_dispatch_ptr 0
		.amdhsa_user_sgpr_queue_ptr 0
		.amdhsa_user_sgpr_kernarg_segment_ptr 1
		.amdhsa_user_sgpr_dispatch_id 0
		.amdhsa_user_sgpr_private_segment_size 0
		.amdhsa_wavefront_size32 1
		.amdhsa_uses_dynamic_stack 0
		.amdhsa_enable_private_segment 0
		.amdhsa_system_sgpr_workgroup_id_x 1
		.amdhsa_system_sgpr_workgroup_id_y 0
		.amdhsa_system_sgpr_workgroup_id_z 1
		.amdhsa_system_sgpr_workgroup_info 0
		.amdhsa_system_vgpr_workitem_id 1
		.amdhsa_next_free_vgpr 41
		.amdhsa_next_free_sgpr 28
		.amdhsa_reserve_vcc 1
		.amdhsa_float_round_mode_32 0
		.amdhsa_float_round_mode_16_64 0
		.amdhsa_float_denorm_mode_32 3
		.amdhsa_float_denorm_mode_16_64 3
		.amdhsa_dx10_clamp 1
		.amdhsa_ieee_mode 1
		.amdhsa_fp16_overflow 0
		.amdhsa_workgroup_processor_mode 1
		.amdhsa_memory_ordered 1
		.amdhsa_forward_progress 0
		.amdhsa_shared_vgpr_count 0
		.amdhsa_exception_fp_ieee_invalid_op 0
		.amdhsa_exception_fp_denorm_src 0
		.amdhsa_exception_fp_ieee_div_zero 0
		.amdhsa_exception_fp_ieee_overflow 0
		.amdhsa_exception_fp_ieee_underflow 0
		.amdhsa_exception_fp_ieee_inexact 0
		.amdhsa_exception_int_div_zero 0
	.end_amdhsa_kernel
	.section	.text._ZL20rocblas_gemvn_kernelILi32ELi16EifffEviiT3_lPKT2_lT1_lS3_lS4_lS0_lPT4_lS4_li,"axG",@progbits,_ZL20rocblas_gemvn_kernelILi32ELi16EifffEviiT3_lPKT2_lT1_lS3_lS4_lS0_lPT4_lS4_li,comdat
.Lfunc_end12:
	.size	_ZL20rocblas_gemvn_kernelILi32ELi16EifffEviiT3_lPKT2_lT1_lS3_lS4_lS0_lPT4_lS4_li, .Lfunc_end12-_ZL20rocblas_gemvn_kernelILi32ELi16EifffEviiT3_lPKT2_lT1_lS3_lS4_lS0_lPT4_lS4_li
                                        ; -- End function
	.section	.AMDGPU.csdata,"",@progbits
; Kernel info:
; codeLenInByte = 2972
; NumSgprs: 30
; NumVgprs: 41
; ScratchSize: 0
; MemoryBound: 0
; FloatMode: 240
; IeeeMode: 1
; LDSByteSize: 8192 bytes/workgroup (compile time only)
; SGPRBlocks: 3
; VGPRBlocks: 5
; NumSGPRsForWavesPerEU: 30
; NumVGPRsForWavesPerEU: 41
; Occupancy: 16
; WaveLimiterHint : 1
; COMPUTE_PGM_RSRC2:SCRATCH_EN: 0
; COMPUTE_PGM_RSRC2:USER_SGPR: 14
; COMPUTE_PGM_RSRC2:TRAP_HANDLER: 0
; COMPUTE_PGM_RSRC2:TGID_X_EN: 1
; COMPUTE_PGM_RSRC2:TGID_Y_EN: 0
; COMPUTE_PGM_RSRC2:TGID_Z_EN: 1
; COMPUTE_PGM_RSRC2:TIDIG_COMP_CNT: 1
	.section	.text._ZL20rocblas_gemvn_kernelILi32ELi16ElfffEviiT3_lPKT2_lT1_lS3_lS4_lS0_lPT4_lS4_li,"axG",@progbits,_ZL20rocblas_gemvn_kernelILi32ELi16ElfffEviiT3_lPKT2_lT1_lS3_lS4_lS0_lPT4_lS4_li,comdat
	.globl	_ZL20rocblas_gemvn_kernelILi32ELi16ElfffEviiT3_lPKT2_lT1_lS3_lS4_lS0_lPT4_lS4_li ; -- Begin function _ZL20rocblas_gemvn_kernelILi32ELi16ElfffEviiT3_lPKT2_lT1_lS3_lS4_lS0_lPT4_lS4_li
	.p2align	8
	.type	_ZL20rocblas_gemvn_kernelILi32ELi16ElfffEviiT3_lPKT2_lT1_lS3_lS4_lS0_lPT4_lS4_li,@function
_ZL20rocblas_gemvn_kernelILi32ELi16ElfffEviiT3_lPKT2_lT1_lS3_lS4_lS0_lPT4_lS4_li: ; @_ZL20rocblas_gemvn_kernelILi32ELi16ElfffEviiT3_lPKT2_lT1_lS3_lS4_lS0_lPT4_lS4_li
; %bb.0:
	s_load_b64 s[2:3], s[0:1], 0x9c
	s_waitcnt lgkmcnt(0)
	s_lshr_b32 s4, s2, 16
	s_and_b32 s2, s2, 0xffff
	s_and_b32 s3, s3, 0xffff
	s_mul_i32 s2, s4, s2
	s_delay_alu instid0(SALU_CYCLE_1) | instskip(NEXT) | instid1(SALU_CYCLE_1)
	s_mul_i32 s2, s2, s3
	s_cmpk_lg_i32 s2, 0x200
	s_cbranch_scc1 .LBB13_50
; %bb.1:
	s_clause 0x1
	s_load_b128 s[36:39], s[0:1], 0x0
	s_load_b32 s34, s[0:1], 0x58
	s_mov_b32 s35, 0
	s_waitcnt lgkmcnt(0)
	v_cmp_eq_f32_e64 s2, s38, 0
	v_cmp_eq_f32_e64 s3, s34, 1.0
	s_delay_alu instid0(VALU_DEP_1) | instskip(NEXT) | instid1(SALU_CYCLE_1)
	s_and_b32 s2, s2, s3
	s_and_b32 vcc_lo, exec_lo, s2
	s_cbranch_vccnz .LBB13_50
; %bb.2:
	s_load_b256 s[4:11], s[0:1], 0x68
	v_and_b32_e32 v12, 0x3ff, v0
	v_bfe_u32 v13, v0, 10, 10
	s_delay_alu instid0(VALU_DEP_1)
	v_lshl_add_u32 v11, v13, 5, v12
	s_waitcnt lgkmcnt(0)
	s_mul_i32 s3, s15, s11
	s_mul_hi_u32 s11, s15, s10
	s_mul_i32 s2, s15, s10
	s_add_i32 s3, s11, s3
	v_cmp_neq_f32_e64 s10, s38, 0
	s_lshl_b64 s[2:3], s[2:3], 2
	s_delay_alu instid0(SALU_CYCLE_1) | instskip(SKIP_2) | instid1(SALU_CYCLE_1)
	s_add_u32 s4, s4, s2
	s_addc_u32 s11, s5, s3
	s_lshl_b64 s[2:3], s[6:7], 2
	s_add_u32 s5, s4, s2
	v_cmp_gt_u32_e64 s2, 0x80, v11
	s_addc_u32 s33, s11, s3
	s_and_b32 vcc_lo, exec_lo, s10
	s_cbranch_vccnz .LBB13_9
; %bb.3:
	s_mov_b32 s3, 0
                                        ; implicit-def: $vgpr1
                                        ; implicit-def: $vgpr2_vgpr3
	s_and_saveexec_b32 s4, s2
	s_cbranch_execz .LBB13_10
; %bb.4:
	v_lshl_or_b32 v0, s14, 7, v11
	v_mov_b32_e32 v1, 0
	s_ashr_i32 s7, s36, 31
	s_mov_b32 s6, s36
                                        ; implicit-def: $vgpr2_vgpr3
	s_delay_alu instid0(VALU_DEP_1) | instid1(SALU_CYCLE_1)
	v_cmp_gt_i64_e32 vcc_lo, s[6:7], v[0:1]
	s_mov_b32 s6, 0
	s_and_saveexec_b32 s2, vcc_lo
	s_cbranch_execz .LBB13_8
; %bb.5:
	v_mad_u64_u32 v[2:3], null, v0, s8, 0
	v_cmp_eq_f32_e64 s6, s34, 0
	s_delay_alu instid0(VALU_DEP_1) | instskip(NEXT) | instid1(VALU_DEP_2)
	s_and_b32 vcc_lo, exec_lo, s6
	v_mad_u64_u32 v[4:5], null, v0, s9, v[3:4]
	s_delay_alu instid0(VALU_DEP_1)
	v_mov_b32_e32 v3, v4
	s_cbranch_vccnz .LBB13_7
; %bb.6:
	s_delay_alu instid0(VALU_DEP_1) | instskip(NEXT) | instid1(VALU_DEP_1)
	v_lshlrev_b64 v[0:1], 2, v[2:3]
	v_add_co_u32 v0, vcc_lo, s5, v0
	s_delay_alu instid0(VALU_DEP_2)
	v_add_co_ci_u32_e32 v1, vcc_lo, s33, v1, vcc_lo
	global_load_b32 v0, v[0:1], off
	s_waitcnt vmcnt(0)
	v_mul_f32_e32 v1, s34, v0
.LBB13_7:
	s_mov_b32 s6, exec_lo
.LBB13_8:
	s_or_b32 exec_lo, exec_lo, s2
	s_delay_alu instid0(SALU_CYCLE_1) | instskip(SKIP_1) | instid1(SALU_CYCLE_1)
	s_and_b32 s35, s6, exec_lo
	s_or_b32 exec_lo, exec_lo, s4
	s_and_b32 vcc_lo, exec_lo, s3
	s_cbranch_vccnz .LBB13_11
	s_branch .LBB13_48
.LBB13_9:
                                        ; implicit-def: $vgpr1
                                        ; implicit-def: $vgpr2_vgpr3
	s_cbranch_execnz .LBB13_11
	s_branch .LBB13_48
.LBB13_10:
	s_or_b32 exec_lo, exec_lo, s4
	s_delay_alu instid0(SALU_CYCLE_1)
	s_and_b32 vcc_lo, exec_lo, s3
	s_cbranch_vccz .LBB13_48
.LBB13_11:
	s_load_b512 s[16:31], s[0:1], 0x18
	s_ashr_i32 s0, s37, 31
	s_lshl_b32 s39, s14, 7
	s_lshr_b32 s0, s0, 26
	v_dual_mov_b32 v15, 0 :: v_dual_lshlrev_b32 v16, 2, v13
	v_dual_mov_b32 v14, 0 :: v_dual_mov_b32 v17, 0
	v_mov_b32_e32 v18, 0
	v_add_nc_u32_e32 v0, s39, v12
	s_add_i32 s40, s37, s0
	s_delay_alu instid0(SALU_CYCLE_1)
	s_and_not1_b32 s40, s40, 63
	s_waitcnt lgkmcnt(0)
	s_mul_i32 s0, s15, s23
	s_mul_hi_u32 s1, s15, s22
	s_mul_i32 s2, s15, s31
	s_mul_hi_u32 s3, s15, s30
	s_mul_i32 s6, s15, s22
	s_add_i32 s7, s1, s0
	s_add_i32 s11, s3, s2
	s_mul_i32 s10, s15, s30
	s_mov_b32 s30, exec_lo
	v_cmpx_gt_i32_e64 s40, v16
	s_cbranch_execz .LBB13_23
; %bb.12:
	v_lshlrev_b32_e32 v29, 2, v13
	v_mad_u64_u32 v[2:3], null, s28, v13, 0
	v_add_nc_u32_e32 v15, 64, v0
	s_lshl_b64 s[0:1], s[10:11], 2
	s_delay_alu instid0(VALU_DEP_3)
	v_or_b32_e32 v17, 3, v29
	s_lshl_b64 s[12:13], s[26:27], 2
	s_add_u32 s4, s24, s0
	s_addc_u32 s31, s25, s1
	v_cmp_gt_i32_e64 s1, s36, v15
	v_mad_u64_u32 v[4:5], null, s20, v17, 0
	s_lshl_b64 s[22:23], s[18:19], 2
	s_lshl_b64 s[14:15], s[28:29], 8
	;; [unrolled: 1-line block ×3, first 2 shown]
	v_ashrrev_i32_e32 v1, 31, v0
	v_cmp_gt_i32_e32 vcc_lo, s36, v0
	s_delay_alu instid0(VALU_DEP_3) | instskip(SKIP_3) | instid1(VALU_DEP_4)
	v_mad_u64_u32 v[6:7], null, s29, v13, v[3:4]
	v_add_nc_u32_e32 v14, 32, v0
	v_mad_u64_u32 v[7:8], null, s28, v17, 0
	v_add_nc_u32_e32 v18, 0x60, v0
	v_mad_u64_u32 v[9:10], null, s21, v17, v[5:6]
	v_mov_b32_e32 v3, v6
	v_cmp_gt_i32_e64 s0, s36, v14
	s_delay_alu instid0(VALU_DEP_2)
	v_lshlrev_b64 v[14:15], 4, v[2:3]
	v_mov_b32_e32 v3, v8
	v_mov_b32_e32 v5, v9
	v_mad_u64_u32 v[9:10], null, s20, v13, 0
	v_cmp_gt_i32_e64 s2, s36, v18
	v_add_co_u32 v19, s3, s4, v14
	s_delay_alu instid0(VALU_DEP_4) | instskip(SKIP_4) | instid1(VALU_DEP_2)
	v_lshlrev_b64 v[4:5], 2, v[4:5]
	v_add_co_ci_u32_e64 v20, s3, s31, v15, s3
	s_add_u32 s3, s16, s22
	s_addc_u32 s22, s17, s23
	s_add_u32 s23, s3, s42
	v_mad_u64_u32 v[14:15], null, s29, v17, v[3:4]
	v_mov_b32_e32 v3, v10
	s_addc_u32 s22, s22, s43
	v_add_co_u32 v21, s3, s23, v4
	s_delay_alu instid0(VALU_DEP_1) | instskip(NEXT) | instid1(VALU_DEP_4)
	v_add_co_ci_u32_e64 v22, s3, s22, v5, s3
	v_mov_b32_e32 v8, v14
	v_or_b32_e32 v23, 2, v29
	v_mad_u64_u32 v[17:18], null, s21, v13, v[3:4]
	v_mad_u64_u32 v[31:32], null, s20, v29, s[20:21]
	s_delay_alu instid0(VALU_DEP_3)
	v_mad_u64_u32 v[14:15], null, s20, v23, 0
	v_lshlrev_b64 v[4:5], 2, v[7:8]
	v_mad_u64_u32 v[27:28], null, s28, v23, 0
	v_mov_b32_e32 v10, v17
	v_mad_u64_u32 v[17:18], null, s28, v29, s[28:29]
	v_mov_b32_e32 v3, v15
	v_lshlrev_b64 v[1:2], 2, v[0:1]
	v_mov_b32_e32 v6, v28
	s_delay_alu instid0(VALU_DEP_3) | instskip(SKIP_1) | instid1(VALU_DEP_2)
	v_mad_u64_u32 v[7:8], null, s21, v23, v[3:4]
	v_mov_b32_e32 v3, v18
	v_mad_u64_u32 v[25:26], null, s29, v23, v[6:7]
	v_add_co_u32 v23, s3, s4, v4
	s_delay_alu instid0(VALU_DEP_1) | instskip(SKIP_1) | instid1(VALU_DEP_4)
	v_add_co_ci_u32_e64 v24, s3, s31, v5, s3
	v_lshlrev_b64 v[4:5], 4, v[9:10]
	v_dual_mov_b32 v15, v7 :: v_dual_mov_b32 v28, v25
	s_delay_alu instid0(VALU_DEP_2) | instskip(SKIP_1) | instid1(VALU_DEP_4)
	v_add_co_u32 v25, s3, s23, v4
	v_mad_u64_u32 v[6:7], null, s29, v29, v[3:4]
	v_add_co_ci_u32_e64 v26, s3, s22, v5, s3
	s_delay_alu instid0(VALU_DEP_4) | instskip(SKIP_1) | instid1(VALU_DEP_4)
	v_lshlrev_b64 v[4:5], 2, v[14:15]
	v_dual_mov_b32 v14, 0 :: v_dual_mov_b32 v3, v32
	v_dual_mov_b32 v15, 0 :: v_dual_mov_b32 v18, v6
	s_delay_alu instid0(VALU_DEP_2) | instskip(SKIP_2) | instid1(VALU_DEP_4)
	v_mad_u64_u32 v[7:8], null, s21, v29, v[3:4]
	v_lshlrev_b64 v[8:9], 2, v[27:28]
	v_add_co_u32 v27, s3, s23, v4
	v_lshlrev_b64 v[3:4], 2, v[17:18]
	v_mov_b32_e32 v18, 0
	v_add_co_ci_u32_e64 v28, s3, s22, v5, s3
	v_mov_b32_e32 v32, v7
	v_add_co_u32 v29, s3, s4, v8
	s_delay_alu instid0(VALU_DEP_1) | instskip(NEXT) | instid1(VALU_DEP_3)
	v_add_co_ci_u32_e64 v30, s3, s31, v9, s3
	v_lshlrev_b64 v[5:6], 2, v[31:32]
	v_add_co_u32 v31, s3, s4, v3
	s_delay_alu instid0(VALU_DEP_1) | instskip(SKIP_1) | instid1(VALU_DEP_4)
	v_add_co_ci_u32_e64 v32, s3, s31, v4, s3
	v_mov_b32_e32 v17, 0
	v_add_co_u32 v33, s3, s23, v5
	s_delay_alu instid0(VALU_DEP_1)
	v_add_co_ci_u32_e64 v34, s3, s22, v6, s3
	s_lshl_b64 s[22:23], s[20:21], 8
	s_mov_b32 s31, 0
	s_branch .LBB13_17
.LBB13_13:                              ;   in Loop: Header=BB13_17 Depth=1
	s_or_b32 exec_lo, exec_lo, s42
	s_waitcnt vmcnt(3)
	v_fmac_f32_e32 v17, v36, v50
	s_waitcnt vmcnt(2)
	s_delay_alu instid0(VALU_DEP_1) | instskip(SKIP_1) | instid1(VALU_DEP_1)
	v_fmac_f32_e32 v17, v35, v49
	s_waitcnt vmcnt(1)
	v_fmac_f32_e32 v17, v37, v48
	s_waitcnt vmcnt(0)
	s_delay_alu instid0(VALU_DEP_1)
	v_fmac_f32_e32 v17, v38, v47
.LBB13_14:                              ;   in Loop: Header=BB13_17 Depth=1
	s_or_b32 exec_lo, exec_lo, s41
	s_waitcnt vmcnt(3)
	v_fmac_f32_e32 v15, v36, v46
	s_waitcnt vmcnt(2)
	s_delay_alu instid0(VALU_DEP_1) | instskip(SKIP_1) | instid1(VALU_DEP_1)
	v_fmac_f32_e32 v15, v35, v45
	s_waitcnt vmcnt(1)
	v_fmac_f32_e32 v15, v37, v44
	s_waitcnt vmcnt(0)
	s_delay_alu instid0(VALU_DEP_1)
	v_fmac_f32_e32 v15, v38, v43
.LBB13_15:                              ;   in Loop: Header=BB13_17 Depth=1
	s_or_b32 exec_lo, exec_lo, s3
	s_waitcnt vmcnt(3)
	v_fmac_f32_e32 v14, v36, v42
	s_waitcnt vmcnt(2)
	s_delay_alu instid0(VALU_DEP_1) | instskip(SKIP_1) | instid1(VALU_DEP_1)
	v_fmac_f32_e32 v14, v35, v40
	s_waitcnt vmcnt(1)
	v_fmac_f32_e32 v14, v37, v39
	s_waitcnt vmcnt(0)
	s_delay_alu instid0(VALU_DEP_1)
	v_fmac_f32_e32 v14, v38, v41
.LBB13_16:                              ;   in Loop: Header=BB13_17 Depth=1
	s_or_b32 exec_lo, exec_lo, s4
	v_add_co_u32 v19, s3, v19, s14
	s_delay_alu instid0(VALU_DEP_1) | instskip(SKIP_1) | instid1(VALU_DEP_1)
	v_add_co_ci_u32_e64 v20, s3, s15, v20, s3
	v_add_co_u32 v21, s3, v21, s22
	v_add_co_ci_u32_e64 v22, s3, s23, v22, s3
	v_add_co_u32 v23, s3, v23, s14
	s_delay_alu instid0(VALU_DEP_1) | instskip(SKIP_1) | instid1(VALU_DEP_1)
	v_add_co_ci_u32_e64 v24, s3, s15, v24, s3
	v_add_co_u32 v25, s3, v25, s22
	v_add_co_ci_u32_e64 v26, s3, s23, v26, s3
	v_add_co_u32 v27, s3, v27, s22
	s_delay_alu instid0(VALU_DEP_1) | instskip(SKIP_4) | instid1(VALU_DEP_1)
	v_add_co_ci_u32_e64 v28, s3, s23, v28, s3
	v_add_co_u32 v29, s3, v29, s14
	v_add_nc_u32_e32 v16, 64, v16
	v_add_co_ci_u32_e64 v30, s3, s15, v30, s3
	v_add_co_u32 v31, s3, v31, s14
	v_add_co_ci_u32_e64 v32, s3, s15, v32, s3
	s_delay_alu instid0(VALU_DEP_4) | instskip(SKIP_1) | instid1(VALU_DEP_1)
	v_cmp_le_i32_e64 s3, s40, v16
	v_add_co_u32 v33, s4, v33, s22
	v_add_co_ci_u32_e64 v34, s4, s23, v34, s4
	s_delay_alu instid0(VALU_DEP_3) | instskip(NEXT) | instid1(SALU_CYCLE_1)
	s_or_b32 s31, s3, s31
	s_and_not1_b32 exec_lo, exec_lo, s31
	s_cbranch_execz .LBB13_22
.LBB13_17:                              ; =>This Inner Loop Header: Depth=1
	s_and_saveexec_b32 s4, vcc_lo
	s_cbranch_execz .LBB13_16
; %bb.18:                               ;   in Loop: Header=BB13_17 Depth=1
	v_add_co_u32 v3, s3, v19, s12
	s_delay_alu instid0(VALU_DEP_1) | instskip(SKIP_1) | instid1(VALU_DEP_1)
	v_add_co_ci_u32_e64 v4, s3, s13, v20, s3
	v_add_co_u32 v5, s3, v31, s12
	v_add_co_ci_u32_e64 v6, s3, s13, v32, s3
	v_add_co_u32 v7, s3, v29, s12
	s_delay_alu instid0(VALU_DEP_1) | instskip(SKIP_1) | instid1(VALU_DEP_1)
	v_add_co_ci_u32_e64 v8, s3, s13, v30, s3
	v_add_co_u32 v38, s3, v23, s12
	v_add_co_ci_u32_e64 v39, s3, s13, v24, s3
	global_load_b32 v36, v[3:4], off
	global_load_b32 v35, v[5:6], off
	;; [unrolled: 1-line block ×3, first 2 shown]
	v_add_co_u32 v3, s3, v25, v1
	s_delay_alu instid0(VALU_DEP_1) | instskip(SKIP_1) | instid1(VALU_DEP_1)
	v_add_co_ci_u32_e64 v4, s3, v26, v2, s3
	v_add_co_u32 v5, s3, v33, v1
	v_add_co_ci_u32_e64 v6, s3, v34, v2, s3
	v_add_co_u32 v7, s3, v27, v1
	s_delay_alu instid0(VALU_DEP_1) | instskip(SKIP_1) | instid1(VALU_DEP_1)
	v_add_co_ci_u32_e64 v8, s3, v28, v2, s3
	v_add_co_u32 v9, s3, v21, v1
	v_add_co_ci_u32_e64 v10, s3, v22, v2, s3
	global_load_b32 v38, v[38:39], off
	global_load_b32 v42, v[3:4], off
	;; [unrolled: 1-line block ×5, first 2 shown]
	s_and_saveexec_b32 s3, s0
	s_cbranch_execz .LBB13_15
; %bb.19:                               ;   in Loop: Header=BB13_17 Depth=1
	global_load_b32 v46, v[3:4], off offset:128
	global_load_b32 v45, v[5:6], off offset:128
	global_load_b32 v44, v[7:8], off offset:128
	global_load_b32 v43, v[9:10], off offset:128
	s_and_saveexec_b32 s41, s1
	s_cbranch_execz .LBB13_14
; %bb.20:                               ;   in Loop: Header=BB13_17 Depth=1
	global_load_b32 v50, v[3:4], off offset:256
	global_load_b32 v49, v[5:6], off offset:256
	global_load_b32 v48, v[7:8], off offset:256
	global_load_b32 v47, v[9:10], off offset:256
	;; [unrolled: 7-line block ×3, first 2 shown]
	s_waitcnt vmcnt(3)
	v_fmac_f32_e32 v18, v36, v3
	s_waitcnt vmcnt(2)
	s_delay_alu instid0(VALU_DEP_1) | instskip(SKIP_1) | instid1(VALU_DEP_1)
	v_fmac_f32_e32 v18, v35, v4
	s_waitcnt vmcnt(1)
	v_fmac_f32_e32 v18, v37, v5
	s_waitcnt vmcnt(0)
	s_delay_alu instid0(VALU_DEP_1)
	v_fmac_f32_e32 v18, v38, v6
	s_branch .LBB13_13
.LBB13_22:
	s_or_b32 exec_lo, exec_lo, s31
.LBB13_23:
	s_delay_alu instid0(SALU_CYCLE_1) | instskip(SKIP_1) | instid1(SALU_CYCLE_1)
	s_or_b32 exec_lo, exec_lo, s30
	s_sub_i32 s0, s37, s40
	s_cmp_lt_i32 s0, 1
	s_cbranch_scc1 .LBB13_41
; %bb.24:
	v_cmp_gt_i32_e32 vcc_lo, s37, v16
	v_dual_mov_b32 v19, 0 :: v_dual_mov_b32 v20, 0
	v_or_b32_e32 v2, 1, v16
	v_dual_mov_b32 v10, 0 :: v_dual_mov_b32 v9, 0
	s_and_saveexec_b32 s1, vcc_lo
	s_cbranch_execz .LBB13_32
; %bb.25:
	v_mad_u64_u32 v[3:4], null, v16, s28, 0
	s_lshl_b64 s[2:3], s[10:11], 2
	v_dual_mov_b32 v20, 0 :: v_dual_mov_b32 v19, 0
	s_add_u32 s0, s24, s2
	s_addc_u32 s2, s25, s3
	s_lshl_b64 s[10:11], s[26:27], 2
	s_delay_alu instid0(VALU_DEP_2) | instskip(SKIP_3) | instid1(VALU_DEP_1)
	v_dual_mov_b32 v1, v4 :: v_dual_mov_b32 v10, 0
	s_add_u32 s3, s0, s10
	s_addc_u32 s4, s2, s11
	s_mov_b32 s2, exec_lo
	v_mad_u64_u32 v[4:5], null, v16, s29, v[1:2]
	s_delay_alu instid0(VALU_DEP_1) | instskip(NEXT) | instid1(VALU_DEP_1)
	v_lshlrev_b64 v[3:4], 2, v[3:4]
	v_add_co_u32 v3, s0, s3, v3
	s_delay_alu instid0(VALU_DEP_1)
	v_add_co_ci_u32_e64 v4, s0, s4, v4, s0
	global_load_b32 v9, v[3:4], off
	v_cmpx_gt_i32_e64 s37, v2
	s_cbranch_execz .LBB13_31
; %bb.26:
	v_mad_u64_u32 v[3:4], null, v2, s28, 0
	v_mov_b32_e32 v19, 0
	s_mov_b32 s10, exec_lo
	s_delay_alu instid0(VALU_DEP_2) | instskip(NEXT) | instid1(VALU_DEP_1)
	v_dual_mov_b32 v20, 0 :: v_dual_mov_b32 v1, v4
	v_mad_u64_u32 v[4:5], null, v2, s29, v[1:2]
	v_or_b32_e32 v1, 2, v16
	s_delay_alu instid0(VALU_DEP_2) | instskip(NEXT) | instid1(VALU_DEP_1)
	v_lshlrev_b64 v[3:4], 2, v[3:4]
	v_add_co_u32 v3, s0, s3, v3
	s_delay_alu instid0(VALU_DEP_1)
	v_add_co_ci_u32_e64 v4, s0, s4, v4, s0
	global_load_b32 v10, v[3:4], off
	v_cmpx_gt_i32_e64 s37, v1
	s_cbranch_execz .LBB13_30
; %bb.27:
	v_mad_u64_u32 v[3:4], null, v1, s28, 0
	s_mov_b32 s11, exec_lo
	v_mov_b32_e32 v19, 0
	s_delay_alu instid0(VALU_DEP_2) | instskip(SKIP_1) | instid1(VALU_DEP_2)
	v_mad_u64_u32 v[5:6], null, v1, s29, v[4:5]
	v_or_b32_e32 v1, 3, v16
	v_mov_b32_e32 v4, v5
	s_delay_alu instid0(VALU_DEP_1) | instskip(NEXT) | instid1(VALU_DEP_1)
	v_lshlrev_b64 v[3:4], 2, v[3:4]
	v_add_co_u32 v3, s0, s3, v3
	s_delay_alu instid0(VALU_DEP_1)
	v_add_co_ci_u32_e64 v4, s0, s4, v4, s0
	global_load_b32 v20, v[3:4], off
	v_cmpx_gt_i32_e64 s37, v1
	s_cbranch_execz .LBB13_29
; %bb.28:
	v_mad_u64_u32 v[3:4], null, v1, s28, 0
	s_delay_alu instid0(VALU_DEP_1) | instskip(NEXT) | instid1(VALU_DEP_1)
	v_mad_u64_u32 v[5:6], null, v1, s29, v[4:5]
	v_mov_b32_e32 v4, v5
	s_delay_alu instid0(VALU_DEP_1) | instskip(NEXT) | instid1(VALU_DEP_1)
	v_lshlrev_b64 v[3:4], 2, v[3:4]
	v_add_co_u32 v3, s0, s3, v3
	s_delay_alu instid0(VALU_DEP_1)
	v_add_co_ci_u32_e64 v4, s0, s4, v4, s0
	global_load_b32 v19, v[3:4], off
.LBB13_29:
	s_or_b32 exec_lo, exec_lo, s11
.LBB13_30:
	s_delay_alu instid0(SALU_CYCLE_1)
	s_or_b32 exec_lo, exec_lo, s10
.LBB13_31:
	s_delay_alu instid0(SALU_CYCLE_1)
	s_or_b32 exec_lo, exec_lo, s2
.LBB13_32:
	s_delay_alu instid0(SALU_CYCLE_1) | instskip(NEXT) | instid1(SALU_CYCLE_1)
	s_or_b32 exec_lo, exec_lo, s1
	s_mov_b32 s1, exec_lo
	v_cmpx_gt_i32_e64 s36, v0
	s_cbranch_execz .LBB13_40
; %bb.33:
	v_mad_u64_u32 v[3:4], null, v16, s20, 0
	v_mad_u64_u32 v[5:6], null, v2, s20, 0
	v_ashrrev_i32_e32 v1, 31, v0
	s_lshl_b64 s[2:3], s[6:7], 2
	v_or_b32_e32 v28, 2, v16
	s_add_u32 s0, s16, s2
	s_delay_alu instid0(VALU_DEP_4)
	v_cndmask_b32_e32 v3, 0, v3, vcc_lo
	v_lshlrev_b64 v[21:22], 2, v[0:1]
	v_mad_u64_u32 v[7:8], null, v16, s21, v[4:5]
	s_addc_u32 s4, s17, s3
	s_lshl_b64 s[2:3], s[18:19], 2
	v_or_b32_e32 v16, 3, v16
	s_add_u32 s2, s0, s2
	v_mov_b32_e32 v1, v6
	v_mad_u64_u32 v[23:24], null, v28, s20, 0
	s_delay_alu instid0(VALU_DEP_4) | instskip(SKIP_1) | instid1(VALU_DEP_4)
	v_cndmask_b32_e32 v4, 0, v7, vcc_lo
	v_cmp_gt_i32_e32 vcc_lo, s37, v2
	v_mad_u64_u32 v[25:26], null, v2, s21, v[1:2]
	s_addc_u32 s3, s4, s3
	v_mad_u64_u32 v[6:7], null, v16, s20, 0
	v_cndmask_b32_e32 v26, 0, v5, vcc_lo
	v_lshlrev_b64 v[3:4], 2, v[3:4]
	s_delay_alu instid0(VALU_DEP_4) | instskip(NEXT) | instid1(VALU_DEP_2)
	v_cndmask_b32_e32 v27, 0, v25, vcc_lo
	v_add_co_u32 v1, s0, s2, v3
	s_delay_alu instid0(VALU_DEP_1) | instskip(NEXT) | instid1(VALU_DEP_3)
	v_add_co_ci_u32_e64 v2, s0, s3, v4, s0
	v_lshlrev_b64 v[3:4], 2, v[26:27]
	s_delay_alu instid0(VALU_DEP_3) | instskip(NEXT) | instid1(VALU_DEP_3)
	v_add_co_u32 v1, vcc_lo, v1, v21
	v_add_co_ci_u32_e32 v2, vcc_lo, v2, v22, vcc_lo
	v_cmp_gt_i32_e32 vcc_lo, s37, v28
	v_mov_b32_e32 v5, v24
	v_add_co_u32 v3, s0, s2, v3
	s_delay_alu instid0(VALU_DEP_1) | instskip(NEXT) | instid1(VALU_DEP_3)
	v_add_co_ci_u32_e64 v4, s0, s3, v4, s0
	v_mad_u64_u32 v[24:25], null, v28, s21, v[5:6]
	v_mov_b32_e32 v5, v7
	v_cndmask_b32_e32 v7, 0, v23, vcc_lo
	s_mov_b32 s0, exec_lo
	s_delay_alu instid0(VALU_DEP_3)
	v_cndmask_b32_e32 v8, 0, v24, vcc_lo
	v_add_co_u32 v3, vcc_lo, v3, v21
	v_add_co_ci_u32_e32 v4, vcc_lo, v4, v22, vcc_lo
	v_mad_u64_u32 v[23:24], null, v16, s21, v[5:6]
	s_clause 0x1
	global_load_b32 v24, v[1:2], off
	global_load_b32 v25, v[3:4], off
	v_cmp_gt_i32_e32 vcc_lo, s37, v16
	s_waitcnt vmcnt(1)
	v_fmac_f32_e32 v14, v9, v24
	s_waitcnt vmcnt(0)
	s_delay_alu instid0(VALU_DEP_1) | instskip(SKIP_2) | instid1(VALU_DEP_2)
	v_fmac_f32_e32 v14, v10, v25
	v_lshlrev_b64 v[7:8], 2, v[7:8]
	v_dual_cndmask_b32 v5, 0, v6 :: v_dual_cndmask_b32 v6, 0, v23
	v_add_co_u32 v16, vcc_lo, s2, v7
	s_delay_alu instid0(VALU_DEP_3) | instskip(NEXT) | instid1(VALU_DEP_3)
	v_add_co_ci_u32_e32 v23, vcc_lo, s3, v8, vcc_lo
	v_lshlrev_b64 v[7:8], 2, v[5:6]
	s_delay_alu instid0(VALU_DEP_3) | instskip(NEXT) | instid1(VALU_DEP_3)
	v_add_co_u32 v5, vcc_lo, v16, v21
	v_add_co_ci_u32_e32 v6, vcc_lo, v23, v22, vcc_lo
	s_delay_alu instid0(VALU_DEP_3) | instskip(NEXT) | instid1(VALU_DEP_4)
	v_add_co_u32 v7, vcc_lo, s2, v7
	v_add_co_ci_u32_e32 v8, vcc_lo, s3, v8, vcc_lo
	global_load_b32 v23, v[5:6], off
	v_add_co_u32 v7, vcc_lo, v7, v21
	v_add_co_ci_u32_e32 v8, vcc_lo, v8, v22, vcc_lo
	v_add_nc_u32_e32 v21, 32, v0
	global_load_b32 v16, v[7:8], off
	s_waitcnt vmcnt(1)
	v_fmac_f32_e32 v14, v20, v23
	v_cmpx_gt_i32_e64 s36, v21
	s_cbranch_execz .LBB13_39
; %bb.34:
	s_clause 0x3
	global_load_b32 v22, v[1:2], off offset:128
	global_load_b32 v23, v[3:4], off offset:128
	;; [unrolled: 1-line block ×4, first 2 shown]
	s_mov_b32 s2, exec_lo
	s_waitcnt vmcnt(3)
	v_dual_fmac_f32 v15, v9, v22 :: v_dual_add_nc_u32 v22, 64, v0
	s_waitcnt vmcnt(2)
	s_delay_alu instid0(VALU_DEP_1) | instskip(SKIP_1) | instid1(VALU_DEP_1)
	v_fmac_f32_e32 v15, v10, v23
	s_waitcnt vmcnt(1)
	v_fmac_f32_e32 v15, v20, v24
	v_cmpx_gt_i32_e64 s36, v22
	s_cbranch_execz .LBB13_38
; %bb.35:
	s_clause 0x3
	global_load_b32 v23, v[1:2], off offset:256
	global_load_b32 v24, v[3:4], off offset:256
	;; [unrolled: 1-line block ×4, first 2 shown]
	s_mov_b32 s3, exec_lo
	s_waitcnt vmcnt(3)
	v_dual_fmac_f32 v17, v9, v23 :: v_dual_add_nc_u32 v0, 0x60, v0
	s_waitcnt vmcnt(2)
	s_delay_alu instid0(VALU_DEP_1) | instskip(SKIP_1) | instid1(VALU_DEP_1)
	v_fmac_f32_e32 v17, v10, v24
	s_waitcnt vmcnt(1)
	v_fmac_f32_e32 v17, v20, v25
	v_cmpx_gt_i32_e64 s36, v0
	s_cbranch_execz .LBB13_37
; %bb.36:
	s_clause 0x3
	global_load_b32 v0, v[1:2], off offset:384
	global_load_b32 v1, v[3:4], off offset:384
	;; [unrolled: 1-line block ×4, first 2 shown]
	s_waitcnt vmcnt(3)
	v_fmac_f32_e32 v18, v9, v0
	s_waitcnt vmcnt(2)
	s_delay_alu instid0(VALU_DEP_1) | instskip(SKIP_1) | instid1(VALU_DEP_1)
	v_fmac_f32_e32 v18, v10, v1
	s_waitcnt vmcnt(1)
	v_fmac_f32_e32 v18, v20, v2
	s_waitcnt vmcnt(0)
	s_delay_alu instid0(VALU_DEP_1)
	v_fmac_f32_e32 v18, v19, v3
.LBB13_37:
	s_or_b32 exec_lo, exec_lo, s3
	s_waitcnt vmcnt(0)
	v_fmac_f32_e32 v17, v19, v22
.LBB13_38:
	s_or_b32 exec_lo, exec_lo, s2
	s_waitcnt vmcnt(0)
	v_fmac_f32_e32 v15, v19, v21
.LBB13_39:
	s_or_b32 exec_lo, exec_lo, s0
	s_waitcnt vmcnt(0)
	v_fmac_f32_e32 v14, v19, v16
.LBB13_40:
	s_or_b32 exec_lo, exec_lo, s1
.LBB13_41:
	v_lshlrev_b32_e32 v0, 7, v13
	s_mov_b32 s0, exec_lo
                                        ; implicit-def: $vgpr1
                                        ; implicit-def: $vgpr2_vgpr3
	s_delay_alu instid0(VALU_DEP_1)
	v_add_lshl_u32 v0, v0, v12, 2
	ds_store_2addr_b32 v0, v14, v15 offset1:32
	ds_store_2addr_b32 v0, v17, v18 offset0:64 offset1:96
	s_waitcnt vmcnt(0) lgkmcnt(0)
	s_barrier
	buffer_gl0_inv
	v_cmpx_gt_u32_e32 0x80, v11
	s_cbranch_execz .LBB13_47
; %bb.42:
	v_lshlrev_b32_e32 v6, 2, v11
	s_mov_b32 s2, s35
	s_mov_b32 s1, exec_lo
	ds_load_2addr_stride64_b32 v[0:1], v6 offset1:2
	ds_load_2addr_stride64_b32 v[2:3], v6 offset0:4 offset1:6
	ds_load_2addr_stride64_b32 v[4:5], v6 offset0:8 offset1:10
	s_waitcnt lgkmcnt(2)
	v_add_f32_e32 v7, v0, v1
	ds_load_2addr_stride64_b32 v[0:1], v6 offset0:12 offset1:14
	s_waitcnt lgkmcnt(2)
	v_add_f32_e32 v2, v2, v7
	s_delay_alu instid0(VALU_DEP_1) | instskip(SKIP_3) | instid1(VALU_DEP_1)
	v_add_f32_e32 v7, v3, v2
	ds_load_2addr_stride64_b32 v[2:3], v6 offset0:16 offset1:18
	s_waitcnt lgkmcnt(2)
	v_add_f32_e32 v4, v4, v7
	v_add_f32_e32 v7, v5, v4
	ds_load_2addr_stride64_b32 v[4:5], v6 offset0:20 offset1:22
	s_waitcnt lgkmcnt(2)
	v_add_f32_e32 v0, v0, v7
	s_delay_alu instid0(VALU_DEP_1) | instskip(SKIP_1) | instid1(VALU_DEP_1)
	v_add_f32_e32 v0, v1, v0
	s_waitcnt lgkmcnt(1)
	v_add_f32_e32 v2, v2, v0
	ds_load_2addr_stride64_b32 v[0:1], v6 offset0:24 offset1:26
	v_add_f32_e32 v2, v3, v2
	s_waitcnt lgkmcnt(1)
	s_delay_alu instid0(VALU_DEP_1) | instskip(SKIP_3) | instid1(VALU_DEP_1)
	v_add_f32_e32 v4, v4, v2
	ds_load_2addr_stride64_b32 v[2:3], v6 offset0:28 offset1:30
	v_add_f32_e32 v4, v5, v4
	s_waitcnt lgkmcnt(1)
	v_add_f32_e32 v0, v0, v4
	v_or_b32_e32 v4, s39, v11
	s_delay_alu instid0(VALU_DEP_2) | instskip(SKIP_1) | instid1(VALU_DEP_1)
	v_add_f32_e32 v0, v1, v0
                                        ; implicit-def: $vgpr1
	s_waitcnt lgkmcnt(0)
	v_add_f32_e32 v0, v2, v0
	s_delay_alu instid0(VALU_DEP_1)
	v_add_f32_e32 v0, v3, v0
                                        ; implicit-def: $vgpr2_vgpr3
	ds_store_b32 v6, v0
	v_cmpx_gt_i32_e64 s36, v4
	s_cbranch_execz .LBB13_46
; %bb.43:
	v_ashrrev_i32_e32 v1, 31, v4
	v_mul_lo_u32 v5, v4, s9
	v_mad_u64_u32 v[2:3], null, v4, s8, 0
	v_cmp_eq_f32_e64 s2, s34, 0
	s_delay_alu instid0(VALU_DEP_4) | instskip(SKIP_1) | instid1(VALU_DEP_3)
	v_mul_lo_u32 v4, v1, s8
	v_mul_f32_e32 v1, s38, v0
	s_and_b32 vcc_lo, exec_lo, s2
	s_delay_alu instid0(VALU_DEP_2)
	v_add3_u32 v3, v3, v5, v4
	s_cbranch_vccnz .LBB13_45
; %bb.44:
	s_delay_alu instid0(VALU_DEP_1) | instskip(NEXT) | instid1(VALU_DEP_1)
	v_lshlrev_b64 v[4:5], 2, v[2:3]
	v_add_co_u32 v4, vcc_lo, s5, v4
	s_delay_alu instid0(VALU_DEP_2)
	v_add_co_ci_u32_e32 v5, vcc_lo, s33, v5, vcc_lo
	global_load_b32 v0, v[4:5], off
	s_waitcnt vmcnt(0)
	v_fmac_f32_e32 v1, s34, v0
.LBB13_45:
	s_or_b32 s2, s35, exec_lo
.LBB13_46:
	s_or_b32 exec_lo, exec_lo, s1
	s_delay_alu instid0(SALU_CYCLE_1) | instskip(SKIP_1) | instid1(SALU_CYCLE_1)
	s_and_not1_b32 s1, s35, exec_lo
	s_and_b32 s2, s2, exec_lo
	s_or_b32 s35, s1, s2
.LBB13_47:
	s_or_b32 exec_lo, exec_lo, s0
.LBB13_48:
	s_and_saveexec_b32 s0, s35
	s_cbranch_execz .LBB13_50
; %bb.49:
	v_lshlrev_b64 v[2:3], 2, v[2:3]
	s_delay_alu instid0(VALU_DEP_1) | instskip(NEXT) | instid1(VALU_DEP_2)
	v_add_co_u32 v2, vcc_lo, s5, v2
	v_add_co_ci_u32_e32 v3, vcc_lo, s33, v3, vcc_lo
	global_store_b32 v[2:3], v1, off
.LBB13_50:
	s_nop 0
	s_sendmsg sendmsg(MSG_DEALLOC_VGPRS)
	s_endpgm
	.section	.rodata,"a",@progbits
	.p2align	6, 0x0
	.amdhsa_kernel _ZL20rocblas_gemvn_kernelILi32ELi16ElfffEviiT3_lPKT2_lT1_lS3_lS4_lS0_lPT4_lS4_li
		.amdhsa_group_segment_fixed_size 8192
		.amdhsa_private_segment_fixed_size 0
		.amdhsa_kernarg_size 400
		.amdhsa_user_sgpr_count 14
		.amdhsa_user_sgpr_dispatch_ptr 0
		.amdhsa_user_sgpr_queue_ptr 0
		.amdhsa_user_sgpr_kernarg_segment_ptr 1
		.amdhsa_user_sgpr_dispatch_id 0
		.amdhsa_user_sgpr_private_segment_size 0
		.amdhsa_wavefront_size32 1
		.amdhsa_uses_dynamic_stack 0
		.amdhsa_enable_private_segment 0
		.amdhsa_system_sgpr_workgroup_id_x 1
		.amdhsa_system_sgpr_workgroup_id_y 0
		.amdhsa_system_sgpr_workgroup_id_z 1
		.amdhsa_system_sgpr_workgroup_info 0
		.amdhsa_system_vgpr_workitem_id 1
		.amdhsa_next_free_vgpr 51
		.amdhsa_next_free_sgpr 44
		.amdhsa_reserve_vcc 1
		.amdhsa_float_round_mode_32 0
		.amdhsa_float_round_mode_16_64 0
		.amdhsa_float_denorm_mode_32 3
		.amdhsa_float_denorm_mode_16_64 3
		.amdhsa_dx10_clamp 1
		.amdhsa_ieee_mode 1
		.amdhsa_fp16_overflow 0
		.amdhsa_workgroup_processor_mode 1
		.amdhsa_memory_ordered 1
		.amdhsa_forward_progress 0
		.amdhsa_shared_vgpr_count 0
		.amdhsa_exception_fp_ieee_invalid_op 0
		.amdhsa_exception_fp_denorm_src 0
		.amdhsa_exception_fp_ieee_div_zero 0
		.amdhsa_exception_fp_ieee_overflow 0
		.amdhsa_exception_fp_ieee_underflow 0
		.amdhsa_exception_fp_ieee_inexact 0
		.amdhsa_exception_int_div_zero 0
	.end_amdhsa_kernel
	.section	.text._ZL20rocblas_gemvn_kernelILi32ELi16ElfffEviiT3_lPKT2_lT1_lS3_lS4_lS0_lPT4_lS4_li,"axG",@progbits,_ZL20rocblas_gemvn_kernelILi32ELi16ElfffEviiT3_lPKT2_lT1_lS3_lS4_lS0_lPT4_lS4_li,comdat
.Lfunc_end13:
	.size	_ZL20rocblas_gemvn_kernelILi32ELi16ElfffEviiT3_lPKT2_lT1_lS3_lS4_lS0_lPT4_lS4_li, .Lfunc_end13-_ZL20rocblas_gemvn_kernelILi32ELi16ElfffEviiT3_lPKT2_lT1_lS3_lS4_lS0_lPT4_lS4_li
                                        ; -- End function
	.section	.AMDGPU.csdata,"",@progbits
; Kernel info:
; codeLenInByte = 3424
; NumSgprs: 46
; NumVgprs: 51
; ScratchSize: 0
; MemoryBound: 0
; FloatMode: 240
; IeeeMode: 1
; LDSByteSize: 8192 bytes/workgroup (compile time only)
; SGPRBlocks: 5
; VGPRBlocks: 6
; NumSGPRsForWavesPerEU: 46
; NumVGPRsForWavesPerEU: 51
; Occupancy: 16
; WaveLimiterHint : 1
; COMPUTE_PGM_RSRC2:SCRATCH_EN: 0
; COMPUTE_PGM_RSRC2:USER_SGPR: 14
; COMPUTE_PGM_RSRC2:TRAP_HANDLER: 0
; COMPUTE_PGM_RSRC2:TGID_X_EN: 1
; COMPUTE_PGM_RSRC2:TGID_Y_EN: 0
; COMPUTE_PGM_RSRC2:TGID_Z_EN: 1
; COMPUTE_PGM_RSRC2:TIDIG_COMP_CNT: 1
	.section	.text._ZL20rocblas_gemvn_kernelILi64ELi16EifPKffEviiT3_lPKT2_lT1_lS5_lS6_lS2_lPT4_lS6_li,"axG",@progbits,_ZL20rocblas_gemvn_kernelILi64ELi16EifPKffEviiT3_lPKT2_lT1_lS5_lS6_lS2_lPT4_lS6_li,comdat
	.globl	_ZL20rocblas_gemvn_kernelILi64ELi16EifPKffEviiT3_lPKT2_lT1_lS5_lS6_lS2_lPT4_lS6_li ; -- Begin function _ZL20rocblas_gemvn_kernelILi64ELi16EifPKffEviiT3_lPKT2_lT1_lS5_lS6_lS2_lPT4_lS6_li
	.p2align	8
	.type	_ZL20rocblas_gemvn_kernelILi64ELi16EifPKffEviiT3_lPKT2_lT1_lS5_lS6_lS2_lPT4_lS6_li,@function
_ZL20rocblas_gemvn_kernelILi64ELi16EifPKffEviiT3_lPKT2_lT1_lS5_lS6_lS2_lPT4_lS6_li: ; @_ZL20rocblas_gemvn_kernelILi64ELi16EifPKffEviiT3_lPKT2_lT1_lS5_lS6_lS2_lPT4_lS6_li
; %bb.0:
	s_load_b64 s[2:3], s[0:1], 0x9c
	s_waitcnt lgkmcnt(0)
	s_lshr_b32 s4, s2, 16
	s_and_b32 s2, s2, 0xffff
	s_and_b32 s3, s3, 0xffff
	s_mul_i32 s2, s4, s2
	s_delay_alu instid0(SALU_CYCLE_1) | instskip(NEXT) | instid1(SALU_CYCLE_1)
	s_mul_i32 s2, s2, s3
	s_cmpk_lg_i32 s2, 0x400
	s_cbranch_scc1 .LBB14_50
; %bb.1:
	s_clause 0x1
	s_load_b256 s[16:23], s[0:1], 0x8
	s_load_b256 s[4:11], s[0:1], 0x50
	s_waitcnt lgkmcnt(0)
	s_mul_i32 s3, s15, s19
	s_mul_hi_u32 s12, s15, s18
	s_mul_i32 s2, s15, s18
	s_add_i32 s3, s12, s3
	s_mul_i32 s9, s15, s9
	s_lshl_b64 s[2:3], s[2:3], 2
	s_mul_hi_u32 s12, s15, s8
	s_add_u32 s2, s16, s2
	s_addc_u32 s3, s17, s3
	s_add_i32 s9, s12, s9
	s_mul_i32 s8, s15, s8
	s_mov_b32 s16, 0
	s_lshl_b64 s[8:9], s[8:9], 2
	s_delay_alu instid0(SALU_CYCLE_1)
	s_add_u32 s6, s6, s8
	s_addc_u32 s7, s7, s9
	s_load_b32 s13, s[2:3], 0x0
	s_load_b32 s12, s[6:7], 0x0
	s_waitcnt lgkmcnt(0)
	v_cmp_eq_f32_e64 s2, s13, 0
	v_cmp_eq_f32_e64 s3, s12, 1.0
	s_delay_alu instid0(VALU_DEP_1) | instskip(NEXT) | instid1(SALU_CYCLE_1)
	s_and_b32 s2, s2, s3
	s_and_b32 vcc_lo, exec_lo, s2
	s_cbranch_vccnz .LBB14_50
; %bb.2:
	s_clause 0x3
	s_load_b64 s[2:3], s[0:1], 0x80
	s_load_b64 s[8:9], s[0:1], 0x70
	s_load_b32 s17, s[0:1], 0x78
	s_load_b64 s[6:7], s[0:1], 0x0
	v_and_b32_e32 v1, 0x3ff, v0
	v_bfe_u32 v13, v0, 10, 10
	s_delay_alu instid0(VALU_DEP_1)
	v_lshl_add_u32 v0, v13, 6, v1
	s_waitcnt lgkmcnt(0)
	s_mul_i32 s3, s15, s3
	s_mul_hi_u32 s18, s15, s2
	s_mul_i32 s2, s15, s2
	s_add_i32 s3, s18, s3
	v_cmp_neq_f32_e64 s18, s13, 0
	s_lshl_b64 s[2:3], s[2:3], 2
	s_delay_alu instid0(SALU_CYCLE_1) | instskip(SKIP_2) | instid1(SALU_CYCLE_1)
	s_add_u32 s10, s10, s2
	s_addc_u32 s11, s11, s3
	s_lshl_b64 s[2:3], s[8:9], 2
	s_add_u32 s8, s10, s2
	v_cmp_gt_u32_e64 s2, 0x100, v0
	s_addc_u32 s9, s11, s3
	s_and_b32 vcc_lo, exec_lo, s18
	s_cbranch_vccnz .LBB14_9
; %bb.3:
	s_mov_b32 s3, 0
                                        ; implicit-def: $vgpr3
                                        ; implicit-def: $vgpr4_vgpr5
	s_and_saveexec_b32 s10, s2
	s_cbranch_execz .LBB14_10
; %bb.4:
	v_lshl_or_b32 v2, s14, 8, v0
	v_mov_b32_e32 v3, 0
	s_ashr_i32 s19, s6, 31
	s_mov_b32 s18, s6
	s_mov_b32 s11, 0
	s_mov_b32 s2, exec_lo
                                        ; implicit-def: $vgpr4_vgpr5
	v_cmpx_gt_i64_e64 s[18:19], v[2:3]
	s_cbranch_execz .LBB14_8
; %bb.5:
	v_mad_u64_u32 v[4:5], null, s17, v2, 0
	s_ashr_i32 s11, s17, 31
	s_delay_alu instid0(VALU_DEP_1) | instid1(SALU_CYCLE_1)
	v_mad_u64_u32 v[6:7], null, s11, v2, v[5:6]
	v_cmp_eq_f32_e64 s11, s12, 0
	s_delay_alu instid0(VALU_DEP_1) | instskip(NEXT) | instid1(VALU_DEP_2)
	s_and_b32 vcc_lo, exec_lo, s11
	v_mov_b32_e32 v5, v6
	s_cbranch_vccnz .LBB14_7
; %bb.6:
	s_delay_alu instid0(VALU_DEP_1) | instskip(NEXT) | instid1(VALU_DEP_1)
	v_lshlrev_b64 v[2:3], 2, v[4:5]
	v_add_co_u32 v2, vcc_lo, s8, v2
	s_delay_alu instid0(VALU_DEP_2)
	v_add_co_ci_u32_e32 v3, vcc_lo, s9, v3, vcc_lo
	global_load_b32 v2, v[2:3], off
	s_waitcnt vmcnt(0)
	v_mul_f32_e32 v3, s12, v2
.LBB14_7:
	s_mov_b32 s11, exec_lo
.LBB14_8:
	s_or_b32 exec_lo, exec_lo, s2
	s_delay_alu instid0(SALU_CYCLE_1) | instskip(SKIP_1) | instid1(SALU_CYCLE_1)
	s_and_b32 s16, s11, exec_lo
	s_or_b32 exec_lo, exec_lo, s10
	s_and_b32 vcc_lo, exec_lo, s3
	s_cbranch_vccnz .LBB14_11
	s_branch .LBB14_48
.LBB14_9:
                                        ; implicit-def: $vgpr3
                                        ; implicit-def: $vgpr4_vgpr5
	s_cbranch_execnz .LBB14_11
	s_branch .LBB14_48
.LBB14_10:
	s_or_b32 exec_lo, exec_lo, s10
	s_delay_alu instid0(SALU_CYCLE_1)
	s_and_b32 vcc_lo, exec_lo, s3
	s_cbranch_vccz .LBB14_48
.LBB14_11:
	s_clause 0x2
	s_load_b128 s[24:27], s[0:1], 0x30
	s_load_b32 s18, s[0:1], 0x28
	s_load_b64 s[2:3], s[0:1], 0x40
	s_mul_i32 s5, s15, s5
	v_dual_mov_b32 v14, 0 :: v_dual_lshlrev_b32 v19, 2, v13
	v_dual_mov_b32 v15, 0 :: v_dual_mov_b32 v16, 0
	v_mov_b32_e32 v17, 0
	s_waitcnt lgkmcnt(0)
	s_mul_i32 s11, s15, s25
	s_mul_hi_u32 s19, s15, s24
	s_mul_i32 s10, s15, s24
	s_add_i32 s11, s19, s11
	s_mul_hi_u32 s19, s15, s4
	s_lshl_b64 s[10:11], s[10:11], 2
	s_delay_alu instid0(SALU_CYCLE_1) | instskip(SKIP_4) | instid1(SALU_CYCLE_1)
	s_add_u32 s24, s20, s10
	s_mul_i32 s20, s15, s4
	s_load_b32 s4, s[0:1], 0x48
	s_addc_u32 s21, s21, s11
	s_lshl_b64 s[10:11], s[22:23], 2
	s_add_u32 s10, s24, s10
	s_addc_u32 s11, s21, s11
	s_add_i32 s21, s19, s5
	s_delay_alu instid0(SALU_CYCLE_1) | instskip(SKIP_4) | instid1(SALU_CYCLE_1)
	s_lshl_b64 s[0:1], s[20:21], 2
	s_mov_b32 s20, exec_lo
	s_add_u32 s5, s26, s0
	s_addc_u32 s19, s27, s1
	s_lshl_b64 s[0:1], s[2:3], 2
	s_add_u32 s15, s5, s0
	s_addc_u32 s19, s19, s1
	s_ashr_i32 s0, s7, 31
	s_lshl_b32 s5, s14, 8
	s_lshr_b32 s0, s0, 26
	v_add_nc_u32_e32 v18, s5, v1
	s_add_i32 s0, s7, s0
	s_delay_alu instid0(SALU_CYCLE_1) | instskip(NEXT) | instid1(SALU_CYCLE_1)
	s_and_b32 s14, s0, 0xffffffc0
	v_cmpx_gt_i32_e64 s14, v19
	s_cbranch_execz .LBB14_23
; %bb.12:
	v_mul_lo_u32 v3, s18, v19
	v_dual_mov_b32 v15, 0 :: v_dual_add_nc_u32 v2, 64, v18
	v_add_nc_u32_e32 v6, 2, v19
	v_dual_mov_b32 v14, 0 :: v_dual_add_nc_u32 v5, 0xc0, v18
	s_delay_alu instid0(VALU_DEP_3)
	v_cmp_gt_i32_e64 s0, s6, v2
	v_dual_mov_b32 v17, 0 :: v_dual_add_nc_u32 v4, 0x80, v18
	v_add3_u32 v20, v3, s18, v1
	v_mad_u64_u32 v[2:3], null, s18, v6, v[1:2]
	v_cmp_gt_i32_e64 s2, s6, v5
	v_mul_lo_u32 v5, v13, s18
	v_dual_mov_b32 v16, 0 :: v_dual_add_nc_u32 v7, 3, v19
	s_waitcnt lgkmcnt(0)
	v_mul_lo_u32 v8, v13, s4
	v_cmp_gt_i32_e64 s1, s6, v4
	v_mul_lo_u32 v22, s4, v6
	v_mad_u64_u32 v[3:4], null, s18, v7, v[1:2]
	v_lshl_add_u32 v21, v5, 2, v1
	v_mad_u64_u32 v[4:5], null, s4, v19, s[4:5]
	v_mul_lo_u32 v23, s4, v7
	v_cmp_gt_i32_e32 vcc_lo, s6, v18
	v_lshlrev_b32_e32 v24, 2, v8
	s_lshl_b32 s21, s18, 6
	s_lshl_b32 s23, s4, 6
	s_mov_b32 s22, 0
	s_mov_b32 s24, 0
	s_branch .LBB14_17
.LBB14_13:                              ;   in Loop: Header=BB14_17 Depth=1
	s_or_b32 exec_lo, exec_lo, s27
	s_waitcnt vmcnt(3)
	v_fmac_f32_e32 v16, v28, v40
	s_waitcnt vmcnt(2)
	s_delay_alu instid0(VALU_DEP_1) | instskip(SKIP_1) | instid1(VALU_DEP_1)
	v_fmac_f32_e32 v16, v27, v39
	s_waitcnt vmcnt(1)
	v_fmac_f32_e32 v16, v26, v38
	s_waitcnt vmcnt(0)
	s_delay_alu instid0(VALU_DEP_1)
	v_fmac_f32_e32 v16, v25, v37
.LBB14_14:                              ;   in Loop: Header=BB14_17 Depth=1
	s_or_b32 exec_lo, exec_lo, s26
	s_waitcnt vmcnt(3)
	v_fmac_f32_e32 v15, v28, v36
	s_waitcnt vmcnt(2)
	s_delay_alu instid0(VALU_DEP_1) | instskip(SKIP_1) | instid1(VALU_DEP_1)
	v_fmac_f32_e32 v15, v27, v35
	s_waitcnt vmcnt(1)
	v_fmac_f32_e32 v15, v26, v34
	s_waitcnt vmcnt(0)
	s_delay_alu instid0(VALU_DEP_1)
	v_fmac_f32_e32 v15, v25, v33
.LBB14_15:                              ;   in Loop: Header=BB14_17 Depth=1
	s_or_b32 exec_lo, exec_lo, s3
	s_waitcnt vmcnt(3)
	v_fmac_f32_e32 v14, v28, v32
	s_waitcnt vmcnt(2)
	s_delay_alu instid0(VALU_DEP_1) | instskip(SKIP_1) | instid1(VALU_DEP_1)
	v_fmac_f32_e32 v14, v27, v30
	s_waitcnt vmcnt(1)
	v_fmac_f32_e32 v14, v26, v29
	s_waitcnt vmcnt(0)
	s_delay_alu instid0(VALU_DEP_1)
	v_fmac_f32_e32 v14, v25, v31
.LBB14_16:                              ;   in Loop: Header=BB14_17 Depth=1
	s_or_b32 exec_lo, exec_lo, s25
	v_add_nc_u32_e32 v19, 64, v19
	v_add_nc_u32_e32 v20, s21, v20
	;; [unrolled: 1-line block ×5, first 2 shown]
	v_cmp_le_i32_e64 s3, s14, v19
	s_add_i32 s24, s24, s23
	s_delay_alu instid0(VALU_DEP_1) | instskip(NEXT) | instid1(SALU_CYCLE_1)
	s_or_b32 s22, s3, s22
	s_and_not1_b32 exec_lo, exec_lo, s22
	s_cbranch_execz .LBB14_22
.LBB14_17:                              ; =>This Inner Loop Header: Depth=1
	s_and_saveexec_b32 s25, vcc_lo
	s_cbranch_execz .LBB14_16
; %bb.18:                               ;   in Loop: Header=BB14_17 Depth=1
	v_add_nc_u32_e32 v5, s24, v24
	v_add_nc_u32_e32 v7, s24, v4
	v_add_nc_u32_e32 v9, s24, v22
	v_add_nc_u32_e32 v11, s24, v23
	v_add_nc_u32_e32 v25, s5, v21
	v_ashrrev_i32_e32 v6, 31, v5
	v_ashrrev_i32_e32 v8, 31, v7
	;; [unrolled: 1-line block ×5, first 2 shown]
	v_lshlrev_b64 v[5:6], 2, v[5:6]
	v_lshlrev_b64 v[7:8], 2, v[7:8]
	;; [unrolled: 1-line block ×3, first 2 shown]
	s_delay_alu instid0(VALU_DEP_3) | instskip(NEXT) | instid1(VALU_DEP_1)
	v_add_co_u32 v27, s3, s15, v5
	v_add_co_ci_u32_e64 v28, s3, s19, v6, s3
	s_delay_alu instid0(VALU_DEP_4)
	v_add_co_u32 v29, s3, s15, v7
	v_add_nc_u32_e32 v7, s5, v20
	v_add_co_ci_u32_e64 v30, s3, s19, v8, s3
	v_lshlrev_b64 v[5:6], 2, v[11:12]
	v_add_co_u32 v31, s3, s15, v9
	v_add_nc_u32_e32 v11, s5, v2
	v_add_co_ci_u32_e64 v32, s3, s19, v10, s3
	v_lshlrev_b64 v[9:10], 2, v[25:26]
	v_ashrrev_i32_e32 v8, 31, v7
	v_add_nc_u32_e32 v25, s5, v3
	v_add_co_u32 v33, s3, s15, v5
	v_ashrrev_i32_e32 v12, 31, v11
	v_add_co_ci_u32_e64 v34, s3, s19, v6, s3
	v_lshlrev_b64 v[7:8], 2, v[7:8]
	v_add_co_u32 v5, s3, s10, v9
	v_ashrrev_i32_e32 v26, 31, v25
	v_add_co_ci_u32_e64 v6, s3, s11, v10, s3
	v_lshlrev_b64 v[9:10], 2, v[11:12]
	v_add_co_u32 v7, s3, s10, v7
	s_delay_alu instid0(VALU_DEP_4) | instskip(SKIP_1) | instid1(VALU_DEP_4)
	v_lshlrev_b64 v[25:26], 2, v[25:26]
	v_add_co_ci_u32_e64 v8, s3, s11, v8, s3
	v_add_co_u32 v11, s3, s10, v9
	s_delay_alu instid0(VALU_DEP_1) | instskip(NEXT) | instid1(VALU_DEP_4)
	v_add_co_ci_u32_e64 v12, s3, s11, v10, s3
	v_add_co_u32 v9, s3, s10, v25
	s_delay_alu instid0(VALU_DEP_1)
	v_add_co_ci_u32_e64 v10, s3, s11, v26, s3
	s_clause 0x3
	global_load_b32 v28, v[27:28], off
	global_load_b32 v27, v[29:30], off
	;; [unrolled: 1-line block ×4, first 2 shown]
	s_clause 0x3
	global_load_b32 v32, v[5:6], off
	global_load_b32 v30, v[7:8], off
	;; [unrolled: 1-line block ×4, first 2 shown]
	s_and_saveexec_b32 s3, s0
	s_cbranch_execz .LBB14_15
; %bb.19:                               ;   in Loop: Header=BB14_17 Depth=1
	s_clause 0x3
	global_load_b32 v36, v[5:6], off offset:256
	global_load_b32 v35, v[7:8], off offset:256
	global_load_b32 v34, v[11:12], off offset:256
	global_load_b32 v33, v[9:10], off offset:256
	s_and_saveexec_b32 s26, s1
	s_cbranch_execz .LBB14_14
; %bb.20:                               ;   in Loop: Header=BB14_17 Depth=1
	s_clause 0x3
	global_load_b32 v40, v[5:6], off offset:512
	global_load_b32 v39, v[7:8], off offset:512
	global_load_b32 v38, v[11:12], off offset:512
	global_load_b32 v37, v[9:10], off offset:512
	;; [unrolled: 8-line block ×3, first 2 shown]
	s_waitcnt vmcnt(3)
	v_fmac_f32_e32 v17, v28, v5
	s_waitcnt vmcnt(2)
	s_delay_alu instid0(VALU_DEP_1) | instskip(SKIP_1) | instid1(VALU_DEP_1)
	v_fmac_f32_e32 v17, v27, v6
	s_waitcnt vmcnt(1)
	v_fmac_f32_e32 v17, v26, v7
	s_waitcnt vmcnt(0)
	s_delay_alu instid0(VALU_DEP_1)
	v_fmac_f32_e32 v17, v25, v8
	s_branch .LBB14_13
.LBB14_22:
	s_or_b32 exec_lo, exec_lo, s22
.LBB14_23:
	s_delay_alu instid0(SALU_CYCLE_1) | instskip(SKIP_1) | instid1(SALU_CYCLE_1)
	s_or_b32 exec_lo, exec_lo, s20
	s_sub_i32 s0, s7, s14
	s_cmp_lt_i32 s0, 1
	s_cbranch_scc1 .LBB14_41
; %bb.24:
	v_cmp_gt_i32_e32 vcc_lo, s7, v19
	v_dual_mov_b32 v12, 0 :: v_dual_mov_b32 v11, 0
	v_or_b32_e32 v2, 1, v19
	v_mov_b32_e32 v20, 0
	v_mov_b32_e32 v10, 0
	s_and_saveexec_b32 s1, vcc_lo
	s_cbranch_execz .LBB14_32
; %bb.25:
	s_waitcnt lgkmcnt(0)
	v_mul_lo_u32 v3, v19, s4
	v_dual_mov_b32 v11, 0 :: v_dual_mov_b32 v20, 0
	v_mov_b32_e32 v12, 0
	s_mov_b32 s2, exec_lo
	s_delay_alu instid0(VALU_DEP_3) | instskip(NEXT) | instid1(VALU_DEP_1)
	v_ashrrev_i32_e32 v4, 31, v3
	v_lshlrev_b64 v[3:4], 2, v[3:4]
	s_delay_alu instid0(VALU_DEP_1) | instskip(NEXT) | instid1(VALU_DEP_1)
	v_add_co_u32 v3, s0, s15, v3
	v_add_co_ci_u32_e64 v4, s0, s19, v4, s0
	global_load_b32 v10, v[3:4], off
	v_cmpx_gt_i32_e64 s7, v2
	s_cbranch_execz .LBB14_31
; %bb.26:
	v_mul_lo_u32 v3, v2, s4
	v_mov_b32_e32 v20, 0
	v_mov_b32_e32 v12, 0
	s_mov_b32 s3, exec_lo
	s_delay_alu instid0(VALU_DEP_3) | instskip(NEXT) | instid1(VALU_DEP_1)
	v_ashrrev_i32_e32 v4, 31, v3
	v_lshlrev_b64 v[3:4], 2, v[3:4]
	s_delay_alu instid0(VALU_DEP_1) | instskip(NEXT) | instid1(VALU_DEP_1)
	v_add_co_u32 v3, s0, s15, v3
	v_add_co_ci_u32_e64 v4, s0, s19, v4, s0
	global_load_b32 v11, v[3:4], off
	v_or_b32_e32 v3, 2, v19
	s_delay_alu instid0(VALU_DEP_1)
	v_cmpx_gt_i32_e64 s7, v3
	s_cbranch_execz .LBB14_30
; %bb.27:
	v_mul_lo_u32 v3, v3, s4
	v_mov_b32_e32 v12, 0
	s_mov_b32 s14, exec_lo
	s_delay_alu instid0(VALU_DEP_2) | instskip(NEXT) | instid1(VALU_DEP_1)
	v_ashrrev_i32_e32 v4, 31, v3
	v_lshlrev_b64 v[3:4], 2, v[3:4]
	s_delay_alu instid0(VALU_DEP_1) | instskip(NEXT) | instid1(VALU_DEP_1)
	v_add_co_u32 v3, s0, s15, v3
	v_add_co_ci_u32_e64 v4, s0, s19, v4, s0
	global_load_b32 v20, v[3:4], off
	v_or_b32_e32 v3, 3, v19
	s_delay_alu instid0(VALU_DEP_1)
	v_cmpx_gt_i32_e64 s7, v3
	s_cbranch_execz .LBB14_29
; %bb.28:
	v_mul_lo_u32 v3, v3, s4
	s_delay_alu instid0(VALU_DEP_1) | instskip(NEXT) | instid1(VALU_DEP_1)
	v_ashrrev_i32_e32 v4, 31, v3
	v_lshlrev_b64 v[3:4], 2, v[3:4]
	s_delay_alu instid0(VALU_DEP_1) | instskip(NEXT) | instid1(VALU_DEP_1)
	v_add_co_u32 v3, s0, s15, v3
	v_add_co_ci_u32_e64 v4, s0, s19, v4, s0
	global_load_b32 v12, v[3:4], off
.LBB14_29:
	s_or_b32 exec_lo, exec_lo, s14
.LBB14_30:
	s_delay_alu instid0(SALU_CYCLE_1)
	s_or_b32 exec_lo, exec_lo, s3
.LBB14_31:
	s_delay_alu instid0(SALU_CYCLE_1)
	s_or_b32 exec_lo, exec_lo, s2
.LBB14_32:
	s_delay_alu instid0(SALU_CYCLE_1) | instskip(NEXT) | instid1(SALU_CYCLE_1)
	s_or_b32 exec_lo, exec_lo, s1
	s_mov_b32 s1, exec_lo
	v_cmpx_gt_i32_e64 s6, v18
	s_cbranch_execz .LBB14_40
; %bb.33:
	v_mul_lo_u32 v3, v19, s18
	v_mul_lo_u32 v5, v2, s18
	v_or_b32_e32 v4, 2, v19
	v_or_b32_e32 v6, 3, v19
	s_mov_b32 s0, exec_lo
	s_delay_alu instid0(VALU_DEP_2)
	v_mul_lo_u32 v7, v4, s18
	v_cndmask_b32_e32 v3, 0, v3, vcc_lo
	v_cmp_gt_i32_e32 vcc_lo, s7, v2
	v_mul_lo_u32 v8, v6, s18
	v_cndmask_b32_e32 v5, 0, v5, vcc_lo
	v_cmp_gt_i32_e32 vcc_lo, s7, v4
	s_delay_alu instid0(VALU_DEP_2) | instskip(SKIP_2) | instid1(VALU_DEP_3)
	v_add_nc_u32_e32 v4, v5, v18
	v_dual_cndmask_b32 v7, 0, v7 :: v_dual_add_nc_u32 v2, v3, v18
	v_cmp_gt_i32_e32 vcc_lo, s7, v6
	v_ashrrev_i32_e32 v5, 31, v4
	s_delay_alu instid0(VALU_DEP_3) | instskip(SKIP_2) | instid1(VALU_DEP_4)
	v_ashrrev_i32_e32 v3, 31, v2
	v_cndmask_b32_e32 v8, 0, v8, vcc_lo
	v_add_nc_u32_e32 v6, v7, v18
	v_lshlrev_b64 v[4:5], 2, v[4:5]
	s_delay_alu instid0(VALU_DEP_4) | instskip(NEXT) | instid1(VALU_DEP_4)
	v_lshlrev_b64 v[2:3], 2, v[2:3]
	v_add_nc_u32_e32 v8, v8, v18
	s_delay_alu instid0(VALU_DEP_4) | instskip(NEXT) | instid1(VALU_DEP_2)
	v_ashrrev_i32_e32 v7, 31, v6
	v_ashrrev_i32_e32 v9, 31, v8
	s_delay_alu instid0(VALU_DEP_2)
	v_lshlrev_b64 v[21:22], 2, v[6:7]
	v_add_co_u32 v6, vcc_lo, s10, v2
	v_add_co_ci_u32_e32 v7, vcc_lo, s11, v3, vcc_lo
	v_add_co_u32 v2, vcc_lo, s10, v4
	v_add_co_ci_u32_e32 v3, vcc_lo, s11, v5, vcc_lo
	global_load_b32 v23, v[6:7], off
	v_add_co_u32 v4, vcc_lo, s10, v21
	v_add_co_ci_u32_e32 v5, vcc_lo, s11, v22, vcc_lo
	v_lshlrev_b64 v[8:9], 2, v[8:9]
	s_clause 0x1
	global_load_b32 v21, v[2:3], off
	global_load_b32 v22, v[4:5], off
	v_add_co_u32 v8, vcc_lo, s10, v8
	v_add_co_ci_u32_e32 v9, vcc_lo, s11, v9, vcc_lo
	global_load_b32 v19, v[8:9], off
	s_waitcnt vmcnt(3)
	v_fmac_f32_e32 v14, v10, v23
	s_waitcnt vmcnt(2)
	s_delay_alu instid0(VALU_DEP_1) | instskip(SKIP_1) | instid1(VALU_DEP_1)
	v_dual_fmac_f32 v14, v11, v21 :: v_dual_add_nc_u32 v21, 64, v18
	s_waitcnt vmcnt(1)
	v_fmac_f32_e32 v14, v20, v22
	s_delay_alu instid0(VALU_DEP_2)
	v_cmpx_gt_i32_e64 s6, v21
	s_cbranch_execz .LBB14_39
; %bb.34:
	s_clause 0x3
	global_load_b32 v22, v[6:7], off offset:256
	global_load_b32 v23, v[2:3], off offset:256
	;; [unrolled: 1-line block ×4, first 2 shown]
	s_mov_b32 s2, exec_lo
	s_waitcnt vmcnt(3)
	v_fmac_f32_e32 v15, v10, v22
	s_waitcnt vmcnt(2)
	s_delay_alu instid0(VALU_DEP_1) | instskip(SKIP_1) | instid1(VALU_DEP_1)
	v_dual_fmac_f32 v15, v11, v23 :: v_dual_add_nc_u32 v22, 0x80, v18
	s_waitcnt vmcnt(1)
	v_fmac_f32_e32 v15, v20, v24
	s_delay_alu instid0(VALU_DEP_2)
	v_cmpx_gt_i32_e64 s6, v22
	s_cbranch_execz .LBB14_38
; %bb.35:
	s_clause 0x3
	global_load_b32 v23, v[6:7], off offset:512
	global_load_b32 v24, v[2:3], off offset:512
	;; [unrolled: 1-line block ×4, first 2 shown]
	v_add_nc_u32_e32 v18, 0xc0, v18
	s_mov_b32 s3, exec_lo
	s_waitcnt vmcnt(3)
	v_fmac_f32_e32 v16, v10, v23
	s_waitcnt vmcnt(2)
	s_delay_alu instid0(VALU_DEP_1) | instskip(SKIP_1) | instid1(VALU_DEP_1)
	v_fmac_f32_e32 v16, v11, v24
	s_waitcnt vmcnt(1)
	v_fmac_f32_e32 v16, v20, v25
	v_cmpx_gt_i32_e64 s6, v18
	s_cbranch_execz .LBB14_37
; %bb.36:
	s_clause 0x3
	global_load_b32 v6, v[6:7], off offset:768
	global_load_b32 v2, v[2:3], off offset:768
	;; [unrolled: 1-line block ×4, first 2 shown]
	s_waitcnt vmcnt(3)
	v_fmac_f32_e32 v17, v10, v6
	s_waitcnt vmcnt(2)
	s_delay_alu instid0(VALU_DEP_1) | instskip(SKIP_1) | instid1(VALU_DEP_1)
	v_fmac_f32_e32 v17, v11, v2
	s_waitcnt vmcnt(1)
	v_fmac_f32_e32 v17, v20, v3
	s_waitcnt vmcnt(0)
	s_delay_alu instid0(VALU_DEP_1)
	v_fmac_f32_e32 v17, v12, v4
.LBB14_37:
	s_or_b32 exec_lo, exec_lo, s3
	s_waitcnt vmcnt(0)
	v_fmac_f32_e32 v16, v12, v22
.LBB14_38:
	s_or_b32 exec_lo, exec_lo, s2
	s_waitcnt vmcnt(0)
	v_fmac_f32_e32 v15, v12, v21
.LBB14_39:
	s_or_b32 exec_lo, exec_lo, s0
	s_waitcnt vmcnt(0)
	v_fmac_f32_e32 v14, v12, v19
.LBB14_40:
	s_or_b32 exec_lo, exec_lo, s1
.LBB14_41:
	v_lshlrev_b32_e32 v2, 8, v13
	s_mov_b32 s0, exec_lo
                                        ; implicit-def: $vgpr3
                                        ; implicit-def: $vgpr4_vgpr5
	s_delay_alu instid0(VALU_DEP_1)
	v_add_lshl_u32 v1, v2, v1, 2
	ds_store_2addr_stride64_b32 v1, v14, v15 offset1:1
	ds_store_2addr_stride64_b32 v1, v16, v17 offset0:2 offset1:3
	s_waitcnt vmcnt(0) lgkmcnt(0)
	s_barrier
	buffer_gl0_inv
	v_cmpx_gt_u32_e32 0x100, v0
	s_cbranch_execz .LBB14_47
; %bb.42:
	v_lshlrev_b32_e32 v7, 2, v0
	s_mov_b32 s2, s16
	s_mov_b32 s1, exec_lo
	ds_load_2addr_stride64_b32 v[1:2], v7 offset1:4
	ds_load_2addr_stride64_b32 v[3:4], v7 offset0:8 offset1:12
	ds_load_2addr_stride64_b32 v[5:6], v7 offset0:16 offset1:20
	s_waitcnt lgkmcnt(2)
	v_add_f32_e32 v8, v1, v2
	ds_load_2addr_stride64_b32 v[1:2], v7 offset0:24 offset1:28
	s_waitcnt lgkmcnt(2)
	v_add_f32_e32 v3, v3, v8
	s_delay_alu instid0(VALU_DEP_1) | instskip(SKIP_3) | instid1(VALU_DEP_1)
	v_add_f32_e32 v8, v4, v3
	ds_load_2addr_stride64_b32 v[3:4], v7 offset0:32 offset1:36
	s_waitcnt lgkmcnt(2)
	v_add_f32_e32 v5, v5, v8
	v_add_f32_e32 v8, v6, v5
	ds_load_2addr_stride64_b32 v[5:6], v7 offset0:40 offset1:44
	s_waitcnt lgkmcnt(2)
	v_add_f32_e32 v1, v1, v8
	s_delay_alu instid0(VALU_DEP_1) | instskip(SKIP_1) | instid1(VALU_DEP_1)
	v_add_f32_e32 v1, v2, v1
	s_waitcnt lgkmcnt(1)
	v_add_f32_e32 v3, v3, v1
	ds_load_2addr_stride64_b32 v[1:2], v7 offset0:48 offset1:52
	v_add_f32_e32 v3, v4, v3
	s_waitcnt lgkmcnt(1)
	s_delay_alu instid0(VALU_DEP_1) | instskip(SKIP_3) | instid1(VALU_DEP_1)
	v_add_f32_e32 v5, v5, v3
	ds_load_2addr_stride64_b32 v[3:4], v7 offset0:56 offset1:60
	v_add_f32_e32 v5, v6, v5
	s_waitcnt lgkmcnt(1)
	v_add_f32_e32 v1, v1, v5
	s_delay_alu instid0(VALU_DEP_1) | instskip(SKIP_1) | instid1(VALU_DEP_1)
	v_add_f32_e32 v1, v2, v1
	s_waitcnt lgkmcnt(0)
	v_add_f32_e32 v2, v3, v1
	v_or_b32_e32 v1, s5, v0
                                        ; implicit-def: $vgpr3
	s_delay_alu instid0(VALU_DEP_2)
	v_add_f32_e32 v0, v4, v2
                                        ; implicit-def: $vgpr4_vgpr5
	ds_store_b32 v7, v0
	v_cmpx_gt_i32_e64 s6, v1
	s_cbranch_execz .LBB14_46
; %bb.43:
	v_mul_lo_u32 v4, v1, s17
	v_cmp_eq_f32_e64 s2, s12, 0
	v_mul_f32_e32 v3, s13, v0
	s_delay_alu instid0(VALU_DEP_2) | instskip(NEXT) | instid1(VALU_DEP_3)
	s_and_b32 vcc_lo, exec_lo, s2
	v_ashrrev_i32_e32 v5, 31, v4
	s_cbranch_vccnz .LBB14_45
; %bb.44:
	s_delay_alu instid0(VALU_DEP_1) | instskip(NEXT) | instid1(VALU_DEP_1)
	v_lshlrev_b64 v[0:1], 2, v[4:5]
	v_add_co_u32 v0, vcc_lo, s8, v0
	s_delay_alu instid0(VALU_DEP_2)
	v_add_co_ci_u32_e32 v1, vcc_lo, s9, v1, vcc_lo
	global_load_b32 v0, v[0:1], off
	s_waitcnt vmcnt(0)
	v_fmac_f32_e32 v3, s12, v0
.LBB14_45:
	s_or_b32 s2, s16, exec_lo
.LBB14_46:
	s_or_b32 exec_lo, exec_lo, s1
	s_delay_alu instid0(SALU_CYCLE_1) | instskip(SKIP_1) | instid1(SALU_CYCLE_1)
	s_and_not1_b32 s1, s16, exec_lo
	s_and_b32 s2, s2, exec_lo
	s_or_b32 s16, s1, s2
.LBB14_47:
	s_or_b32 exec_lo, exec_lo, s0
.LBB14_48:
	s_and_saveexec_b32 s0, s16
	s_cbranch_execz .LBB14_50
; %bb.49:
	v_lshlrev_b64 v[0:1], 2, v[4:5]
	s_delay_alu instid0(VALU_DEP_1) | instskip(NEXT) | instid1(VALU_DEP_2)
	v_add_co_u32 v0, vcc_lo, s8, v0
	v_add_co_ci_u32_e32 v1, vcc_lo, s9, v1, vcc_lo
	global_store_b32 v[0:1], v3, off
.LBB14_50:
	s_nop 0
	s_sendmsg sendmsg(MSG_DEALLOC_VGPRS)
	s_endpgm
	.section	.rodata,"a",@progbits
	.p2align	6, 0x0
	.amdhsa_kernel _ZL20rocblas_gemvn_kernelILi64ELi16EifPKffEviiT3_lPKT2_lT1_lS5_lS6_lS2_lPT4_lS6_li
		.amdhsa_group_segment_fixed_size 16384
		.amdhsa_private_segment_fixed_size 0
		.amdhsa_kernarg_size 400
		.amdhsa_user_sgpr_count 14
		.amdhsa_user_sgpr_dispatch_ptr 0
		.amdhsa_user_sgpr_queue_ptr 0
		.amdhsa_user_sgpr_kernarg_segment_ptr 1
		.amdhsa_user_sgpr_dispatch_id 0
		.amdhsa_user_sgpr_private_segment_size 0
		.amdhsa_wavefront_size32 1
		.amdhsa_uses_dynamic_stack 0
		.amdhsa_enable_private_segment 0
		.amdhsa_system_sgpr_workgroup_id_x 1
		.amdhsa_system_sgpr_workgroup_id_y 0
		.amdhsa_system_sgpr_workgroup_id_z 1
		.amdhsa_system_sgpr_workgroup_info 0
		.amdhsa_system_vgpr_workitem_id 1
		.amdhsa_next_free_vgpr 41
		.amdhsa_next_free_sgpr 28
		.amdhsa_reserve_vcc 1
		.amdhsa_float_round_mode_32 0
		.amdhsa_float_round_mode_16_64 0
		.amdhsa_float_denorm_mode_32 3
		.amdhsa_float_denorm_mode_16_64 3
		.amdhsa_dx10_clamp 1
		.amdhsa_ieee_mode 1
		.amdhsa_fp16_overflow 0
		.amdhsa_workgroup_processor_mode 1
		.amdhsa_memory_ordered 1
		.amdhsa_forward_progress 0
		.amdhsa_shared_vgpr_count 0
		.amdhsa_exception_fp_ieee_invalid_op 0
		.amdhsa_exception_fp_denorm_src 0
		.amdhsa_exception_fp_ieee_div_zero 0
		.amdhsa_exception_fp_ieee_overflow 0
		.amdhsa_exception_fp_ieee_underflow 0
		.amdhsa_exception_fp_ieee_inexact 0
		.amdhsa_exception_int_div_zero 0
	.end_amdhsa_kernel
	.section	.text._ZL20rocblas_gemvn_kernelILi64ELi16EifPKffEviiT3_lPKT2_lT1_lS5_lS6_lS2_lPT4_lS6_li,"axG",@progbits,_ZL20rocblas_gemvn_kernelILi64ELi16EifPKffEviiT3_lPKT2_lT1_lS5_lS6_lS2_lPT4_lS6_li,comdat
.Lfunc_end14:
	.size	_ZL20rocblas_gemvn_kernelILi64ELi16EifPKffEviiT3_lPKT2_lT1_lS5_lS6_lS2_lPT4_lS6_li, .Lfunc_end14-_ZL20rocblas_gemvn_kernelILi64ELi16EifPKffEviiT3_lPKT2_lT1_lS5_lS6_lS2_lPT4_lS6_li
                                        ; -- End function
	.section	.AMDGPU.csdata,"",@progbits
; Kernel info:
; codeLenInByte = 3052
; NumSgprs: 30
; NumVgprs: 41
; ScratchSize: 0
; MemoryBound: 0
; FloatMode: 240
; IeeeMode: 1
; LDSByteSize: 16384 bytes/workgroup (compile time only)
; SGPRBlocks: 3
; VGPRBlocks: 5
; NumSGPRsForWavesPerEU: 30
; NumVGPRsForWavesPerEU: 41
; Occupancy: 16
; WaveLimiterHint : 1
; COMPUTE_PGM_RSRC2:SCRATCH_EN: 0
; COMPUTE_PGM_RSRC2:USER_SGPR: 14
; COMPUTE_PGM_RSRC2:TRAP_HANDLER: 0
; COMPUTE_PGM_RSRC2:TGID_X_EN: 1
; COMPUTE_PGM_RSRC2:TGID_Y_EN: 0
; COMPUTE_PGM_RSRC2:TGID_Z_EN: 1
; COMPUTE_PGM_RSRC2:TIDIG_COMP_CNT: 1
	.section	.text._ZL20rocblas_gemvn_kernelILi64ELi16ElfPKffEviiT3_lPKT2_lT1_lS5_lS6_lS2_lPT4_lS6_li,"axG",@progbits,_ZL20rocblas_gemvn_kernelILi64ELi16ElfPKffEviiT3_lPKT2_lT1_lS5_lS6_lS2_lPT4_lS6_li,comdat
	.globl	_ZL20rocblas_gemvn_kernelILi64ELi16ElfPKffEviiT3_lPKT2_lT1_lS5_lS6_lS2_lPT4_lS6_li ; -- Begin function _ZL20rocblas_gemvn_kernelILi64ELi16ElfPKffEviiT3_lPKT2_lT1_lS5_lS6_lS2_lPT4_lS6_li
	.p2align	8
	.type	_ZL20rocblas_gemvn_kernelILi64ELi16ElfPKffEviiT3_lPKT2_lT1_lS5_lS6_lS2_lPT4_lS6_li,@function
_ZL20rocblas_gemvn_kernelILi64ELi16ElfPKffEviiT3_lPKT2_lT1_lS5_lS6_lS2_lPT4_lS6_li: ; @_ZL20rocblas_gemvn_kernelILi64ELi16ElfPKffEviiT3_lPKT2_lT1_lS5_lS6_lS2_lPT4_lS6_li
; %bb.0:
	s_load_b64 s[2:3], s[0:1], 0x9c
	s_waitcnt lgkmcnt(0)
	s_lshr_b32 s4, s2, 16
	s_and_b32 s2, s2, 0xffff
	s_and_b32 s3, s3, 0xffff
	s_mul_i32 s2, s4, s2
	s_delay_alu instid0(SALU_CYCLE_1) | instskip(NEXT) | instid1(SALU_CYCLE_1)
	s_mul_i32 s2, s2, s3
	s_cmpk_lg_i32 s2, 0x400
	s_cbranch_scc1 .LBB15_50
; %bb.1:
	s_clause 0x1
	s_load_b512 s[36:51], s[0:1], 0x8
	s_load_b512 s[16:31], s[0:1], 0x48
	s_waitcnt lgkmcnt(0)
	s_mul_i32 s3, s15, s39
	s_mul_hi_u32 s4, s15, s38
	s_mul_i32 s2, s15, s38
	s_add_i32 s3, s4, s3
	s_mul_i32 s4, s15, s23
	s_lshl_b64 s[2:3], s[2:3], 2
	s_mul_hi_u32 s5, s15, s22
	s_add_u32 s2, s36, s2
	s_addc_u32 s3, s37, s3
	s_add_i32 s5, s5, s4
	s_mul_i32 s4, s15, s22
	s_mov_b32 s23, 0
	s_lshl_b64 s[4:5], s[4:5], 2
	s_delay_alu instid0(SALU_CYCLE_1)
	s_add_u32 s4, s20, s4
	s_addc_u32 s5, s21, s5
	s_load_b32 s22, s[2:3], 0x0
	s_load_b32 s21, s[4:5], 0x0
	s_waitcnt lgkmcnt(0)
	v_cmp_eq_f32_e64 s2, s22, 0
	v_cmp_eq_f32_e64 s3, s21, 1.0
	s_delay_alu instid0(VALU_DEP_1) | instskip(NEXT) | instid1(SALU_CYCLE_1)
	s_and_b32 s2, s2, s3
	s_and_b32 vcc_lo, exec_lo, s2
	s_cbranch_vccnz .LBB15_50
; %bb.2:
	s_load_b64 s[6:7], s[0:1], 0x0
	v_and_b32_e32 v12, 0x3ff, v0
	v_bfe_u32 v13, v0, 10, 10
	s_mul_i32 s2, s15, s31
	s_mul_hi_u32 s3, s15, s30
	s_mul_i32 s0, s15, s30
	s_add_i32 s1, s3, s2
	v_lshl_add_u32 v11, v13, 6, v12
	s_lshl_b64 s[0:1], s[0:1], 2
	v_cmp_neq_f32_e64 s4, s22, 0
	s_add_u32 s2, s24, s0
	s_addc_u32 s3, s25, s1
	s_lshl_b64 s[0:1], s[26:27], 2
	s_delay_alu instid0(SALU_CYCLE_1)
	s_add_u32 s5, s2, s0
	v_cmp_gt_u32_e64 s0, 0x100, v11
	s_addc_u32 s20, s3, s1
	s_and_b32 vcc_lo, exec_lo, s4
	s_cbranch_vccnz .LBB15_9
; %bb.3:
	s_mov_b32 s1, 0
                                        ; implicit-def: $vgpr1
                                        ; implicit-def: $vgpr2_vgpr3
	s_and_saveexec_b32 s2, s0
	s_cbranch_execz .LBB15_10
; %bb.4:
	v_lshl_or_b32 v0, s14, 8, v11
	v_mov_b32_e32 v1, 0
	s_waitcnt lgkmcnt(0)
	s_ashr_i32 s9, s6, 31
	s_mov_b32 s8, s6
	s_mov_b32 s3, 0
	s_mov_b32 s0, exec_lo
                                        ; implicit-def: $vgpr2_vgpr3
	v_cmpx_gt_i64_e64 s[8:9], v[0:1]
	s_cbranch_execz .LBB15_8
; %bb.5:
	v_mad_u64_u32 v[2:3], null, v0, s28, 0
	v_cmp_eq_f32_e64 s3, s21, 0
	s_delay_alu instid0(VALU_DEP_1) | instskip(NEXT) | instid1(VALU_DEP_2)
	s_and_b32 vcc_lo, exec_lo, s3
	v_mad_u64_u32 v[4:5], null, v0, s29, v[3:4]
	s_delay_alu instid0(VALU_DEP_1)
	v_mov_b32_e32 v3, v4
	s_cbranch_vccnz .LBB15_7
; %bb.6:
	s_delay_alu instid0(VALU_DEP_1) | instskip(NEXT) | instid1(VALU_DEP_1)
	v_lshlrev_b64 v[0:1], 2, v[2:3]
	v_add_co_u32 v0, vcc_lo, s5, v0
	s_delay_alu instid0(VALU_DEP_2)
	v_add_co_ci_u32_e32 v1, vcc_lo, s20, v1, vcc_lo
	global_load_b32 v0, v[0:1], off
	s_waitcnt vmcnt(0)
	v_mul_f32_e32 v1, s21, v0
.LBB15_7:
	s_mov_b32 s3, exec_lo
.LBB15_8:
	s_or_b32 exec_lo, exec_lo, s0
	s_delay_alu instid0(SALU_CYCLE_1) | instskip(SKIP_1) | instid1(SALU_CYCLE_1)
	s_and_b32 s23, s3, exec_lo
	s_or_b32 exec_lo, exec_lo, s2
	s_and_b32 vcc_lo, exec_lo, s1
	s_cbranch_vccnz .LBB15_11
	s_branch .LBB15_48
.LBB15_9:
                                        ; implicit-def: $vgpr1
                                        ; implicit-def: $vgpr2_vgpr3
	s_cbranch_execnz .LBB15_11
	s_branch .LBB15_48
.LBB15_10:
	s_or_b32 exec_lo, exec_lo, s2
	s_delay_alu instid0(SALU_CYCLE_1)
	s_and_b32 vcc_lo, exec_lo, s1
	s_cbranch_vccz .LBB15_48
.LBB15_11:
	s_mul_i32 s0, s15, s47
	s_mul_hi_u32 s1, s15, s46
	s_lshl_b32 s24, s14, 8
	s_add_i32 s9, s1, s0
	s_waitcnt lgkmcnt(0)
	s_ashr_i32 s1, s7, 31
	v_dual_mov_b32 v14, 0 :: v_dual_lshlrev_b32 v15, 2, v13
	s_lshr_b32 s1, s1, 26
	v_dual_mov_b32 v17, 0 :: v_dual_add_nc_u32 v0, s24, v12
	v_mov_b32_e32 v16, 0
	v_mov_b32_e32 v18, 0
	s_mul_i32 s0, s15, s19
	s_mul_hi_u32 s2, s15, s18
	s_add_i32 s25, s7, s1
	s_mul_i32 s8, s15, s46
	s_and_not1_b32 s25, s25, 63
	s_add_i32 s11, s2, s0
	s_mul_i32 s10, s15, s18
	s_mov_b32 s26, exec_lo
	v_cmpx_gt_i32_e64 s25, v15
	s_cbranch_execz .LBB15_23
; %bb.12:
	v_lshlrev_b32_e32 v14, 2, v13
	v_mad_u64_u32 v[2:3], null, s16, v13, 0
	v_add_nc_u32_e32 v17, 0x80, v0
	s_lshl_b64 s[0:1], s[10:11], 2
	s_delay_alu instid0(VALU_DEP_3)
	v_or_b32_e32 v18, 3, v14
	s_lshl_b64 s[12:13], s[50:51], 2
	s_add_u32 s4, s48, s0
	s_addc_u32 s27, s49, s1
	v_cmp_gt_i32_e64 s1, s6, v17
	v_mad_u64_u32 v[4:5], null, s44, v18, 0
	v_add_nc_u32_e32 v19, 0xc0, v0
	s_lshl_b64 s[18:19], s[42:43], 2
	s_lshl_b64 s[14:15], s[16:17], 8
	;; [unrolled: 1-line block ×3, first 2 shown]
	v_ashrrev_i32_e32 v1, 31, v0
	v_cmp_gt_i32_e64 s2, s6, v19
	s_delay_alu instid0(VALU_DEP_4) | instskip(SKIP_3) | instid1(VALU_DEP_4)
	v_mad_u64_u32 v[6:7], null, s17, v13, v[3:4]
	v_mad_u64_u32 v[7:8], null, s16, v18, 0
	v_add_nc_u32_e32 v16, 64, v0
	v_cmp_gt_i32_e32 vcc_lo, s6, v0
	v_mad_u64_u32 v[9:10], null, s45, v18, v[5:6]
	v_mov_b32_e32 v3, v6
	s_delay_alu instid0(VALU_DEP_4)
	v_cmp_gt_i32_e64 s0, s6, v16
	v_mad_u64_u32 v[29:30], null, s16, v14, s[16:17]
	v_mad_u64_u32 v[31:32], null, s44, v14, s[44:45]
	v_mov_b32_e32 v5, v9
	v_lshlrev_b64 v[16:17], 4, v[2:3]
	v_mov_b32_e32 v3, v8
	v_mad_u64_u32 v[9:10], null, s44, v13, 0
	s_delay_alu instid0(VALU_DEP_4) | instskip(SKIP_2) | instid1(VALU_DEP_1)
	v_lshlrev_b64 v[4:5], 2, v[4:5]
	v_lshlrev_b64 v[1:2], 2, v[0:1]
	v_add_co_u32 v19, s3, s4, v16
	v_add_co_ci_u32_e64 v20, s3, s27, v17, s3
	s_delay_alu instid0(VALU_DEP_4)
	v_mad_u64_u32 v[16:17], null, s17, v18, v[3:4]
	v_or_b32_e32 v18, 2, v14
	s_add_u32 s3, s40, s18
	s_addc_u32 s18, s41, s19
	v_mov_b32_e32 v3, v10
	s_add_u32 s19, s3, s30
	s_addc_u32 s18, s18, s31
	s_delay_alu instid0(VALU_DEP_3)
	v_mov_b32_e32 v8, v16
	v_mad_u64_u32 v[16:17], null, s44, v18, 0
	v_add_co_u32 v21, s3, s19, v4
	v_mad_u64_u32 v[23:24], null, s45, v13, v[3:4]
	v_add_co_ci_u32_e64 v22, s3, s18, v5, s3
	v_lshlrev_b64 v[4:5], 2, v[7:8]
	v_mad_u64_u32 v[27:28], null, s16, v18, 0
	s_delay_alu instid0(VALU_DEP_4) | instskip(NEXT) | instid1(VALU_DEP_3)
	v_dual_mov_b32 v3, v17 :: v_dual_mov_b32 v10, v23
	v_add_co_u32 v23, s3, s4, v4
	s_delay_alu instid0(VALU_DEP_2) | instskip(NEXT) | instid1(VALU_DEP_4)
	v_mad_u64_u32 v[7:8], null, s45, v18, v[3:4]
	v_mov_b32_e32 v6, v28
	v_add_co_ci_u32_e64 v24, s3, s27, v5, s3
	v_lshlrev_b64 v[4:5], 4, v[9:10]
	v_mov_b32_e32 v3, v30
	s_delay_alu instid0(VALU_DEP_4) | instskip(SKIP_1) | instid1(VALU_DEP_3)
	v_mad_u64_u32 v[25:26], null, s17, v18, v[6:7]
	v_mov_b32_e32 v17, v7
	v_mad_u64_u32 v[6:7], null, s17, v14, v[3:4]
	v_dual_mov_b32 v3, v32 :: v_dual_mov_b32 v18, 0
	s_delay_alu instid0(VALU_DEP_4) | instskip(SKIP_1) | instid1(VALU_DEP_1)
	v_mov_b32_e32 v28, v25
	v_add_co_u32 v25, s3, s19, v4
	v_add_co_ci_u32_e64 v26, s3, s18, v5, s3
	v_lshlrev_b64 v[4:5], 2, v[16:17]
	v_mov_b32_e32 v16, 0
	v_dual_mov_b32 v30, v6 :: v_dual_mov_b32 v17, 0
	s_delay_alu instid0(VALU_DEP_3) | instskip(SKIP_2) | instid1(VALU_DEP_4)
	v_mad_u64_u32 v[7:8], null, s45, v14, v[3:4]
	v_lshlrev_b64 v[8:9], 2, v[27:28]
	v_add_co_u32 v27, s3, s19, v4
	v_lshlrev_b64 v[3:4], 2, v[29:30]
	v_add_co_ci_u32_e64 v28, s3, s18, v5, s3
	v_mov_b32_e32 v32, v7
	v_add_co_u32 v29, s3, s4, v8
	s_delay_alu instid0(VALU_DEP_1) | instskip(NEXT) | instid1(VALU_DEP_3)
	v_add_co_ci_u32_e64 v30, s3, s27, v9, s3
	v_lshlrev_b64 v[5:6], 2, v[31:32]
	v_add_co_u32 v31, s3, s4, v3
	s_delay_alu instid0(VALU_DEP_1) | instskip(SKIP_1) | instid1(VALU_DEP_4)
	v_add_co_ci_u32_e64 v32, s3, s27, v4, s3
	v_mov_b32_e32 v14, 0
	v_add_co_u32 v33, s3, s19, v5
	s_delay_alu instid0(VALU_DEP_1)
	v_add_co_ci_u32_e64 v34, s3, s18, v6, s3
	s_lshl_b64 s[18:19], s[44:45], 8
	s_mov_b32 s27, 0
	s_branch .LBB15_17
.LBB15_13:                              ;   in Loop: Header=BB15_17 Depth=1
	s_or_b32 exec_lo, exec_lo, s31
	s_waitcnt vmcnt(3)
	v_fmac_f32_e32 v17, v36, v50
	s_waitcnt vmcnt(2)
	s_delay_alu instid0(VALU_DEP_1) | instskip(SKIP_1) | instid1(VALU_DEP_1)
	v_fmac_f32_e32 v17, v35, v49
	s_waitcnt vmcnt(1)
	v_fmac_f32_e32 v17, v37, v48
	s_waitcnt vmcnt(0)
	s_delay_alu instid0(VALU_DEP_1)
	v_fmac_f32_e32 v17, v38, v47
.LBB15_14:                              ;   in Loop: Header=BB15_17 Depth=1
	s_or_b32 exec_lo, exec_lo, s30
	s_waitcnt vmcnt(3)
	v_fmac_f32_e32 v16, v36, v46
	s_waitcnt vmcnt(2)
	s_delay_alu instid0(VALU_DEP_1) | instskip(SKIP_1) | instid1(VALU_DEP_1)
	v_fmac_f32_e32 v16, v35, v45
	s_waitcnt vmcnt(1)
	v_fmac_f32_e32 v16, v37, v44
	s_waitcnt vmcnt(0)
	s_delay_alu instid0(VALU_DEP_1)
	v_fmac_f32_e32 v16, v38, v43
.LBB15_15:                              ;   in Loop: Header=BB15_17 Depth=1
	s_or_b32 exec_lo, exec_lo, s3
	s_waitcnt vmcnt(3)
	v_fmac_f32_e32 v14, v36, v42
	s_waitcnt vmcnt(2)
	s_delay_alu instid0(VALU_DEP_1) | instskip(SKIP_1) | instid1(VALU_DEP_1)
	v_fmac_f32_e32 v14, v35, v40
	s_waitcnt vmcnt(1)
	v_fmac_f32_e32 v14, v37, v39
	s_waitcnt vmcnt(0)
	s_delay_alu instid0(VALU_DEP_1)
	v_fmac_f32_e32 v14, v38, v41
.LBB15_16:                              ;   in Loop: Header=BB15_17 Depth=1
	s_or_b32 exec_lo, exec_lo, s4
	v_add_co_u32 v19, s3, v19, s14
	s_delay_alu instid0(VALU_DEP_1) | instskip(SKIP_1) | instid1(VALU_DEP_1)
	v_add_co_ci_u32_e64 v20, s3, s15, v20, s3
	v_add_co_u32 v21, s3, v21, s18
	v_add_co_ci_u32_e64 v22, s3, s19, v22, s3
	v_add_co_u32 v23, s3, v23, s14
	s_delay_alu instid0(VALU_DEP_1) | instskip(SKIP_1) | instid1(VALU_DEP_1)
	v_add_co_ci_u32_e64 v24, s3, s15, v24, s3
	v_add_co_u32 v25, s3, v25, s18
	v_add_co_ci_u32_e64 v26, s3, s19, v26, s3
	v_add_co_u32 v27, s3, v27, s18
	s_delay_alu instid0(VALU_DEP_1) | instskip(SKIP_4) | instid1(VALU_DEP_1)
	v_add_co_ci_u32_e64 v28, s3, s19, v28, s3
	v_add_co_u32 v29, s3, v29, s14
	v_add_nc_u32_e32 v15, 64, v15
	v_add_co_ci_u32_e64 v30, s3, s15, v30, s3
	v_add_co_u32 v31, s3, v31, s14
	v_add_co_ci_u32_e64 v32, s3, s15, v32, s3
	s_delay_alu instid0(VALU_DEP_4) | instskip(SKIP_1) | instid1(VALU_DEP_1)
	v_cmp_le_i32_e64 s3, s25, v15
	v_add_co_u32 v33, s4, v33, s18
	v_add_co_ci_u32_e64 v34, s4, s19, v34, s4
	s_delay_alu instid0(VALU_DEP_3) | instskip(NEXT) | instid1(SALU_CYCLE_1)
	s_or_b32 s27, s3, s27
	s_and_not1_b32 exec_lo, exec_lo, s27
	s_cbranch_execz .LBB15_22
.LBB15_17:                              ; =>This Inner Loop Header: Depth=1
	s_and_saveexec_b32 s4, vcc_lo
	s_cbranch_execz .LBB15_16
; %bb.18:                               ;   in Loop: Header=BB15_17 Depth=1
	v_add_co_u32 v3, s3, v19, s12
	s_delay_alu instid0(VALU_DEP_1) | instskip(SKIP_1) | instid1(VALU_DEP_1)
	v_add_co_ci_u32_e64 v4, s3, s13, v20, s3
	v_add_co_u32 v5, s3, v31, s12
	v_add_co_ci_u32_e64 v6, s3, s13, v32, s3
	v_add_co_u32 v7, s3, v29, s12
	s_delay_alu instid0(VALU_DEP_1) | instskip(SKIP_1) | instid1(VALU_DEP_1)
	v_add_co_ci_u32_e64 v8, s3, s13, v30, s3
	v_add_co_u32 v38, s3, v23, s12
	v_add_co_ci_u32_e64 v39, s3, s13, v24, s3
	global_load_b32 v36, v[3:4], off
	global_load_b32 v35, v[5:6], off
	global_load_b32 v37, v[7:8], off
	v_add_co_u32 v3, s3, v25, v1
	s_delay_alu instid0(VALU_DEP_1) | instskip(SKIP_1) | instid1(VALU_DEP_1)
	v_add_co_ci_u32_e64 v4, s3, v26, v2, s3
	v_add_co_u32 v5, s3, v33, v1
	v_add_co_ci_u32_e64 v6, s3, v34, v2, s3
	v_add_co_u32 v7, s3, v27, v1
	s_delay_alu instid0(VALU_DEP_1) | instskip(SKIP_1) | instid1(VALU_DEP_1)
	v_add_co_ci_u32_e64 v8, s3, v28, v2, s3
	v_add_co_u32 v9, s3, v21, v1
	v_add_co_ci_u32_e64 v10, s3, v22, v2, s3
	global_load_b32 v38, v[38:39], off
	global_load_b32 v42, v[3:4], off
	global_load_b32 v40, v[5:6], off
	global_load_b32 v39, v[7:8], off
	global_load_b32 v41, v[9:10], off
	s_and_saveexec_b32 s3, s0
	s_cbranch_execz .LBB15_15
; %bb.19:                               ;   in Loop: Header=BB15_17 Depth=1
	global_load_b32 v46, v[3:4], off offset:256
	global_load_b32 v45, v[5:6], off offset:256
	global_load_b32 v44, v[7:8], off offset:256
	global_load_b32 v43, v[9:10], off offset:256
	s_and_saveexec_b32 s30, s1
	s_cbranch_execz .LBB15_14
; %bb.20:                               ;   in Loop: Header=BB15_17 Depth=1
	global_load_b32 v50, v[3:4], off offset:512
	global_load_b32 v49, v[5:6], off offset:512
	global_load_b32 v48, v[7:8], off offset:512
	global_load_b32 v47, v[9:10], off offset:512
	;; [unrolled: 7-line block ×3, first 2 shown]
	s_waitcnt vmcnt(3)
	v_fmac_f32_e32 v18, v36, v3
	s_waitcnt vmcnt(2)
	s_delay_alu instid0(VALU_DEP_1) | instskip(SKIP_1) | instid1(VALU_DEP_1)
	v_fmac_f32_e32 v18, v35, v4
	s_waitcnt vmcnt(1)
	v_fmac_f32_e32 v18, v37, v5
	s_waitcnt vmcnt(0)
	s_delay_alu instid0(VALU_DEP_1)
	v_fmac_f32_e32 v18, v38, v6
	s_branch .LBB15_13
.LBB15_22:
	s_or_b32 exec_lo, exec_lo, s27
.LBB15_23:
	s_delay_alu instid0(SALU_CYCLE_1) | instskip(SKIP_1) | instid1(SALU_CYCLE_1)
	s_or_b32 exec_lo, exec_lo, s26
	s_sub_i32 s0, s7, s25
	s_cmp_lt_i32 s0, 1
	s_cbranch_scc1 .LBB15_41
; %bb.24:
	v_cmp_gt_i32_e32 vcc_lo, s7, v15
	v_dual_mov_b32 v19, 0 :: v_dual_mov_b32 v20, 0
	v_or_b32_e32 v2, 1, v15
	v_dual_mov_b32 v10, 0 :: v_dual_mov_b32 v9, 0
	s_and_saveexec_b32 s1, vcc_lo
	s_cbranch_execz .LBB15_32
; %bb.25:
	v_mad_u64_u32 v[3:4], null, v15, s16, 0
	s_lshl_b64 s[2:3], s[10:11], 2
	v_dual_mov_b32 v20, 0 :: v_dual_mov_b32 v19, 0
	s_add_u32 s0, s48, s2
	s_addc_u32 s2, s49, s3
	s_lshl_b64 s[10:11], s[50:51], 2
	s_delay_alu instid0(VALU_DEP_2) | instskip(SKIP_3) | instid1(VALU_DEP_1)
	v_dual_mov_b32 v1, v4 :: v_dual_mov_b32 v10, 0
	s_add_u32 s3, s0, s10
	s_addc_u32 s4, s2, s11
	s_mov_b32 s2, exec_lo
	v_mad_u64_u32 v[4:5], null, v15, s17, v[1:2]
	s_delay_alu instid0(VALU_DEP_1) | instskip(NEXT) | instid1(VALU_DEP_1)
	v_lshlrev_b64 v[3:4], 2, v[3:4]
	v_add_co_u32 v3, s0, s3, v3
	s_delay_alu instid0(VALU_DEP_1)
	v_add_co_ci_u32_e64 v4, s0, s4, v4, s0
	global_load_b32 v9, v[3:4], off
	v_cmpx_gt_i32_e64 s7, v2
	s_cbranch_execz .LBB15_31
; %bb.26:
	v_mad_u64_u32 v[3:4], null, v2, s16, 0
	v_mov_b32_e32 v19, 0
	s_mov_b32 s10, exec_lo
	s_delay_alu instid0(VALU_DEP_2) | instskip(NEXT) | instid1(VALU_DEP_1)
	v_dual_mov_b32 v20, 0 :: v_dual_mov_b32 v1, v4
	v_mad_u64_u32 v[4:5], null, v2, s17, v[1:2]
	v_or_b32_e32 v1, 2, v15
	s_delay_alu instid0(VALU_DEP_2) | instskip(NEXT) | instid1(VALU_DEP_1)
	v_lshlrev_b64 v[3:4], 2, v[3:4]
	v_add_co_u32 v3, s0, s3, v3
	s_delay_alu instid0(VALU_DEP_1)
	v_add_co_ci_u32_e64 v4, s0, s4, v4, s0
	global_load_b32 v10, v[3:4], off
	v_cmpx_gt_i32_e64 s7, v1
	s_cbranch_execz .LBB15_30
; %bb.27:
	v_mad_u64_u32 v[3:4], null, v1, s16, 0
	s_mov_b32 s11, exec_lo
	v_mov_b32_e32 v19, 0
	s_delay_alu instid0(VALU_DEP_2) | instskip(SKIP_1) | instid1(VALU_DEP_2)
	v_mad_u64_u32 v[5:6], null, v1, s17, v[4:5]
	v_or_b32_e32 v1, 3, v15
	v_mov_b32_e32 v4, v5
	s_delay_alu instid0(VALU_DEP_1) | instskip(NEXT) | instid1(VALU_DEP_1)
	v_lshlrev_b64 v[3:4], 2, v[3:4]
	v_add_co_u32 v3, s0, s3, v3
	s_delay_alu instid0(VALU_DEP_1)
	v_add_co_ci_u32_e64 v4, s0, s4, v4, s0
	global_load_b32 v20, v[3:4], off
	v_cmpx_gt_i32_e64 s7, v1
	s_cbranch_execz .LBB15_29
; %bb.28:
	v_mad_u64_u32 v[3:4], null, v1, s16, 0
	s_delay_alu instid0(VALU_DEP_1) | instskip(NEXT) | instid1(VALU_DEP_1)
	v_mad_u64_u32 v[5:6], null, v1, s17, v[4:5]
	v_mov_b32_e32 v4, v5
	s_delay_alu instid0(VALU_DEP_1) | instskip(NEXT) | instid1(VALU_DEP_1)
	v_lshlrev_b64 v[3:4], 2, v[3:4]
	v_add_co_u32 v3, s0, s3, v3
	s_delay_alu instid0(VALU_DEP_1)
	v_add_co_ci_u32_e64 v4, s0, s4, v4, s0
	global_load_b32 v19, v[3:4], off
.LBB15_29:
	s_or_b32 exec_lo, exec_lo, s11
.LBB15_30:
	s_delay_alu instid0(SALU_CYCLE_1)
	s_or_b32 exec_lo, exec_lo, s10
.LBB15_31:
	s_delay_alu instid0(SALU_CYCLE_1)
	s_or_b32 exec_lo, exec_lo, s2
.LBB15_32:
	s_delay_alu instid0(SALU_CYCLE_1) | instskip(NEXT) | instid1(SALU_CYCLE_1)
	s_or_b32 exec_lo, exec_lo, s1
	s_mov_b32 s1, exec_lo
	v_cmpx_gt_i32_e64 s6, v0
	s_cbranch_execz .LBB15_40
; %bb.33:
	v_mad_u64_u32 v[3:4], null, v15, s44, 0
	v_mad_u64_u32 v[5:6], null, v2, s44, 0
	v_ashrrev_i32_e32 v1, 31, v0
	s_lshl_b64 s[2:3], s[8:9], 2
	v_or_b32_e32 v28, 2, v15
	s_add_u32 s0, s40, s2
	s_delay_alu instid0(VALU_DEP_4)
	v_cndmask_b32_e32 v3, 0, v3, vcc_lo
	v_lshlrev_b64 v[21:22], 2, v[0:1]
	v_mad_u64_u32 v[7:8], null, v15, s45, v[4:5]
	s_addc_u32 s4, s41, s3
	s_lshl_b64 s[2:3], s[42:43], 2
	v_or_b32_e32 v15, 3, v15
	s_add_u32 s2, s0, s2
	v_mov_b32_e32 v1, v6
	v_mad_u64_u32 v[23:24], null, v28, s44, 0
	s_delay_alu instid0(VALU_DEP_4) | instskip(SKIP_1) | instid1(VALU_DEP_4)
	v_cndmask_b32_e32 v4, 0, v7, vcc_lo
	v_cmp_gt_i32_e32 vcc_lo, s7, v2
	v_mad_u64_u32 v[25:26], null, v2, s45, v[1:2]
	s_addc_u32 s3, s4, s3
	v_mad_u64_u32 v[6:7], null, v15, s44, 0
	v_cndmask_b32_e32 v26, 0, v5, vcc_lo
	v_lshlrev_b64 v[3:4], 2, v[3:4]
	s_delay_alu instid0(VALU_DEP_4) | instskip(NEXT) | instid1(VALU_DEP_2)
	v_cndmask_b32_e32 v27, 0, v25, vcc_lo
	v_add_co_u32 v1, s0, s2, v3
	s_delay_alu instid0(VALU_DEP_1) | instskip(NEXT) | instid1(VALU_DEP_3)
	v_add_co_ci_u32_e64 v2, s0, s3, v4, s0
	v_lshlrev_b64 v[3:4], 2, v[26:27]
	s_delay_alu instid0(VALU_DEP_3) | instskip(NEXT) | instid1(VALU_DEP_3)
	v_add_co_u32 v1, vcc_lo, v1, v21
	v_add_co_ci_u32_e32 v2, vcc_lo, v2, v22, vcc_lo
	v_cmp_gt_i32_e32 vcc_lo, s7, v28
	v_mov_b32_e32 v5, v24
	v_add_co_u32 v3, s0, s2, v3
	s_delay_alu instid0(VALU_DEP_1) | instskip(NEXT) | instid1(VALU_DEP_3)
	v_add_co_ci_u32_e64 v4, s0, s3, v4, s0
	v_mad_u64_u32 v[24:25], null, v28, s45, v[5:6]
	v_mov_b32_e32 v5, v7
	v_cndmask_b32_e32 v7, 0, v23, vcc_lo
	s_mov_b32 s0, exec_lo
	s_delay_alu instid0(VALU_DEP_3)
	v_cndmask_b32_e32 v8, 0, v24, vcc_lo
	v_add_co_u32 v3, vcc_lo, v3, v21
	v_add_co_ci_u32_e32 v4, vcc_lo, v4, v22, vcc_lo
	v_mad_u64_u32 v[23:24], null, v15, s45, v[5:6]
	s_clause 0x1
	global_load_b32 v24, v[1:2], off
	global_load_b32 v25, v[3:4], off
	v_cmp_gt_i32_e32 vcc_lo, s7, v15
	s_waitcnt vmcnt(1)
	v_fmac_f32_e32 v14, v9, v24
	s_waitcnt vmcnt(0)
	s_delay_alu instid0(VALU_DEP_1) | instskip(SKIP_2) | instid1(VALU_DEP_2)
	v_fmac_f32_e32 v14, v10, v25
	v_lshlrev_b64 v[7:8], 2, v[7:8]
	v_dual_cndmask_b32 v5, 0, v6 :: v_dual_cndmask_b32 v6, 0, v23
	v_add_co_u32 v15, vcc_lo, s2, v7
	s_delay_alu instid0(VALU_DEP_3) | instskip(NEXT) | instid1(VALU_DEP_3)
	v_add_co_ci_u32_e32 v23, vcc_lo, s3, v8, vcc_lo
	v_lshlrev_b64 v[7:8], 2, v[5:6]
	s_delay_alu instid0(VALU_DEP_3) | instskip(NEXT) | instid1(VALU_DEP_3)
	v_add_co_u32 v5, vcc_lo, v15, v21
	v_add_co_ci_u32_e32 v6, vcc_lo, v23, v22, vcc_lo
	s_delay_alu instid0(VALU_DEP_3) | instskip(NEXT) | instid1(VALU_DEP_4)
	v_add_co_u32 v7, vcc_lo, s2, v7
	v_add_co_ci_u32_e32 v8, vcc_lo, s3, v8, vcc_lo
	global_load_b32 v23, v[5:6], off
	v_add_co_u32 v7, vcc_lo, v7, v21
	v_add_co_ci_u32_e32 v8, vcc_lo, v8, v22, vcc_lo
	v_add_nc_u32_e32 v21, 64, v0
	global_load_b32 v15, v[7:8], off
	s_waitcnt vmcnt(1)
	v_fmac_f32_e32 v14, v20, v23
	v_cmpx_gt_i32_e64 s6, v21
	s_cbranch_execz .LBB15_39
; %bb.34:
	s_clause 0x3
	global_load_b32 v22, v[1:2], off offset:256
	global_load_b32 v23, v[3:4], off offset:256
	;; [unrolled: 1-line block ×4, first 2 shown]
	s_mov_b32 s2, exec_lo
	s_waitcnt vmcnt(3)
	v_fmac_f32_e32 v16, v9, v22
	v_add_nc_u32_e32 v22, 0x80, v0
	s_waitcnt vmcnt(2)
	s_delay_alu instid0(VALU_DEP_2) | instskip(SKIP_1) | instid1(VALU_DEP_1)
	v_fmac_f32_e32 v16, v10, v23
	s_waitcnt vmcnt(1)
	v_fmac_f32_e32 v16, v20, v24
	v_cmpx_gt_i32_e64 s6, v22
	s_cbranch_execz .LBB15_38
; %bb.35:
	s_clause 0x3
	global_load_b32 v23, v[1:2], off offset:512
	global_load_b32 v24, v[3:4], off offset:512
	;; [unrolled: 1-line block ×4, first 2 shown]
	s_mov_b32 s3, exec_lo
	s_waitcnt vmcnt(3)
	v_dual_fmac_f32 v17, v9, v23 :: v_dual_add_nc_u32 v0, 0xc0, v0
	s_waitcnt vmcnt(2)
	s_delay_alu instid0(VALU_DEP_1) | instskip(SKIP_1) | instid1(VALU_DEP_1)
	v_fmac_f32_e32 v17, v10, v24
	s_waitcnt vmcnt(1)
	v_fmac_f32_e32 v17, v20, v25
	v_cmpx_gt_i32_e64 s6, v0
	s_cbranch_execz .LBB15_37
; %bb.36:
	s_clause 0x3
	global_load_b32 v0, v[1:2], off offset:768
	global_load_b32 v1, v[3:4], off offset:768
	;; [unrolled: 1-line block ×4, first 2 shown]
	s_waitcnt vmcnt(3)
	v_fmac_f32_e32 v18, v9, v0
	s_waitcnt vmcnt(2)
	s_delay_alu instid0(VALU_DEP_1) | instskip(SKIP_1) | instid1(VALU_DEP_1)
	v_fmac_f32_e32 v18, v10, v1
	s_waitcnt vmcnt(1)
	v_fmac_f32_e32 v18, v20, v2
	s_waitcnt vmcnt(0)
	s_delay_alu instid0(VALU_DEP_1)
	v_fmac_f32_e32 v18, v19, v3
.LBB15_37:
	s_or_b32 exec_lo, exec_lo, s3
	s_waitcnt vmcnt(0)
	v_fmac_f32_e32 v17, v19, v22
.LBB15_38:
	s_or_b32 exec_lo, exec_lo, s2
	s_waitcnt vmcnt(0)
	v_fmac_f32_e32 v16, v19, v21
.LBB15_39:
	s_or_b32 exec_lo, exec_lo, s0
	s_waitcnt vmcnt(0)
	v_fmac_f32_e32 v14, v19, v15
.LBB15_40:
	s_or_b32 exec_lo, exec_lo, s1
.LBB15_41:
	v_lshlrev_b32_e32 v0, 8, v13
	s_mov_b32 s0, exec_lo
                                        ; implicit-def: $vgpr1
                                        ; implicit-def: $vgpr2_vgpr3
	s_delay_alu instid0(VALU_DEP_1)
	v_add_lshl_u32 v0, v0, v12, 2
	ds_store_2addr_stride64_b32 v0, v14, v16 offset1:1
	ds_store_2addr_stride64_b32 v0, v17, v18 offset0:2 offset1:3
	s_waitcnt vmcnt(0) lgkmcnt(0)
	s_barrier
	buffer_gl0_inv
	v_cmpx_gt_u32_e32 0x100, v11
	s_cbranch_execz .LBB15_47
; %bb.42:
	v_lshlrev_b32_e32 v6, 2, v11
	s_mov_b32 s2, s23
	s_mov_b32 s1, exec_lo
	ds_load_2addr_stride64_b32 v[0:1], v6 offset1:4
	ds_load_2addr_stride64_b32 v[2:3], v6 offset0:8 offset1:12
	ds_load_2addr_stride64_b32 v[4:5], v6 offset0:16 offset1:20
	s_waitcnt lgkmcnt(2)
	v_add_f32_e32 v7, v0, v1
	ds_load_2addr_stride64_b32 v[0:1], v6 offset0:24 offset1:28
	s_waitcnt lgkmcnt(2)
	v_add_f32_e32 v2, v2, v7
	s_delay_alu instid0(VALU_DEP_1) | instskip(SKIP_3) | instid1(VALU_DEP_1)
	v_add_f32_e32 v7, v3, v2
	ds_load_2addr_stride64_b32 v[2:3], v6 offset0:32 offset1:36
	s_waitcnt lgkmcnt(2)
	v_add_f32_e32 v4, v4, v7
	v_add_f32_e32 v7, v5, v4
	ds_load_2addr_stride64_b32 v[4:5], v6 offset0:40 offset1:44
	s_waitcnt lgkmcnt(2)
	v_add_f32_e32 v0, v0, v7
	s_delay_alu instid0(VALU_DEP_1) | instskip(SKIP_1) | instid1(VALU_DEP_1)
	v_add_f32_e32 v0, v1, v0
	s_waitcnt lgkmcnt(1)
	v_add_f32_e32 v2, v2, v0
	ds_load_2addr_stride64_b32 v[0:1], v6 offset0:48 offset1:52
	v_add_f32_e32 v2, v3, v2
	s_waitcnt lgkmcnt(1)
	s_delay_alu instid0(VALU_DEP_1) | instskip(SKIP_3) | instid1(VALU_DEP_1)
	v_add_f32_e32 v4, v4, v2
	ds_load_2addr_stride64_b32 v[2:3], v6 offset0:56 offset1:60
	v_add_f32_e32 v4, v5, v4
	s_waitcnt lgkmcnt(1)
	v_add_f32_e32 v0, v0, v4
	v_or_b32_e32 v4, s24, v11
	s_delay_alu instid0(VALU_DEP_2) | instskip(SKIP_1) | instid1(VALU_DEP_1)
	v_add_f32_e32 v0, v1, v0
                                        ; implicit-def: $vgpr1
	s_waitcnt lgkmcnt(0)
	v_add_f32_e32 v0, v2, v0
	s_delay_alu instid0(VALU_DEP_1)
	v_add_f32_e32 v0, v3, v0
                                        ; implicit-def: $vgpr2_vgpr3
	ds_store_b32 v6, v0
	v_cmpx_gt_i32_e64 s6, v4
	s_cbranch_execz .LBB15_46
; %bb.43:
	v_ashrrev_i32_e32 v1, 31, v4
	v_mul_lo_u32 v5, v4, s29
	v_mad_u64_u32 v[2:3], null, v4, s28, 0
	v_cmp_eq_f32_e64 s2, s21, 0
	s_delay_alu instid0(VALU_DEP_4) | instskip(SKIP_1) | instid1(VALU_DEP_3)
	v_mul_lo_u32 v4, v1, s28
	v_mul_f32_e32 v1, s22, v0
	s_and_b32 vcc_lo, exec_lo, s2
	s_delay_alu instid0(VALU_DEP_2)
	v_add3_u32 v3, v3, v5, v4
	s_cbranch_vccnz .LBB15_45
; %bb.44:
	s_delay_alu instid0(VALU_DEP_1) | instskip(NEXT) | instid1(VALU_DEP_1)
	v_lshlrev_b64 v[4:5], 2, v[2:3]
	v_add_co_u32 v4, vcc_lo, s5, v4
	s_delay_alu instid0(VALU_DEP_2)
	v_add_co_ci_u32_e32 v5, vcc_lo, s20, v5, vcc_lo
	global_load_b32 v0, v[4:5], off
	s_waitcnt vmcnt(0)
	v_fmac_f32_e32 v1, s21, v0
.LBB15_45:
	s_or_b32 s2, s23, exec_lo
.LBB15_46:
	s_or_b32 exec_lo, exec_lo, s1
	s_delay_alu instid0(SALU_CYCLE_1) | instskip(SKIP_1) | instid1(SALU_CYCLE_1)
	s_and_not1_b32 s1, s23, exec_lo
	s_and_b32 s2, s2, exec_lo
	s_or_b32 s23, s1, s2
.LBB15_47:
	s_or_b32 exec_lo, exec_lo, s0
.LBB15_48:
	s_and_saveexec_b32 s0, s23
	s_cbranch_execz .LBB15_50
; %bb.49:
	v_lshlrev_b64 v[2:3], 2, v[2:3]
	s_delay_alu instid0(VALU_DEP_1) | instskip(NEXT) | instid1(VALU_DEP_2)
	v_add_co_u32 v2, vcc_lo, s5, v2
	v_add_co_ci_u32_e32 v3, vcc_lo, s20, v3, vcc_lo
	global_store_b32 v[2:3], v1, off
.LBB15_50:
	s_nop 0
	s_sendmsg sendmsg(MSG_DEALLOC_VGPRS)
	s_endpgm
	.section	.rodata,"a",@progbits
	.p2align	6, 0x0
	.amdhsa_kernel _ZL20rocblas_gemvn_kernelILi64ELi16ElfPKffEviiT3_lPKT2_lT1_lS5_lS6_lS2_lPT4_lS6_li
		.amdhsa_group_segment_fixed_size 16384
		.amdhsa_private_segment_fixed_size 0
		.amdhsa_kernarg_size 400
		.amdhsa_user_sgpr_count 14
		.amdhsa_user_sgpr_dispatch_ptr 0
		.amdhsa_user_sgpr_queue_ptr 0
		.amdhsa_user_sgpr_kernarg_segment_ptr 1
		.amdhsa_user_sgpr_dispatch_id 0
		.amdhsa_user_sgpr_private_segment_size 0
		.amdhsa_wavefront_size32 1
		.amdhsa_uses_dynamic_stack 0
		.amdhsa_enable_private_segment 0
		.amdhsa_system_sgpr_workgroup_id_x 1
		.amdhsa_system_sgpr_workgroup_id_y 0
		.amdhsa_system_sgpr_workgroup_id_z 1
		.amdhsa_system_sgpr_workgroup_info 0
		.amdhsa_system_vgpr_workitem_id 1
		.amdhsa_next_free_vgpr 51
		.amdhsa_next_free_sgpr 52
		.amdhsa_reserve_vcc 1
		.amdhsa_float_round_mode_32 0
		.amdhsa_float_round_mode_16_64 0
		.amdhsa_float_denorm_mode_32 3
		.amdhsa_float_denorm_mode_16_64 3
		.amdhsa_dx10_clamp 1
		.amdhsa_ieee_mode 1
		.amdhsa_fp16_overflow 0
		.amdhsa_workgroup_processor_mode 1
		.amdhsa_memory_ordered 1
		.amdhsa_forward_progress 0
		.amdhsa_shared_vgpr_count 0
		.amdhsa_exception_fp_ieee_invalid_op 0
		.amdhsa_exception_fp_denorm_src 0
		.amdhsa_exception_fp_ieee_div_zero 0
		.amdhsa_exception_fp_ieee_overflow 0
		.amdhsa_exception_fp_ieee_underflow 0
		.amdhsa_exception_fp_ieee_inexact 0
		.amdhsa_exception_int_div_zero 0
	.end_amdhsa_kernel
	.section	.text._ZL20rocblas_gemvn_kernelILi64ELi16ElfPKffEviiT3_lPKT2_lT1_lS5_lS6_lS2_lPT4_lS6_li,"axG",@progbits,_ZL20rocblas_gemvn_kernelILi64ELi16ElfPKffEviiT3_lPKT2_lT1_lS5_lS6_lS2_lPT4_lS6_li,comdat
.Lfunc_end15:
	.size	_ZL20rocblas_gemvn_kernelILi64ELi16ElfPKffEviiT3_lPKT2_lT1_lS5_lS6_lS2_lPT4_lS6_li, .Lfunc_end15-_ZL20rocblas_gemvn_kernelILi64ELi16ElfPKffEviiT3_lPKT2_lT1_lS5_lS6_lS2_lPT4_lS6_li
                                        ; -- End function
	.section	.AMDGPU.csdata,"",@progbits
; Kernel info:
; codeLenInByte = 3496
; NumSgprs: 54
; NumVgprs: 51
; ScratchSize: 0
; MemoryBound: 0
; FloatMode: 240
; IeeeMode: 1
; LDSByteSize: 16384 bytes/workgroup (compile time only)
; SGPRBlocks: 6
; VGPRBlocks: 6
; NumSGPRsForWavesPerEU: 54
; NumVGPRsForWavesPerEU: 51
; Occupancy: 16
; WaveLimiterHint : 0
; COMPUTE_PGM_RSRC2:SCRATCH_EN: 0
; COMPUTE_PGM_RSRC2:USER_SGPR: 14
; COMPUTE_PGM_RSRC2:TRAP_HANDLER: 0
; COMPUTE_PGM_RSRC2:TGID_X_EN: 1
; COMPUTE_PGM_RSRC2:TGID_Y_EN: 0
; COMPUTE_PGM_RSRC2:TGID_Z_EN: 1
; COMPUTE_PGM_RSRC2:TIDIG_COMP_CNT: 1
	.section	.text._ZL20rocblas_gemvn_kernelILi64ELi16EifffEviiT3_lPKT2_lT1_lS3_lS4_lS0_lPT4_lS4_li,"axG",@progbits,_ZL20rocblas_gemvn_kernelILi64ELi16EifffEviiT3_lPKT2_lT1_lS3_lS4_lS0_lPT4_lS4_li,comdat
	.globl	_ZL20rocblas_gemvn_kernelILi64ELi16EifffEviiT3_lPKT2_lT1_lS3_lS4_lS0_lPT4_lS4_li ; -- Begin function _ZL20rocblas_gemvn_kernelILi64ELi16EifffEviiT3_lPKT2_lT1_lS3_lS4_lS0_lPT4_lS4_li
	.p2align	8
	.type	_ZL20rocblas_gemvn_kernelILi64ELi16EifffEviiT3_lPKT2_lT1_lS3_lS4_lS0_lPT4_lS4_li,@function
_ZL20rocblas_gemvn_kernelILi64ELi16EifffEviiT3_lPKT2_lT1_lS3_lS4_lS0_lPT4_lS4_li: ; @_ZL20rocblas_gemvn_kernelILi64ELi16EifffEviiT3_lPKT2_lT1_lS3_lS4_lS0_lPT4_lS4_li
; %bb.0:
	s_load_b64 s[2:3], s[0:1], 0x9c
	s_waitcnt lgkmcnt(0)
	s_lshr_b32 s4, s2, 16
	s_and_b32 s2, s2, 0xffff
	s_and_b32 s3, s3, 0xffff
	s_mul_i32 s2, s4, s2
	s_delay_alu instid0(SALU_CYCLE_1) | instskip(NEXT) | instid1(SALU_CYCLE_1)
	s_mul_i32 s2, s2, s3
	s_cmpk_lg_i32 s2, 0x400
	s_cbranch_scc1 .LBB16_50
; %bb.1:
	s_clause 0x1
	s_load_b128 s[4:7], s[0:1], 0x0
	s_load_b32 s13, s[0:1], 0x58
	s_mov_b32 s16, 0
	s_waitcnt lgkmcnt(0)
	v_cmp_eq_f32_e64 s2, s6, 0
	v_cmp_eq_f32_e64 s3, s13, 1.0
	s_delay_alu instid0(VALU_DEP_1) | instskip(NEXT) | instid1(SALU_CYCLE_1)
	s_and_b32 s2, s2, s3
	s_and_b32 vcc_lo, exec_lo, s2
	s_cbranch_vccnz .LBB16_50
; %bb.2:
	s_clause 0x2
	s_load_b64 s[2:3], s[0:1], 0x80
	s_load_b128 s[8:11], s[0:1], 0x68
	s_load_b32 s17, s[0:1], 0x78
	v_and_b32_e32 v1, 0x3ff, v0
	v_bfe_u32 v13, v0, 10, 10
	v_cmp_neq_f32_e64 s18, s6, 0
	s_delay_alu instid0(VALU_DEP_2)
	v_lshl_add_u32 v0, v13, 6, v1
	s_waitcnt lgkmcnt(0)
	s_mul_i32 s3, s15, s3
	s_mul_hi_u32 s7, s15, s2
	s_mul_i32 s2, s15, s2
	s_add_i32 s3, s7, s3
	s_delay_alu instid0(SALU_CYCLE_1) | instskip(NEXT) | instid1(SALU_CYCLE_1)
	s_lshl_b64 s[2:3], s[2:3], 2
	s_add_u32 s7, s8, s2
	s_addc_u32 s8, s9, s3
	s_lshl_b64 s[2:3], s[10:11], 2
	s_delay_alu instid0(SALU_CYCLE_1)
	s_add_u32 s7, s7, s2
	v_cmp_gt_u32_e64 s2, 0x100, v0
	s_addc_u32 s12, s8, s3
	s_and_b32 vcc_lo, exec_lo, s18
	s_cbranch_vccnz .LBB16_9
; %bb.3:
	s_mov_b32 s3, 0
                                        ; implicit-def: $vgpr3
                                        ; implicit-def: $vgpr4_vgpr5
	s_and_saveexec_b32 s8, s2
	s_cbranch_execz .LBB16_10
; %bb.4:
	v_lshl_or_b32 v2, s14, 8, v0
	v_mov_b32_e32 v3, 0
	s_ashr_i32 s11, s4, 31
	s_mov_b32 s10, s4
	s_mov_b32 s9, 0
	s_mov_b32 s2, exec_lo
                                        ; implicit-def: $vgpr4_vgpr5
	v_cmpx_gt_i64_e64 s[10:11], v[2:3]
	s_cbranch_execz .LBB16_8
; %bb.5:
	v_mad_u64_u32 v[4:5], null, s17, v2, 0
	s_ashr_i32 s9, s17, 31
	s_delay_alu instid0(VALU_DEP_1) | instid1(SALU_CYCLE_1)
	v_mad_u64_u32 v[6:7], null, s9, v2, v[5:6]
	v_cmp_eq_f32_e64 s9, s13, 0
	s_delay_alu instid0(VALU_DEP_1) | instskip(NEXT) | instid1(VALU_DEP_2)
	s_and_b32 vcc_lo, exec_lo, s9
	v_mov_b32_e32 v5, v6
	s_cbranch_vccnz .LBB16_7
; %bb.6:
	s_delay_alu instid0(VALU_DEP_1) | instskip(NEXT) | instid1(VALU_DEP_1)
	v_lshlrev_b64 v[2:3], 2, v[4:5]
	v_add_co_u32 v2, vcc_lo, s7, v2
	s_delay_alu instid0(VALU_DEP_2)
	v_add_co_ci_u32_e32 v3, vcc_lo, s12, v3, vcc_lo
	global_load_b32 v2, v[2:3], off
	s_waitcnt vmcnt(0)
	v_mul_f32_e32 v3, s13, v2
.LBB16_7:
	s_mov_b32 s9, exec_lo
.LBB16_8:
	s_or_b32 exec_lo, exec_lo, s2
	s_delay_alu instid0(SALU_CYCLE_1) | instskip(SKIP_1) | instid1(SALU_CYCLE_1)
	s_and_b32 s16, s9, exec_lo
	s_or_b32 exec_lo, exec_lo, s8
	s_and_b32 vcc_lo, exec_lo, s3
	s_cbranch_vccnz .LBB16_11
	s_branch .LBB16_48
.LBB16_9:
                                        ; implicit-def: $vgpr3
                                        ; implicit-def: $vgpr4_vgpr5
	s_cbranch_execnz .LBB16_11
	s_branch .LBB16_48
.LBB16_10:
	s_or_b32 exec_lo, exec_lo, s8
	s_delay_alu instid0(SALU_CYCLE_1)
	s_and_b32 vcc_lo, exec_lo, s3
	s_cbranch_vccz .LBB16_48
.LBB16_11:
	s_clause 0x4
	s_load_b128 s[8:11], s[0:1], 0x30
	s_load_b64 s[2:3], s[0:1], 0x50
	s_load_b128 s[20:23], s[0:1], 0x18
	s_load_b32 s19, s[0:1], 0x28
	s_load_b64 s[24:25], s[0:1], 0x40
	v_dual_mov_b32 v14, 0 :: v_dual_lshlrev_b32 v19, 2, v13
	v_dual_mov_b32 v15, 0 :: v_dual_mov_b32 v16, 0
	v_mov_b32_e32 v17, 0
	s_waitcnt lgkmcnt(0)
	s_mul_i32 s9, s15, s9
	s_mul_hi_u32 s18, s15, s8
	s_mul_i32 s8, s15, s8
	s_add_i32 s9, s18, s9
	s_mul_i32 s3, s15, s3
	s_lshl_b64 s[8:9], s[8:9], 2
	s_mul_hi_u32 s26, s15, s2
	s_add_u32 s18, s20, s8
	s_addc_u32 s20, s21, s9
	s_lshl_b64 s[8:9], s[22:23], 2
	s_mul_i32 s2, s15, s2
	s_add_u32 s15, s18, s8
	s_load_b32 s8, s[0:1], 0x48
	s_addc_u32 s18, s20, s9
	s_add_i32 s3, s26, s3
	s_mov_b32 s20, exec_lo
	s_lshl_b64 s[0:1], s[2:3], 2
	s_delay_alu instid0(SALU_CYCLE_1) | instskip(SKIP_2) | instid1(SALU_CYCLE_1)
	s_add_u32 s2, s10, s0
	s_addc_u32 s3, s11, s1
	s_lshl_b64 s[0:1], s[24:25], 2
	s_add_u32 s10, s2, s0
	s_addc_u32 s11, s3, s1
	s_ashr_i32 s0, s5, 31
	s_lshl_b32 s9, s14, 8
	s_lshr_b32 s0, s0, 26
	v_add_nc_u32_e32 v18, s9, v1
	s_add_i32 s0, s5, s0
	s_delay_alu instid0(SALU_CYCLE_1) | instskip(NEXT) | instid1(SALU_CYCLE_1)
	s_and_b32 s14, s0, 0xffffffc0
	v_cmpx_gt_i32_e64 s14, v19
	s_cbranch_execz .LBB16_23
; %bb.12:
	v_mul_lo_u32 v3, s19, v19
	v_dual_mov_b32 v15, 0 :: v_dual_add_nc_u32 v2, 64, v18
	v_add_nc_u32_e32 v6, 2, v19
	v_dual_mov_b32 v14, 0 :: v_dual_add_nc_u32 v5, 0xc0, v18
	s_delay_alu instid0(VALU_DEP_3)
	v_cmp_gt_i32_e64 s0, s4, v2
	v_dual_mov_b32 v17, 0 :: v_dual_add_nc_u32 v4, 0x80, v18
	v_add3_u32 v20, v3, s19, v1
	v_mad_u64_u32 v[2:3], null, s19, v6, v[1:2]
	v_cmp_gt_i32_e64 s2, s4, v5
	v_mul_lo_u32 v5, v13, s19
	v_dual_mov_b32 v16, 0 :: v_dual_add_nc_u32 v7, 3, v19
	s_waitcnt lgkmcnt(0)
	v_mul_lo_u32 v8, v13, s8
	v_cmp_gt_i32_e64 s1, s4, v4
	v_mul_lo_u32 v22, s8, v6
	v_mad_u64_u32 v[3:4], null, s19, v7, v[1:2]
	v_lshl_add_u32 v21, v5, 2, v1
	v_mad_u64_u32 v[4:5], null, s8, v19, s[8:9]
	v_mul_lo_u32 v23, s8, v7
	v_cmp_gt_i32_e32 vcc_lo, s4, v18
	v_lshlrev_b32_e32 v24, 2, v8
	s_lshl_b32 s21, s19, 6
	s_lshl_b32 s23, s8, 6
	s_mov_b32 s22, 0
	s_mov_b32 s24, 0
	s_branch .LBB16_17
.LBB16_13:                              ;   in Loop: Header=BB16_17 Depth=1
	s_or_b32 exec_lo, exec_lo, s27
	s_waitcnt vmcnt(3)
	v_fmac_f32_e32 v16, v28, v40
	s_waitcnt vmcnt(2)
	s_delay_alu instid0(VALU_DEP_1) | instskip(SKIP_1) | instid1(VALU_DEP_1)
	v_fmac_f32_e32 v16, v27, v39
	s_waitcnt vmcnt(1)
	v_fmac_f32_e32 v16, v26, v38
	s_waitcnt vmcnt(0)
	s_delay_alu instid0(VALU_DEP_1)
	v_fmac_f32_e32 v16, v25, v37
.LBB16_14:                              ;   in Loop: Header=BB16_17 Depth=1
	s_or_b32 exec_lo, exec_lo, s26
	s_waitcnt vmcnt(3)
	v_fmac_f32_e32 v15, v28, v36
	s_waitcnt vmcnt(2)
	s_delay_alu instid0(VALU_DEP_1) | instskip(SKIP_1) | instid1(VALU_DEP_1)
	v_fmac_f32_e32 v15, v27, v35
	s_waitcnt vmcnt(1)
	v_fmac_f32_e32 v15, v26, v34
	s_waitcnt vmcnt(0)
	s_delay_alu instid0(VALU_DEP_1)
	v_fmac_f32_e32 v15, v25, v33
.LBB16_15:                              ;   in Loop: Header=BB16_17 Depth=1
	s_or_b32 exec_lo, exec_lo, s3
	s_waitcnt vmcnt(3)
	v_fmac_f32_e32 v14, v28, v32
	s_waitcnt vmcnt(2)
	s_delay_alu instid0(VALU_DEP_1) | instskip(SKIP_1) | instid1(VALU_DEP_1)
	v_fmac_f32_e32 v14, v27, v30
	s_waitcnt vmcnt(1)
	v_fmac_f32_e32 v14, v26, v29
	s_waitcnt vmcnt(0)
	s_delay_alu instid0(VALU_DEP_1)
	v_fmac_f32_e32 v14, v25, v31
.LBB16_16:                              ;   in Loop: Header=BB16_17 Depth=1
	s_or_b32 exec_lo, exec_lo, s25
	v_add_nc_u32_e32 v19, 64, v19
	v_add_nc_u32_e32 v20, s21, v20
	;; [unrolled: 1-line block ×5, first 2 shown]
	v_cmp_le_i32_e64 s3, s14, v19
	s_add_i32 s24, s24, s23
	s_delay_alu instid0(VALU_DEP_1) | instskip(NEXT) | instid1(SALU_CYCLE_1)
	s_or_b32 s22, s3, s22
	s_and_not1_b32 exec_lo, exec_lo, s22
	s_cbranch_execz .LBB16_22
.LBB16_17:                              ; =>This Inner Loop Header: Depth=1
	s_and_saveexec_b32 s25, vcc_lo
	s_cbranch_execz .LBB16_16
; %bb.18:                               ;   in Loop: Header=BB16_17 Depth=1
	v_add_nc_u32_e32 v5, s24, v24
	v_add_nc_u32_e32 v7, s24, v4
	v_add_nc_u32_e32 v9, s24, v22
	v_add_nc_u32_e32 v11, s24, v23
	v_add_nc_u32_e32 v25, s9, v21
	v_ashrrev_i32_e32 v6, 31, v5
	v_ashrrev_i32_e32 v8, 31, v7
	;; [unrolled: 1-line block ×5, first 2 shown]
	v_lshlrev_b64 v[5:6], 2, v[5:6]
	v_lshlrev_b64 v[7:8], 2, v[7:8]
	;; [unrolled: 1-line block ×3, first 2 shown]
	s_delay_alu instid0(VALU_DEP_3) | instskip(NEXT) | instid1(VALU_DEP_1)
	v_add_co_u32 v27, s3, s10, v5
	v_add_co_ci_u32_e64 v28, s3, s11, v6, s3
	s_delay_alu instid0(VALU_DEP_4)
	v_add_co_u32 v29, s3, s10, v7
	v_add_nc_u32_e32 v7, s9, v20
	v_add_co_ci_u32_e64 v30, s3, s11, v8, s3
	v_lshlrev_b64 v[5:6], 2, v[11:12]
	v_add_co_u32 v31, s3, s10, v9
	v_add_nc_u32_e32 v11, s9, v2
	v_add_co_ci_u32_e64 v32, s3, s11, v10, s3
	v_lshlrev_b64 v[9:10], 2, v[25:26]
	v_ashrrev_i32_e32 v8, 31, v7
	v_add_nc_u32_e32 v25, s9, v3
	v_add_co_u32 v33, s3, s10, v5
	v_ashrrev_i32_e32 v12, 31, v11
	v_add_co_ci_u32_e64 v34, s3, s11, v6, s3
	v_lshlrev_b64 v[7:8], 2, v[7:8]
	v_add_co_u32 v5, s3, s15, v9
	v_ashrrev_i32_e32 v26, 31, v25
	v_add_co_ci_u32_e64 v6, s3, s18, v10, s3
	v_lshlrev_b64 v[9:10], 2, v[11:12]
	v_add_co_u32 v7, s3, s15, v7
	s_delay_alu instid0(VALU_DEP_4) | instskip(SKIP_1) | instid1(VALU_DEP_4)
	v_lshlrev_b64 v[25:26], 2, v[25:26]
	v_add_co_ci_u32_e64 v8, s3, s18, v8, s3
	v_add_co_u32 v11, s3, s15, v9
	s_delay_alu instid0(VALU_DEP_1) | instskip(NEXT) | instid1(VALU_DEP_4)
	v_add_co_ci_u32_e64 v12, s3, s18, v10, s3
	v_add_co_u32 v9, s3, s15, v25
	s_delay_alu instid0(VALU_DEP_1)
	v_add_co_ci_u32_e64 v10, s3, s18, v26, s3
	s_clause 0x3
	global_load_b32 v28, v[27:28], off
	global_load_b32 v27, v[29:30], off
	;; [unrolled: 1-line block ×4, first 2 shown]
	s_clause 0x3
	global_load_b32 v32, v[5:6], off
	global_load_b32 v30, v[7:8], off
	;; [unrolled: 1-line block ×4, first 2 shown]
	s_and_saveexec_b32 s3, s0
	s_cbranch_execz .LBB16_15
; %bb.19:                               ;   in Loop: Header=BB16_17 Depth=1
	s_clause 0x3
	global_load_b32 v36, v[5:6], off offset:256
	global_load_b32 v35, v[7:8], off offset:256
	global_load_b32 v34, v[11:12], off offset:256
	global_load_b32 v33, v[9:10], off offset:256
	s_and_saveexec_b32 s26, s1
	s_cbranch_execz .LBB16_14
; %bb.20:                               ;   in Loop: Header=BB16_17 Depth=1
	s_clause 0x3
	global_load_b32 v40, v[5:6], off offset:512
	global_load_b32 v39, v[7:8], off offset:512
	global_load_b32 v38, v[11:12], off offset:512
	global_load_b32 v37, v[9:10], off offset:512
	;; [unrolled: 8-line block ×3, first 2 shown]
	s_waitcnt vmcnt(3)
	v_fmac_f32_e32 v17, v28, v5
	s_waitcnt vmcnt(2)
	s_delay_alu instid0(VALU_DEP_1) | instskip(SKIP_1) | instid1(VALU_DEP_1)
	v_fmac_f32_e32 v17, v27, v6
	s_waitcnt vmcnt(1)
	v_fmac_f32_e32 v17, v26, v7
	s_waitcnt vmcnt(0)
	s_delay_alu instid0(VALU_DEP_1)
	v_fmac_f32_e32 v17, v25, v8
	s_branch .LBB16_13
.LBB16_22:
	s_or_b32 exec_lo, exec_lo, s22
.LBB16_23:
	s_delay_alu instid0(SALU_CYCLE_1) | instskip(SKIP_1) | instid1(SALU_CYCLE_1)
	s_or_b32 exec_lo, exec_lo, s20
	s_sub_i32 s0, s5, s14
	s_cmp_lt_i32 s0, 1
	s_cbranch_scc1 .LBB16_41
; %bb.24:
	v_cmp_gt_i32_e32 vcc_lo, s5, v19
	v_dual_mov_b32 v12, 0 :: v_dual_mov_b32 v11, 0
	v_or_b32_e32 v2, 1, v19
	v_mov_b32_e32 v20, 0
	v_mov_b32_e32 v10, 0
	s_and_saveexec_b32 s1, vcc_lo
	s_cbranch_execz .LBB16_32
; %bb.25:
	s_waitcnt lgkmcnt(0)
	v_mul_lo_u32 v3, v19, s8
	v_dual_mov_b32 v11, 0 :: v_dual_mov_b32 v20, 0
	v_mov_b32_e32 v12, 0
	s_mov_b32 s2, exec_lo
	s_delay_alu instid0(VALU_DEP_3) | instskip(NEXT) | instid1(VALU_DEP_1)
	v_ashrrev_i32_e32 v4, 31, v3
	v_lshlrev_b64 v[3:4], 2, v[3:4]
	s_delay_alu instid0(VALU_DEP_1) | instskip(NEXT) | instid1(VALU_DEP_1)
	v_add_co_u32 v3, s0, s10, v3
	v_add_co_ci_u32_e64 v4, s0, s11, v4, s0
	global_load_b32 v10, v[3:4], off
	v_cmpx_gt_i32_e64 s5, v2
	s_cbranch_execz .LBB16_31
; %bb.26:
	v_mul_lo_u32 v3, v2, s8
	v_mov_b32_e32 v20, 0
	v_mov_b32_e32 v12, 0
	s_mov_b32 s3, exec_lo
	s_delay_alu instid0(VALU_DEP_3) | instskip(NEXT) | instid1(VALU_DEP_1)
	v_ashrrev_i32_e32 v4, 31, v3
	v_lshlrev_b64 v[3:4], 2, v[3:4]
	s_delay_alu instid0(VALU_DEP_1) | instskip(NEXT) | instid1(VALU_DEP_1)
	v_add_co_u32 v3, s0, s10, v3
	v_add_co_ci_u32_e64 v4, s0, s11, v4, s0
	global_load_b32 v11, v[3:4], off
	v_or_b32_e32 v3, 2, v19
	s_delay_alu instid0(VALU_DEP_1)
	v_cmpx_gt_i32_e64 s5, v3
	s_cbranch_execz .LBB16_30
; %bb.27:
	v_mul_lo_u32 v3, v3, s8
	v_mov_b32_e32 v12, 0
	s_mov_b32 s14, exec_lo
	s_delay_alu instid0(VALU_DEP_2) | instskip(NEXT) | instid1(VALU_DEP_1)
	v_ashrrev_i32_e32 v4, 31, v3
	v_lshlrev_b64 v[3:4], 2, v[3:4]
	s_delay_alu instid0(VALU_DEP_1) | instskip(NEXT) | instid1(VALU_DEP_1)
	v_add_co_u32 v3, s0, s10, v3
	v_add_co_ci_u32_e64 v4, s0, s11, v4, s0
	global_load_b32 v20, v[3:4], off
	v_or_b32_e32 v3, 3, v19
	s_delay_alu instid0(VALU_DEP_1)
	v_cmpx_gt_i32_e64 s5, v3
	s_cbranch_execz .LBB16_29
; %bb.28:
	v_mul_lo_u32 v3, v3, s8
	s_delay_alu instid0(VALU_DEP_1) | instskip(NEXT) | instid1(VALU_DEP_1)
	v_ashrrev_i32_e32 v4, 31, v3
	v_lshlrev_b64 v[3:4], 2, v[3:4]
	s_delay_alu instid0(VALU_DEP_1) | instskip(NEXT) | instid1(VALU_DEP_1)
	v_add_co_u32 v3, s0, s10, v3
	v_add_co_ci_u32_e64 v4, s0, s11, v4, s0
	global_load_b32 v12, v[3:4], off
.LBB16_29:
	s_or_b32 exec_lo, exec_lo, s14
.LBB16_30:
	s_delay_alu instid0(SALU_CYCLE_1)
	s_or_b32 exec_lo, exec_lo, s3
.LBB16_31:
	s_delay_alu instid0(SALU_CYCLE_1)
	s_or_b32 exec_lo, exec_lo, s2
.LBB16_32:
	s_delay_alu instid0(SALU_CYCLE_1) | instskip(NEXT) | instid1(SALU_CYCLE_1)
	s_or_b32 exec_lo, exec_lo, s1
	s_mov_b32 s1, exec_lo
	v_cmpx_gt_i32_e64 s4, v18
	s_cbranch_execz .LBB16_40
; %bb.33:
	v_mul_lo_u32 v3, v19, s19
	v_mul_lo_u32 v5, v2, s19
	v_or_b32_e32 v4, 2, v19
	v_or_b32_e32 v6, 3, v19
	s_mov_b32 s0, exec_lo
	s_delay_alu instid0(VALU_DEP_2)
	v_mul_lo_u32 v7, v4, s19
	v_cndmask_b32_e32 v3, 0, v3, vcc_lo
	v_cmp_gt_i32_e32 vcc_lo, s5, v2
	v_mul_lo_u32 v8, v6, s19
	v_cndmask_b32_e32 v5, 0, v5, vcc_lo
	v_cmp_gt_i32_e32 vcc_lo, s5, v4
	s_delay_alu instid0(VALU_DEP_2) | instskip(SKIP_2) | instid1(VALU_DEP_3)
	v_add_nc_u32_e32 v4, v5, v18
	v_dual_cndmask_b32 v7, 0, v7 :: v_dual_add_nc_u32 v2, v3, v18
	v_cmp_gt_i32_e32 vcc_lo, s5, v6
	v_ashrrev_i32_e32 v5, 31, v4
	s_delay_alu instid0(VALU_DEP_3) | instskip(SKIP_2) | instid1(VALU_DEP_4)
	v_ashrrev_i32_e32 v3, 31, v2
	v_cndmask_b32_e32 v8, 0, v8, vcc_lo
	v_add_nc_u32_e32 v6, v7, v18
	v_lshlrev_b64 v[4:5], 2, v[4:5]
	s_delay_alu instid0(VALU_DEP_4) | instskip(NEXT) | instid1(VALU_DEP_4)
	v_lshlrev_b64 v[2:3], 2, v[2:3]
	v_add_nc_u32_e32 v8, v8, v18
	s_delay_alu instid0(VALU_DEP_4) | instskip(NEXT) | instid1(VALU_DEP_2)
	v_ashrrev_i32_e32 v7, 31, v6
	v_ashrrev_i32_e32 v9, 31, v8
	s_delay_alu instid0(VALU_DEP_2)
	v_lshlrev_b64 v[21:22], 2, v[6:7]
	v_add_co_u32 v6, vcc_lo, s15, v2
	v_add_co_ci_u32_e32 v7, vcc_lo, s18, v3, vcc_lo
	v_add_co_u32 v2, vcc_lo, s15, v4
	v_add_co_ci_u32_e32 v3, vcc_lo, s18, v5, vcc_lo
	global_load_b32 v23, v[6:7], off
	v_add_co_u32 v4, vcc_lo, s15, v21
	v_add_co_ci_u32_e32 v5, vcc_lo, s18, v22, vcc_lo
	v_lshlrev_b64 v[8:9], 2, v[8:9]
	s_clause 0x1
	global_load_b32 v21, v[2:3], off
	global_load_b32 v22, v[4:5], off
	v_add_co_u32 v8, vcc_lo, s15, v8
	v_add_co_ci_u32_e32 v9, vcc_lo, s18, v9, vcc_lo
	global_load_b32 v19, v[8:9], off
	s_waitcnt vmcnt(3)
	v_fmac_f32_e32 v14, v10, v23
	s_waitcnt vmcnt(2)
	s_delay_alu instid0(VALU_DEP_1) | instskip(SKIP_1) | instid1(VALU_DEP_1)
	v_dual_fmac_f32 v14, v11, v21 :: v_dual_add_nc_u32 v21, 64, v18
	s_waitcnt vmcnt(1)
	v_fmac_f32_e32 v14, v20, v22
	s_delay_alu instid0(VALU_DEP_2)
	v_cmpx_gt_i32_e64 s4, v21
	s_cbranch_execz .LBB16_39
; %bb.34:
	s_clause 0x3
	global_load_b32 v22, v[6:7], off offset:256
	global_load_b32 v23, v[2:3], off offset:256
	;; [unrolled: 1-line block ×4, first 2 shown]
	s_mov_b32 s2, exec_lo
	s_waitcnt vmcnt(3)
	v_fmac_f32_e32 v15, v10, v22
	s_waitcnt vmcnt(2)
	s_delay_alu instid0(VALU_DEP_1) | instskip(SKIP_1) | instid1(VALU_DEP_1)
	v_dual_fmac_f32 v15, v11, v23 :: v_dual_add_nc_u32 v22, 0x80, v18
	s_waitcnt vmcnt(1)
	v_fmac_f32_e32 v15, v20, v24
	s_delay_alu instid0(VALU_DEP_2)
	v_cmpx_gt_i32_e64 s4, v22
	s_cbranch_execz .LBB16_38
; %bb.35:
	s_clause 0x3
	global_load_b32 v23, v[6:7], off offset:512
	global_load_b32 v24, v[2:3], off offset:512
	;; [unrolled: 1-line block ×4, first 2 shown]
	v_add_nc_u32_e32 v18, 0xc0, v18
	s_mov_b32 s3, exec_lo
	s_waitcnt vmcnt(3)
	v_fmac_f32_e32 v16, v10, v23
	s_waitcnt vmcnt(2)
	s_delay_alu instid0(VALU_DEP_1) | instskip(SKIP_1) | instid1(VALU_DEP_1)
	v_fmac_f32_e32 v16, v11, v24
	s_waitcnt vmcnt(1)
	v_fmac_f32_e32 v16, v20, v25
	v_cmpx_gt_i32_e64 s4, v18
	s_cbranch_execz .LBB16_37
; %bb.36:
	s_clause 0x3
	global_load_b32 v6, v[6:7], off offset:768
	global_load_b32 v2, v[2:3], off offset:768
	;; [unrolled: 1-line block ×4, first 2 shown]
	s_waitcnt vmcnt(3)
	v_fmac_f32_e32 v17, v10, v6
	s_waitcnt vmcnt(2)
	s_delay_alu instid0(VALU_DEP_1) | instskip(SKIP_1) | instid1(VALU_DEP_1)
	v_fmac_f32_e32 v17, v11, v2
	s_waitcnt vmcnt(1)
	v_fmac_f32_e32 v17, v20, v3
	s_waitcnt vmcnt(0)
	s_delay_alu instid0(VALU_DEP_1)
	v_fmac_f32_e32 v17, v12, v4
.LBB16_37:
	s_or_b32 exec_lo, exec_lo, s3
	s_waitcnt vmcnt(0)
	v_fmac_f32_e32 v16, v12, v22
.LBB16_38:
	s_or_b32 exec_lo, exec_lo, s2
	s_waitcnt vmcnt(0)
	v_fmac_f32_e32 v15, v12, v21
.LBB16_39:
	s_or_b32 exec_lo, exec_lo, s0
	s_waitcnt vmcnt(0)
	v_fmac_f32_e32 v14, v12, v19
.LBB16_40:
	s_or_b32 exec_lo, exec_lo, s1
.LBB16_41:
	v_lshlrev_b32_e32 v2, 8, v13
	s_mov_b32 s0, exec_lo
                                        ; implicit-def: $vgpr3
                                        ; implicit-def: $vgpr4_vgpr5
	s_delay_alu instid0(VALU_DEP_1)
	v_add_lshl_u32 v1, v2, v1, 2
	ds_store_2addr_stride64_b32 v1, v14, v15 offset1:1
	ds_store_2addr_stride64_b32 v1, v16, v17 offset0:2 offset1:3
	s_waitcnt vmcnt(0) lgkmcnt(0)
	s_barrier
	buffer_gl0_inv
	v_cmpx_gt_u32_e32 0x100, v0
	s_cbranch_execz .LBB16_47
; %bb.42:
	v_lshlrev_b32_e32 v7, 2, v0
	s_mov_b32 s2, s16
	s_mov_b32 s1, exec_lo
	ds_load_2addr_stride64_b32 v[1:2], v7 offset1:4
	ds_load_2addr_stride64_b32 v[3:4], v7 offset0:8 offset1:12
	ds_load_2addr_stride64_b32 v[5:6], v7 offset0:16 offset1:20
	s_waitcnt lgkmcnt(2)
	v_add_f32_e32 v8, v1, v2
	ds_load_2addr_stride64_b32 v[1:2], v7 offset0:24 offset1:28
	s_waitcnt lgkmcnt(2)
	v_add_f32_e32 v3, v3, v8
	s_delay_alu instid0(VALU_DEP_1) | instskip(SKIP_3) | instid1(VALU_DEP_1)
	v_add_f32_e32 v8, v4, v3
	ds_load_2addr_stride64_b32 v[3:4], v7 offset0:32 offset1:36
	s_waitcnt lgkmcnt(2)
	v_add_f32_e32 v5, v5, v8
	v_add_f32_e32 v8, v6, v5
	ds_load_2addr_stride64_b32 v[5:6], v7 offset0:40 offset1:44
	s_waitcnt lgkmcnt(2)
	v_add_f32_e32 v1, v1, v8
	s_delay_alu instid0(VALU_DEP_1) | instskip(SKIP_1) | instid1(VALU_DEP_1)
	v_add_f32_e32 v1, v2, v1
	s_waitcnt lgkmcnt(1)
	v_add_f32_e32 v3, v3, v1
	ds_load_2addr_stride64_b32 v[1:2], v7 offset0:48 offset1:52
	v_add_f32_e32 v3, v4, v3
	s_waitcnt lgkmcnt(1)
	s_delay_alu instid0(VALU_DEP_1) | instskip(SKIP_3) | instid1(VALU_DEP_1)
	v_add_f32_e32 v5, v5, v3
	ds_load_2addr_stride64_b32 v[3:4], v7 offset0:56 offset1:60
	v_add_f32_e32 v5, v6, v5
	s_waitcnt lgkmcnt(1)
	v_add_f32_e32 v1, v1, v5
	s_delay_alu instid0(VALU_DEP_1) | instskip(SKIP_1) | instid1(VALU_DEP_1)
	v_add_f32_e32 v1, v2, v1
	s_waitcnt lgkmcnt(0)
	v_add_f32_e32 v2, v3, v1
	v_or_b32_e32 v1, s9, v0
                                        ; implicit-def: $vgpr3
	s_delay_alu instid0(VALU_DEP_2)
	v_add_f32_e32 v0, v4, v2
                                        ; implicit-def: $vgpr4_vgpr5
	ds_store_b32 v7, v0
	v_cmpx_gt_i32_e64 s4, v1
	s_cbranch_execz .LBB16_46
; %bb.43:
	v_mul_lo_u32 v4, v1, s17
	v_cmp_eq_f32_e64 s2, s13, 0
	v_mul_f32_e32 v3, s6, v0
	s_delay_alu instid0(VALU_DEP_2) | instskip(NEXT) | instid1(VALU_DEP_3)
	s_and_b32 vcc_lo, exec_lo, s2
	v_ashrrev_i32_e32 v5, 31, v4
	s_cbranch_vccnz .LBB16_45
; %bb.44:
	s_delay_alu instid0(VALU_DEP_1) | instskip(NEXT) | instid1(VALU_DEP_1)
	v_lshlrev_b64 v[0:1], 2, v[4:5]
	v_add_co_u32 v0, vcc_lo, s7, v0
	s_delay_alu instid0(VALU_DEP_2)
	v_add_co_ci_u32_e32 v1, vcc_lo, s12, v1, vcc_lo
	global_load_b32 v0, v[0:1], off
	s_waitcnt vmcnt(0)
	v_fmac_f32_e32 v3, s13, v0
.LBB16_45:
	s_or_b32 s2, s16, exec_lo
.LBB16_46:
	s_or_b32 exec_lo, exec_lo, s1
	s_delay_alu instid0(SALU_CYCLE_1) | instskip(SKIP_1) | instid1(SALU_CYCLE_1)
	s_and_not1_b32 s1, s16, exec_lo
	s_and_b32 s2, s2, exec_lo
	s_or_b32 s16, s1, s2
.LBB16_47:
	s_or_b32 exec_lo, exec_lo, s0
.LBB16_48:
	s_and_saveexec_b32 s0, s16
	s_cbranch_execz .LBB16_50
; %bb.49:
	v_lshlrev_b64 v[0:1], 2, v[4:5]
	s_delay_alu instid0(VALU_DEP_1) | instskip(NEXT) | instid1(VALU_DEP_2)
	v_add_co_u32 v0, vcc_lo, s7, v0
	v_add_co_ci_u32_e32 v1, vcc_lo, s12, v1, vcc_lo
	global_store_b32 v[0:1], v3, off
.LBB16_50:
	s_nop 0
	s_sendmsg sendmsg(MSG_DEALLOC_VGPRS)
	s_endpgm
	.section	.rodata,"a",@progbits
	.p2align	6, 0x0
	.amdhsa_kernel _ZL20rocblas_gemvn_kernelILi64ELi16EifffEviiT3_lPKT2_lT1_lS3_lS4_lS0_lPT4_lS4_li
		.amdhsa_group_segment_fixed_size 16384
		.amdhsa_private_segment_fixed_size 0
		.amdhsa_kernarg_size 400
		.amdhsa_user_sgpr_count 14
		.amdhsa_user_sgpr_dispatch_ptr 0
		.amdhsa_user_sgpr_queue_ptr 0
		.amdhsa_user_sgpr_kernarg_segment_ptr 1
		.amdhsa_user_sgpr_dispatch_id 0
		.amdhsa_user_sgpr_private_segment_size 0
		.amdhsa_wavefront_size32 1
		.amdhsa_uses_dynamic_stack 0
		.amdhsa_enable_private_segment 0
		.amdhsa_system_sgpr_workgroup_id_x 1
		.amdhsa_system_sgpr_workgroup_id_y 0
		.amdhsa_system_sgpr_workgroup_id_z 1
		.amdhsa_system_sgpr_workgroup_info 0
		.amdhsa_system_vgpr_workitem_id 1
		.amdhsa_next_free_vgpr 41
		.amdhsa_next_free_sgpr 28
		.amdhsa_reserve_vcc 1
		.amdhsa_float_round_mode_32 0
		.amdhsa_float_round_mode_16_64 0
		.amdhsa_float_denorm_mode_32 3
		.amdhsa_float_denorm_mode_16_64 3
		.amdhsa_dx10_clamp 1
		.amdhsa_ieee_mode 1
		.amdhsa_fp16_overflow 0
		.amdhsa_workgroup_processor_mode 1
		.amdhsa_memory_ordered 1
		.amdhsa_forward_progress 0
		.amdhsa_shared_vgpr_count 0
		.amdhsa_exception_fp_ieee_invalid_op 0
		.amdhsa_exception_fp_denorm_src 0
		.amdhsa_exception_fp_ieee_div_zero 0
		.amdhsa_exception_fp_ieee_overflow 0
		.amdhsa_exception_fp_ieee_underflow 0
		.amdhsa_exception_fp_ieee_inexact 0
		.amdhsa_exception_int_div_zero 0
	.end_amdhsa_kernel
	.section	.text._ZL20rocblas_gemvn_kernelILi64ELi16EifffEviiT3_lPKT2_lT1_lS3_lS4_lS0_lPT4_lS4_li,"axG",@progbits,_ZL20rocblas_gemvn_kernelILi64ELi16EifffEviiT3_lPKT2_lT1_lS3_lS4_lS0_lPT4_lS4_li,comdat
.Lfunc_end16:
	.size	_ZL20rocblas_gemvn_kernelILi64ELi16EifffEviiT3_lPKT2_lT1_lS3_lS4_lS0_lPT4_lS4_li, .Lfunc_end16-_ZL20rocblas_gemvn_kernelILi64ELi16EifffEviiT3_lPKT2_lT1_lS3_lS4_lS0_lPT4_lS4_li
                                        ; -- End function
	.section	.AMDGPU.csdata,"",@progbits
; Kernel info:
; codeLenInByte = 2980
; NumSgprs: 30
; NumVgprs: 41
; ScratchSize: 0
; MemoryBound: 0
; FloatMode: 240
; IeeeMode: 1
; LDSByteSize: 16384 bytes/workgroup (compile time only)
; SGPRBlocks: 3
; VGPRBlocks: 5
; NumSGPRsForWavesPerEU: 30
; NumVGPRsForWavesPerEU: 41
; Occupancy: 16
; WaveLimiterHint : 1
; COMPUTE_PGM_RSRC2:SCRATCH_EN: 0
; COMPUTE_PGM_RSRC2:USER_SGPR: 14
; COMPUTE_PGM_RSRC2:TRAP_HANDLER: 0
; COMPUTE_PGM_RSRC2:TGID_X_EN: 1
; COMPUTE_PGM_RSRC2:TGID_Y_EN: 0
; COMPUTE_PGM_RSRC2:TGID_Z_EN: 1
; COMPUTE_PGM_RSRC2:TIDIG_COMP_CNT: 1
	.section	.text._ZL20rocblas_gemvn_kernelILi64ELi16ElfffEviiT3_lPKT2_lT1_lS3_lS4_lS0_lPT4_lS4_li,"axG",@progbits,_ZL20rocblas_gemvn_kernelILi64ELi16ElfffEviiT3_lPKT2_lT1_lS3_lS4_lS0_lPT4_lS4_li,comdat
	.globl	_ZL20rocblas_gemvn_kernelILi64ELi16ElfffEviiT3_lPKT2_lT1_lS3_lS4_lS0_lPT4_lS4_li ; -- Begin function _ZL20rocblas_gemvn_kernelILi64ELi16ElfffEviiT3_lPKT2_lT1_lS3_lS4_lS0_lPT4_lS4_li
	.p2align	8
	.type	_ZL20rocblas_gemvn_kernelILi64ELi16ElfffEviiT3_lPKT2_lT1_lS3_lS4_lS0_lPT4_lS4_li,@function
_ZL20rocblas_gemvn_kernelILi64ELi16ElfffEviiT3_lPKT2_lT1_lS3_lS4_lS0_lPT4_lS4_li: ; @_ZL20rocblas_gemvn_kernelILi64ELi16ElfffEviiT3_lPKT2_lT1_lS3_lS4_lS0_lPT4_lS4_li
; %bb.0:
	s_load_b64 s[2:3], s[0:1], 0x9c
	s_waitcnt lgkmcnt(0)
	s_lshr_b32 s4, s2, 16
	s_and_b32 s2, s2, 0xffff
	s_and_b32 s3, s3, 0xffff
	s_mul_i32 s2, s4, s2
	s_delay_alu instid0(SALU_CYCLE_1) | instskip(NEXT) | instid1(SALU_CYCLE_1)
	s_mul_i32 s2, s2, s3
	s_cmpk_lg_i32 s2, 0x400
	s_cbranch_scc1 .LBB17_50
; %bb.1:
	s_clause 0x1
	s_load_b128 s[36:39], s[0:1], 0x0
	s_load_b32 s34, s[0:1], 0x58
	s_mov_b32 s35, 0
	s_waitcnt lgkmcnt(0)
	v_cmp_eq_f32_e64 s2, s38, 0
	v_cmp_eq_f32_e64 s3, s34, 1.0
	s_delay_alu instid0(VALU_DEP_1) | instskip(NEXT) | instid1(SALU_CYCLE_1)
	s_and_b32 s2, s2, s3
	s_and_b32 vcc_lo, exec_lo, s2
	s_cbranch_vccnz .LBB17_50
; %bb.2:
	s_load_b256 s[4:11], s[0:1], 0x68
	v_and_b32_e32 v12, 0x3ff, v0
	v_bfe_u32 v13, v0, 10, 10
	s_delay_alu instid0(VALU_DEP_1)
	v_lshl_add_u32 v11, v13, 6, v12
	s_waitcnt lgkmcnt(0)
	s_mul_i32 s3, s15, s11
	s_mul_hi_u32 s11, s15, s10
	s_mul_i32 s2, s15, s10
	s_add_i32 s3, s11, s3
	v_cmp_neq_f32_e64 s10, s38, 0
	s_lshl_b64 s[2:3], s[2:3], 2
	s_delay_alu instid0(SALU_CYCLE_1) | instskip(SKIP_2) | instid1(SALU_CYCLE_1)
	s_add_u32 s4, s4, s2
	s_addc_u32 s11, s5, s3
	s_lshl_b64 s[2:3], s[6:7], 2
	s_add_u32 s5, s4, s2
	v_cmp_gt_u32_e64 s2, 0x100, v11
	s_addc_u32 s33, s11, s3
	s_and_b32 vcc_lo, exec_lo, s10
	s_cbranch_vccnz .LBB17_9
; %bb.3:
	s_mov_b32 s3, 0
                                        ; implicit-def: $vgpr1
                                        ; implicit-def: $vgpr2_vgpr3
	s_and_saveexec_b32 s4, s2
	s_cbranch_execz .LBB17_10
; %bb.4:
	v_lshl_or_b32 v0, s14, 8, v11
	v_mov_b32_e32 v1, 0
	s_ashr_i32 s7, s36, 31
	s_mov_b32 s6, s36
                                        ; implicit-def: $vgpr2_vgpr3
	s_delay_alu instid0(VALU_DEP_1) | instid1(SALU_CYCLE_1)
	v_cmp_gt_i64_e32 vcc_lo, s[6:7], v[0:1]
	s_mov_b32 s6, 0
	s_and_saveexec_b32 s2, vcc_lo
	s_cbranch_execz .LBB17_8
; %bb.5:
	v_mad_u64_u32 v[2:3], null, v0, s8, 0
	v_cmp_eq_f32_e64 s6, s34, 0
	s_delay_alu instid0(VALU_DEP_1) | instskip(NEXT) | instid1(VALU_DEP_2)
	s_and_b32 vcc_lo, exec_lo, s6
	v_mad_u64_u32 v[4:5], null, v0, s9, v[3:4]
	s_delay_alu instid0(VALU_DEP_1)
	v_mov_b32_e32 v3, v4
	s_cbranch_vccnz .LBB17_7
; %bb.6:
	s_delay_alu instid0(VALU_DEP_1) | instskip(NEXT) | instid1(VALU_DEP_1)
	v_lshlrev_b64 v[0:1], 2, v[2:3]
	v_add_co_u32 v0, vcc_lo, s5, v0
	s_delay_alu instid0(VALU_DEP_2)
	v_add_co_ci_u32_e32 v1, vcc_lo, s33, v1, vcc_lo
	global_load_b32 v0, v[0:1], off
	s_waitcnt vmcnt(0)
	v_mul_f32_e32 v1, s34, v0
.LBB17_7:
	s_mov_b32 s6, exec_lo
.LBB17_8:
	s_or_b32 exec_lo, exec_lo, s2
	s_delay_alu instid0(SALU_CYCLE_1) | instskip(SKIP_1) | instid1(SALU_CYCLE_1)
	s_and_b32 s35, s6, exec_lo
	s_or_b32 exec_lo, exec_lo, s4
	s_and_b32 vcc_lo, exec_lo, s3
	s_cbranch_vccnz .LBB17_11
	s_branch .LBB17_48
.LBB17_9:
                                        ; implicit-def: $vgpr1
                                        ; implicit-def: $vgpr2_vgpr3
	s_cbranch_execnz .LBB17_11
	s_branch .LBB17_48
.LBB17_10:
	s_or_b32 exec_lo, exec_lo, s4
	s_delay_alu instid0(SALU_CYCLE_1)
	s_and_b32 vcc_lo, exec_lo, s3
	s_cbranch_vccz .LBB17_48
.LBB17_11:
	s_load_b512 s[16:31], s[0:1], 0x18
	s_ashr_i32 s0, s37, 31
	s_lshl_b32 s39, s14, 8
	s_lshr_b32 s0, s0, 26
	v_dual_mov_b32 v15, 0 :: v_dual_lshlrev_b32 v16, 2, v13
	v_dual_mov_b32 v14, 0 :: v_dual_mov_b32 v17, 0
	v_mov_b32_e32 v18, 0
	v_add_nc_u32_e32 v0, s39, v12
	s_add_i32 s40, s37, s0
	s_delay_alu instid0(SALU_CYCLE_1)
	s_and_not1_b32 s40, s40, 63
	s_waitcnt lgkmcnt(0)
	s_mul_i32 s0, s15, s23
	s_mul_hi_u32 s1, s15, s22
	s_mul_i32 s2, s15, s31
	s_mul_hi_u32 s3, s15, s30
	s_mul_i32 s6, s15, s22
	s_add_i32 s7, s1, s0
	s_add_i32 s11, s3, s2
	s_mul_i32 s10, s15, s30
	s_mov_b32 s30, exec_lo
	v_cmpx_gt_i32_e64 s40, v16
	s_cbranch_execz .LBB17_23
; %bb.12:
	v_lshlrev_b32_e32 v29, 2, v13
	v_mad_u64_u32 v[2:3], null, s28, v13, 0
	v_add_nc_u32_e32 v15, 0x80, v0
	s_lshl_b64 s[0:1], s[10:11], 2
	s_delay_alu instid0(VALU_DEP_3)
	v_or_b32_e32 v17, 3, v29
	s_lshl_b64 s[12:13], s[26:27], 2
	s_add_u32 s4, s24, s0
	s_addc_u32 s31, s25, s1
	v_cmp_gt_i32_e64 s1, s36, v15
	v_mad_u64_u32 v[4:5], null, s20, v17, 0
	s_lshl_b64 s[22:23], s[18:19], 2
	s_lshl_b64 s[14:15], s[28:29], 8
	;; [unrolled: 1-line block ×3, first 2 shown]
	v_ashrrev_i32_e32 v1, 31, v0
	v_cmp_gt_i32_e32 vcc_lo, s36, v0
	s_delay_alu instid0(VALU_DEP_3) | instskip(SKIP_3) | instid1(VALU_DEP_4)
	v_mad_u64_u32 v[6:7], null, s29, v13, v[3:4]
	v_add_nc_u32_e32 v14, 64, v0
	v_mad_u64_u32 v[7:8], null, s28, v17, 0
	v_add_nc_u32_e32 v18, 0xc0, v0
	v_mad_u64_u32 v[9:10], null, s21, v17, v[5:6]
	v_mov_b32_e32 v3, v6
	v_cmp_gt_i32_e64 s0, s36, v14
	s_delay_alu instid0(VALU_DEP_2)
	v_lshlrev_b64 v[14:15], 4, v[2:3]
	v_mov_b32_e32 v3, v8
	v_mov_b32_e32 v5, v9
	v_mad_u64_u32 v[9:10], null, s20, v13, 0
	v_cmp_gt_i32_e64 s2, s36, v18
	v_add_co_u32 v19, s3, s4, v14
	s_delay_alu instid0(VALU_DEP_4) | instskip(SKIP_4) | instid1(VALU_DEP_2)
	v_lshlrev_b64 v[4:5], 2, v[4:5]
	v_add_co_ci_u32_e64 v20, s3, s31, v15, s3
	s_add_u32 s3, s16, s22
	s_addc_u32 s22, s17, s23
	s_add_u32 s23, s3, s42
	v_mad_u64_u32 v[14:15], null, s29, v17, v[3:4]
	v_mov_b32_e32 v3, v10
	s_addc_u32 s22, s22, s43
	v_add_co_u32 v21, s3, s23, v4
	s_delay_alu instid0(VALU_DEP_1) | instskip(NEXT) | instid1(VALU_DEP_4)
	v_add_co_ci_u32_e64 v22, s3, s22, v5, s3
	v_mov_b32_e32 v8, v14
	v_or_b32_e32 v23, 2, v29
	v_mad_u64_u32 v[17:18], null, s21, v13, v[3:4]
	v_mad_u64_u32 v[31:32], null, s20, v29, s[20:21]
	s_delay_alu instid0(VALU_DEP_3)
	v_mad_u64_u32 v[14:15], null, s20, v23, 0
	v_lshlrev_b64 v[4:5], 2, v[7:8]
	v_mad_u64_u32 v[27:28], null, s28, v23, 0
	v_mov_b32_e32 v10, v17
	v_mad_u64_u32 v[17:18], null, s28, v29, s[28:29]
	v_mov_b32_e32 v3, v15
	v_lshlrev_b64 v[1:2], 2, v[0:1]
	v_mov_b32_e32 v6, v28
	s_delay_alu instid0(VALU_DEP_3) | instskip(SKIP_1) | instid1(VALU_DEP_2)
	v_mad_u64_u32 v[7:8], null, s21, v23, v[3:4]
	v_mov_b32_e32 v3, v18
	v_mad_u64_u32 v[25:26], null, s29, v23, v[6:7]
	v_add_co_u32 v23, s3, s4, v4
	s_delay_alu instid0(VALU_DEP_1) | instskip(SKIP_1) | instid1(VALU_DEP_4)
	v_add_co_ci_u32_e64 v24, s3, s31, v5, s3
	v_lshlrev_b64 v[4:5], 4, v[9:10]
	v_dual_mov_b32 v15, v7 :: v_dual_mov_b32 v28, v25
	s_delay_alu instid0(VALU_DEP_2) | instskip(SKIP_1) | instid1(VALU_DEP_4)
	v_add_co_u32 v25, s3, s23, v4
	v_mad_u64_u32 v[6:7], null, s29, v29, v[3:4]
	v_add_co_ci_u32_e64 v26, s3, s22, v5, s3
	s_delay_alu instid0(VALU_DEP_4) | instskip(SKIP_1) | instid1(VALU_DEP_4)
	v_lshlrev_b64 v[4:5], 2, v[14:15]
	v_dual_mov_b32 v14, 0 :: v_dual_mov_b32 v3, v32
	v_dual_mov_b32 v15, 0 :: v_dual_mov_b32 v18, v6
	s_delay_alu instid0(VALU_DEP_2) | instskip(SKIP_2) | instid1(VALU_DEP_4)
	v_mad_u64_u32 v[7:8], null, s21, v29, v[3:4]
	v_lshlrev_b64 v[8:9], 2, v[27:28]
	v_add_co_u32 v27, s3, s23, v4
	v_lshlrev_b64 v[3:4], 2, v[17:18]
	v_mov_b32_e32 v18, 0
	v_add_co_ci_u32_e64 v28, s3, s22, v5, s3
	v_mov_b32_e32 v32, v7
	v_add_co_u32 v29, s3, s4, v8
	s_delay_alu instid0(VALU_DEP_1) | instskip(NEXT) | instid1(VALU_DEP_3)
	v_add_co_ci_u32_e64 v30, s3, s31, v9, s3
	v_lshlrev_b64 v[5:6], 2, v[31:32]
	v_add_co_u32 v31, s3, s4, v3
	s_delay_alu instid0(VALU_DEP_1) | instskip(SKIP_1) | instid1(VALU_DEP_4)
	v_add_co_ci_u32_e64 v32, s3, s31, v4, s3
	v_mov_b32_e32 v17, 0
	v_add_co_u32 v33, s3, s23, v5
	s_delay_alu instid0(VALU_DEP_1)
	v_add_co_ci_u32_e64 v34, s3, s22, v6, s3
	s_lshl_b64 s[22:23], s[20:21], 8
	s_mov_b32 s31, 0
	s_branch .LBB17_17
.LBB17_13:                              ;   in Loop: Header=BB17_17 Depth=1
	s_or_b32 exec_lo, exec_lo, s42
	s_waitcnt vmcnt(3)
	v_fmac_f32_e32 v17, v36, v50
	s_waitcnt vmcnt(2)
	s_delay_alu instid0(VALU_DEP_1) | instskip(SKIP_1) | instid1(VALU_DEP_1)
	v_fmac_f32_e32 v17, v35, v49
	s_waitcnt vmcnt(1)
	v_fmac_f32_e32 v17, v37, v48
	s_waitcnt vmcnt(0)
	s_delay_alu instid0(VALU_DEP_1)
	v_fmac_f32_e32 v17, v38, v47
.LBB17_14:                              ;   in Loop: Header=BB17_17 Depth=1
	s_or_b32 exec_lo, exec_lo, s41
	s_waitcnt vmcnt(3)
	v_fmac_f32_e32 v15, v36, v46
	s_waitcnt vmcnt(2)
	s_delay_alu instid0(VALU_DEP_1) | instskip(SKIP_1) | instid1(VALU_DEP_1)
	v_fmac_f32_e32 v15, v35, v45
	s_waitcnt vmcnt(1)
	v_fmac_f32_e32 v15, v37, v44
	s_waitcnt vmcnt(0)
	s_delay_alu instid0(VALU_DEP_1)
	v_fmac_f32_e32 v15, v38, v43
.LBB17_15:                              ;   in Loop: Header=BB17_17 Depth=1
	s_or_b32 exec_lo, exec_lo, s3
	s_waitcnt vmcnt(3)
	v_fmac_f32_e32 v14, v36, v42
	s_waitcnt vmcnt(2)
	s_delay_alu instid0(VALU_DEP_1) | instskip(SKIP_1) | instid1(VALU_DEP_1)
	v_fmac_f32_e32 v14, v35, v40
	s_waitcnt vmcnt(1)
	v_fmac_f32_e32 v14, v37, v39
	s_waitcnt vmcnt(0)
	s_delay_alu instid0(VALU_DEP_1)
	v_fmac_f32_e32 v14, v38, v41
.LBB17_16:                              ;   in Loop: Header=BB17_17 Depth=1
	s_or_b32 exec_lo, exec_lo, s4
	v_add_co_u32 v19, s3, v19, s14
	s_delay_alu instid0(VALU_DEP_1) | instskip(SKIP_1) | instid1(VALU_DEP_1)
	v_add_co_ci_u32_e64 v20, s3, s15, v20, s3
	v_add_co_u32 v21, s3, v21, s22
	v_add_co_ci_u32_e64 v22, s3, s23, v22, s3
	v_add_co_u32 v23, s3, v23, s14
	s_delay_alu instid0(VALU_DEP_1) | instskip(SKIP_1) | instid1(VALU_DEP_1)
	v_add_co_ci_u32_e64 v24, s3, s15, v24, s3
	v_add_co_u32 v25, s3, v25, s22
	v_add_co_ci_u32_e64 v26, s3, s23, v26, s3
	v_add_co_u32 v27, s3, v27, s22
	s_delay_alu instid0(VALU_DEP_1) | instskip(SKIP_4) | instid1(VALU_DEP_1)
	v_add_co_ci_u32_e64 v28, s3, s23, v28, s3
	v_add_co_u32 v29, s3, v29, s14
	v_add_nc_u32_e32 v16, 64, v16
	v_add_co_ci_u32_e64 v30, s3, s15, v30, s3
	v_add_co_u32 v31, s3, v31, s14
	v_add_co_ci_u32_e64 v32, s3, s15, v32, s3
	s_delay_alu instid0(VALU_DEP_4) | instskip(SKIP_1) | instid1(VALU_DEP_1)
	v_cmp_le_i32_e64 s3, s40, v16
	v_add_co_u32 v33, s4, v33, s22
	v_add_co_ci_u32_e64 v34, s4, s23, v34, s4
	s_delay_alu instid0(VALU_DEP_3) | instskip(NEXT) | instid1(SALU_CYCLE_1)
	s_or_b32 s31, s3, s31
	s_and_not1_b32 exec_lo, exec_lo, s31
	s_cbranch_execz .LBB17_22
.LBB17_17:                              ; =>This Inner Loop Header: Depth=1
	s_and_saveexec_b32 s4, vcc_lo
	s_cbranch_execz .LBB17_16
; %bb.18:                               ;   in Loop: Header=BB17_17 Depth=1
	v_add_co_u32 v3, s3, v19, s12
	s_delay_alu instid0(VALU_DEP_1) | instskip(SKIP_1) | instid1(VALU_DEP_1)
	v_add_co_ci_u32_e64 v4, s3, s13, v20, s3
	v_add_co_u32 v5, s3, v31, s12
	v_add_co_ci_u32_e64 v6, s3, s13, v32, s3
	v_add_co_u32 v7, s3, v29, s12
	s_delay_alu instid0(VALU_DEP_1) | instskip(SKIP_1) | instid1(VALU_DEP_1)
	v_add_co_ci_u32_e64 v8, s3, s13, v30, s3
	v_add_co_u32 v38, s3, v23, s12
	v_add_co_ci_u32_e64 v39, s3, s13, v24, s3
	global_load_b32 v36, v[3:4], off
	global_load_b32 v35, v[5:6], off
	global_load_b32 v37, v[7:8], off
	v_add_co_u32 v3, s3, v25, v1
	s_delay_alu instid0(VALU_DEP_1) | instskip(SKIP_1) | instid1(VALU_DEP_1)
	v_add_co_ci_u32_e64 v4, s3, v26, v2, s3
	v_add_co_u32 v5, s3, v33, v1
	v_add_co_ci_u32_e64 v6, s3, v34, v2, s3
	v_add_co_u32 v7, s3, v27, v1
	s_delay_alu instid0(VALU_DEP_1) | instskip(SKIP_1) | instid1(VALU_DEP_1)
	v_add_co_ci_u32_e64 v8, s3, v28, v2, s3
	v_add_co_u32 v9, s3, v21, v1
	v_add_co_ci_u32_e64 v10, s3, v22, v2, s3
	global_load_b32 v38, v[38:39], off
	global_load_b32 v42, v[3:4], off
	;; [unrolled: 1-line block ×5, first 2 shown]
	s_and_saveexec_b32 s3, s0
	s_cbranch_execz .LBB17_15
; %bb.19:                               ;   in Loop: Header=BB17_17 Depth=1
	global_load_b32 v46, v[3:4], off offset:256
	global_load_b32 v45, v[5:6], off offset:256
	global_load_b32 v44, v[7:8], off offset:256
	global_load_b32 v43, v[9:10], off offset:256
	s_and_saveexec_b32 s41, s1
	s_cbranch_execz .LBB17_14
; %bb.20:                               ;   in Loop: Header=BB17_17 Depth=1
	global_load_b32 v50, v[3:4], off offset:512
	global_load_b32 v49, v[5:6], off offset:512
	global_load_b32 v48, v[7:8], off offset:512
	global_load_b32 v47, v[9:10], off offset:512
	;; [unrolled: 7-line block ×3, first 2 shown]
	s_waitcnt vmcnt(3)
	v_fmac_f32_e32 v18, v36, v3
	s_waitcnt vmcnt(2)
	s_delay_alu instid0(VALU_DEP_1) | instskip(SKIP_1) | instid1(VALU_DEP_1)
	v_fmac_f32_e32 v18, v35, v4
	s_waitcnt vmcnt(1)
	v_fmac_f32_e32 v18, v37, v5
	s_waitcnt vmcnt(0)
	s_delay_alu instid0(VALU_DEP_1)
	v_fmac_f32_e32 v18, v38, v6
	s_branch .LBB17_13
.LBB17_22:
	s_or_b32 exec_lo, exec_lo, s31
.LBB17_23:
	s_delay_alu instid0(SALU_CYCLE_1) | instskip(SKIP_1) | instid1(SALU_CYCLE_1)
	s_or_b32 exec_lo, exec_lo, s30
	s_sub_i32 s0, s37, s40
	s_cmp_lt_i32 s0, 1
	s_cbranch_scc1 .LBB17_41
; %bb.24:
	v_cmp_gt_i32_e32 vcc_lo, s37, v16
	v_dual_mov_b32 v19, 0 :: v_dual_mov_b32 v20, 0
	v_or_b32_e32 v2, 1, v16
	v_dual_mov_b32 v10, 0 :: v_dual_mov_b32 v9, 0
	s_and_saveexec_b32 s1, vcc_lo
	s_cbranch_execz .LBB17_32
; %bb.25:
	v_mad_u64_u32 v[3:4], null, v16, s28, 0
	s_lshl_b64 s[2:3], s[10:11], 2
	v_dual_mov_b32 v20, 0 :: v_dual_mov_b32 v19, 0
	s_add_u32 s0, s24, s2
	s_addc_u32 s2, s25, s3
	s_lshl_b64 s[10:11], s[26:27], 2
	s_delay_alu instid0(VALU_DEP_2) | instskip(SKIP_3) | instid1(VALU_DEP_1)
	v_dual_mov_b32 v1, v4 :: v_dual_mov_b32 v10, 0
	s_add_u32 s3, s0, s10
	s_addc_u32 s4, s2, s11
	s_mov_b32 s2, exec_lo
	v_mad_u64_u32 v[4:5], null, v16, s29, v[1:2]
	s_delay_alu instid0(VALU_DEP_1) | instskip(NEXT) | instid1(VALU_DEP_1)
	v_lshlrev_b64 v[3:4], 2, v[3:4]
	v_add_co_u32 v3, s0, s3, v3
	s_delay_alu instid0(VALU_DEP_1)
	v_add_co_ci_u32_e64 v4, s0, s4, v4, s0
	global_load_b32 v9, v[3:4], off
	v_cmpx_gt_i32_e64 s37, v2
	s_cbranch_execz .LBB17_31
; %bb.26:
	v_mad_u64_u32 v[3:4], null, v2, s28, 0
	v_mov_b32_e32 v19, 0
	s_mov_b32 s10, exec_lo
	s_delay_alu instid0(VALU_DEP_2) | instskip(NEXT) | instid1(VALU_DEP_1)
	v_dual_mov_b32 v20, 0 :: v_dual_mov_b32 v1, v4
	v_mad_u64_u32 v[4:5], null, v2, s29, v[1:2]
	v_or_b32_e32 v1, 2, v16
	s_delay_alu instid0(VALU_DEP_2) | instskip(NEXT) | instid1(VALU_DEP_1)
	v_lshlrev_b64 v[3:4], 2, v[3:4]
	v_add_co_u32 v3, s0, s3, v3
	s_delay_alu instid0(VALU_DEP_1)
	v_add_co_ci_u32_e64 v4, s0, s4, v4, s0
	global_load_b32 v10, v[3:4], off
	v_cmpx_gt_i32_e64 s37, v1
	s_cbranch_execz .LBB17_30
; %bb.27:
	v_mad_u64_u32 v[3:4], null, v1, s28, 0
	s_mov_b32 s11, exec_lo
	v_mov_b32_e32 v19, 0
	s_delay_alu instid0(VALU_DEP_2) | instskip(SKIP_1) | instid1(VALU_DEP_2)
	v_mad_u64_u32 v[5:6], null, v1, s29, v[4:5]
	v_or_b32_e32 v1, 3, v16
	v_mov_b32_e32 v4, v5
	s_delay_alu instid0(VALU_DEP_1) | instskip(NEXT) | instid1(VALU_DEP_1)
	v_lshlrev_b64 v[3:4], 2, v[3:4]
	v_add_co_u32 v3, s0, s3, v3
	s_delay_alu instid0(VALU_DEP_1)
	v_add_co_ci_u32_e64 v4, s0, s4, v4, s0
	global_load_b32 v20, v[3:4], off
	v_cmpx_gt_i32_e64 s37, v1
	s_cbranch_execz .LBB17_29
; %bb.28:
	v_mad_u64_u32 v[3:4], null, v1, s28, 0
	s_delay_alu instid0(VALU_DEP_1) | instskip(NEXT) | instid1(VALU_DEP_1)
	v_mad_u64_u32 v[5:6], null, v1, s29, v[4:5]
	v_mov_b32_e32 v4, v5
	s_delay_alu instid0(VALU_DEP_1) | instskip(NEXT) | instid1(VALU_DEP_1)
	v_lshlrev_b64 v[3:4], 2, v[3:4]
	v_add_co_u32 v3, s0, s3, v3
	s_delay_alu instid0(VALU_DEP_1)
	v_add_co_ci_u32_e64 v4, s0, s4, v4, s0
	global_load_b32 v19, v[3:4], off
.LBB17_29:
	s_or_b32 exec_lo, exec_lo, s11
.LBB17_30:
	s_delay_alu instid0(SALU_CYCLE_1)
	s_or_b32 exec_lo, exec_lo, s10
.LBB17_31:
	s_delay_alu instid0(SALU_CYCLE_1)
	s_or_b32 exec_lo, exec_lo, s2
.LBB17_32:
	s_delay_alu instid0(SALU_CYCLE_1) | instskip(NEXT) | instid1(SALU_CYCLE_1)
	s_or_b32 exec_lo, exec_lo, s1
	s_mov_b32 s1, exec_lo
	v_cmpx_gt_i32_e64 s36, v0
	s_cbranch_execz .LBB17_40
; %bb.33:
	v_mad_u64_u32 v[3:4], null, v16, s20, 0
	v_mad_u64_u32 v[5:6], null, v2, s20, 0
	v_ashrrev_i32_e32 v1, 31, v0
	s_lshl_b64 s[2:3], s[6:7], 2
	v_or_b32_e32 v28, 2, v16
	s_add_u32 s0, s16, s2
	s_delay_alu instid0(VALU_DEP_4)
	v_cndmask_b32_e32 v3, 0, v3, vcc_lo
	v_lshlrev_b64 v[21:22], 2, v[0:1]
	v_mad_u64_u32 v[7:8], null, v16, s21, v[4:5]
	s_addc_u32 s4, s17, s3
	s_lshl_b64 s[2:3], s[18:19], 2
	v_or_b32_e32 v16, 3, v16
	s_add_u32 s2, s0, s2
	v_mov_b32_e32 v1, v6
	v_mad_u64_u32 v[23:24], null, v28, s20, 0
	s_delay_alu instid0(VALU_DEP_4) | instskip(SKIP_1) | instid1(VALU_DEP_4)
	v_cndmask_b32_e32 v4, 0, v7, vcc_lo
	v_cmp_gt_i32_e32 vcc_lo, s37, v2
	v_mad_u64_u32 v[25:26], null, v2, s21, v[1:2]
	s_addc_u32 s3, s4, s3
	v_mad_u64_u32 v[6:7], null, v16, s20, 0
	v_cndmask_b32_e32 v26, 0, v5, vcc_lo
	v_lshlrev_b64 v[3:4], 2, v[3:4]
	s_delay_alu instid0(VALU_DEP_4) | instskip(NEXT) | instid1(VALU_DEP_2)
	v_cndmask_b32_e32 v27, 0, v25, vcc_lo
	v_add_co_u32 v1, s0, s2, v3
	s_delay_alu instid0(VALU_DEP_1) | instskip(NEXT) | instid1(VALU_DEP_3)
	v_add_co_ci_u32_e64 v2, s0, s3, v4, s0
	v_lshlrev_b64 v[3:4], 2, v[26:27]
	s_delay_alu instid0(VALU_DEP_3) | instskip(NEXT) | instid1(VALU_DEP_3)
	v_add_co_u32 v1, vcc_lo, v1, v21
	v_add_co_ci_u32_e32 v2, vcc_lo, v2, v22, vcc_lo
	v_cmp_gt_i32_e32 vcc_lo, s37, v28
	v_mov_b32_e32 v5, v24
	v_add_co_u32 v3, s0, s2, v3
	s_delay_alu instid0(VALU_DEP_1) | instskip(NEXT) | instid1(VALU_DEP_3)
	v_add_co_ci_u32_e64 v4, s0, s3, v4, s0
	v_mad_u64_u32 v[24:25], null, v28, s21, v[5:6]
	v_mov_b32_e32 v5, v7
	v_cndmask_b32_e32 v7, 0, v23, vcc_lo
	s_mov_b32 s0, exec_lo
	s_delay_alu instid0(VALU_DEP_3)
	v_cndmask_b32_e32 v8, 0, v24, vcc_lo
	v_add_co_u32 v3, vcc_lo, v3, v21
	v_add_co_ci_u32_e32 v4, vcc_lo, v4, v22, vcc_lo
	v_mad_u64_u32 v[23:24], null, v16, s21, v[5:6]
	s_clause 0x1
	global_load_b32 v24, v[1:2], off
	global_load_b32 v25, v[3:4], off
	v_cmp_gt_i32_e32 vcc_lo, s37, v16
	s_waitcnt vmcnt(1)
	v_fmac_f32_e32 v14, v9, v24
	s_waitcnt vmcnt(0)
	s_delay_alu instid0(VALU_DEP_1) | instskip(SKIP_2) | instid1(VALU_DEP_2)
	v_fmac_f32_e32 v14, v10, v25
	v_lshlrev_b64 v[7:8], 2, v[7:8]
	v_dual_cndmask_b32 v5, 0, v6 :: v_dual_cndmask_b32 v6, 0, v23
	v_add_co_u32 v16, vcc_lo, s2, v7
	s_delay_alu instid0(VALU_DEP_3) | instskip(NEXT) | instid1(VALU_DEP_3)
	v_add_co_ci_u32_e32 v23, vcc_lo, s3, v8, vcc_lo
	v_lshlrev_b64 v[7:8], 2, v[5:6]
	s_delay_alu instid0(VALU_DEP_3) | instskip(NEXT) | instid1(VALU_DEP_3)
	v_add_co_u32 v5, vcc_lo, v16, v21
	v_add_co_ci_u32_e32 v6, vcc_lo, v23, v22, vcc_lo
	s_delay_alu instid0(VALU_DEP_3) | instskip(NEXT) | instid1(VALU_DEP_4)
	v_add_co_u32 v7, vcc_lo, s2, v7
	v_add_co_ci_u32_e32 v8, vcc_lo, s3, v8, vcc_lo
	global_load_b32 v23, v[5:6], off
	v_add_co_u32 v7, vcc_lo, v7, v21
	v_add_co_ci_u32_e32 v8, vcc_lo, v8, v22, vcc_lo
	v_add_nc_u32_e32 v21, 64, v0
	global_load_b32 v16, v[7:8], off
	s_waitcnt vmcnt(1)
	v_fmac_f32_e32 v14, v20, v23
	v_cmpx_gt_i32_e64 s36, v21
	s_cbranch_execz .LBB17_39
; %bb.34:
	s_clause 0x3
	global_load_b32 v22, v[1:2], off offset:256
	global_load_b32 v23, v[3:4], off offset:256
	;; [unrolled: 1-line block ×4, first 2 shown]
	s_mov_b32 s2, exec_lo
	s_waitcnt vmcnt(3)
	v_dual_fmac_f32 v15, v9, v22 :: v_dual_add_nc_u32 v22, 0x80, v0
	s_waitcnt vmcnt(2)
	s_delay_alu instid0(VALU_DEP_1) | instskip(SKIP_1) | instid1(VALU_DEP_1)
	v_fmac_f32_e32 v15, v10, v23
	s_waitcnt vmcnt(1)
	v_fmac_f32_e32 v15, v20, v24
	v_cmpx_gt_i32_e64 s36, v22
	s_cbranch_execz .LBB17_38
; %bb.35:
	s_clause 0x3
	global_load_b32 v23, v[1:2], off offset:512
	global_load_b32 v24, v[3:4], off offset:512
	global_load_b32 v25, v[5:6], off offset:512
	global_load_b32 v22, v[7:8], off offset:512
	s_mov_b32 s3, exec_lo
	s_waitcnt vmcnt(3)
	v_dual_fmac_f32 v17, v9, v23 :: v_dual_add_nc_u32 v0, 0xc0, v0
	s_waitcnt vmcnt(2)
	s_delay_alu instid0(VALU_DEP_1) | instskip(SKIP_1) | instid1(VALU_DEP_1)
	v_fmac_f32_e32 v17, v10, v24
	s_waitcnt vmcnt(1)
	v_fmac_f32_e32 v17, v20, v25
	v_cmpx_gt_i32_e64 s36, v0
	s_cbranch_execz .LBB17_37
; %bb.36:
	s_clause 0x3
	global_load_b32 v0, v[1:2], off offset:768
	global_load_b32 v1, v[3:4], off offset:768
	;; [unrolled: 1-line block ×4, first 2 shown]
	s_waitcnt vmcnt(3)
	v_fmac_f32_e32 v18, v9, v0
	s_waitcnt vmcnt(2)
	s_delay_alu instid0(VALU_DEP_1) | instskip(SKIP_1) | instid1(VALU_DEP_1)
	v_fmac_f32_e32 v18, v10, v1
	s_waitcnt vmcnt(1)
	v_fmac_f32_e32 v18, v20, v2
	s_waitcnt vmcnt(0)
	s_delay_alu instid0(VALU_DEP_1)
	v_fmac_f32_e32 v18, v19, v3
.LBB17_37:
	s_or_b32 exec_lo, exec_lo, s3
	s_waitcnt vmcnt(0)
	v_fmac_f32_e32 v17, v19, v22
.LBB17_38:
	s_or_b32 exec_lo, exec_lo, s2
	s_waitcnt vmcnt(0)
	v_fmac_f32_e32 v15, v19, v21
.LBB17_39:
	s_or_b32 exec_lo, exec_lo, s0
	s_waitcnt vmcnt(0)
	v_fmac_f32_e32 v14, v19, v16
.LBB17_40:
	s_or_b32 exec_lo, exec_lo, s1
.LBB17_41:
	v_lshlrev_b32_e32 v0, 8, v13
	s_mov_b32 s0, exec_lo
                                        ; implicit-def: $vgpr1
                                        ; implicit-def: $vgpr2_vgpr3
	s_delay_alu instid0(VALU_DEP_1)
	v_add_lshl_u32 v0, v0, v12, 2
	ds_store_2addr_stride64_b32 v0, v14, v15 offset1:1
	ds_store_2addr_stride64_b32 v0, v17, v18 offset0:2 offset1:3
	s_waitcnt vmcnt(0) lgkmcnt(0)
	s_barrier
	buffer_gl0_inv
	v_cmpx_gt_u32_e32 0x100, v11
	s_cbranch_execz .LBB17_47
; %bb.42:
	v_lshlrev_b32_e32 v6, 2, v11
	s_mov_b32 s2, s35
	s_mov_b32 s1, exec_lo
	ds_load_2addr_stride64_b32 v[0:1], v6 offset1:4
	ds_load_2addr_stride64_b32 v[2:3], v6 offset0:8 offset1:12
	ds_load_2addr_stride64_b32 v[4:5], v6 offset0:16 offset1:20
	s_waitcnt lgkmcnt(2)
	v_add_f32_e32 v7, v0, v1
	ds_load_2addr_stride64_b32 v[0:1], v6 offset0:24 offset1:28
	s_waitcnt lgkmcnt(2)
	v_add_f32_e32 v2, v2, v7
	s_delay_alu instid0(VALU_DEP_1) | instskip(SKIP_3) | instid1(VALU_DEP_1)
	v_add_f32_e32 v7, v3, v2
	ds_load_2addr_stride64_b32 v[2:3], v6 offset0:32 offset1:36
	s_waitcnt lgkmcnt(2)
	v_add_f32_e32 v4, v4, v7
	v_add_f32_e32 v7, v5, v4
	ds_load_2addr_stride64_b32 v[4:5], v6 offset0:40 offset1:44
	s_waitcnt lgkmcnt(2)
	v_add_f32_e32 v0, v0, v7
	s_delay_alu instid0(VALU_DEP_1) | instskip(SKIP_1) | instid1(VALU_DEP_1)
	v_add_f32_e32 v0, v1, v0
	s_waitcnt lgkmcnt(1)
	v_add_f32_e32 v2, v2, v0
	ds_load_2addr_stride64_b32 v[0:1], v6 offset0:48 offset1:52
	v_add_f32_e32 v2, v3, v2
	s_waitcnt lgkmcnt(1)
	s_delay_alu instid0(VALU_DEP_1) | instskip(SKIP_3) | instid1(VALU_DEP_1)
	v_add_f32_e32 v4, v4, v2
	ds_load_2addr_stride64_b32 v[2:3], v6 offset0:56 offset1:60
	v_add_f32_e32 v4, v5, v4
	s_waitcnt lgkmcnt(1)
	v_add_f32_e32 v0, v0, v4
	v_or_b32_e32 v4, s39, v11
	s_delay_alu instid0(VALU_DEP_2) | instskip(SKIP_1) | instid1(VALU_DEP_1)
	v_add_f32_e32 v0, v1, v0
                                        ; implicit-def: $vgpr1
	s_waitcnt lgkmcnt(0)
	v_add_f32_e32 v0, v2, v0
	s_delay_alu instid0(VALU_DEP_1)
	v_add_f32_e32 v0, v3, v0
                                        ; implicit-def: $vgpr2_vgpr3
	ds_store_b32 v6, v0
	v_cmpx_gt_i32_e64 s36, v4
	s_cbranch_execz .LBB17_46
; %bb.43:
	v_ashrrev_i32_e32 v1, 31, v4
	v_mul_lo_u32 v5, v4, s9
	v_mad_u64_u32 v[2:3], null, v4, s8, 0
	v_cmp_eq_f32_e64 s2, s34, 0
	s_delay_alu instid0(VALU_DEP_4) | instskip(SKIP_1) | instid1(VALU_DEP_3)
	v_mul_lo_u32 v4, v1, s8
	v_mul_f32_e32 v1, s38, v0
	s_and_b32 vcc_lo, exec_lo, s2
	s_delay_alu instid0(VALU_DEP_2)
	v_add3_u32 v3, v3, v5, v4
	s_cbranch_vccnz .LBB17_45
; %bb.44:
	s_delay_alu instid0(VALU_DEP_1) | instskip(NEXT) | instid1(VALU_DEP_1)
	v_lshlrev_b64 v[4:5], 2, v[2:3]
	v_add_co_u32 v4, vcc_lo, s5, v4
	s_delay_alu instid0(VALU_DEP_2)
	v_add_co_ci_u32_e32 v5, vcc_lo, s33, v5, vcc_lo
	global_load_b32 v0, v[4:5], off
	s_waitcnt vmcnt(0)
	v_fmac_f32_e32 v1, s34, v0
.LBB17_45:
	s_or_b32 s2, s35, exec_lo
.LBB17_46:
	s_or_b32 exec_lo, exec_lo, s1
	s_delay_alu instid0(SALU_CYCLE_1) | instskip(SKIP_1) | instid1(SALU_CYCLE_1)
	s_and_not1_b32 s1, s35, exec_lo
	s_and_b32 s2, s2, exec_lo
	s_or_b32 s35, s1, s2
.LBB17_47:
	s_or_b32 exec_lo, exec_lo, s0
.LBB17_48:
	s_and_saveexec_b32 s0, s35
	s_cbranch_execz .LBB17_50
; %bb.49:
	v_lshlrev_b64 v[2:3], 2, v[2:3]
	s_delay_alu instid0(VALU_DEP_1) | instskip(NEXT) | instid1(VALU_DEP_2)
	v_add_co_u32 v2, vcc_lo, s5, v2
	v_add_co_ci_u32_e32 v3, vcc_lo, s33, v3, vcc_lo
	global_store_b32 v[2:3], v1, off
.LBB17_50:
	s_nop 0
	s_sendmsg sendmsg(MSG_DEALLOC_VGPRS)
	s_endpgm
	.section	.rodata,"a",@progbits
	.p2align	6, 0x0
	.amdhsa_kernel _ZL20rocblas_gemvn_kernelILi64ELi16ElfffEviiT3_lPKT2_lT1_lS3_lS4_lS0_lPT4_lS4_li
		.amdhsa_group_segment_fixed_size 16384
		.amdhsa_private_segment_fixed_size 0
		.amdhsa_kernarg_size 400
		.amdhsa_user_sgpr_count 14
		.amdhsa_user_sgpr_dispatch_ptr 0
		.amdhsa_user_sgpr_queue_ptr 0
		.amdhsa_user_sgpr_kernarg_segment_ptr 1
		.amdhsa_user_sgpr_dispatch_id 0
		.amdhsa_user_sgpr_private_segment_size 0
		.amdhsa_wavefront_size32 1
		.amdhsa_uses_dynamic_stack 0
		.amdhsa_enable_private_segment 0
		.amdhsa_system_sgpr_workgroup_id_x 1
		.amdhsa_system_sgpr_workgroup_id_y 0
		.amdhsa_system_sgpr_workgroup_id_z 1
		.amdhsa_system_sgpr_workgroup_info 0
		.amdhsa_system_vgpr_workitem_id 1
		.amdhsa_next_free_vgpr 51
		.amdhsa_next_free_sgpr 44
		.amdhsa_reserve_vcc 1
		.amdhsa_float_round_mode_32 0
		.amdhsa_float_round_mode_16_64 0
		.amdhsa_float_denorm_mode_32 3
		.amdhsa_float_denorm_mode_16_64 3
		.amdhsa_dx10_clamp 1
		.amdhsa_ieee_mode 1
		.amdhsa_fp16_overflow 0
		.amdhsa_workgroup_processor_mode 1
		.amdhsa_memory_ordered 1
		.amdhsa_forward_progress 0
		.amdhsa_shared_vgpr_count 0
		.amdhsa_exception_fp_ieee_invalid_op 0
		.amdhsa_exception_fp_denorm_src 0
		.amdhsa_exception_fp_ieee_div_zero 0
		.amdhsa_exception_fp_ieee_overflow 0
		.amdhsa_exception_fp_ieee_underflow 0
		.amdhsa_exception_fp_ieee_inexact 0
		.amdhsa_exception_int_div_zero 0
	.end_amdhsa_kernel
	.section	.text._ZL20rocblas_gemvn_kernelILi64ELi16ElfffEviiT3_lPKT2_lT1_lS3_lS4_lS0_lPT4_lS4_li,"axG",@progbits,_ZL20rocblas_gemvn_kernelILi64ELi16ElfffEviiT3_lPKT2_lT1_lS3_lS4_lS0_lPT4_lS4_li,comdat
.Lfunc_end17:
	.size	_ZL20rocblas_gemvn_kernelILi64ELi16ElfffEviiT3_lPKT2_lT1_lS3_lS4_lS0_lPT4_lS4_li, .Lfunc_end17-_ZL20rocblas_gemvn_kernelILi64ELi16ElfffEviiT3_lPKT2_lT1_lS3_lS4_lS0_lPT4_lS4_li
                                        ; -- End function
	.section	.AMDGPU.csdata,"",@progbits
; Kernel info:
; codeLenInByte = 3432
; NumSgprs: 46
; NumVgprs: 51
; ScratchSize: 0
; MemoryBound: 0
; FloatMode: 240
; IeeeMode: 1
; LDSByteSize: 16384 bytes/workgroup (compile time only)
; SGPRBlocks: 5
; VGPRBlocks: 6
; NumSGPRsForWavesPerEU: 46
; NumVGPRsForWavesPerEU: 51
; Occupancy: 16
; WaveLimiterHint : 1
; COMPUTE_PGM_RSRC2:SCRATCH_EN: 0
; COMPUTE_PGM_RSRC2:USER_SGPR: 14
; COMPUTE_PGM_RSRC2:TRAP_HANDLER: 0
; COMPUTE_PGM_RSRC2:TGID_X_EN: 1
; COMPUTE_PGM_RSRC2:TGID_Y_EN: 0
; COMPUTE_PGM_RSRC2:TGID_Z_EN: 1
; COMPUTE_PGM_RSRC2:TIDIG_COMP_CNT: 1
	.section	.text._ZL22rocblas_gemvtsm_kernelILb0ELi256EfPKffEviiT2_lPKT1_lilS5_lilS2_lPT3_lil,"axG",@progbits,_ZL22rocblas_gemvtsm_kernelILb0ELi256EfPKffEviiT2_lPKT1_lilS5_lilS2_lPT3_lil,comdat
	.globl	_ZL22rocblas_gemvtsm_kernelILb0ELi256EfPKffEviiT2_lPKT1_lilS5_lilS2_lPT3_lil ; -- Begin function _ZL22rocblas_gemvtsm_kernelILb0ELi256EfPKffEviiT2_lPKT1_lilS5_lilS2_lPT3_lil
	.p2align	8
	.type	_ZL22rocblas_gemvtsm_kernelILb0ELi256EfPKffEviiT2_lPKT1_lilS5_lilS2_lPT3_lil,@function
_ZL22rocblas_gemvtsm_kernelILb0ELi256EfPKffEviiT2_lPKT1_lilS5_lilS2_lPT3_lil: ; @_ZL22rocblas_gemvtsm_kernelILb0ELi256EfPKffEviiT2_lPKT1_lilS5_lilS2_lPT3_lil
; %bb.0:
	s_clause 0x1
	s_load_b256 s[4:11], s[0:1], 0x8
	s_load_b256 s[16:23], s[0:1], 0x50
	s_waitcnt lgkmcnt(0)
	s_mul_i32 s3, s15, s7
	s_mul_hi_u32 s7, s15, s6
	s_mul_i32 s2, s15, s6
	s_add_i32 s3, s7, s3
	s_mul_i32 s6, s15, s21
	s_lshl_b64 s[2:3], s[2:3], 2
	s_mul_hi_u32 s7, s15, s20
	s_add_u32 s2, s4, s2
	s_addc_u32 s3, s5, s3
	s_add_i32 s5, s7, s6
	s_mul_i32 s4, s15, s20
	s_delay_alu instid0(SALU_CYCLE_1) | instskip(NEXT) | instid1(SALU_CYCLE_1)
	s_lshl_b64 s[4:5], s[4:5], 2
	s_add_u32 s4, s18, s4
	s_addc_u32 s5, s19, s5
	s_load_b32 s26, s[2:3], 0x0
	s_load_b32 s14, s[4:5], 0x0
	s_waitcnt lgkmcnt(0)
	v_cmp_eq_f32_e64 s2, s26, 0
	v_cmp_eq_f32_e64 s3, s14, 1.0
	s_delay_alu instid0(VALU_DEP_1) | instskip(NEXT) | instid1(SALU_CYCLE_1)
	s_and_b32 s2, s2, s3
	s_and_b32 vcc_lo, exec_lo, s2
	s_cbranch_vccnz .LBB18_34
; %bb.1:
	s_clause 0x3
	s_load_b64 s[2:3], s[0:1], 0x80
	s_load_b32 s12, s[0:1], 0x78
	s_load_b64 s[20:21], s[0:1], 0x70
	s_load_b64 s[18:19], s[0:1], 0x0
	v_cmp_neq_f32_e64 s4, s26, 0
	s_delay_alu instid0(VALU_DEP_1)
	s_and_b32 vcc_lo, exec_lo, s4
	s_waitcnt lgkmcnt(0)
	s_mul_i32 s3, s15, s3
	s_mul_hi_u32 s4, s15, s2
	s_mul_i32 s24, s15, s2
	s_add_i32 s25, s4, s3
	s_cbranch_vccnz .LBB18_9
; %bb.2:
	s_cmp_gt_i32 s19, 0
	v_cmp_neq_f32_e64 s2, s14, 0
	s_cselect_b32 s4, -1, 0
	s_delay_alu instid0(SALU_CYCLE_1) | instskip(NEXT) | instid1(VALU_DEP_2)
	v_cndmask_b32_e64 v1, 0, 1, s4
	s_and_b32 vcc_lo, exec_lo, s2
	s_delay_alu instid0(VALU_DEP_1)
	v_cmp_ne_u32_e64 s2, 1, v1
	s_cbranch_vccnz .LBB18_10
; %bb.3:
	s_delay_alu instid0(VALU_DEP_1)
	s_and_b32 vcc_lo, exec_lo, s2
	s_cbranch_vccnz .LBB18_8
; %bb.4:
	v_mad_i64_i32 v[1:2], null, s12, v0, 0
	s_lshl_b64 s[6:7], s[20:21], 2
	s_ashr_i32 s13, s12, 31
	s_lshl_b64 s[2:3], s[24:25], 2
	s_add_u32 s5, s22, s6
	s_addc_u32 s6, s23, s7
	s_add_u32 s2, s5, s2
	s_delay_alu instid0(VALU_DEP_1) | instskip(SKIP_3) | instid1(VALU_DEP_2)
	v_lshlrev_b64 v[1:2], 2, v[1:2]
	s_addc_u32 s3, s6, s3
	v_mov_b32_e32 v3, 0
	s_mov_b32 s5, 0
	v_add_co_u32 v1, vcc_lo, s2, v1
	s_delay_alu instid0(VALU_DEP_3)
	v_add_co_ci_u32_e32 v2, vcc_lo, s3, v2, vcc_lo
	s_lshl_b64 s[2:3], s[12:13], 10
	s_branch .LBB18_6
.LBB18_5:                               ;   in Loop: Header=BB18_6 Depth=1
	s_or_b32 exec_lo, exec_lo, s6
	v_add_co_u32 v1, vcc_lo, v1, s2
	v_add_co_ci_u32_e32 v2, vcc_lo, s3, v2, vcc_lo
	s_addk_i32 s5, 0x100
	s_delay_alu instid0(SALU_CYCLE_1)
	s_cmp_ge_i32 s5, s19
	s_cbranch_scc1 .LBB18_8
.LBB18_6:                               ; =>This Inner Loop Header: Depth=1
	v_add_nc_u32_e32 v4, s5, v0
	s_mov_b32 s6, exec_lo
	s_delay_alu instid0(VALU_DEP_1)
	v_cmpx_gt_i32_e64 s19, v4
	s_cbranch_execz .LBB18_5
; %bb.7:                                ;   in Loop: Header=BB18_6 Depth=1
	global_store_b32 v[1:2], v3, off
	s_branch .LBB18_5
.LBB18_8:
	s_cbranch_execz .LBB18_11
	s_branch .LBB18_16
.LBB18_9:
	s_branch .LBB18_17
.LBB18_10:
.LBB18_11:
	s_and_not1_b32 vcc_lo, exec_lo, s4
	s_cbranch_vccnz .LBB18_16
; %bb.12:
	v_mad_i64_i32 v[1:2], null, s12, v0, 0
	s_lshl_b64 s[4:5], s[20:21], 2
	s_ashr_i32 s13, s12, 31
	s_lshl_b64 s[2:3], s[24:25], 2
	s_add_u32 s4, s22, s4
	s_addc_u32 s5, s23, s5
	s_add_u32 s2, s4, s2
	s_delay_alu instid0(VALU_DEP_1) | instskip(SKIP_2) | instid1(VALU_DEP_1)
	v_lshlrev_b64 v[1:2], 2, v[1:2]
	s_addc_u32 s3, s5, s3
	s_mov_b32 s4, 0
	v_add_co_u32 v1, vcc_lo, s2, v1
	s_delay_alu instid0(VALU_DEP_2)
	v_add_co_ci_u32_e32 v2, vcc_lo, s3, v2, vcc_lo
	s_lshl_b64 s[2:3], s[12:13], 10
	s_branch .LBB18_14
	.p2align	6
.LBB18_13:                              ;   in Loop: Header=BB18_14 Depth=1
	s_or_b32 exec_lo, exec_lo, s5
	v_add_co_u32 v1, vcc_lo, v1, s2
	v_add_co_ci_u32_e32 v2, vcc_lo, s3, v2, vcc_lo
	s_addk_i32 s4, 0x100
	s_delay_alu instid0(SALU_CYCLE_1)
	s_cmp_ge_i32 s4, s19
	s_cbranch_scc1 .LBB18_16
.LBB18_14:                              ; =>This Inner Loop Header: Depth=1
	v_add_nc_u32_e32 v3, s4, v0
	s_mov_b32 s5, exec_lo
	s_delay_alu instid0(VALU_DEP_1)
	v_cmpx_gt_i32_e64 s19, v3
	s_cbranch_execz .LBB18_13
; %bb.15:                               ;   in Loop: Header=BB18_14 Depth=1
	global_load_b32 v3, v[1:2], off
	s_waitcnt vmcnt(0)
	v_mul_f32_e32 v3, s14, v3
	global_store_b32 v[1:2], v3, off
	s_branch .LBB18_13
.LBB18_16:
	s_cbranch_execnz .LBB18_34
.LBB18_17:
	s_clause 0x1
	s_load_b128 s[4:7], s[0:1], 0x30
	s_load_b64 s[2:3], s[0:1], 0x40
	s_mov_b32 s13, exec_lo
	v_cmpx_gt_i32_e64 s18, v0
	s_cbranch_execz .LBB18_19
; %bb.18:
	s_load_b32 s27, s[0:1], 0x48
	s_mul_i32 s17, s15, s17
	s_mul_hi_u32 s28, s15, s16
	s_mul_i32 s16, s15, s16
	s_add_i32 s17, s28, s17
	s_delay_alu instid0(SALU_CYCLE_1) | instskip(SKIP_4) | instid1(SALU_CYCLE_1)
	s_lshl_b64 s[16:17], s[16:17], 2
	s_waitcnt lgkmcnt(0)
	s_add_u32 s6, s6, s16
	s_addc_u32 s7, s7, s17
	s_lshl_b64 s[2:3], s[2:3], 2
	s_add_u32 s2, s6, s2
	s_addc_u32 s3, s7, s3
	v_mad_i64_i32 v[1:2], null, s27, v0, 0
	s_delay_alu instid0(VALU_DEP_1) | instskip(NEXT) | instid1(VALU_DEP_1)
	v_lshlrev_b64 v[1:2], 2, v[1:2]
	v_add_co_u32 v1, vcc_lo, s2, v1
	s_delay_alu instid0(VALU_DEP_2)
	v_add_co_ci_u32_e32 v2, vcc_lo, s3, v2, vcc_lo
	global_load_b32 v1, v[1:2], off
	s_waitcnt vmcnt(0)
	v_dual_mul_f32 v1, s26, v1 :: v_dual_lshlrev_b32 v2, 2, v0
	ds_store_b32 v2, v1
.LBB18_19:
	s_or_b32 exec_lo, exec_lo, s13
	s_cmp_lt_i32 s19, 1
	s_waitcnt lgkmcnt(0)
	s_waitcnt_vscnt null, 0x0
	s_barrier
	buffer_gl0_inv
	s_cbranch_scc1 .LBB18_34
; %bb.20:
	s_load_b32 s2, s[0:1], 0x28
	s_lshl_b64 s[0:1], s[24:25], 2
	s_mul_i32 s25, s5, s15
	s_add_u32 s3, s22, s0
	s_addc_u32 s6, s23, s1
	s_lshl_b64 s[0:1], s[20:21], 2
	s_mul_hi_u32 s26, s4, s15
	s_add_u32 s5, s3, s0
	s_addc_u32 s6, s6, s1
	s_ashr_i32 s7, s12, 31
	s_mul_i32 s24, s4, s15
	v_cmp_neq_f32_e64 s4, s14, 0
	s_waitcnt lgkmcnt(0)
	s_ashr_i32 s3, s2, 31
	s_cmp_gt_i32 s18, 0
	v_mad_i64_i32 v[1:2], null, s2, v0, 0
	s_cselect_b32 s13, -1, 0
	s_and_b32 s15, s18, 7
	s_cmp_gt_u32 s18, 7
	s_cselect_b32 s16, -1, 0
	s_and_b32 s17, s18, 0x7ffffff8
	s_cmp_lg_u32 s15, 0
	s_delay_alu instid0(VALU_DEP_1)
	v_lshlrev_b64 v[1:2], 2, v[1:2]
	s_cselect_b32 s18, -1, 0
	s_add_i32 s25, s26, s25
	s_lshl_b64 s[0:1], s[10:11], 2
	s_lshl_b64 s[10:11], s[24:25], 2
	s_add_u32 s0, s8, s0
	s_addc_u32 s1, s9, s1
	s_add_u32 s0, s0, s10
	s_addc_u32 s1, s1, s11
	v_add_co_u32 v7, vcc_lo, s0, v1
	v_add_co_ci_u32_e32 v8, vcc_lo, s1, v2, vcc_lo
	s_mov_b32 s1, 0
	s_delay_alu instid0(VALU_DEP_2) | instskip(NEXT) | instid1(VALU_DEP_2)
	v_add_co_u32 v1, vcc_lo, v7, 28
	v_add_co_ci_u32_e32 v2, vcc_lo, 0, v8, vcc_lo
	s_lshl_b64 s[2:3], s[2:3], 10
	s_mov_b32 s8, 0
	s_branch .LBB18_23
.LBB18_21:                              ;   in Loop: Header=BB18_23 Depth=1
	s_delay_alu instid0(VALU_DEP_2)
	v_add_co_u32 v3, vcc_lo, s5, v3
	v_add_co_ci_u32_e32 v4, vcc_lo, s6, v4, vcc_lo
	global_store_b32 v[3:4], v9, off
.LBB18_22:                              ;   in Loop: Header=BB18_23 Depth=1
	s_or_b32 exec_lo, exec_lo, s9
	v_add_co_u32 v1, vcc_lo, v1, s2
	v_add_co_ci_u32_e32 v2, vcc_lo, s3, v2, vcc_lo
	v_add_co_u32 v7, vcc_lo, v7, s2
	v_add_co_ci_u32_e32 v8, vcc_lo, s3, v8, vcc_lo
	s_addk_i32 s8, 0x100
	s_delay_alu instid0(SALU_CYCLE_1)
	s_cmp_ge_i32 s8, s19
	s_cbranch_scc1 .LBB18_34
.LBB18_23:                              ; =>This Loop Header: Depth=1
                                        ;     Child Loop BB18_29 Depth 2
                                        ;     Child Loop BB18_33 Depth 2
	v_add_nc_u32_e32 v3, s8, v0
	s_mov_b32 s9, exec_lo
	s_delay_alu instid0(VALU_DEP_1)
	v_cmpx_gt_i32_e64 s19, v3
	s_cbranch_execz .LBB18_22
; %bb.24:                               ;   in Loop: Header=BB18_23 Depth=1
	v_mad_u64_u32 v[4:5], null, v3, s12, 0
	s_and_not1_b32 vcc_lo, exec_lo, s4
	s_delay_alu instid0(VALU_DEP_1) | instskip(NEXT) | instid1(VALU_DEP_1)
	v_mad_u64_u32 v[9:10], null, v3, s7, v[5:6]
	v_mov_b32_e32 v5, v9
	s_delay_alu instid0(VALU_DEP_1)
	v_lshlrev_b64 v[3:4], 2, v[4:5]
	s_cbranch_vccnz .LBB18_26
; %bb.25:                               ;   in Loop: Header=BB18_23 Depth=1
	s_delay_alu instid0(VALU_DEP_1) | instskip(NEXT) | instid1(VALU_DEP_2)
	v_add_co_u32 v5, vcc_lo, s5, v3
	v_add_co_ci_u32_e32 v6, vcc_lo, s6, v4, vcc_lo
	global_load_b32 v5, v[5:6], off
	s_waitcnt vmcnt(0)
	v_mul_f32_e32 v9, s14, v5
	s_and_not1_b32 vcc_lo, exec_lo, s13
	s_cbranch_vccz .LBB18_27
	s_branch .LBB18_21
.LBB18_26:                              ;   in Loop: Header=BB18_23 Depth=1
	v_mov_b32_e32 v9, 0
	s_and_not1_b32 vcc_lo, exec_lo, s13
	s_cbranch_vccnz .LBB18_21
.LBB18_27:                              ;   in Loop: Header=BB18_23 Depth=1
	s_and_not1_b32 vcc_lo, exec_lo, s16
	s_cbranch_vccnz .LBB18_31
; %bb.28:                               ;   in Loop: Header=BB18_23 Depth=1
	v_dual_mov_b32 v6, v2 :: v_dual_mov_b32 v5, v1
	s_mov_b32 s0, 0
	s_mov_b32 s10, 0
	.p2align	6
.LBB18_29:                              ;   Parent Loop BB18_23 Depth=1
                                        ; =>  This Inner Loop Header: Depth=2
	s_clause 0x1
	global_load_b128 v[10:13], v[5:6], off offset:-28
	global_load_b128 v[14:17], v[5:6], off offset:-12
	v_mov_b32_e32 v22, s0
	v_add_co_u32 v5, vcc_lo, v5, 32
	v_add_co_ci_u32_e32 v6, vcc_lo, 0, v6, vcc_lo
	ds_load_b128 v[18:21], v22
	ds_load_b128 v[22:25], v22 offset:16
	s_add_i32 s10, s10, 8
	s_add_i32 s0, s0, 32
	s_cmp_eq_u32 s17, s10
	s_waitcnt vmcnt(1) lgkmcnt(1)
	v_fmac_f32_e32 v9, v18, v10
	s_delay_alu instid0(VALU_DEP_1) | instskip(NEXT) | instid1(VALU_DEP_1)
	v_fmac_f32_e32 v9, v19, v11
	v_fmac_f32_e32 v9, v20, v12
	s_delay_alu instid0(VALU_DEP_1) | instskip(SKIP_1) | instid1(VALU_DEP_1)
	v_fmac_f32_e32 v9, v21, v13
	s_waitcnt vmcnt(0) lgkmcnt(0)
	v_fmac_f32_e32 v9, v22, v14
	s_delay_alu instid0(VALU_DEP_1) | instskip(NEXT) | instid1(VALU_DEP_1)
	v_fmac_f32_e32 v9, v23, v15
	v_fmac_f32_e32 v9, v24, v16
	s_delay_alu instid0(VALU_DEP_1)
	v_fmac_f32_e32 v9, v25, v17
	s_cbranch_scc0 .LBB18_29
; %bb.30:                               ;   in Loop: Header=BB18_23 Depth=1
	s_mov_b32 s0, s17
	s_and_not1_b32 vcc_lo, exec_lo, s18
	s_cbranch_vccz .LBB18_32
	s_branch .LBB18_21
.LBB18_31:                              ;   in Loop: Header=BB18_23 Depth=1
	s_mov_b32 s0, 0
	s_and_not1_b32 vcc_lo, exec_lo, s18
	s_cbranch_vccnz .LBB18_21
.LBB18_32:                              ;   in Loop: Header=BB18_23 Depth=1
	s_lshl_b64 s[10:11], s[0:1], 2
	s_lshl_b32 s0, s0, 2
	v_add_co_u32 v5, vcc_lo, v7, s10
	v_add_co_ci_u32_e32 v6, vcc_lo, s11, v8, vcc_lo
	s_mov_b32 s10, s15
.LBB18_33:                              ;   Parent Loop BB18_23 Depth=1
                                        ; =>  This Inner Loop Header: Depth=2
	global_load_b32 v10, v[5:6], off
	v_mov_b32_e32 v11, s0
	v_add_co_u32 v5, vcc_lo, v5, 4
	v_add_co_ci_u32_e32 v6, vcc_lo, 0, v6, vcc_lo
	ds_load_b32 v11, v11
	s_add_i32 s10, s10, -1
	s_add_i32 s0, s0, 4
	s_cmp_lg_u32 s10, 0
	s_waitcnt vmcnt(0) lgkmcnt(0)
	v_fmac_f32_e32 v9, v11, v10
	s_cbranch_scc1 .LBB18_33
	s_branch .LBB18_21
.LBB18_34:
	s_nop 0
	s_sendmsg sendmsg(MSG_DEALLOC_VGPRS)
	s_endpgm
	.section	.rodata,"a",@progbits
	.p2align	6, 0x0
	.amdhsa_kernel _ZL22rocblas_gemvtsm_kernelILb0ELi256EfPKffEviiT2_lPKT1_lilS5_lilS2_lPT3_lil
		.amdhsa_group_segment_fixed_size 256
		.amdhsa_private_segment_fixed_size 0
		.amdhsa_kernarg_size 136
		.amdhsa_user_sgpr_count 15
		.amdhsa_user_sgpr_dispatch_ptr 0
		.amdhsa_user_sgpr_queue_ptr 0
		.amdhsa_user_sgpr_kernarg_segment_ptr 1
		.amdhsa_user_sgpr_dispatch_id 0
		.amdhsa_user_sgpr_private_segment_size 0
		.amdhsa_wavefront_size32 1
		.amdhsa_uses_dynamic_stack 0
		.amdhsa_enable_private_segment 0
		.amdhsa_system_sgpr_workgroup_id_x 1
		.amdhsa_system_sgpr_workgroup_id_y 0
		.amdhsa_system_sgpr_workgroup_id_z 0
		.amdhsa_system_sgpr_workgroup_info 0
		.amdhsa_system_vgpr_workitem_id 0
		.amdhsa_next_free_vgpr 26
		.amdhsa_next_free_sgpr 29
		.amdhsa_reserve_vcc 1
		.amdhsa_float_round_mode_32 0
		.amdhsa_float_round_mode_16_64 0
		.amdhsa_float_denorm_mode_32 3
		.amdhsa_float_denorm_mode_16_64 3
		.amdhsa_dx10_clamp 1
		.amdhsa_ieee_mode 1
		.amdhsa_fp16_overflow 0
		.amdhsa_workgroup_processor_mode 1
		.amdhsa_memory_ordered 1
		.amdhsa_forward_progress 0
		.amdhsa_shared_vgpr_count 0
		.amdhsa_exception_fp_ieee_invalid_op 0
		.amdhsa_exception_fp_denorm_src 0
		.amdhsa_exception_fp_ieee_div_zero 0
		.amdhsa_exception_fp_ieee_overflow 0
		.amdhsa_exception_fp_ieee_underflow 0
		.amdhsa_exception_fp_ieee_inexact 0
		.amdhsa_exception_int_div_zero 0
	.end_amdhsa_kernel
	.section	.text._ZL22rocblas_gemvtsm_kernelILb0ELi256EfPKffEviiT2_lPKT1_lilS5_lilS2_lPT3_lil,"axG",@progbits,_ZL22rocblas_gemvtsm_kernelILb0ELi256EfPKffEviiT2_lPKT1_lilS5_lilS2_lPT3_lil,comdat
.Lfunc_end18:
	.size	_ZL22rocblas_gemvtsm_kernelILb0ELi256EfPKffEviiT2_lPKT1_lilS5_lilS2_lPT3_lil, .Lfunc_end18-_ZL22rocblas_gemvtsm_kernelILb0ELi256EfPKffEviiT2_lPKT1_lilS5_lilS2_lPT3_lil
                                        ; -- End function
	.section	.AMDGPU.csdata,"",@progbits
; Kernel info:
; codeLenInByte = 1448
; NumSgprs: 31
; NumVgprs: 26
; ScratchSize: 0
; MemoryBound: 0
; FloatMode: 240
; IeeeMode: 1
; LDSByteSize: 256 bytes/workgroup (compile time only)
; SGPRBlocks: 3
; VGPRBlocks: 3
; NumSGPRsForWavesPerEU: 31
; NumVGPRsForWavesPerEU: 26
; Occupancy: 16
; WaveLimiterHint : 1
; COMPUTE_PGM_RSRC2:SCRATCH_EN: 0
; COMPUTE_PGM_RSRC2:USER_SGPR: 15
; COMPUTE_PGM_RSRC2:TRAP_HANDLER: 0
; COMPUTE_PGM_RSRC2:TGID_X_EN: 1
; COMPUTE_PGM_RSRC2:TGID_Y_EN: 0
; COMPUTE_PGM_RSRC2:TGID_Z_EN: 0
; COMPUTE_PGM_RSRC2:TIDIG_COMP_CNT: 0
	.section	.text._ZL22rocblas_gemvtsm_kernelILb0ELi256EfffEviiT2_lPKT1_lilS3_lilS0_lPT3_lil,"axG",@progbits,_ZL22rocblas_gemvtsm_kernelILb0ELi256EfffEviiT2_lPKT1_lilS3_lilS0_lPT3_lil,comdat
	.globl	_ZL22rocblas_gemvtsm_kernelILb0ELi256EfffEviiT2_lPKT1_lilS3_lilS0_lPT3_lil ; -- Begin function _ZL22rocblas_gemvtsm_kernelILb0ELi256EfffEviiT2_lPKT1_lilS3_lilS0_lPT3_lil
	.p2align	8
	.type	_ZL22rocblas_gemvtsm_kernelILb0ELi256EfffEviiT2_lPKT1_lilS3_lilS0_lPT3_lil,@function
_ZL22rocblas_gemvtsm_kernelILb0ELi256EfffEviiT2_lPKT1_lilS3_lilS0_lPT3_lil: ; @_ZL22rocblas_gemvtsm_kernelILb0ELi256EfffEviiT2_lPKT1_lilS3_lilS0_lPT3_lil
; %bb.0:
	s_load_b128 s[4:7], s[0:1], 0x0
	s_waitcnt lgkmcnt(0)
	s_load_b32 s7, s[0:1], 0x58
	v_cmp_eq_f32_e64 s2, s6, 0
	s_waitcnt lgkmcnt(0)
	v_cmp_eq_f32_e64 s3, s7, 1.0
	s_delay_alu instid0(VALU_DEP_1) | instskip(NEXT) | instid1(SALU_CYCLE_1)
	s_and_b32 s2, s2, s3
	s_and_b32 vcc_lo, exec_lo, s2
	s_cbranch_vccnz .LBB19_34
; %bb.1:
	s_clause 0x2
	s_load_b64 s[2:3], s[0:1], 0x80
	s_load_b128 s[8:11], s[0:1], 0x68
	s_load_b32 s12, s[0:1], 0x78
	v_cmp_neq_f32_e64 s13, s6, 0
	s_delay_alu instid0(VALU_DEP_1)
	s_and_b32 vcc_lo, exec_lo, s13
	s_waitcnt lgkmcnt(0)
	s_mul_i32 s3, s15, s3
	s_mul_hi_u32 s13, s15, s2
	s_mul_i32 s20, s15, s2
	s_add_i32 s21, s13, s3
	s_cbranch_vccnz .LBB19_9
; %bb.2:
	s_cmp_gt_i32 s5, 0
	v_cmp_neq_f32_e64 s2, s7, 0
	s_cselect_b32 s14, -1, 0
	s_delay_alu instid0(SALU_CYCLE_1) | instskip(NEXT) | instid1(VALU_DEP_2)
	v_cndmask_b32_e64 v1, 0, 1, s14
	s_and_b32 vcc_lo, exec_lo, s2
	s_delay_alu instid0(VALU_DEP_1)
	v_cmp_ne_u32_e64 s2, 1, v1
	s_cbranch_vccnz .LBB19_10
; %bb.3:
	s_delay_alu instid0(VALU_DEP_1)
	s_and_b32 vcc_lo, exec_lo, s2
	s_cbranch_vccnz .LBB19_8
; %bb.4:
	v_mad_i64_i32 v[1:2], null, s12, v0, 0
	s_lshl_b64 s[16:17], s[10:11], 2
	s_ashr_i32 s13, s12, 31
	s_lshl_b64 s[2:3], s[20:21], 2
	s_add_u32 s16, s8, s16
	s_addc_u32 s17, s9, s17
	s_add_u32 s2, s16, s2
	s_delay_alu instid0(VALU_DEP_1) | instskip(SKIP_2) | instid1(VALU_DEP_2)
	v_lshlrev_b64 v[1:2], 2, v[1:2]
	s_addc_u32 s3, s17, s3
	v_mov_b32_e32 v3, 0
	v_add_co_u32 v1, vcc_lo, s2, v1
	s_delay_alu instid0(VALU_DEP_3)
	v_add_co_ci_u32_e32 v2, vcc_lo, s3, v2, vcc_lo
	s_lshl_b64 s[2:3], s[12:13], 10
	s_mov_b32 s13, 0
	s_branch .LBB19_6
.LBB19_5:                               ;   in Loop: Header=BB19_6 Depth=1
	s_or_b32 exec_lo, exec_lo, s16
	v_add_co_u32 v1, vcc_lo, v1, s2
	v_add_co_ci_u32_e32 v2, vcc_lo, s3, v2, vcc_lo
	s_addk_i32 s13, 0x100
	s_delay_alu instid0(SALU_CYCLE_1)
	s_cmp_ge_i32 s13, s5
	s_cbranch_scc1 .LBB19_8
.LBB19_6:                               ; =>This Inner Loop Header: Depth=1
	v_add_nc_u32_e32 v4, s13, v0
	s_mov_b32 s16, exec_lo
	s_delay_alu instid0(VALU_DEP_1)
	v_cmpx_gt_i32_e64 s5, v4
	s_cbranch_execz .LBB19_5
; %bb.7:                                ;   in Loop: Header=BB19_6 Depth=1
	global_store_b32 v[1:2], v3, off
	s_branch .LBB19_5
.LBB19_8:
	s_cbranch_execz .LBB19_11
	s_branch .LBB19_16
.LBB19_9:
	s_branch .LBB19_17
.LBB19_10:
.LBB19_11:
	s_and_not1_b32 vcc_lo, exec_lo, s14
	s_cbranch_vccnz .LBB19_16
; %bb.12:
	v_mad_i64_i32 v[1:2], null, s12, v0, 0
	s_lshl_b64 s[16:17], s[10:11], 2
	s_ashr_i32 s13, s12, 31
	s_lshl_b64 s[2:3], s[20:21], 2
	s_add_u32 s14, s8, s16
	s_addc_u32 s16, s9, s17
	s_add_u32 s2, s14, s2
	s_delay_alu instid0(VALU_DEP_1) | instskip(SKIP_1) | instid1(VALU_DEP_1)
	v_lshlrev_b64 v[1:2], 2, v[1:2]
	s_addc_u32 s3, s16, s3
	v_add_co_u32 v1, vcc_lo, s2, v1
	s_delay_alu instid0(VALU_DEP_2)
	v_add_co_ci_u32_e32 v2, vcc_lo, s3, v2, vcc_lo
	s_lshl_b64 s[2:3], s[12:13], 10
	s_mov_b32 s13, 0
	s_branch .LBB19_14
	.p2align	6
.LBB19_13:                              ;   in Loop: Header=BB19_14 Depth=1
	s_or_b32 exec_lo, exec_lo, s14
	v_add_co_u32 v1, vcc_lo, v1, s2
	v_add_co_ci_u32_e32 v2, vcc_lo, s3, v2, vcc_lo
	s_addk_i32 s13, 0x100
	s_delay_alu instid0(SALU_CYCLE_1)
	s_cmp_ge_i32 s13, s5
	s_cbranch_scc1 .LBB19_16
.LBB19_14:                              ; =>This Inner Loop Header: Depth=1
	v_add_nc_u32_e32 v3, s13, v0
	s_mov_b32 s14, exec_lo
	s_delay_alu instid0(VALU_DEP_1)
	v_cmpx_gt_i32_e64 s5, v3
	s_cbranch_execz .LBB19_13
; %bb.15:                               ;   in Loop: Header=BB19_14 Depth=1
	global_load_b32 v3, v[1:2], off
	s_waitcnt vmcnt(0)
	v_mul_f32_e32 v3, s7, v3
	global_store_b32 v[1:2], v3, off
	s_branch .LBB19_13
.LBB19_16:
	s_cbranch_execnz .LBB19_34
.LBB19_17:
	s_clause 0x1
	s_load_b128 s[16:19], s[0:1], 0x30
	s_load_b64 s[2:3], s[0:1], 0x40
	s_mov_b32 s13, exec_lo
	v_cmpx_gt_i32_e64 s4, v0
	s_cbranch_execz .LBB19_19
; %bb.18:
	s_clause 0x1
	s_load_b64 s[22:23], s[0:1], 0x50
	s_load_b32 s14, s[0:1], 0x48
	s_waitcnt lgkmcnt(0)
	s_mul_i32 s23, s15, s23
	v_mad_i64_i32 v[1:2], null, s14, v0, 0
	s_mul_hi_u32 s24, s15, s22
	s_mul_i32 s22, s15, s22
	s_add_i32 s23, s24, s23
	s_delay_alu instid0(SALU_CYCLE_1) | instskip(NEXT) | instid1(SALU_CYCLE_1)
	s_lshl_b64 s[22:23], s[22:23], 2
	s_add_u32 s14, s18, s22
	s_delay_alu instid0(VALU_DEP_1) | instskip(SKIP_2) | instid1(SALU_CYCLE_1)
	v_lshlrev_b64 v[1:2], 2, v[1:2]
	s_addc_u32 s18, s19, s23
	s_lshl_b64 s[2:3], s[2:3], 2
	s_add_u32 s2, s14, s2
	s_addc_u32 s3, s18, s3
	s_delay_alu instid0(VALU_DEP_1)
	v_add_co_u32 v1, vcc_lo, s2, v1
	v_add_co_ci_u32_e32 v2, vcc_lo, s3, v2, vcc_lo
	global_load_b32 v1, v[1:2], off
	s_waitcnt vmcnt(0)
	v_dual_mul_f32 v1, s6, v1 :: v_dual_lshlrev_b32 v2, 2, v0
	ds_store_b32 v2, v1
.LBB19_19:
	s_or_b32 exec_lo, exec_lo, s13
	s_cmp_lt_i32 s5, 1
	s_waitcnt lgkmcnt(0)
	s_waitcnt_vscnt null, 0x0
	s_barrier
	buffer_gl0_inv
	s_cbranch_scc1 .LBB19_34
; %bb.20:
	s_clause 0x1
	s_load_b32 s18, s[0:1], 0x28
	s_load_b128 s[0:3], s[0:1], 0x18
	s_lshl_b64 s[20:21], s[20:21], 2
	s_mul_i32 s17, s17, s15
	s_add_u32 s13, s8, s20
	s_addc_u32 s14, s9, s21
	s_lshl_b64 s[8:9], s[10:11], 2
	s_mul_hi_u32 s22, s16, s15
	s_add_u32 s8, s13, s8
	s_addc_u32 s9, s14, s9
	s_ashr_i32 s10, s12, 31
	s_mul_i32 s16, s16, s15
	v_cmp_neq_f32_e64 s6, s7, 0
	s_waitcnt lgkmcnt(0)
	s_ashr_i32 s19, s18, 31
	s_cmp_gt_i32 s4, 0
	v_mad_i64_i32 v[1:2], null, s18, v0, 0
	s_cselect_b32 s11, -1, 0
	s_and_b32 s13, s4, 7
	s_cmp_gt_u32 s4, 7
	s_cselect_b32 s14, -1, 0
	s_and_b32 s4, s4, 0x7ffffff8
	s_cmp_lg_u32 s13, 0
	s_delay_alu instid0(VALU_DEP_1)
	v_lshlrev_b64 v[1:2], 2, v[1:2]
	s_cselect_b32 s15, -1, 0
	s_add_i32 s17, s22, s17
	s_lshl_b64 s[2:3], s[2:3], 2
	s_lshl_b64 s[16:17], s[16:17], 2
	s_add_u32 s0, s0, s2
	s_addc_u32 s1, s1, s3
	s_add_u32 s0, s0, s16
	s_addc_u32 s1, s1, s17
	v_add_co_u32 v7, vcc_lo, s0, v1
	v_add_co_ci_u32_e32 v8, vcc_lo, s1, v2, vcc_lo
	s_mov_b32 s1, 0
	s_delay_alu instid0(VALU_DEP_2) | instskip(NEXT) | instid1(VALU_DEP_2)
	v_add_co_u32 v1, vcc_lo, v7, 28
	v_add_co_ci_u32_e32 v2, vcc_lo, 0, v8, vcc_lo
	s_lshl_b64 s[2:3], s[18:19], 10
	s_mov_b32 s16, 0
	s_branch .LBB19_23
.LBB19_21:                              ;   in Loop: Header=BB19_23 Depth=1
	s_delay_alu instid0(VALU_DEP_2)
	v_add_co_u32 v3, vcc_lo, s8, v3
	v_add_co_ci_u32_e32 v4, vcc_lo, s9, v4, vcc_lo
	global_store_b32 v[3:4], v9, off
.LBB19_22:                              ;   in Loop: Header=BB19_23 Depth=1
	s_or_b32 exec_lo, exec_lo, s17
	v_add_co_u32 v1, vcc_lo, v1, s2
	v_add_co_ci_u32_e32 v2, vcc_lo, s3, v2, vcc_lo
	v_add_co_u32 v7, vcc_lo, v7, s2
	v_add_co_ci_u32_e32 v8, vcc_lo, s3, v8, vcc_lo
	s_addk_i32 s16, 0x100
	s_delay_alu instid0(SALU_CYCLE_1)
	s_cmp_ge_i32 s16, s5
	s_cbranch_scc1 .LBB19_34
.LBB19_23:                              ; =>This Loop Header: Depth=1
                                        ;     Child Loop BB19_29 Depth 2
                                        ;     Child Loop BB19_33 Depth 2
	v_add_nc_u32_e32 v3, s16, v0
	s_mov_b32 s17, exec_lo
	s_delay_alu instid0(VALU_DEP_1)
	v_cmpx_gt_i32_e64 s5, v3
	s_cbranch_execz .LBB19_22
; %bb.24:                               ;   in Loop: Header=BB19_23 Depth=1
	v_mad_u64_u32 v[4:5], null, v3, s12, 0
	s_and_not1_b32 vcc_lo, exec_lo, s6
	s_delay_alu instid0(VALU_DEP_1) | instskip(NEXT) | instid1(VALU_DEP_1)
	v_mad_u64_u32 v[9:10], null, v3, s10, v[5:6]
	v_mov_b32_e32 v5, v9
	s_delay_alu instid0(VALU_DEP_1)
	v_lshlrev_b64 v[3:4], 2, v[4:5]
	s_cbranch_vccnz .LBB19_26
; %bb.25:                               ;   in Loop: Header=BB19_23 Depth=1
	s_delay_alu instid0(VALU_DEP_1) | instskip(NEXT) | instid1(VALU_DEP_2)
	v_add_co_u32 v5, vcc_lo, s8, v3
	v_add_co_ci_u32_e32 v6, vcc_lo, s9, v4, vcc_lo
	global_load_b32 v5, v[5:6], off
	s_waitcnt vmcnt(0)
	v_mul_f32_e32 v9, s7, v5
	s_and_not1_b32 vcc_lo, exec_lo, s11
	s_cbranch_vccz .LBB19_27
	s_branch .LBB19_21
.LBB19_26:                              ;   in Loop: Header=BB19_23 Depth=1
	v_mov_b32_e32 v9, 0
	s_and_not1_b32 vcc_lo, exec_lo, s11
	s_cbranch_vccnz .LBB19_21
.LBB19_27:                              ;   in Loop: Header=BB19_23 Depth=1
	s_and_not1_b32 vcc_lo, exec_lo, s14
	s_cbranch_vccnz .LBB19_31
; %bb.28:                               ;   in Loop: Header=BB19_23 Depth=1
	v_dual_mov_b32 v6, v2 :: v_dual_mov_b32 v5, v1
	s_mov_b32 s0, 0
	s_mov_b32 s18, 0
	.p2align	6
.LBB19_29:                              ;   Parent Loop BB19_23 Depth=1
                                        ; =>  This Inner Loop Header: Depth=2
	s_clause 0x1
	global_load_b128 v[10:13], v[5:6], off offset:-28
	global_load_b128 v[14:17], v[5:6], off offset:-12
	v_mov_b32_e32 v22, s0
	v_add_co_u32 v5, vcc_lo, v5, 32
	v_add_co_ci_u32_e32 v6, vcc_lo, 0, v6, vcc_lo
	ds_load_b128 v[18:21], v22
	ds_load_b128 v[22:25], v22 offset:16
	s_add_i32 s18, s18, 8
	s_add_i32 s0, s0, 32
	s_cmp_eq_u32 s4, s18
	s_waitcnt vmcnt(1) lgkmcnt(1)
	v_fmac_f32_e32 v9, v18, v10
	s_delay_alu instid0(VALU_DEP_1) | instskip(NEXT) | instid1(VALU_DEP_1)
	v_fmac_f32_e32 v9, v19, v11
	v_fmac_f32_e32 v9, v20, v12
	s_delay_alu instid0(VALU_DEP_1) | instskip(SKIP_1) | instid1(VALU_DEP_1)
	v_fmac_f32_e32 v9, v21, v13
	s_waitcnt vmcnt(0) lgkmcnt(0)
	v_fmac_f32_e32 v9, v22, v14
	s_delay_alu instid0(VALU_DEP_1) | instskip(NEXT) | instid1(VALU_DEP_1)
	v_fmac_f32_e32 v9, v23, v15
	v_fmac_f32_e32 v9, v24, v16
	s_delay_alu instid0(VALU_DEP_1)
	v_fmac_f32_e32 v9, v25, v17
	s_cbranch_scc0 .LBB19_29
; %bb.30:                               ;   in Loop: Header=BB19_23 Depth=1
	s_mov_b32 s0, s4
	s_and_not1_b32 vcc_lo, exec_lo, s15
	s_cbranch_vccz .LBB19_32
	s_branch .LBB19_21
.LBB19_31:                              ;   in Loop: Header=BB19_23 Depth=1
	s_mov_b32 s0, 0
	s_and_not1_b32 vcc_lo, exec_lo, s15
	s_cbranch_vccnz .LBB19_21
.LBB19_32:                              ;   in Loop: Header=BB19_23 Depth=1
	s_lshl_b64 s[18:19], s[0:1], 2
	s_lshl_b32 s0, s0, 2
	v_add_co_u32 v5, vcc_lo, v7, s18
	v_add_co_ci_u32_e32 v6, vcc_lo, s19, v8, vcc_lo
	s_mov_b32 s18, s13
.LBB19_33:                              ;   Parent Loop BB19_23 Depth=1
                                        ; =>  This Inner Loop Header: Depth=2
	global_load_b32 v10, v[5:6], off
	v_mov_b32_e32 v11, s0
	v_add_co_u32 v5, vcc_lo, v5, 4
	v_add_co_ci_u32_e32 v6, vcc_lo, 0, v6, vcc_lo
	ds_load_b32 v11, v11
	s_add_i32 s18, s18, -1
	s_add_i32 s0, s0, 4
	s_cmp_lg_u32 s18, 0
	s_waitcnt vmcnt(0) lgkmcnt(0)
	v_fmac_f32_e32 v9, v11, v10
	s_cbranch_scc1 .LBB19_33
	s_branch .LBB19_21
.LBB19_34:
	s_nop 0
	s_sendmsg sendmsg(MSG_DEALLOC_VGPRS)
	s_endpgm
	.section	.rodata,"a",@progbits
	.p2align	6, 0x0
	.amdhsa_kernel _ZL22rocblas_gemvtsm_kernelILb0ELi256EfffEviiT2_lPKT1_lilS3_lilS0_lPT3_lil
		.amdhsa_group_segment_fixed_size 256
		.amdhsa_private_segment_fixed_size 0
		.amdhsa_kernarg_size 136
		.amdhsa_user_sgpr_count 15
		.amdhsa_user_sgpr_dispatch_ptr 0
		.amdhsa_user_sgpr_queue_ptr 0
		.amdhsa_user_sgpr_kernarg_segment_ptr 1
		.amdhsa_user_sgpr_dispatch_id 0
		.amdhsa_user_sgpr_private_segment_size 0
		.amdhsa_wavefront_size32 1
		.amdhsa_uses_dynamic_stack 0
		.amdhsa_enable_private_segment 0
		.amdhsa_system_sgpr_workgroup_id_x 1
		.amdhsa_system_sgpr_workgroup_id_y 0
		.amdhsa_system_sgpr_workgroup_id_z 0
		.amdhsa_system_sgpr_workgroup_info 0
		.amdhsa_system_vgpr_workitem_id 0
		.amdhsa_next_free_vgpr 26
		.amdhsa_next_free_sgpr 25
		.amdhsa_reserve_vcc 1
		.amdhsa_float_round_mode_32 0
		.amdhsa_float_round_mode_16_64 0
		.amdhsa_float_denorm_mode_32 3
		.amdhsa_float_denorm_mode_16_64 3
		.amdhsa_dx10_clamp 1
		.amdhsa_ieee_mode 1
		.amdhsa_fp16_overflow 0
		.amdhsa_workgroup_processor_mode 1
		.amdhsa_memory_ordered 1
		.amdhsa_forward_progress 0
		.amdhsa_shared_vgpr_count 0
		.amdhsa_exception_fp_ieee_invalid_op 0
		.amdhsa_exception_fp_denorm_src 0
		.amdhsa_exception_fp_ieee_div_zero 0
		.amdhsa_exception_fp_ieee_overflow 0
		.amdhsa_exception_fp_ieee_underflow 0
		.amdhsa_exception_fp_ieee_inexact 0
		.amdhsa_exception_int_div_zero 0
	.end_amdhsa_kernel
	.section	.text._ZL22rocblas_gemvtsm_kernelILb0ELi256EfffEviiT2_lPKT1_lilS3_lilS0_lPT3_lil,"axG",@progbits,_ZL22rocblas_gemvtsm_kernelILb0ELi256EfffEviiT2_lPKT1_lilS3_lilS0_lPT3_lil,comdat
.Lfunc_end19:
	.size	_ZL22rocblas_gemvtsm_kernelILb0ELi256EfffEviiT2_lPKT1_lilS3_lilS0_lPT3_lil, .Lfunc_end19-_ZL22rocblas_gemvtsm_kernelILb0ELi256EfffEviiT2_lPKT1_lilS3_lilS0_lPT3_lil
                                        ; -- End function
	.section	.AMDGPU.csdata,"",@progbits
; Kernel info:
; codeLenInByte = 1384
; NumSgprs: 27
; NumVgprs: 26
; ScratchSize: 0
; MemoryBound: 0
; FloatMode: 240
; IeeeMode: 1
; LDSByteSize: 256 bytes/workgroup (compile time only)
; SGPRBlocks: 3
; VGPRBlocks: 3
; NumSGPRsForWavesPerEU: 27
; NumVGPRsForWavesPerEU: 26
; Occupancy: 16
; WaveLimiterHint : 1
; COMPUTE_PGM_RSRC2:SCRATCH_EN: 0
; COMPUTE_PGM_RSRC2:USER_SGPR: 15
; COMPUTE_PGM_RSRC2:TRAP_HANDLER: 0
; COMPUTE_PGM_RSRC2:TGID_X_EN: 1
; COMPUTE_PGM_RSRC2:TGID_Y_EN: 0
; COMPUTE_PGM_RSRC2:TGID_Z_EN: 0
; COMPUTE_PGM_RSRC2:TIDIG_COMP_CNT: 0
	.section	.text._ZL23rocblas_gemvt_sn_kernelILb0ELi256ELi4EifPKffEviiT4_lPKT3_lilS5_lilPT5_i,"axG",@progbits,_ZL23rocblas_gemvt_sn_kernelILb0ELi256ELi4EifPKffEviiT4_lPKT3_lilS5_lilPT5_i,comdat
	.globl	_ZL23rocblas_gemvt_sn_kernelILb0ELi256ELi4EifPKffEviiT4_lPKT3_lilS5_lilPT5_i ; -- Begin function _ZL23rocblas_gemvt_sn_kernelILb0ELi256ELi4EifPKffEviiT4_lPKT3_lilS5_lilPT5_i
	.p2align	8
	.type	_ZL23rocblas_gemvt_sn_kernelILb0ELi256ELi4EifPKffEviiT4_lPKT3_lilS5_lilPT5_i,@function
_ZL23rocblas_gemvt_sn_kernelILb0ELi256ELi4EifPKffEviiT4_lPKT3_lilS5_lilPT5_i: ; @_ZL23rocblas_gemvt_sn_kernelILb0ELi256ELi4EifPKffEviiT4_lPKT3_lilS5_lilPT5_i
; %bb.0:
	s_clause 0x2
	s_load_b256 s[16:23], s[0:1], 0x8
	s_load_b64 s[10:11], s[0:1], 0x0
	s_load_b32 s12, s[0:1], 0x68
	s_waitcnt lgkmcnt(0)
	s_mul_i32 s3, s15, s19
	s_mul_hi_u32 s4, s15, s18
	s_mul_i32 s2, s15, s18
	s_add_i32 s3, s4, s3
	s_mul_i32 s9, s11, s15
	s_lshl_b64 s[2:3], s[2:3], 2
	s_delay_alu instid0(SALU_CYCLE_1)
	s_add_u32 s2, s16, s2
	s_addc_u32 s3, s17, s3
	s_load_b32 s33, s[2:3], 0x0
	s_load_b128 s[4:7], s[0:1], 0x50
	s_ashr_i32 s8, s11, 31
	s_mul_hi_u32 s2, s11, s15
	s_mul_i32 s3, s8, s15
	s_delay_alu instid0(SALU_CYCLE_1)
	s_add_i32 s2, s2, s3
	s_mul_hi_u32 s3, s9, s12
	s_mul_i32 s13, s2, s12
	s_mul_i32 s2, s9, s12
	s_add_i32 s3, s3, s13
	s_mov_b32 s13, 0
	s_lshl_b64 s[2:3], s[2:3], 2
	s_waitcnt lgkmcnt(0)
	v_cmp_neq_f32_e64 s9, s33, 0
	s_add_u32 s38, s6, s2
	v_cmp_eq_u32_e64 s2, 0, v0
	s_addc_u32 s37, s7, s3
	s_delay_alu instid0(VALU_DEP_2)
	s_and_b32 vcc_lo, exec_lo, s9
	s_cbranch_vccnz .LBB20_5
; %bb.1:
	s_cmp_gt_i32 s11, 0
	s_cselect_b32 s3, -1, 0
	s_delay_alu instid0(SALU_CYCLE_1) | instskip(NEXT) | instid1(SALU_CYCLE_1)
	s_and_b32 s2, s2, s3
	s_and_saveexec_b32 s9, s2
	s_cbranch_execz .LBB20_4
; %bb.2:
	s_mov_b32 s2, s15
	s_mov_b32 s15, 0
	v_mov_b32_e32 v1, 0
	s_lshl_b64 s[6:7], s[14:15], 2
	s_mov_b32 s15, s2
	s_add_u32 s2, s38, s6
	s_addc_u32 s3, s37, s7
	s_lshl_b64 s[6:7], s[12:13], 2
	s_mov_b32 s13, s11
.LBB20_3:                               ; =>This Inner Loop Header: Depth=1
	s_delay_alu instid0(SALU_CYCLE_1)
	s_add_i32 s13, s13, -1
	global_store_b32 v1, v1, s[2:3]
	s_add_u32 s2, s2, s6
	s_addc_u32 s3, s3, s7
	s_cmp_eq_u32 s13, 0
	s_cbranch_scc0 .LBB20_3
.LBB20_4:
	s_or_b32 exec_lo, exec_lo, s9
	s_cbranch_execz .LBB20_6
	s_branch .LBB20_79
.LBB20_5:
.LBB20_6:
	s_clause 0x1
	s_load_b128 s[16:19], s[0:1], 0x30
	s_load_b64 s[2:3], s[0:1], 0x40
	s_mul_i32 s5, s15, s5
	s_mul_hi_u32 s6, s15, s4
	s_mul_i32 s4, s15, s4
	s_add_i32 s5, s6, s5
	s_load_b32 s13, s[0:1], 0x48
	s_lshl_b64 s[4:5], s[4:5], 2
	v_and_b32_e32 v6, 31, v0
	v_mbcnt_lo_u32_b32 v22, -1, 0
	v_lshrrev_b32_e32 v23, 3, v0
	s_waitcnt lgkmcnt(0)
	s_add_u32 s6, s18, s4
	s_addc_u32 s5, s19, s5
	s_lshl_b64 s[2:3], s[2:3], 2
	s_mul_i32 s7, s15, s17
	s_mul_hi_u32 s9, s15, s16
	s_add_u32 s34, s6, s2
	s_mul_i32 s4, s15, s16
	s_load_b32 s16, s[0:1], 0x28
	s_addc_u32 s35, s5, s3
	s_add_i32 s5, s9, s7
	v_cmp_gt_u32_e64 s0, 32, v0
	s_lshl_b64 s[18:19], s[4:5], 2
	s_delay_alu instid0(SALU_CYCLE_1) | instskip(SKIP_2) | instid1(SALU_CYCLE_1)
	s_add_u32 s1, s20, s18
	s_addc_u32 s2, s21, s19
	s_lshl_b64 s[22:23], s[22:23], 2
	s_add_u32 s3, s1, s22
	s_addc_u32 s2, s2, s23
	s_lshl_b32 s1, s14, 10
	s_ashr_i32 s4, s10, 31
	v_lshl_or_b32 v1, v0, 2, s1
	s_lshr_b32 s4, s4, 30
	s_lshr_b32 s5, s8, 30
	s_add_i32 s4, s10, s4
	s_add_i32 s5, s11, s5
	v_ashrrev_i32_e32 v2, 31, v1
	s_and_b32 s4, s4, -4
	v_mul_lo_u32 v5, v1, s13
	s_sub_i32 s36, s10, s4
	v_cmp_gt_u32_e64 s1, 8, v0
	v_lshlrev_b64 v[7:8], 2, v[1:2]
	v_add_nc_u32_e32 v24, 4, v1
	v_add_nc_u32_e32 v25, s36, v1
	s_and_b32 s15, s5, -4
	s_delay_alu instid0(SALU_CYCLE_1) | instskip(NEXT) | instid1(VALU_DEP_3)
	s_cmp_lt_i32 s15, 1
	v_add_co_u32 v20, vcc_lo, s3, v7
	v_add_co_ci_u32_e32 v21, vcc_lo, s2, v8, vcc_lo
	s_cbranch_scc1 .LBB20_54
; %bb.7:
	v_cmp_gt_u32_e32 vcc_lo, 16, v22
	v_mul_lo_u32 v9, v1, s13
	s_cmp_gt_i32 s36, 0
	s_mov_b32 s9, 0
	s_cselect_b32 s39, -1, 0
	v_cndmask_b32_e64 v2, 0, 1, vcc_lo
	v_cmp_gt_u32_e32 vcc_lo, 24, v22
	s_waitcnt lgkmcnt(0)
	s_lshl_b32 s40, s16, 2
	s_lshl_b32 s8, s16, 1
	s_add_u32 s6, s18, s22
	v_dual_mov_b32 v35, 0 :: v_dual_lshlrev_b32 v2, 4, v2
	v_cndmask_b32_e64 v3, 0, 1, vcc_lo
	v_cmp_gt_u32_e32 vcc_lo, 28, v22
	s_addc_u32 s7, s19, s23
	s_delay_alu instid0(VALU_DEP_3)
	v_add_lshl_u32 v26, v2, v22, 2
	s_add_u32 s6, s20, s6
	v_lshlrev_b32_e32 v2, 3, v3
	v_cndmask_b32_e64 v4, 0, 1, vcc_lo
	v_cmp_gt_u32_e32 vcc_lo, 30, v22
	s_addc_u32 s7, s21, s7
	v_cmp_ge_i32_e64 s2, s10, v24
	v_add_lshl_u32 v27, v2, v22, 2
	v_lshlrev_b32_e32 v3, 2, v4
	v_cndmask_b32_e64 v10, 0, 1, vcc_lo
	v_cmp_ne_u32_e32 vcc_lo, 31, v22
	v_cmp_ge_i32_e64 s3, s10, v25
	v_cmp_eq_u32_e64 s4, 0, v6
	v_add_lshl_u32 v28, v3, v22, 2
	v_lshlrev_b32_e32 v1, 1, v10
	v_ashrrev_i32_e32 v10, 31, v9
	v_add_co_ci_u32_e32 v4, vcc_lo, 0, v22, vcc_lo
	v_lshlrev_b32_e32 v31, 2, v6
	s_delay_alu instid0(VALU_DEP_4)
	v_add_lshl_u32 v29, v1, v22, 2
	v_add_nc_u32_e32 v1, s13, v9
	v_lshlrev_b64 v[10:11], 2, v[9:10]
	v_lshlrev_b32_e32 v30, 2, v4
	v_and_b32_e32 v32, 28, v23
	v_cmp_eq_u32_e64 s5, 0, v0
	v_add_nc_u32_e32 v3, s13, v1
	v_ashrrev_i32_e32 v2, 31, v1
	v_add_co_u32 v10, vcc_lo, s34, v10
	v_add_co_ci_u32_e32 v11, vcc_lo, s35, v11, vcc_lo
	s_delay_alu instid0(VALU_DEP_4) | instskip(NEXT) | instid1(VALU_DEP_4)
	v_add_nc_u32_e32 v14, s13, v3
	v_lshlrev_b64 v[1:2], 2, v[1:2]
	v_ashrrev_i32_e32 v4, 31, v3
	s_mov_b32 s17, s9
	s_mul_i32 s41, s16, 3
	v_ashrrev_i32_e32 v15, 31, v14
	s_mov_b32 s42, s9
	v_lshlrev_b64 v[3:4], 2, v[3:4]
	v_add_co_u32 v12, vcc_lo, s34, v1
	v_add_co_ci_u32_e32 v13, vcc_lo, s35, v2, vcc_lo
	v_lshlrev_b64 v[1:2], 2, v[14:15]
	s_delay_alu instid0(VALU_DEP_4) | instskip(SKIP_2) | instid1(VALU_DEP_3)
	v_add_co_u32 v14, vcc_lo, s34, v3
	v_add_co_ci_u32_e32 v15, vcc_lo, s35, v4, vcc_lo
	s_mov_b32 s24, s9
	v_add_co_u32 v16, vcc_lo, s34, v1
	s_delay_alu instid0(VALU_DEP_4)
	v_add_co_ci_u32_e32 v17, vcc_lo, s35, v2, vcc_lo
	v_add_co_u32 v33, vcc_lo, s6, v7
	v_add_co_ci_u32_e32 v34, vcc_lo, s7, v8, vcc_lo
	s_mov_b64 s[26:27], s[8:9]
	s_mov_b64 s[28:29], s[16:17]
	s_mov_b32 s17, 0
                                        ; implicit-def: $vgpr1_vgpr2_vgpr3_vgpr4
	s_branch .LBB20_9
.LBB20_8:                               ;   in Loop: Header=BB20_9 Depth=1
	s_or_b32 exec_lo, exec_lo, s6
	s_add_i32 s17, s17, 4
	s_add_u32 s28, s28, s40
	s_addc_u32 s29, s29, 0
	s_add_u32 s26, s26, s40
	s_addc_u32 s27, s27, 0
	;; [unrolled: 2-line block ×3, first 2 shown]
	s_add_i32 s24, s24, s40
	s_cmp_ge_i32 s17, s15
	s_cbranch_scc1 .LBB20_55
.LBB20_9:                               ; =>This Loop Header: Depth=1
                                        ;     Child Loop BB20_40 Depth 2
                                        ;     Child Loop BB20_43 Depth 2
                                        ; implicit-def: $vgpr36
                                        ; implicit-def: $vgpr37
                                        ; implicit-def: $vgpr38
                                        ; implicit-def: $vgpr39
	s_and_saveexec_b32 s6, s2
	s_delay_alu instid0(SALU_CYCLE_1)
	s_xor_b32 s6, exec_lo, s6
	s_cbranch_execnz .LBB20_36
; %bb.10:                               ;   in Loop: Header=BB20_9 Depth=1
	s_and_not1_saveexec_b32 s43, s6
	s_cbranch_execnz .LBB20_37
.LBB20_11:                              ;   in Loop: Header=BB20_9 Depth=1
	s_or_b32 exec_lo, exec_lo, s43
	s_and_saveexec_b32 s6, s0
	s_cbranch_execz .LBB20_13
.LBB20_12:                              ;   in Loop: Header=BB20_9 Depth=1
	ds_store_b32 v31, v35
.LBB20_13:                              ;   in Loop: Header=BB20_9 Depth=1
	s_or_b32 exec_lo, exec_lo, s6
	ds_bpermute_b32 v18, v26, v39
	s_waitcnt lgkmcnt(0)
	s_waitcnt_vscnt null, 0x0
	s_barrier
	buffer_gl0_inv
	v_add_f32_e32 v18, v39, v18
	ds_bpermute_b32 v19, v27, v18
	s_waitcnt lgkmcnt(0)
	v_add_f32_e32 v18, v18, v19
	ds_bpermute_b32 v19, v28, v18
	s_waitcnt lgkmcnt(0)
	;; [unrolled: 3-line block ×3, first 2 shown]
	v_add_f32_e32 v18, v18, v19
	ds_bpermute_b32 v19, v30, v18
	s_and_saveexec_b32 s6, s4
	s_cbranch_execz .LBB20_15
; %bb.14:                               ;   in Loop: Header=BB20_9 Depth=1
	s_waitcnt lgkmcnt(0)
	v_add_f32_e32 v18, v18, v19
	ds_store_b32 v32, v18
.LBB20_15:                              ;   in Loop: Header=BB20_9 Depth=1
	s_or_b32 exec_lo, exec_lo, s6
	v_mov_b32_e32 v18, 0
	s_waitcnt lgkmcnt(0)
	s_barrier
	buffer_gl0_inv
	s_and_saveexec_b32 s6, s1
	s_cbranch_execnz .LBB20_45
; %bb.16:                               ;   in Loop: Header=BB20_9 Depth=1
	s_or_b32 exec_lo, exec_lo, s6
	s_and_saveexec_b32 s6, s0
	s_cbranch_execnz .LBB20_46
.LBB20_17:                              ;   in Loop: Header=BB20_9 Depth=1
	s_or_b32 exec_lo, exec_lo, s6
	s_and_saveexec_b32 s6, s0
	s_cbranch_execz .LBB20_19
.LBB20_18:                              ;   in Loop: Header=BB20_9 Depth=1
	ds_store_b32 v31, v35
.LBB20_19:                              ;   in Loop: Header=BB20_9 Depth=1
	s_or_b32 exec_lo, exec_lo, s6
	ds_bpermute_b32 v19, v26, v38
	s_waitcnt lgkmcnt(0)
	s_barrier
	buffer_gl0_inv
	v_add_f32_e32 v19, v38, v19
	ds_bpermute_b32 v38, v27, v19
	s_waitcnt lgkmcnt(0)
	v_add_f32_e32 v19, v19, v38
	ds_bpermute_b32 v38, v28, v19
	s_waitcnt lgkmcnt(0)
	;; [unrolled: 3-line block ×3, first 2 shown]
	v_add_f32_e32 v19, v19, v38
	ds_bpermute_b32 v38, v30, v19
	s_and_saveexec_b32 s6, s4
	s_cbranch_execz .LBB20_21
; %bb.20:                               ;   in Loop: Header=BB20_9 Depth=1
	s_waitcnt lgkmcnt(0)
	v_add_f32_e32 v19, v19, v38
	ds_store_b32 v32, v19
.LBB20_21:                              ;   in Loop: Header=BB20_9 Depth=1
	s_or_b32 exec_lo, exec_lo, s6
	v_mov_b32_e32 v19, 0
	s_waitcnt lgkmcnt(0)
	s_barrier
	buffer_gl0_inv
	s_and_saveexec_b32 s6, s1
	s_cbranch_execnz .LBB20_47
; %bb.22:                               ;   in Loop: Header=BB20_9 Depth=1
	s_or_b32 exec_lo, exec_lo, s6
	s_and_saveexec_b32 s6, s0
	s_cbranch_execnz .LBB20_48
.LBB20_23:                              ;   in Loop: Header=BB20_9 Depth=1
	s_or_b32 exec_lo, exec_lo, s6
	s_and_saveexec_b32 s6, s0
	s_cbranch_execz .LBB20_25
.LBB20_24:                              ;   in Loop: Header=BB20_9 Depth=1
	ds_store_b32 v31, v35
.LBB20_25:                              ;   in Loop: Header=BB20_9 Depth=1
	s_or_b32 exec_lo, exec_lo, s6
	ds_bpermute_b32 v38, v26, v37
	s_waitcnt lgkmcnt(0)
	s_barrier
	buffer_gl0_inv
	v_add_f32_e32 v37, v37, v38
	ds_bpermute_b32 v38, v27, v37
	s_waitcnt lgkmcnt(0)
	v_add_f32_e32 v37, v37, v38
	ds_bpermute_b32 v38, v28, v37
	s_waitcnt lgkmcnt(0)
	;; [unrolled: 3-line block ×3, first 2 shown]
	v_add_f32_e32 v37, v37, v38
	ds_bpermute_b32 v38, v30, v37
	s_and_saveexec_b32 s6, s4
	s_cbranch_execz .LBB20_27
; %bb.26:                               ;   in Loop: Header=BB20_9 Depth=1
	s_waitcnt lgkmcnt(0)
	v_add_f32_e32 v37, v37, v38
	ds_store_b32 v32, v37
.LBB20_27:                              ;   in Loop: Header=BB20_9 Depth=1
	s_or_b32 exec_lo, exec_lo, s6
	v_mov_b32_e32 v37, 0
	s_waitcnt lgkmcnt(0)
	s_barrier
	buffer_gl0_inv
	s_and_saveexec_b32 s6, s1
	s_cbranch_execnz .LBB20_49
; %bb.28:                               ;   in Loop: Header=BB20_9 Depth=1
	s_or_b32 exec_lo, exec_lo, s6
	s_and_saveexec_b32 s6, s0
	s_cbranch_execnz .LBB20_50
.LBB20_29:                              ;   in Loop: Header=BB20_9 Depth=1
	s_or_b32 exec_lo, exec_lo, s6
	s_and_saveexec_b32 s6, s0
	s_cbranch_execz .LBB20_31
.LBB20_30:                              ;   in Loop: Header=BB20_9 Depth=1
	ds_store_b32 v31, v35
.LBB20_31:                              ;   in Loop: Header=BB20_9 Depth=1
	s_or_b32 exec_lo, exec_lo, s6
	ds_bpermute_b32 v38, v26, v36
	s_waitcnt lgkmcnt(0)
	s_barrier
	buffer_gl0_inv
	v_add_f32_e32 v36, v36, v38
	ds_bpermute_b32 v38, v27, v36
	s_waitcnt lgkmcnt(0)
	v_add_f32_e32 v36, v36, v38
	ds_bpermute_b32 v38, v28, v36
	s_waitcnt lgkmcnt(0)
	;; [unrolled: 3-line block ×3, first 2 shown]
	v_add_f32_e32 v36, v36, v38
	ds_bpermute_b32 v38, v30, v36
	s_and_saveexec_b32 s6, s4
	s_cbranch_execz .LBB20_33
; %bb.32:                               ;   in Loop: Header=BB20_9 Depth=1
	s_waitcnt lgkmcnt(0)
	v_add_f32_e32 v36, v36, v38
	ds_store_b32 v32, v36
.LBB20_33:                              ;   in Loop: Header=BB20_9 Depth=1
	s_or_b32 exec_lo, exec_lo, s6
	v_mov_b32_e32 v36, 0
	s_waitcnt lgkmcnt(0)
	s_barrier
	buffer_gl0_inv
	s_and_saveexec_b32 s6, s1
	s_cbranch_execnz .LBB20_51
; %bb.34:                               ;   in Loop: Header=BB20_9 Depth=1
	s_or_b32 exec_lo, exec_lo, s6
	s_and_saveexec_b32 s6, s0
	s_cbranch_execnz .LBB20_52
.LBB20_35:                              ;   in Loop: Header=BB20_9 Depth=1
	s_or_b32 exec_lo, exec_lo, s6
	s_and_saveexec_b32 s6, s5
	s_cbranch_execz .LBB20_8
	s_branch .LBB20_53
.LBB20_36:                              ;   in Loop: Header=BB20_9 Depth=1
	s_mul_i32 s30, s17, s16
	s_delay_alu instid0(SALU_CYCLE_1)
	s_ashr_i32 s31, s30, 31
	s_add_i32 s44, s30, s16
	s_lshl_b64 s[30:31], s[30:31], 2
	s_ashr_i32 s45, s44, 31
	v_add_co_u32 v2, vcc_lo, v20, s30
	v_add_co_ci_u32_e32 v3, vcc_lo, s31, v21, vcc_lo
	s_lshl_b64 s[30:31], s[44:45], 2
	s_add_i32 s44, s44, s16
	v_add_co_u32 v18, vcc_lo, v20, s30
	s_ashr_i32 s45, s44, 31
	s_add_i32 s30, s44, s16
	s_lshl_b64 s[44:45], s[44:45], 2
	v_add_co_ci_u32_e32 v19, vcc_lo, s31, v21, vcc_lo
	s_ashr_i32 s31, s30, 31
	s_waitcnt lgkmcnt(0)
	v_add_co_u32 v36, vcc_lo, v20, s44
	s_lshl_b64 s[30:31], s[30:31], 2
	v_add_co_ci_u32_e32 v37, vcc_lo, s45, v21, vcc_lo
	v_add_co_u32 v51, vcc_lo, v20, s30
	v_add_co_ci_u32_e32 v52, vcc_lo, s31, v21, vcc_lo
	global_load_b32 v1, v[10:11], off
	s_clause 0x3
	global_load_b128 v[39:42], v[2:3], off
	global_load_b128 v[43:46], v[18:19], off
	;; [unrolled: 1-line block ×4, first 2 shown]
	s_clause 0x2
	global_load_b32 v2, v[12:13], off
	global_load_b32 v3, v[14:15], off
	;; [unrolled: 1-line block ×3, first 2 shown]
	s_waitcnt vmcnt(6)
	v_fma_f32 v39, v1, v39, 0
	s_waitcnt vmcnt(5)
	v_fma_f32 v38, v1, v43, 0
	s_waitcnt vmcnt(4)
	v_fma_f32 v37, v1, v47, 0
	s_waitcnt vmcnt(3)
	v_fma_f32 v36, v1, v51, 0
	s_waitcnt vmcnt(2)
	v_fmac_f32_e32 v38, v2, v44
	v_fmac_f32_e32 v39, v2, v40
	s_delay_alu instid0(VALU_DEP_3) | instskip(SKIP_1) | instid1(VALU_DEP_3)
	v_fmac_f32_e32 v36, v2, v52
	s_waitcnt vmcnt(1)
	v_dual_fmac_f32 v37, v2, v48 :: v_dual_fmac_f32 v38, v3, v45
	s_delay_alu instid0(VALU_DEP_3) | instskip(NEXT) | instid1(VALU_DEP_3)
	v_fmac_f32_e32 v39, v3, v41
	v_fmac_f32_e32 v36, v3, v53
	s_waitcnt vmcnt(0)
	s_delay_alu instid0(VALU_DEP_3) | instskip(NEXT) | instid1(VALU_DEP_3)
	v_dual_fmac_f32 v37, v3, v49 :: v_dual_fmac_f32 v38, v4, v46
	v_fmac_f32_e32 v39, v4, v42
	s_delay_alu instid0(VALU_DEP_3) | instskip(NEXT) | instid1(VALU_DEP_3)
	v_fmac_f32_e32 v36, v4, v54
	v_fmac_f32_e32 v37, v4, v50
	s_and_not1_saveexec_b32 s43, s6
	s_cbranch_execz .LBB20_11
.LBB20_37:                              ;   in Loop: Header=BB20_9 Depth=1
	s_waitcnt lgkmcnt(0)
	v_dual_mov_b32 v36, 0 :: v_dual_mov_b32 v37, 0
	v_dual_mov_b32 v38, 0 :: v_dual_mov_b32 v39, 0
	s_and_saveexec_b32 s44, s3
	s_cbranch_execz .LBB20_44
; %bb.38:                               ;   in Loop: Header=BB20_9 Depth=1
	s_and_not1_b32 vcc_lo, exec_lo, s39
	s_cbranch_vccnz .LBB20_41
; %bb.39:                               ;   in Loop: Header=BB20_9 Depth=1
	v_mov_b32_e32 v18, v9
	s_mov_b64 s[30:31], 0
	.p2align	6
.LBB20_40:                              ;   Parent Loop BB20_9 Depth=1
                                        ; =>  This Inner Loop Header: Depth=2
	s_delay_alu instid0(VALU_DEP_1) | instskip(SKIP_1) | instid1(VALU_DEP_1)
	v_ashrrev_i32_e32 v19, 31, v18
	s_cmp_eq_u32 s30, 3
	v_lshlrev_b64 v[36:37], 2, v[18:19]
	v_add_nc_u32_e32 v18, s13, v18
	s_delay_alu instid0(VALU_DEP_2) | instskip(NEXT) | instid1(VALU_DEP_3)
	v_add_co_u32 v36, vcc_lo, s34, v36
	v_add_co_ci_u32_e32 v37, vcc_lo, s35, v37, vcc_lo
	s_cselect_b32 vcc_lo, -1, 0
	s_cmp_eq_u32 s30, 2
	s_cselect_b32 s6, -1, 0
	global_load_b32 v19, v[36:37], off
	s_cmp_eq_u32 s30, 1
	s_cselect_b32 s7, -1, 0
	s_cmp_eq_u32 s30, 0
	s_cselect_b32 s8, -1, 0
	s_add_u32 s30, s30, 1
	s_addc_u32 s31, s31, 0
	s_cmp_eq_u32 s36, s30
	s_waitcnt vmcnt(0)
	v_cndmask_b32_e32 v4, v4, v19, vcc_lo
	v_cndmask_b32_e64 v3, v3, v19, s6
	v_cndmask_b32_e64 v2, v2, v19, s7
	;; [unrolled: 1-line block ×3, first 2 shown]
	s_cbranch_scc0 .LBB20_40
.LBB20_41:                              ;   in Loop: Header=BB20_9 Depth=1
	v_dual_mov_b32 v36, 0 :: v_dual_mov_b32 v37, 0
	v_dual_mov_b32 v38, 0 :: v_dual_mov_b32 v39, 0
	s_and_not1_b32 vcc_lo, exec_lo, s39
	s_cbranch_vccnz .LBB20_44
; %bb.42:                               ;   in Loop: Header=BB20_9 Depth=1
	s_ashr_i32 s25, s24, 31
	v_dual_mov_b32 v39, 0 :: v_dual_mov_b32 v38, 0
	s_lshl_b64 s[6:7], s[24:25], 2
	v_dual_mov_b32 v37, 0 :: v_dual_mov_b32 v36, 0
	v_add_co_u32 v18, vcc_lo, v33, s6
	v_add_co_ci_u32_e32 v19, vcc_lo, s7, v34, vcc_lo
	s_mov_b64 s[30:31], 0
.LBB20_43:                              ;   Parent Loop BB20_9 Depth=1
                                        ; =>  This Inner Loop Header: Depth=2
	s_delay_alu instid0(SALU_CYCLE_1)
	s_cmp_eq_u32 s30, 1
	s_cselect_b32 vcc_lo, -1, 0
	s_cmp_eq_u32 s30, 2
	v_cndmask_b32_e32 v40, v1, v2, vcc_lo
	s_cselect_b32 vcc_lo, -1, 0
	s_cmp_eq_u32 s30, 3
	s_delay_alu instid0(VALU_DEP_1)
	v_cndmask_b32_e32 v46, v40, v3, vcc_lo
	s_cselect_b32 vcc_lo, -1, 0
	s_add_i32 s6, s28, s30
	s_add_i32 s46, s26, s30
	s_ashr_i32 s7, s6, 31
	s_ashr_i32 s47, s46, 31
	s_lshl_b64 s[6:7], s[6:7], 2
	s_add_i32 s48, s41, s30
	v_add_co_u32 v40, s6, v20, s6
	s_lshl_b64 s[46:47], s[46:47], 2
	s_ashr_i32 s49, s48, 31
	v_add_co_ci_u32_e64 v41, s6, s7, v21, s6
	v_add_co_u32 v42, s6, v20, s46
	s_lshl_b64 s[48:49], s[48:49], 2
	v_add_co_ci_u32_e64 v43, s6, s47, v21, s6
	v_add_co_u32 v44, s6, v20, s48
	s_delay_alu instid0(VALU_DEP_1)
	v_add_co_ci_u32_e64 v45, s6, s49, v21, s6
	global_load_b32 v47, v[18:19], off
	s_clause 0x2
	global_load_b32 v40, v[40:41], off
	global_load_b32 v41, v[42:43], off
	;; [unrolled: 1-line block ×3, first 2 shown]
	v_cndmask_b32_e32 v43, v46, v4, vcc_lo
	v_add_co_u32 v18, s6, v18, 4
	s_delay_alu instid0(VALU_DEP_1)
	v_add_co_ci_u32_e64 v19, s6, 0, v19, s6
	s_add_u32 s30, s30, 1
	s_addc_u32 s31, s31, 0
	s_cmp_lg_u32 s36, s30
	s_waitcnt vmcnt(3)
	v_fmac_f32_e32 v39, v43, v47
	s_waitcnt vmcnt(2)
	v_fmac_f32_e32 v38, v43, v40
	s_waitcnt vmcnt(1)
	v_fmac_f32_e32 v37, v43, v41
	s_waitcnt vmcnt(0)
	v_fmac_f32_e32 v36, v43, v42
	s_cbranch_scc1 .LBB20_43
.LBB20_44:                              ;   in Loop: Header=BB20_9 Depth=1
	s_or_b32 exec_lo, exec_lo, s44
	s_delay_alu instid0(SALU_CYCLE_1)
	s_or_b32 exec_lo, exec_lo, s43
	s_and_saveexec_b32 s6, s0
	s_cbranch_execnz .LBB20_12
	s_branch .LBB20_13
.LBB20_45:                              ;   in Loop: Header=BB20_9 Depth=1
	ds_load_b32 v18, v31
	s_or_b32 exec_lo, exec_lo, s6
	s_and_saveexec_b32 s6, s0
	s_cbranch_execz .LBB20_17
.LBB20_46:                              ;   in Loop: Header=BB20_9 Depth=1
	s_waitcnt lgkmcnt(0)
	ds_bpermute_b32 v19, v28, v18
	s_waitcnt lgkmcnt(0)
	v_add_f32_e32 v18, v18, v19
	ds_bpermute_b32 v19, v29, v18
	s_waitcnt lgkmcnt(0)
	v_add_f32_e32 v18, v18, v19
	;; [unrolled: 3-line block ×3, first 2 shown]
	s_or_b32 exec_lo, exec_lo, s6
	s_and_saveexec_b32 s6, s0
	s_cbranch_execnz .LBB20_18
	s_branch .LBB20_19
.LBB20_47:                              ;   in Loop: Header=BB20_9 Depth=1
	ds_load_b32 v19, v31
	s_or_b32 exec_lo, exec_lo, s6
	s_and_saveexec_b32 s6, s0
	s_cbranch_execz .LBB20_23
.LBB20_48:                              ;   in Loop: Header=BB20_9 Depth=1
	s_waitcnt lgkmcnt(0)
	ds_bpermute_b32 v38, v28, v19
	s_waitcnt lgkmcnt(0)
	v_add_f32_e32 v19, v19, v38
	ds_bpermute_b32 v38, v29, v19
	s_waitcnt lgkmcnt(0)
	v_add_f32_e32 v19, v19, v38
	;; [unrolled: 3-line block ×3, first 2 shown]
	s_or_b32 exec_lo, exec_lo, s6
	s_and_saveexec_b32 s6, s0
	s_cbranch_execnz .LBB20_24
	s_branch .LBB20_25
.LBB20_49:                              ;   in Loop: Header=BB20_9 Depth=1
	ds_load_b32 v37, v31
	s_or_b32 exec_lo, exec_lo, s6
	s_and_saveexec_b32 s6, s0
	s_cbranch_execz .LBB20_29
.LBB20_50:                              ;   in Loop: Header=BB20_9 Depth=1
	s_waitcnt lgkmcnt(0)
	ds_bpermute_b32 v38, v28, v37
	s_waitcnt lgkmcnt(0)
	v_add_f32_e32 v37, v37, v38
	ds_bpermute_b32 v38, v29, v37
	s_waitcnt lgkmcnt(0)
	v_add_f32_e32 v37, v37, v38
	;; [unrolled: 3-line block ×3, first 2 shown]
	s_or_b32 exec_lo, exec_lo, s6
	s_and_saveexec_b32 s6, s0
	s_cbranch_execnz .LBB20_30
	s_branch .LBB20_31
.LBB20_51:                              ;   in Loop: Header=BB20_9 Depth=1
	ds_load_b32 v36, v31
	s_or_b32 exec_lo, exec_lo, s6
	s_and_saveexec_b32 s6, s0
	s_cbranch_execz .LBB20_35
.LBB20_52:                              ;   in Loop: Header=BB20_9 Depth=1
	s_waitcnt lgkmcnt(0)
	ds_bpermute_b32 v38, v28, v36
	s_waitcnt lgkmcnt(0)
	v_add_f32_e32 v36, v36, v38
	ds_bpermute_b32 v38, v29, v36
	s_waitcnt lgkmcnt(0)
	v_add_f32_e32 v36, v36, v38
	;; [unrolled: 3-line block ×3, first 2 shown]
	s_or_b32 exec_lo, exec_lo, s6
	s_and_saveexec_b32 s6, s5
	s_cbranch_execz .LBB20_8
.LBB20_53:                              ;   in Loop: Header=BB20_9 Depth=1
	s_mul_i32 s7, s17, s12
	v_dual_mul_f32 v18, s33, v18 :: v_dual_mul_f32 v19, s33, v19
	s_add_i32 s8, s7, s14
	v_mul_f32_e32 v37, s33, v37
	s_lshl_b64 s[30:31], s[8:9], 2
	s_delay_alu instid0(SALU_CYCLE_1)
	s_add_u32 s30, s38, s30
	s_addc_u32 s31, s37, s31
	s_add_i32 s8, s8, s12
	global_store_b32 v35, v18, s[30:31]
	s_waitcnt lgkmcnt(0)
	v_mul_f32_e32 v18, s33, v36
	s_lshl_b64 s[44:45], s[8:9], 2
	s_delay_alu instid0(SALU_CYCLE_1) | instskip(SKIP_4) | instid1(SALU_CYCLE_1)
	s_add_u32 s44, s38, s44
	s_addc_u32 s45, s37, s45
	s_add_i32 s8, s8, s12
	global_store_b32 v35, v19, s[44:45]
	s_lshl_b64 s[46:47], s[8:9], 2
	s_add_u32 s30, s38, s46
	s_addc_u32 s31, s37, s47
	s_add_i32 s8, s8, s12
	s_delay_alu instid0(SALU_CYCLE_1) | instskip(NEXT) | instid1(SALU_CYCLE_1)
	s_lshl_b64 s[46:47], s[8:9], 2
	s_add_u32 s44, s38, s46
	s_addc_u32 s45, s37, s47
	s_clause 0x1
	global_store_b32 v35, v37, s[30:31]
	global_store_b32 v35, v18, s[44:45]
	s_branch .LBB20_8
.LBB20_54:
	s_mov_b32 s17, 0
                                        ; implicit-def: $vgpr1_vgpr2_vgpr3_vgpr4
.LBB20_55:
	s_delay_alu instid0(SALU_CYCLE_1)
	s_cmp_ge_i32 s17, s11
	s_cbranch_scc1 .LBB20_79
; %bb.56:
	v_cmp_gt_u32_e32 vcc_lo, 16, v22
	v_lshlrev_b32_e32 v17, 2, v6
	v_cmp_eq_u32_e64 s3, 0, v6
	v_ashrrev_i32_e32 v6, 31, v5
	v_cmp_ge_i32_e64 s0, s10, v24
	v_cndmask_b32_e64 v9, 0, 1, vcc_lo
	v_cmp_gt_u32_e32 vcc_lo, 24, v22
	v_cmp_ge_i32_e64 s1, s10, v25
	s_cmp_gt_i32 s36, 0
	s_mov_b32 s15, 0
	v_lshlrev_b32_e32 v9, 4, v9
	v_cndmask_b32_e64 v10, 0, 1, vcc_lo
	v_cmp_gt_u32_e32 vcc_lo, 28, v22
	s_cselect_b32 s9, -1, 0
	s_lshl_b64 s[6:7], s[14:15], 2
	v_add_lshl_u32 v18, v9, v22, 2
	v_add_nc_u32_e32 v9, s13, v5
	v_cndmask_b32_e64 v11, 0, 1, vcc_lo
	v_cmp_gt_u32_e32 vcc_lo, 30, v22
	v_lshlrev_b32_e32 v10, 3, v10
	s_add_u32 s10, s38, s6
	s_addc_u32 s14, s37, s7
	v_lshlrev_b32_e32 v11, 2, v11
	v_cndmask_b32_e64 v12, 0, 1, vcc_lo
	v_cmp_ne_u32_e32 vcc_lo, 31, v22
	v_add_lshl_u32 v19, v10, v22, 2
	v_ashrrev_i32_e32 v10, 31, v9
	v_add_lshl_u32 v24, v11, v22, 2
	v_add_nc_u32_e32 v11, s13, v9
	v_add_co_ci_u32_e32 v13, vcc_lo, 0, v22, vcc_lo
	v_lshlrev_b32_e32 v12, 1, v12
	v_lshlrev_b64 v[15:16], 2, v[9:10]
	s_delay_alu instid0(VALU_DEP_4) | instskip(NEXT) | instid1(VALU_DEP_4)
	v_add_nc_u32_e32 v26, s13, v11
	v_lshlrev_b32_e32 v25, 2, v13
	v_lshlrev_b64 v[13:14], 2, v[5:6]
	v_add_lshl_u32 v22, v12, v22, 2
	v_ashrrev_i32_e32 v12, 31, v11
	v_ashrrev_i32_e32 v27, 31, v26
	s_add_u32 s6, s18, s22
	s_addc_u32 s7, s19, s23
	v_add_co_u32 v9, vcc_lo, s34, v13
	v_add_co_ci_u32_e32 v10, vcc_lo, s35, v14, vcc_lo
	v_lshlrev_b64 v[13:14], 2, v[11:12]
	v_add_co_u32 v11, vcc_lo, s34, v15
	v_add_co_ci_u32_e32 v12, vcc_lo, s35, v16, vcc_lo
	v_lshlrev_b64 v[15:16], 2, v[26:27]
	v_mov_b32_e32 v26, 0
	v_add_co_u32 v13, vcc_lo, s34, v13
	v_add_co_ci_u32_e32 v14, vcc_lo, s35, v14, vcc_lo
	s_delay_alu instid0(VALU_DEP_4)
	v_add_co_u32 v15, vcc_lo, s34, v15
	s_add_u32 s6, s20, s6
	v_add_co_ci_u32_e32 v16, vcc_lo, s35, v16, vcc_lo
	v_cmp_gt_u32_e64 s2, 32, v0
	v_cmp_gt_u32_e64 s4, 8, v0
	v_cmp_eq_u32_e64 s5, 0, v0
	s_addc_u32 s7, s21, s7
	v_add_co_u32 v0, vcc_lo, s6, v7
	v_and_b32_e32 v23, 28, v23
	v_add_co_ci_u32_e32 v8, vcc_lo, s7, v8, vcc_lo
	s_waitcnt lgkmcnt(0)
	s_mul_i32 s18, s17, s16
	s_branch .LBB20_58
.LBB20_57:                              ;   in Loop: Header=BB20_58 Depth=1
	s_or_b32 exec_lo, exec_lo, s6
	s_add_i32 s17, s17, 1
	s_add_i32 s18, s18, s16
	s_cmp_ge_i32 s17, s11
	s_cbranch_scc1 .LBB20_79
.LBB20_58:                              ; =>This Loop Header: Depth=1
                                        ;     Child Loop BB20_71 Depth 2
                                        ;     Child Loop BB20_74 Depth 2
	v_mov_b32_e32 v27, s15
	s_and_saveexec_b32 s6, s0
	s_delay_alu instid0(SALU_CYCLE_1)
	s_xor_b32 s6, exec_lo, s6
	s_cbranch_execnz .LBB20_67
; %bb.59:                               ;   in Loop: Header=BB20_58 Depth=1
	s_and_not1_saveexec_b32 s22, s6
	s_cbranch_execnz .LBB20_68
.LBB20_60:                              ;   in Loop: Header=BB20_58 Depth=1
	s_or_b32 exec_lo, exec_lo, s22
	s_and_saveexec_b32 s6, s2
	s_cbranch_execz .LBB20_62
.LBB20_61:                              ;   in Loop: Header=BB20_58 Depth=1
	ds_store_b32 v17, v26
.LBB20_62:                              ;   in Loop: Header=BB20_58 Depth=1
	s_or_b32 exec_lo, exec_lo, s6
	s_waitcnt lgkmcnt(0)
	ds_bpermute_b32 v6, v18, v27
	s_waitcnt lgkmcnt(0)
	s_waitcnt_vscnt null, 0x0
	s_barrier
	buffer_gl0_inv
	v_add_f32_e32 v6, v27, v6
	ds_bpermute_b32 v7, v19, v6
	s_waitcnt lgkmcnt(0)
	v_add_f32_e32 v6, v6, v7
	ds_bpermute_b32 v7, v24, v6
	s_waitcnt lgkmcnt(0)
	;; [unrolled: 3-line block ×3, first 2 shown]
	v_add_f32_e32 v6, v6, v7
	ds_bpermute_b32 v7, v25, v6
	s_and_saveexec_b32 s6, s3
	s_cbranch_execz .LBB20_64
; %bb.63:                               ;   in Loop: Header=BB20_58 Depth=1
	s_waitcnt lgkmcnt(0)
	v_add_f32_e32 v6, v6, v7
	ds_store_b32 v23, v6
.LBB20_64:                              ;   in Loop: Header=BB20_58 Depth=1
	s_or_b32 exec_lo, exec_lo, s6
	v_mov_b32_e32 v6, 0
	s_waitcnt lgkmcnt(0)
	s_barrier
	buffer_gl0_inv
	s_and_saveexec_b32 s6, s4
	s_cbranch_execnz .LBB20_76
; %bb.65:                               ;   in Loop: Header=BB20_58 Depth=1
	s_or_b32 exec_lo, exec_lo, s6
	s_and_saveexec_b32 s6, s2
	s_cbranch_execnz .LBB20_77
.LBB20_66:                              ;   in Loop: Header=BB20_58 Depth=1
	s_or_b32 exec_lo, exec_lo, s6
	s_and_saveexec_b32 s6, s5
	s_cbranch_execz .LBB20_57
	s_branch .LBB20_78
.LBB20_67:                              ;   in Loop: Header=BB20_58 Depth=1
	s_mul_i32 s20, s17, s16
	s_delay_alu instid0(SALU_CYCLE_1) | instskip(NEXT) | instid1(SALU_CYCLE_1)
	s_ashr_i32 s21, s20, 31
	s_lshl_b64 s[20:21], s[20:21], 2
	s_delay_alu instid0(SALU_CYCLE_1)
	v_add_co_u32 v1, vcc_lo, v20, s20
	v_add_co_ci_u32_e32 v2, vcc_lo, s21, v21, vcc_lo
	global_load_b128 v[27:30], v[1:2], off
	s_clause 0x3
	global_load_b32 v1, v[9:10], off
	global_load_b32 v2, v[11:12], off
	;; [unrolled: 1-line block ×4, first 2 shown]
	s_waitcnt vmcnt(3)
	v_fma_f32 v27, v1, v27, 0
	s_waitcnt vmcnt(2)
	s_delay_alu instid0(VALU_DEP_1) | instskip(SKIP_1) | instid1(VALU_DEP_1)
	v_fmac_f32_e32 v27, v2, v28
	s_waitcnt vmcnt(1)
	v_fmac_f32_e32 v27, v3, v29
	s_waitcnt vmcnt(0)
	s_delay_alu instid0(VALU_DEP_1)
	v_fmac_f32_e32 v27, v4, v30
	s_and_not1_saveexec_b32 s22, s6
	s_cbranch_execz .LBB20_60
.LBB20_68:                              ;   in Loop: Header=BB20_58 Depth=1
	s_and_saveexec_b32 s23, s1
	s_cbranch_execz .LBB20_75
; %bb.69:                               ;   in Loop: Header=BB20_58 Depth=1
	s_and_not1_b32 vcc_lo, exec_lo, s9
	s_cbranch_vccnz .LBB20_72
; %bb.70:                               ;   in Loop: Header=BB20_58 Depth=1
	s_waitcnt lgkmcnt(0)
	v_mov_b32_e32 v6, v5
	s_mov_b64 s[20:21], 0
	.p2align	6
.LBB20_71:                              ;   Parent Loop BB20_58 Depth=1
                                        ; =>  This Inner Loop Header: Depth=2
	s_delay_alu instid0(VALU_DEP_1) | instskip(SKIP_1) | instid1(VALU_DEP_1)
	v_ashrrev_i32_e32 v7, 31, v6
	s_cmp_eq_u32 s20, 3
	v_lshlrev_b64 v[28:29], 2, v[6:7]
	v_add_nc_u32_e32 v6, s13, v6
	s_delay_alu instid0(VALU_DEP_2) | instskip(NEXT) | instid1(VALU_DEP_3)
	v_add_co_u32 v28, vcc_lo, s34, v28
	v_add_co_ci_u32_e32 v29, vcc_lo, s35, v29, vcc_lo
	s_cselect_b32 vcc_lo, -1, 0
	s_cmp_eq_u32 s20, 2
	s_cselect_b32 s6, -1, 0
	global_load_b32 v7, v[28:29], off
	s_cmp_eq_u32 s20, 1
	s_cselect_b32 s7, -1, 0
	s_cmp_eq_u32 s20, 0
	s_cselect_b32 s8, -1, 0
	s_add_u32 s20, s20, 1
	s_addc_u32 s21, s21, 0
	s_cmp_eq_u32 s36, s20
	s_waitcnt vmcnt(0)
	v_cndmask_b32_e32 v4, v4, v7, vcc_lo
	v_cndmask_b32_e64 v3, v3, v7, s6
	v_cndmask_b32_e64 v2, v2, v7, s7
	;; [unrolled: 1-line block ×3, first 2 shown]
	s_cbranch_scc0 .LBB20_71
.LBB20_72:                              ;   in Loop: Header=BB20_58 Depth=1
	s_and_not1_b32 vcc_lo, exec_lo, s9
	s_cbranch_vccnz .LBB20_75
; %bb.73:                               ;   in Loop: Header=BB20_58 Depth=1
	s_ashr_i32 s19, s18, 31
	s_delay_alu instid0(SALU_CYCLE_1)
	s_lshl_b64 s[6:7], s[18:19], 2
	s_waitcnt lgkmcnt(0)
	v_add_co_u32 v6, vcc_lo, v0, s6
	v_add_co_ci_u32_e32 v7, vcc_lo, s7, v8, vcc_lo
	s_mov_b64 s[6:7], 0
	.p2align	6
.LBB20_74:                              ;   Parent Loop BB20_58 Depth=1
                                        ; =>  This Inner Loop Header: Depth=2
	global_load_b32 v28, v[6:7], off
	s_cmp_eq_u32 s6, 1
	s_cselect_b32 vcc_lo, -1, 0
	s_cmp_eq_u32 s6, 2
	v_cndmask_b32_e32 v29, v1, v2, vcc_lo
	s_cselect_b32 vcc_lo, -1, 0
	s_cmp_eq_u32 s6, 3
	s_delay_alu instid0(VALU_DEP_1)
	v_cndmask_b32_e32 v29, v29, v3, vcc_lo
	s_cselect_b32 vcc_lo, -1, 0
	s_add_u32 s6, s6, 1
	s_addc_u32 s7, s7, 0
	s_cmp_lg_u32 s36, s6
	v_cndmask_b32_e32 v29, v29, v4, vcc_lo
	v_add_co_u32 v6, vcc_lo, v6, 4
	v_add_co_ci_u32_e32 v7, vcc_lo, 0, v7, vcc_lo
	s_waitcnt vmcnt(0)
	s_delay_alu instid0(VALU_DEP_3)
	v_fmac_f32_e32 v27, v29, v28
	s_cbranch_scc1 .LBB20_74
.LBB20_75:                              ;   in Loop: Header=BB20_58 Depth=1
	s_or_b32 exec_lo, exec_lo, s23
	s_delay_alu instid0(SALU_CYCLE_1)
	s_or_b32 exec_lo, exec_lo, s22
	s_and_saveexec_b32 s6, s2
	s_cbranch_execnz .LBB20_61
	s_branch .LBB20_62
.LBB20_76:                              ;   in Loop: Header=BB20_58 Depth=1
	ds_load_b32 v6, v17
	s_or_b32 exec_lo, exec_lo, s6
	s_and_saveexec_b32 s6, s2
	s_cbranch_execz .LBB20_66
.LBB20_77:                              ;   in Loop: Header=BB20_58 Depth=1
	s_waitcnt lgkmcnt(0)
	ds_bpermute_b32 v7, v24, v6
	s_waitcnt lgkmcnt(0)
	v_add_f32_e32 v6, v6, v7
	ds_bpermute_b32 v7, v22, v6
	s_waitcnt lgkmcnt(0)
	v_add_f32_e32 v6, v6, v7
	;; [unrolled: 3-line block ×3, first 2 shown]
	s_or_b32 exec_lo, exec_lo, s6
	s_and_saveexec_b32 s6, s5
	s_cbranch_execz .LBB20_57
.LBB20_78:                              ;   in Loop: Header=BB20_58 Depth=1
	s_mul_hi_u32 s21, s17, s12
	s_mul_i32 s20, s17, s12
	s_waitcnt lgkmcnt(0)
	v_mul_f32_e32 v6, s33, v6
	s_lshl_b64 s[20:21], s[20:21], 2
	s_delay_alu instid0(SALU_CYCLE_1)
	s_add_u32 s20, s10, s20
	s_addc_u32 s21, s14, s21
	global_store_b32 v26, v6, s[20:21]
	s_branch .LBB20_57
.LBB20_79:
	s_nop 0
	s_sendmsg sendmsg(MSG_DEALLOC_VGPRS)
	s_endpgm
	.section	.rodata,"a",@progbits
	.p2align	6, 0x0
	.amdhsa_kernel _ZL23rocblas_gemvt_sn_kernelILb0ELi256ELi4EifPKffEviiT4_lPKT3_lilS5_lilPT5_i
		.amdhsa_group_segment_fixed_size 128
		.amdhsa_private_segment_fixed_size 0
		.amdhsa_kernarg_size 360
		.amdhsa_user_sgpr_count 14
		.amdhsa_user_sgpr_dispatch_ptr 0
		.amdhsa_user_sgpr_queue_ptr 0
		.amdhsa_user_sgpr_kernarg_segment_ptr 1
		.amdhsa_user_sgpr_dispatch_id 0
		.amdhsa_user_sgpr_private_segment_size 0
		.amdhsa_wavefront_size32 1
		.amdhsa_uses_dynamic_stack 0
		.amdhsa_enable_private_segment 0
		.amdhsa_system_sgpr_workgroup_id_x 1
		.amdhsa_system_sgpr_workgroup_id_y 0
		.amdhsa_system_sgpr_workgroup_id_z 1
		.amdhsa_system_sgpr_workgroup_info 0
		.amdhsa_system_vgpr_workitem_id 0
		.amdhsa_next_free_vgpr 55
		.amdhsa_next_free_sgpr 50
		.amdhsa_reserve_vcc 1
		.amdhsa_float_round_mode_32 0
		.amdhsa_float_round_mode_16_64 0
		.amdhsa_float_denorm_mode_32 3
		.amdhsa_float_denorm_mode_16_64 3
		.amdhsa_dx10_clamp 1
		.amdhsa_ieee_mode 1
		.amdhsa_fp16_overflow 0
		.amdhsa_workgroup_processor_mode 1
		.amdhsa_memory_ordered 1
		.amdhsa_forward_progress 0
		.amdhsa_shared_vgpr_count 0
		.amdhsa_exception_fp_ieee_invalid_op 0
		.amdhsa_exception_fp_denorm_src 0
		.amdhsa_exception_fp_ieee_div_zero 0
		.amdhsa_exception_fp_ieee_overflow 0
		.amdhsa_exception_fp_ieee_underflow 0
		.amdhsa_exception_fp_ieee_inexact 0
		.amdhsa_exception_int_div_zero 0
	.end_amdhsa_kernel
	.section	.text._ZL23rocblas_gemvt_sn_kernelILb0ELi256ELi4EifPKffEviiT4_lPKT3_lilS5_lilPT5_i,"axG",@progbits,_ZL23rocblas_gemvt_sn_kernelILb0ELi256ELi4EifPKffEviiT4_lPKT3_lilS5_lilPT5_i,comdat
.Lfunc_end20:
	.size	_ZL23rocblas_gemvt_sn_kernelILb0ELi256ELi4EifPKffEviiT4_lPKT3_lilS5_lilPT5_i, .Lfunc_end20-_ZL23rocblas_gemvt_sn_kernelILb0ELi256ELi4EifPKffEviiT4_lPKT3_lilS5_lilPT5_i
                                        ; -- End function
	.section	.AMDGPU.csdata,"",@progbits
; Kernel info:
; codeLenInByte = 4160
; NumSgprs: 52
; NumVgprs: 55
; ScratchSize: 0
; MemoryBound: 0
; FloatMode: 240
; IeeeMode: 1
; LDSByteSize: 128 bytes/workgroup (compile time only)
; SGPRBlocks: 6
; VGPRBlocks: 6
; NumSGPRsForWavesPerEU: 52
; NumVGPRsForWavesPerEU: 55
; Occupancy: 16
; WaveLimiterHint : 1
; COMPUTE_PGM_RSRC2:SCRATCH_EN: 0
; COMPUTE_PGM_RSRC2:USER_SGPR: 14
; COMPUTE_PGM_RSRC2:TRAP_HANDLER: 0
; COMPUTE_PGM_RSRC2:TGID_X_EN: 1
; COMPUTE_PGM_RSRC2:TGID_Y_EN: 0
; COMPUTE_PGM_RSRC2:TGID_Z_EN: 1
; COMPUTE_PGM_RSRC2:TIDIG_COMP_CNT: 0
	.section	.text._ZL23rocblas_gemvt_sn_kernelILb0ELi256ELi4ElfPKffEviiT4_lPKT3_lilS5_lilPT5_i,"axG",@progbits,_ZL23rocblas_gemvt_sn_kernelILb0ELi256ELi4ElfPKffEviiT4_lPKT3_lilS5_lilPT5_i,comdat
	.globl	_ZL23rocblas_gemvt_sn_kernelILb0ELi256ELi4ElfPKffEviiT4_lPKT3_lilS5_lilPT5_i ; -- Begin function _ZL23rocblas_gemvt_sn_kernelILb0ELi256ELi4ElfPKffEviiT4_lPKT3_lilS5_lilPT5_i
	.p2align	8
	.type	_ZL23rocblas_gemvt_sn_kernelILb0ELi256ELi4ElfPKffEviiT4_lPKT3_lilS5_lilPT5_i,@function
_ZL23rocblas_gemvt_sn_kernelILb0ELi256ELi4ElfPKffEviiT4_lPKT3_lilS5_lilPT5_i: ; @_ZL23rocblas_gemvt_sn_kernelILb0ELi256ELi4ElfPKffEviiT4_lPKT3_lilS5_lilPT5_i
; %bb.0:
	s_clause 0x1
	s_load_b256 s[16:23], s[0:1], 0x8
	s_load_b64 s[12:13], s[0:1], 0x0
	s_waitcnt lgkmcnt(0)
	s_mul_i32 s3, s15, s19
	s_mul_hi_u32 s4, s15, s18
	s_mul_i32 s2, s15, s18
	s_add_i32 s3, s4, s3
	s_load_b32 s18, s[0:1], 0x68
	s_lshl_b64 s[2:3], s[2:3], 2
	s_mul_i32 s8, s13, s15
	s_add_u32 s2, s16, s2
	s_addc_u32 s3, s17, s3
	s_load_b32 s33, s[2:3], 0x0
	s_load_b128 s[4:7], s[0:1], 0x50
	s_ashr_i32 s34, s13, 31
	s_mul_hi_u32 s2, s13, s15
	s_mul_i32 s3, s34, s15
	s_mov_b32 s19, 0
	s_add_i32 s2, s2, s3
	s_waitcnt lgkmcnt(0)
	s_mul_hi_u32 s3, s8, s18
	s_mul_i32 s9, s2, s18
	s_mul_i32 s2, s8, s18
	s_add_i32 s3, s3, s9
	v_cmp_neq_f32_e64 s8, s33, 0
	s_lshl_b64 s[2:3], s[2:3], 2
	s_delay_alu instid0(SALU_CYCLE_1)
	s_add_u32 s44, s6, s2
	v_cmp_eq_u32_e64 s2, 0, v0
	s_addc_u32 s45, s7, s3
	s_and_b32 vcc_lo, exec_lo, s8
	s_cbranch_vccnz .LBB21_5
; %bb.1:
	s_cmp_gt_i32 s13, 0
	s_cselect_b32 s3, -1, 0
	s_delay_alu instid0(SALU_CYCLE_1) | instskip(NEXT) | instid1(SALU_CYCLE_1)
	s_and_b32 s2, s2, s3
	s_and_saveexec_b32 s8, s2
	s_cbranch_execz .LBB21_4
; %bb.2:
	s_mov_b32 s2, s15
	s_mov_b32 s15, 0
	v_mov_b32_e32 v1, 0
	s_lshl_b64 s[6:7], s[14:15], 2
	s_mov_b32 s15, s2
	s_add_u32 s2, s44, s6
	s_addc_u32 s3, s45, s7
	s_lshl_b64 s[6:7], s[18:19], 2
	s_mov_b32 s9, s13
.LBB21_3:                               ; =>This Inner Loop Header: Depth=1
	s_delay_alu instid0(SALU_CYCLE_1)
	s_add_i32 s9, s9, -1
	global_store_b32 v1, v1, s[2:3]
	s_add_u32 s2, s2, s6
	s_addc_u32 s3, s3, s7
	s_cmp_eq_u32 s9, 0
	s_cbranch_scc0 .LBB21_3
.LBB21_4:
	s_or_b32 exec_lo, exec_lo, s8
	s_cbranch_execz .LBB21_6
	s_branch .LBB21_79
.LBB21_5:
.LBB21_6:
	s_clause 0x3
	s_load_b32 s16, s[0:1], 0x28
	s_load_b32 s24, s[0:1], 0x48
	s_load_b128 s[8:11], s[0:1], 0x30
	s_load_b64 s[0:1], s[0:1], 0x40
	s_mul_i32 s3, s15, s5
	s_mul_hi_u32 s5, s15, s4
	s_mul_i32 s2, s15, s4
	s_add_i32 s3, s5, s3
	v_and_b32_e32 v24, 31, v0
	s_lshl_b64 s[26:27], s[2:3], 2
	v_mbcnt_lo_u32_b32 v27, -1, 0
	v_lshrrev_b32_e32 v29, 3, v0
	s_waitcnt lgkmcnt(0)
	s_ashr_i32 s17, s16, 31
	s_ashr_i32 s25, s24, 31
	s_add_u32 s5, s10, s26
	s_addc_u32 s6, s11, s27
	s_lshl_b64 s[30:31], s[0:1], 2
	s_mul_i32 s3, s15, s9
	s_mul_hi_u32 s4, s15, s8
	s_add_u32 s46, s5, s30
	s_mul_i32 s2, s15, s8
	s_addc_u32 s47, s6, s31
	s_add_i32 s3, s4, s3
	v_cmp_gt_u32_e64 s0, 32, v0
	s_lshl_b64 s[28:29], s[2:3], 2
	v_cmp_gt_u32_e64 s1, 8, v0
	s_add_u32 s2, s20, s28
	s_addc_u32 s3, s21, s29
	s_lshl_b64 s[22:23], s[22:23], 2
	s_delay_alu instid0(SALU_CYCLE_1)
	s_add_u32 s2, s2, s22
	s_addc_u32 s3, s3, s23
	s_lshl_b32 s4, s14, 10
	s_ashr_i32 s5, s12, 31
	v_lshl_or_b32 v9, v0, 2, s4
	s_lshr_b32 s4, s34, 30
	s_lshr_b32 s5, s5, 30
	s_add_i32 s4, s13, s4
	s_add_i32 s5, s12, s5
	v_ashrrev_i32_e32 v10, 31, v9
	s_and_b32 s48, s4, -4
	s_and_b32 s4, s5, -4
	v_add_nc_u32_e32 v30, 4, v9
	s_sub_i32 s19, s12, s4
	v_lshlrev_b64 v[7:8], 2, v[9:10]
	v_or_b32_e32 v28, 1, v9
	v_or_b32_e32 v26, 2, v9
	v_add_nc_u32_e32 v31, s19, v9
	v_or_b32_e32 v25, 3, v9
	s_cmp_lt_i32 s48, 1
	v_add_co_u32 v5, vcc_lo, s2, v7
	v_add_co_ci_u32_e32 v6, vcc_lo, s3, v8, vcc_lo
	s_cbranch_scc1 .LBB21_54
; %bb.7:
	v_cmp_gt_u32_e32 vcc_lo, 16, v27
	v_mad_i64_i32 v[12:13], null, s24, v26, 0
	v_mad_i64_i32 v[14:15], null, s24, v25, 0
	v_cndmask_b32_e64 v1, 0, 1, vcc_lo
	v_cmp_gt_u32_e32 vcc_lo, 24, v27
	s_mov_b32 s15, 0
	s_cmp_gt_i32 s19, 0
	s_delay_alu instid0(VALU_DEP_4)
	v_lshlrev_b64 v[16:17], 2, v[12:13]
	v_lshlrev_b32_e32 v1, 4, v1
	v_cndmask_b32_e64 v2, 0, 1, vcc_lo
	v_cmp_gt_u32_e32 vcc_lo, 28, v27
	s_cselect_b32 s49, -1, 0
	s_lshl_b64 s[6:7], s[14:15], 2
	s_delay_alu instid0(VALU_DEP_2)
	v_dual_mov_b32 v39, 0 :: v_dual_lshlrev_b32 v2, 3, v2
	v_cndmask_b32_e64 v3, 0, 1, vcc_lo
	v_cmp_gt_u32_e32 vcc_lo, 30, v27
	s_add_u32 s50, s44, s6
	s_addc_u32 s51, s45, s7
	v_add_lshl_u32 v33, v2, v27, 2
	v_lshlrev_b32_e32 v3, 2, v3
	v_cndmask_b32_e64 v4, 0, 1, vcc_lo
	v_cmp_ne_u32_e32 vcc_lo, 31, v27
	v_dual_mov_b32 v21, v6 :: v_dual_mov_b32 v20, v5
	v_add_lshl_u32 v32, v1, v27, 2
	s_delay_alu instid0(VALU_DEP_4) | instskip(SKIP_3) | instid1(VALU_DEP_4)
	v_lshlrev_b32_e32 v4, 1, v4
	v_mad_i64_i32 v[1:2], null, s24, v9, 0
	v_add_lshl_u32 v34, v3, v27, 2
	v_add_co_ci_u32_e32 v10, vcc_lo, 0, v27, vcc_lo
	v_add_lshl_u32 v35, v4, v27, 2
	v_mad_i64_i32 v[3:4], null, s24, v28, 0
	v_lshlrev_b64 v[1:2], 2, v[1:2]
	s_delay_alu instid0(VALU_DEP_4) | instskip(SKIP_4) | instid1(VALU_DEP_3)
	v_lshlrev_b32_e32 v36, 2, v10
	s_add_u32 s6, s10, s30
	s_addc_u32 s7, s11, s31
	s_add_u32 s6, s6, s26
	s_addc_u32 s7, s7, s27
	v_lshlrev_b64 v[3:4], 2, v[3:4]
	v_add_co_u32 v10, vcc_lo, s46, v1
	v_add_co_ci_u32_e32 v11, vcc_lo, s47, v2, vcc_lo
	v_cmp_ge_i32_e64 s2, s12, v30
	s_delay_alu instid0(VALU_DEP_4)
	v_add_co_u32 v12, vcc_lo, s46, v3
	v_add_co_ci_u32_e32 v13, vcc_lo, s47, v4, vcc_lo
	v_lshlrev_b64 v[3:4], 2, v[14:15]
	v_add_co_u32 v14, vcc_lo, s46, v16
	v_add_co_ci_u32_e32 v15, vcc_lo, s47, v17, vcc_lo
	v_cmp_ge_i32_e64 s3, s12, v31
	s_delay_alu instid0(VALU_DEP_4)
	v_add_co_u32 v16, vcc_lo, s46, v3
	v_add_co_ci_u32_e32 v17, vcc_lo, s47, v4, vcc_lo
	v_add_co_u32 v18, vcc_lo, s6, v1
	v_cmp_eq_u32_e64 s4, 0, v24
	v_lshlrev_b32_e32 v37, 2, v24
	v_and_b32_e32 v38, 28, v29
	v_cmp_eq_u32_e64 s5, 0, v0
	v_add_co_ci_u32_e32 v19, vcc_lo, s7, v2, vcc_lo
	s_lshl_b64 s[34:35], s[24:25], 2
	s_lshl_b64 s[36:37], s[16:17], 4
	;; [unrolled: 1-line block ×4, first 2 shown]
	s_mul_hi_i32 s52, s16, 12
	s_mul_i32 s53, s16, 12
                                        ; implicit-def: $vgpr1_vgpr2_vgpr3_vgpr4
	s_branch .LBB21_9
.LBB21_8:                               ;   in Loop: Header=BB21_9 Depth=1
	s_or_b32 exec_lo, exec_lo, s6
	v_add_co_u32 v20, vcc_lo, v20, s36
	v_add_co_ci_u32_e32 v21, vcc_lo, s37, v21, vcc_lo
	s_add_i32 s15, s15, 4
	s_delay_alu instid0(SALU_CYCLE_1)
	s_cmp_ge_i32 s15, s48
	s_cbranch_scc1 .LBB21_55
.LBB21_9:                               ; =>This Loop Header: Depth=1
                                        ;     Child Loop BB21_40 Depth 2
                                        ;     Child Loop BB21_43 Depth 2
                                        ; implicit-def: $vgpr40
                                        ; implicit-def: $vgpr41
                                        ; implicit-def: $vgpr42
                                        ; implicit-def: $vgpr43
	s_and_saveexec_b32 s6, s2
	s_delay_alu instid0(SALU_CYCLE_1)
	s_xor_b32 s6, exec_lo, s6
	s_cbranch_execnz .LBB21_36
; %bb.10:                               ;   in Loop: Header=BB21_9 Depth=1
	s_and_not1_saveexec_b32 s54, s6
	s_cbranch_execnz .LBB21_37
.LBB21_11:                              ;   in Loop: Header=BB21_9 Depth=1
	s_or_b32 exec_lo, exec_lo, s54
	s_and_saveexec_b32 s6, s0
	s_cbranch_execz .LBB21_13
.LBB21_12:                              ;   in Loop: Header=BB21_9 Depth=1
	ds_store_b32 v37, v39
.LBB21_13:                              ;   in Loop: Header=BB21_9 Depth=1
	s_or_b32 exec_lo, exec_lo, s6
	ds_bpermute_b32 v22, v32, v43
	s_waitcnt lgkmcnt(0)
	s_waitcnt_vscnt null, 0x0
	s_barrier
	buffer_gl0_inv
	v_add_f32_e32 v22, v43, v22
	ds_bpermute_b32 v23, v33, v22
	s_waitcnt lgkmcnt(0)
	v_add_f32_e32 v22, v22, v23
	ds_bpermute_b32 v23, v34, v22
	s_waitcnt lgkmcnt(0)
	;; [unrolled: 3-line block ×3, first 2 shown]
	v_add_f32_e32 v22, v22, v23
	ds_bpermute_b32 v23, v36, v22
	s_and_saveexec_b32 s6, s4
	s_cbranch_execz .LBB21_15
; %bb.14:                               ;   in Loop: Header=BB21_9 Depth=1
	s_waitcnt lgkmcnt(0)
	v_add_f32_e32 v22, v22, v23
	ds_store_b32 v38, v22
.LBB21_15:                              ;   in Loop: Header=BB21_9 Depth=1
	s_or_b32 exec_lo, exec_lo, s6
	v_mov_b32_e32 v22, 0
	s_waitcnt lgkmcnt(0)
	s_barrier
	buffer_gl0_inv
	s_and_saveexec_b32 s6, s1
	s_cbranch_execnz .LBB21_45
; %bb.16:                               ;   in Loop: Header=BB21_9 Depth=1
	s_or_b32 exec_lo, exec_lo, s6
	s_and_saveexec_b32 s6, s0
	s_cbranch_execnz .LBB21_46
.LBB21_17:                              ;   in Loop: Header=BB21_9 Depth=1
	s_or_b32 exec_lo, exec_lo, s6
	s_and_saveexec_b32 s6, s0
	s_cbranch_execz .LBB21_19
.LBB21_18:                              ;   in Loop: Header=BB21_9 Depth=1
	ds_store_b32 v37, v39
.LBB21_19:                              ;   in Loop: Header=BB21_9 Depth=1
	s_or_b32 exec_lo, exec_lo, s6
	ds_bpermute_b32 v23, v32, v42
	s_waitcnt lgkmcnt(0)
	s_barrier
	buffer_gl0_inv
	v_add_f32_e32 v23, v42, v23
	ds_bpermute_b32 v42, v33, v23
	s_waitcnt lgkmcnt(0)
	v_add_f32_e32 v23, v23, v42
	ds_bpermute_b32 v42, v34, v23
	s_waitcnt lgkmcnt(0)
	;; [unrolled: 3-line block ×3, first 2 shown]
	v_add_f32_e32 v23, v23, v42
	ds_bpermute_b32 v42, v36, v23
	s_and_saveexec_b32 s6, s4
	s_cbranch_execz .LBB21_21
; %bb.20:                               ;   in Loop: Header=BB21_9 Depth=1
	s_waitcnt lgkmcnt(0)
	v_add_f32_e32 v23, v23, v42
	ds_store_b32 v38, v23
.LBB21_21:                              ;   in Loop: Header=BB21_9 Depth=1
	s_or_b32 exec_lo, exec_lo, s6
	v_mov_b32_e32 v23, 0
	s_waitcnt lgkmcnt(0)
	s_barrier
	buffer_gl0_inv
	s_and_saveexec_b32 s6, s1
	s_cbranch_execnz .LBB21_47
; %bb.22:                               ;   in Loop: Header=BB21_9 Depth=1
	s_or_b32 exec_lo, exec_lo, s6
	s_and_saveexec_b32 s6, s0
	s_cbranch_execnz .LBB21_48
.LBB21_23:                              ;   in Loop: Header=BB21_9 Depth=1
	s_or_b32 exec_lo, exec_lo, s6
	s_and_saveexec_b32 s6, s0
	s_cbranch_execz .LBB21_25
.LBB21_24:                              ;   in Loop: Header=BB21_9 Depth=1
	ds_store_b32 v37, v39
.LBB21_25:                              ;   in Loop: Header=BB21_9 Depth=1
	s_or_b32 exec_lo, exec_lo, s6
	ds_bpermute_b32 v42, v32, v41
	s_waitcnt lgkmcnt(0)
	s_barrier
	buffer_gl0_inv
	v_add_f32_e32 v41, v41, v42
	ds_bpermute_b32 v42, v33, v41
	s_waitcnt lgkmcnt(0)
	v_add_f32_e32 v41, v41, v42
	ds_bpermute_b32 v42, v34, v41
	s_waitcnt lgkmcnt(0)
	;; [unrolled: 3-line block ×3, first 2 shown]
	v_add_f32_e32 v41, v41, v42
	ds_bpermute_b32 v42, v36, v41
	s_and_saveexec_b32 s6, s4
	s_cbranch_execz .LBB21_27
; %bb.26:                               ;   in Loop: Header=BB21_9 Depth=1
	s_waitcnt lgkmcnt(0)
	v_add_f32_e32 v41, v41, v42
	ds_store_b32 v38, v41
.LBB21_27:                              ;   in Loop: Header=BB21_9 Depth=1
	s_or_b32 exec_lo, exec_lo, s6
	v_mov_b32_e32 v41, 0
	s_waitcnt lgkmcnt(0)
	s_barrier
	buffer_gl0_inv
	s_and_saveexec_b32 s6, s1
	s_cbranch_execnz .LBB21_49
; %bb.28:                               ;   in Loop: Header=BB21_9 Depth=1
	s_or_b32 exec_lo, exec_lo, s6
	s_and_saveexec_b32 s6, s0
	s_cbranch_execnz .LBB21_50
.LBB21_29:                              ;   in Loop: Header=BB21_9 Depth=1
	s_or_b32 exec_lo, exec_lo, s6
	s_and_saveexec_b32 s6, s0
	s_cbranch_execz .LBB21_31
.LBB21_30:                              ;   in Loop: Header=BB21_9 Depth=1
	ds_store_b32 v37, v39
.LBB21_31:                              ;   in Loop: Header=BB21_9 Depth=1
	s_or_b32 exec_lo, exec_lo, s6
	ds_bpermute_b32 v42, v32, v40
	s_waitcnt lgkmcnt(0)
	s_barrier
	buffer_gl0_inv
	v_add_f32_e32 v40, v40, v42
	ds_bpermute_b32 v42, v33, v40
	s_waitcnt lgkmcnt(0)
	v_add_f32_e32 v40, v40, v42
	ds_bpermute_b32 v42, v34, v40
	s_waitcnt lgkmcnt(0)
	;; [unrolled: 3-line block ×3, first 2 shown]
	v_add_f32_e32 v40, v40, v42
	ds_bpermute_b32 v42, v36, v40
	s_and_saveexec_b32 s6, s4
	s_cbranch_execz .LBB21_33
; %bb.32:                               ;   in Loop: Header=BB21_9 Depth=1
	s_waitcnt lgkmcnt(0)
	v_add_f32_e32 v40, v40, v42
	ds_store_b32 v38, v40
.LBB21_33:                              ;   in Loop: Header=BB21_9 Depth=1
	s_or_b32 exec_lo, exec_lo, s6
	v_mov_b32_e32 v40, 0
	s_waitcnt lgkmcnt(0)
	s_barrier
	buffer_gl0_inv
	s_and_saveexec_b32 s6, s1
	s_cbranch_execnz .LBB21_51
; %bb.34:                               ;   in Loop: Header=BB21_9 Depth=1
	s_or_b32 exec_lo, exec_lo, s6
	s_and_saveexec_b32 s6, s0
	s_cbranch_execnz .LBB21_52
.LBB21_35:                              ;   in Loop: Header=BB21_9 Depth=1
	s_or_b32 exec_lo, exec_lo, s6
	s_and_saveexec_b32 s6, s5
	s_cbranch_execz .LBB21_8
	s_branch .LBB21_53
.LBB21_36:                              ;   in Loop: Header=BB21_9 Depth=1
	s_mul_i32 s7, s15, s17
	s_mul_hi_u32 s8, s15, s16
	s_delay_alu instid0(SALU_CYCLE_1)
	s_add_i32 s9, s8, s7
	s_mul_i32 s8, s15, s16
	s_or_b32 s7, s15, 1
	s_lshl_b64 s[8:9], s[8:9], 2
	s_mul_i32 s42, s7, s17
	s_mul_hi_u32 s43, s7, s16
	v_add_co_u32 v2, vcc_lo, v5, s8
	v_add_co_ci_u32_e32 v3, vcc_lo, s9, v6, vcc_lo
	s_add_i32 s9, s43, s42
	s_mul_i32 s8, s7, s16
	s_or_b32 s7, s15, 2
	s_lshl_b64 s[8:9], s[8:9], 2
	s_mul_i32 s42, s7, s17
	s_mul_hi_u32 s43, s7, s16
	v_add_co_u32 v22, vcc_lo, v5, s8
	v_add_co_ci_u32_e32 v23, vcc_lo, s9, v6, vcc_lo
	s_add_i32 s9, s43, s42
	s_or_b32 s42, s15, 3
	s_mul_i32 s8, s7, s16
	s_mul_i32 s7, s42, s17
	s_mul_hi_u32 s43, s42, s16
	s_lshl_b64 s[8:9], s[8:9], 2
	s_add_i32 s43, s43, s7
	s_mul_i32 s42, s42, s16
	s_waitcnt lgkmcnt(0)
	v_add_co_u32 v40, vcc_lo, v5, s8
	v_add_co_ci_u32_e32 v41, vcc_lo, s9, v6, vcc_lo
	s_lshl_b64 s[8:9], s[42:43], 2
	s_delay_alu instid0(SALU_CYCLE_1)
	v_add_co_u32 v55, vcc_lo, v5, s8
	v_add_co_ci_u32_e32 v56, vcc_lo, s9, v6, vcc_lo
	global_load_b32 v1, v[10:11], off
	s_clause 0x3
	global_load_b128 v[43:46], v[2:3], off
	global_load_b128 v[47:50], v[22:23], off
	;; [unrolled: 1-line block ×4, first 2 shown]
	s_clause 0x2
	global_load_b32 v2, v[12:13], off
	global_load_b32 v3, v[14:15], off
	global_load_b32 v4, v[16:17], off
	s_waitcnt vmcnt(6)
	v_fma_f32 v43, v1, v43, 0
	s_waitcnt vmcnt(5)
	v_fma_f32 v42, v1, v47, 0
	;; [unrolled: 2-line block ×4, first 2 shown]
	s_waitcnt vmcnt(2)
	v_fmac_f32_e32 v42, v2, v48
	v_fmac_f32_e32 v43, v2, v44
	s_delay_alu instid0(VALU_DEP_3) | instskip(SKIP_1) | instid1(VALU_DEP_3)
	v_fmac_f32_e32 v40, v2, v56
	s_waitcnt vmcnt(1)
	v_dual_fmac_f32 v41, v2, v52 :: v_dual_fmac_f32 v42, v3, v49
	s_delay_alu instid0(VALU_DEP_3) | instskip(NEXT) | instid1(VALU_DEP_3)
	v_fmac_f32_e32 v43, v3, v45
	v_fmac_f32_e32 v40, v3, v57
	s_waitcnt vmcnt(0)
	s_delay_alu instid0(VALU_DEP_3) | instskip(NEXT) | instid1(VALU_DEP_3)
	v_dual_fmac_f32 v41, v3, v53 :: v_dual_fmac_f32 v42, v4, v50
	v_fmac_f32_e32 v43, v4, v46
	s_delay_alu instid0(VALU_DEP_3) | instskip(NEXT) | instid1(VALU_DEP_3)
	v_fmac_f32_e32 v40, v4, v58
	v_fmac_f32_e32 v41, v4, v54
	s_and_not1_saveexec_b32 s54, s6
	s_cbranch_execz .LBB21_11
.LBB21_37:                              ;   in Loop: Header=BB21_9 Depth=1
	s_waitcnt lgkmcnt(0)
	v_dual_mov_b32 v40, 0 :: v_dual_mov_b32 v41, 0
	v_dual_mov_b32 v42, 0 :: v_dual_mov_b32 v43, 0
	s_and_saveexec_b32 s55, s3
	s_cbranch_execz .LBB21_44
; %bb.38:                               ;   in Loop: Header=BB21_9 Depth=1
	s_and_not1_b32 vcc_lo, exec_lo, s49
	s_cbranch_vccnz .LBB21_41
; %bb.39:                               ;   in Loop: Header=BB21_9 Depth=1
	v_dual_mov_b32 v23, v19 :: v_dual_mov_b32 v22, v18
	s_mov_b64 s[42:43], 0
	.p2align	6
.LBB21_40:                              ;   Parent Loop BB21_9 Depth=1
                                        ; =>  This Inner Loop Header: Depth=2
	global_load_b32 v40, v[22:23], off
	v_add_co_u32 v22, vcc_lo, v22, s34
	s_cmp_eq_u32 s42, 3
	v_add_co_ci_u32_e32 v23, vcc_lo, s35, v23, vcc_lo
	s_cselect_b32 vcc_lo, -1, 0
	s_cmp_eq_u32 s42, 2
	s_cselect_b32 s6, -1, 0
	s_cmp_eq_u32 s42, 1
	s_cselect_b32 s7, -1, 0
	;; [unrolled: 2-line block ×3, first 2 shown]
	s_add_u32 s42, s42, 1
	s_addc_u32 s43, s43, 0
	s_cmp_eq_u32 s19, s42
	s_waitcnt vmcnt(0)
	v_cndmask_b32_e32 v4, v4, v40, vcc_lo
	v_cndmask_b32_e64 v3, v3, v40, s6
	v_cndmask_b32_e64 v2, v2, v40, s7
	;; [unrolled: 1-line block ×3, first 2 shown]
	s_cbranch_scc0 .LBB21_40
.LBB21_41:                              ;   in Loop: Header=BB21_9 Depth=1
	v_dual_mov_b32 v40, 0 :: v_dual_mov_b32 v41, 0
	v_dual_mov_b32 v42, 0 :: v_dual_mov_b32 v43, 0
	s_and_not1_b32 vcc_lo, exec_lo, s49
	s_cbranch_vccnz .LBB21_44
; %bb.42:                               ;   in Loop: Header=BB21_9 Depth=1
	v_dual_mov_b32 v23, v21 :: v_dual_mov_b32 v42, 0
	v_dual_mov_b32 v43, 0 :: v_dual_mov_b32 v22, v20
	;; [unrolled: 1-line block ×3, first 2 shown]
	s_mov_b64 s[8:9], 0
	s_set_inst_prefetch_distance 0x1
	.p2align	6
.LBB21_43:                              ;   Parent Loop BB21_9 Depth=1
                                        ; =>  This Inner Loop Header: Depth=2
	s_delay_alu instid0(VALU_DEP_2)
	v_add_co_u32 v44, vcc_lo, v22, s38
	v_add_co_ci_u32_e32 v45, vcc_lo, s39, v23, vcc_lo
	v_add_co_u32 v46, vcc_lo, v22, s40
	v_add_co_ci_u32_e32 v47, vcc_lo, s41, v23, vcc_lo
	;; [unrolled: 2-line block ×3, first 2 shown]
	s_clause 0x3
	global_load_b32 v50, v[22:23], off
	global_load_b32 v44, v[44:45], off
	;; [unrolled: 1-line block ×4, first 2 shown]
	s_cmp_eq_u32 s8, 1
	v_add_co_u32 v22, s6, v22, 4
	s_cselect_b32 vcc_lo, -1, 0
	s_cmp_eq_u32 s8, 2
	v_cndmask_b32_e32 v47, v1, v2, vcc_lo
	s_cselect_b32 vcc_lo, -1, 0
	s_cmp_eq_u32 s8, 3
	v_add_co_ci_u32_e64 v23, s6, 0, v23, s6
	s_delay_alu instid0(VALU_DEP_2)
	v_cndmask_b32_e32 v47, v47, v3, vcc_lo
	s_cselect_b32 vcc_lo, -1, 0
	s_add_u32 s8, s8, 1
	s_addc_u32 s9, s9, 0
	s_cmp_lg_u32 s19, s8
	v_cndmask_b32_e32 v47, v47, v4, vcc_lo
	s_waitcnt vmcnt(3)
	s_delay_alu instid0(VALU_DEP_1)
	v_fmac_f32_e32 v43, v47, v50
	s_waitcnt vmcnt(2)
	v_fmac_f32_e32 v42, v47, v44
	s_waitcnt vmcnt(1)
	;; [unrolled: 2-line block ×3, first 2 shown]
	v_fmac_f32_e32 v40, v47, v46
	s_cbranch_scc1 .LBB21_43
.LBB21_44:                              ;   in Loop: Header=BB21_9 Depth=1
	s_set_inst_prefetch_distance 0x2
	s_or_b32 exec_lo, exec_lo, s55
	s_delay_alu instid0(SALU_CYCLE_1)
	s_or_b32 exec_lo, exec_lo, s54
	s_and_saveexec_b32 s6, s0
	s_cbranch_execnz .LBB21_12
	s_branch .LBB21_13
.LBB21_45:                              ;   in Loop: Header=BB21_9 Depth=1
	ds_load_b32 v22, v37
	s_or_b32 exec_lo, exec_lo, s6
	s_and_saveexec_b32 s6, s0
	s_cbranch_execz .LBB21_17
.LBB21_46:                              ;   in Loop: Header=BB21_9 Depth=1
	s_waitcnt lgkmcnt(0)
	ds_bpermute_b32 v23, v34, v22
	s_waitcnt lgkmcnt(0)
	v_add_f32_e32 v22, v22, v23
	ds_bpermute_b32 v23, v35, v22
	s_waitcnt lgkmcnt(0)
	v_add_f32_e32 v22, v22, v23
	;; [unrolled: 3-line block ×3, first 2 shown]
	s_or_b32 exec_lo, exec_lo, s6
	s_and_saveexec_b32 s6, s0
	s_cbranch_execnz .LBB21_18
	s_branch .LBB21_19
.LBB21_47:                              ;   in Loop: Header=BB21_9 Depth=1
	ds_load_b32 v23, v37
	s_or_b32 exec_lo, exec_lo, s6
	s_and_saveexec_b32 s6, s0
	s_cbranch_execz .LBB21_23
.LBB21_48:                              ;   in Loop: Header=BB21_9 Depth=1
	s_waitcnt lgkmcnt(0)
	ds_bpermute_b32 v42, v34, v23
	s_waitcnt lgkmcnt(0)
	v_add_f32_e32 v23, v23, v42
	ds_bpermute_b32 v42, v35, v23
	s_waitcnt lgkmcnt(0)
	v_add_f32_e32 v23, v23, v42
	;; [unrolled: 3-line block ×3, first 2 shown]
	s_or_b32 exec_lo, exec_lo, s6
	s_and_saveexec_b32 s6, s0
	s_cbranch_execnz .LBB21_24
	s_branch .LBB21_25
.LBB21_49:                              ;   in Loop: Header=BB21_9 Depth=1
	ds_load_b32 v41, v37
	s_or_b32 exec_lo, exec_lo, s6
	s_and_saveexec_b32 s6, s0
	s_cbranch_execz .LBB21_29
.LBB21_50:                              ;   in Loop: Header=BB21_9 Depth=1
	s_waitcnt lgkmcnt(0)
	ds_bpermute_b32 v42, v34, v41
	s_waitcnt lgkmcnt(0)
	v_add_f32_e32 v41, v41, v42
	ds_bpermute_b32 v42, v35, v41
	s_waitcnt lgkmcnt(0)
	v_add_f32_e32 v41, v41, v42
	;; [unrolled: 3-line block ×3, first 2 shown]
	s_or_b32 exec_lo, exec_lo, s6
	s_and_saveexec_b32 s6, s0
	s_cbranch_execnz .LBB21_30
	s_branch .LBB21_31
.LBB21_51:                              ;   in Loop: Header=BB21_9 Depth=1
	ds_load_b32 v40, v37
	s_or_b32 exec_lo, exec_lo, s6
	s_and_saveexec_b32 s6, s0
	s_cbranch_execz .LBB21_35
.LBB21_52:                              ;   in Loop: Header=BB21_9 Depth=1
	s_waitcnt lgkmcnt(0)
	ds_bpermute_b32 v42, v34, v40
	s_waitcnt lgkmcnt(0)
	v_add_f32_e32 v40, v40, v42
	ds_bpermute_b32 v42, v35, v40
	s_waitcnt lgkmcnt(0)
	v_add_f32_e32 v40, v40, v42
	;; [unrolled: 3-line block ×3, first 2 shown]
	s_or_b32 exec_lo, exec_lo, s6
	s_and_saveexec_b32 s6, s5
	s_cbranch_execz .LBB21_8
.LBB21_53:                              ;   in Loop: Header=BB21_9 Depth=1
	s_mul_hi_u32 s9, s15, s18
	s_mul_i32 s8, s15, s18
	v_dual_mul_f32 v22, s33, v22 :: v_dual_mul_f32 v23, s33, v23
	s_lshl_b64 s[8:9], s[8:9], 2
	s_waitcnt lgkmcnt(0)
	v_mul_f32_e32 v40, s33, v40
	s_add_u32 s8, s50, s8
	s_addc_u32 s9, s51, s9
	s_or_b32 s7, s15, 1
	global_store_b32 v39, v22, s[8:9]
	s_mul_hi_u32 s43, s7, s18
	s_mul_i32 s42, s7, s18
	v_mul_f32_e32 v22, s33, v41
	s_lshl_b64 s[42:43], s[42:43], 2
	s_delay_alu instid0(SALU_CYCLE_1)
	s_add_u32 s42, s50, s42
	s_addc_u32 s43, s51, s43
	s_or_b32 s7, s15, 2
	global_store_b32 v39, v23, s[42:43]
	s_mul_hi_u32 s55, s7, s18
	s_mul_i32 s54, s7, s18
	s_delay_alu instid0(SALU_CYCLE_1) | instskip(NEXT) | instid1(SALU_CYCLE_1)
	s_lshl_b64 s[54:55], s[54:55], 2
	s_add_u32 s8, s50, s54
	s_addc_u32 s9, s51, s55
	s_or_b32 s7, s15, 3
	s_delay_alu instid0(SALU_CYCLE_1) | instskip(SKIP_1) | instid1(SALU_CYCLE_1)
	s_mul_hi_u32 s55, s7, s18
	s_mul_i32 s54, s7, s18
	s_lshl_b64 s[54:55], s[54:55], 2
	s_delay_alu instid0(SALU_CYCLE_1)
	s_add_u32 s42, s50, s54
	s_addc_u32 s43, s51, s55
	s_clause 0x1
	global_store_b32 v39, v22, s[8:9]
	global_store_b32 v39, v40, s[42:43]
	s_branch .LBB21_8
.LBB21_54:
	s_mov_b32 s15, 0
                                        ; implicit-def: $vgpr1_vgpr2_vgpr3_vgpr4
.LBB21_55:
	s_delay_alu instid0(SALU_CYCLE_1)
	s_cmp_ge_i32 s15, s13
	s_cbranch_scc1 .LBB21_79
; %bb.56:
	v_cmp_gt_u32_e32 vcc_lo, 16, v27
	v_cmp_ge_i32_e64 s0, s12, v30
	v_cmp_ge_i32_e64 s1, s12, v31
	v_mad_i64_i32 v[19:20], null, s24, v25, 0
	v_cndmask_b32_e64 v10, 0, 1, vcc_lo
	v_cmp_gt_u32_e32 vcc_lo, 24, v27
	s_cmp_gt_i32 s19, 0
	s_mov_b32 s9, 0
	s_mov_b32 s8, s14
	v_lshlrev_b32_e32 v10, 4, v10
	v_cndmask_b32_e64 v11, 0, 1, vcc_lo
	v_cmp_gt_u32_e32 vcc_lo, 28, v27
	s_cselect_b32 s12, -1, 0
	s_lshl_b64 s[6:7], s[8:9], 2
	v_add_lshl_u32 v22, v10, v27, 2
	v_lshlrev_b32_e32 v11, 3, v11
	v_cndmask_b32_e64 v12, 0, 1, vcc_lo
	v_cmp_gt_u32_e32 vcc_lo, 30, v27
	s_add_u32 s14, s44, s6
	s_addc_u32 s34, s45, s7
	v_add_lshl_u32 v23, v11, v27, 2
	v_lshlrev_b32_e32 v12, 2, v12
	v_cndmask_b32_e64 v13, 0, 1, vcc_lo
	v_cmp_ne_u32_e32 vcc_lo, 31, v27
	v_mad_i64_i32 v[10:11], null, s24, v9, 0
	s_delay_alu instid0(VALU_DEP_4) | instskip(NEXT) | instid1(VALU_DEP_4)
	v_add_lshl_u32 v30, v12, v27, 2
	v_lshlrev_b32_e32 v13, 1, v13
	v_add_co_ci_u32_e32 v14, vcc_lo, 0, v27, vcc_lo
	s_add_u32 s6, s10, s30
	s_addc_u32 s7, s11, s31
	s_delay_alu instid0(VALU_DEP_2)
	v_add_lshl_u32 v27, v13, v27, 2
	v_mad_i64_i32 v[12:13], null, s24, v28, 0
	v_lshlrev_b32_e32 v31, 2, v14
	v_mad_i64_i32 v[14:15], null, s24, v26, 0
	v_lshlrev_b64 v[17:18], 2, v[10:11]
	s_add_u32 s8, s6, s26
	s_mul_i32 s6, s17, s15
	s_delay_alu instid0(VALU_DEP_4)
	v_lshlrev_b64 v[11:12], 2, v[12:13]
	s_mul_hi_u32 s10, s16, s15
	s_addc_u32 s11, s7, s27
	v_add_co_u32 v9, vcc_lo, s46, v17
	v_lshlrev_b64 v[13:14], 2, v[14:15]
	v_add_co_ci_u32_e32 v10, vcc_lo, s47, v18, vcc_lo
	v_add_co_u32 v11, vcc_lo, s46, v11
	v_lshlrev_b64 v[15:16], 2, v[19:20]
	v_add_co_ci_u32_e32 v12, vcc_lo, s47, v12, vcc_lo
	v_add_co_u32 v13, vcc_lo, s46, v13
	v_add_co_ci_u32_e32 v14, vcc_lo, s47, v14, vcc_lo
	s_delay_alu instid0(VALU_DEP_4)
	v_add_co_u32 v15, vcc_lo, s46, v15
	v_add_co_ci_u32_e32 v16, vcc_lo, s47, v16, vcc_lo
	s_add_i32 s7, s10, s6
	s_mul_i32 s6, s16, s15
	v_add_co_u32 v17, vcc_lo, s8, v17
	s_lshl_b64 s[6:7], s[6:7], 2
	v_add_co_ci_u32_e32 v18, vcc_lo, s11, v18, vcc_lo
	s_lshl_b64 s[10:11], s[24:25], 2
	s_add_u32 s6, s28, s6
	s_addc_u32 s7, s29, s7
	s_add_u32 s6, s6, s22
	s_addc_u32 s7, s7, s23
	;; [unrolled: 2-line block ×3, first 2 shown]
	v_add_co_u32 v7, vcc_lo, s6, v7
	v_cmp_gt_u32_e64 s2, 32, v0
	v_lshlrev_b32_e32 v21, 2, v24
	v_cmp_eq_u32_e64 s3, 0, v24
	v_and_b32_e32 v24, 28, v29
	v_cmp_gt_u32_e64 s4, 8, v0
	v_cmp_eq_u32_e64 s5, 0, v0
	v_mov_b32_e32 v0, 0
	v_add_co_ci_u32_e32 v8, vcc_lo, s7, v8, vcc_lo
	s_lshl_b64 s[20:21], s[16:17], 2
	s_branch .LBB21_58
.LBB21_57:                              ;   in Loop: Header=BB21_58 Depth=1
	s_or_b32 exec_lo, exec_lo, s6
	v_add_co_u32 v7, vcc_lo, v7, s20
	v_add_co_ci_u32_e32 v8, vcc_lo, s21, v8, vcc_lo
	s_add_i32 s15, s15, 1
	s_delay_alu instid0(SALU_CYCLE_1)
	s_cmp_ge_i32 s15, s13
	s_cbranch_scc1 .LBB21_79
.LBB21_58:                              ; =>This Loop Header: Depth=1
                                        ;     Child Loop BB21_71 Depth 2
                                        ;     Child Loop BB21_74 Depth 2
	v_mov_b32_e32 v25, s9
	s_and_saveexec_b32 s6, s0
	s_delay_alu instid0(SALU_CYCLE_1)
	s_xor_b32 s6, exec_lo, s6
	s_cbranch_execnz .LBB21_67
; %bb.59:                               ;   in Loop: Header=BB21_58 Depth=1
	s_and_not1_saveexec_b32 s24, s6
	s_cbranch_execnz .LBB21_68
.LBB21_60:                              ;   in Loop: Header=BB21_58 Depth=1
	s_or_b32 exec_lo, exec_lo, s24
	s_and_saveexec_b32 s6, s2
	s_cbranch_execz .LBB21_62
.LBB21_61:                              ;   in Loop: Header=BB21_58 Depth=1
	ds_store_b32 v21, v0
.LBB21_62:                              ;   in Loop: Header=BB21_58 Depth=1
	s_or_b32 exec_lo, exec_lo, s6
	s_waitcnt lgkmcnt(0)
	ds_bpermute_b32 v19, v22, v25
	s_waitcnt lgkmcnt(0)
	s_waitcnt_vscnt null, 0x0
	s_barrier
	buffer_gl0_inv
	v_add_f32_e32 v19, v25, v19
	ds_bpermute_b32 v20, v23, v19
	s_waitcnt lgkmcnt(0)
	v_add_f32_e32 v19, v19, v20
	ds_bpermute_b32 v20, v30, v19
	s_waitcnt lgkmcnt(0)
	;; [unrolled: 3-line block ×3, first 2 shown]
	v_add_f32_e32 v19, v19, v20
	ds_bpermute_b32 v20, v31, v19
	s_and_saveexec_b32 s6, s3
	s_cbranch_execz .LBB21_64
; %bb.63:                               ;   in Loop: Header=BB21_58 Depth=1
	s_waitcnt lgkmcnt(0)
	v_add_f32_e32 v19, v19, v20
	ds_store_b32 v24, v19
.LBB21_64:                              ;   in Loop: Header=BB21_58 Depth=1
	s_or_b32 exec_lo, exec_lo, s6
	v_mov_b32_e32 v19, 0
	s_waitcnt lgkmcnt(0)
	s_barrier
	buffer_gl0_inv
	s_and_saveexec_b32 s6, s4
	s_cbranch_execnz .LBB21_76
; %bb.65:                               ;   in Loop: Header=BB21_58 Depth=1
	s_or_b32 exec_lo, exec_lo, s6
	s_and_saveexec_b32 s6, s2
	s_cbranch_execnz .LBB21_77
.LBB21_66:                              ;   in Loop: Header=BB21_58 Depth=1
	s_or_b32 exec_lo, exec_lo, s6
	s_and_saveexec_b32 s6, s5
	s_cbranch_execz .LBB21_57
	s_branch .LBB21_78
.LBB21_67:                              ;   in Loop: Header=BB21_58 Depth=1
	s_mul_i32 s7, s15, s17
	s_mul_hi_u32 s8, s15, s16
	s_mul_i32 s22, s15, s16
	s_add_i32 s23, s8, s7
	s_delay_alu instid0(SALU_CYCLE_1) | instskip(NEXT) | instid1(SALU_CYCLE_1)
	s_lshl_b64 s[22:23], s[22:23], 2
	v_add_co_u32 v1, vcc_lo, v5, s22
	v_add_co_ci_u32_e32 v2, vcc_lo, s23, v6, vcc_lo
	global_load_b128 v[32:35], v[1:2], off
	s_clause 0x3
	global_load_b32 v1, v[9:10], off
	global_load_b32 v2, v[11:12], off
	;; [unrolled: 1-line block ×4, first 2 shown]
	s_waitcnt vmcnt(3)
	v_fma_f32 v25, v1, v32, 0
	s_waitcnt vmcnt(2)
	s_delay_alu instid0(VALU_DEP_1) | instskip(SKIP_1) | instid1(VALU_DEP_1)
	v_fmac_f32_e32 v25, v2, v33
	s_waitcnt vmcnt(1)
	v_fmac_f32_e32 v25, v3, v34
	s_waitcnt vmcnt(0)
	s_delay_alu instid0(VALU_DEP_1)
	v_fmac_f32_e32 v25, v4, v35
	s_and_not1_saveexec_b32 s24, s6
	s_cbranch_execz .LBB21_60
.LBB21_68:                              ;   in Loop: Header=BB21_58 Depth=1
	s_and_saveexec_b32 s25, s1
	s_cbranch_execz .LBB21_75
; %bb.69:                               ;   in Loop: Header=BB21_58 Depth=1
	s_and_not1_b32 vcc_lo, exec_lo, s12
	s_cbranch_vccnz .LBB21_72
; %bb.70:                               ;   in Loop: Header=BB21_58 Depth=1
	s_waitcnt lgkmcnt(0)
	v_dual_mov_b32 v20, v18 :: v_dual_mov_b32 v19, v17
	s_mov_b64 s[22:23], 0
	.p2align	6
.LBB21_71:                              ;   Parent Loop BB21_58 Depth=1
                                        ; =>  This Inner Loop Header: Depth=2
	global_load_b32 v26, v[19:20], off
	v_add_co_u32 v19, vcc_lo, v19, s10
	s_cmp_eq_u32 s22, 3
	v_add_co_ci_u32_e32 v20, vcc_lo, s11, v20, vcc_lo
	s_cselect_b32 vcc_lo, -1, 0
	s_cmp_eq_u32 s22, 2
	s_cselect_b32 s6, -1, 0
	s_cmp_eq_u32 s22, 1
	s_cselect_b32 s7, -1, 0
	;; [unrolled: 2-line block ×3, first 2 shown]
	s_add_u32 s22, s22, 1
	s_addc_u32 s23, s23, 0
	s_cmp_eq_u32 s19, s22
	s_waitcnt vmcnt(0)
	v_cndmask_b32_e32 v4, v4, v26, vcc_lo
	v_cndmask_b32_e64 v3, v3, v26, s6
	v_cndmask_b32_e64 v2, v2, v26, s7
	;; [unrolled: 1-line block ×3, first 2 shown]
	s_cbranch_scc0 .LBB21_71
.LBB21_72:                              ;   in Loop: Header=BB21_58 Depth=1
	s_and_not1_b32 vcc_lo, exec_lo, s12
	s_cbranch_vccnz .LBB21_75
; %bb.73:                               ;   in Loop: Header=BB21_58 Depth=1
	s_waitcnt lgkmcnt(0)
	v_dual_mov_b32 v20, v8 :: v_dual_mov_b32 v19, v7
	s_mov_b64 s[6:7], 0
	.p2align	6
.LBB21_74:                              ;   Parent Loop BB21_58 Depth=1
                                        ; =>  This Inner Loop Header: Depth=2
	global_load_b32 v26, v[19:20], off
	s_cmp_eq_u32 s6, 1
	s_cselect_b32 vcc_lo, -1, 0
	s_cmp_eq_u32 s6, 2
	v_cndmask_b32_e32 v28, v1, v2, vcc_lo
	s_cselect_b32 vcc_lo, -1, 0
	s_cmp_eq_u32 s6, 3
	s_delay_alu instid0(VALU_DEP_1)
	v_cndmask_b32_e32 v28, v28, v3, vcc_lo
	s_cselect_b32 vcc_lo, -1, 0
	s_add_u32 s6, s6, 1
	s_addc_u32 s7, s7, 0
	s_cmp_lg_u32 s19, s6
	v_cndmask_b32_e32 v28, v28, v4, vcc_lo
	v_add_co_u32 v19, vcc_lo, v19, 4
	v_add_co_ci_u32_e32 v20, vcc_lo, 0, v20, vcc_lo
	s_waitcnt vmcnt(0)
	s_delay_alu instid0(VALU_DEP_3)
	v_fmac_f32_e32 v25, v28, v26
	s_cbranch_scc1 .LBB21_74
.LBB21_75:                              ;   in Loop: Header=BB21_58 Depth=1
	s_or_b32 exec_lo, exec_lo, s25
	s_delay_alu instid0(SALU_CYCLE_1)
	s_or_b32 exec_lo, exec_lo, s24
	s_and_saveexec_b32 s6, s2
	s_cbranch_execnz .LBB21_61
	s_branch .LBB21_62
.LBB21_76:                              ;   in Loop: Header=BB21_58 Depth=1
	ds_load_b32 v19, v21
	s_or_b32 exec_lo, exec_lo, s6
	s_and_saveexec_b32 s6, s2
	s_cbranch_execz .LBB21_66
.LBB21_77:                              ;   in Loop: Header=BB21_58 Depth=1
	s_waitcnt lgkmcnt(0)
	ds_bpermute_b32 v20, v30, v19
	s_waitcnt lgkmcnt(0)
	v_add_f32_e32 v19, v19, v20
	ds_bpermute_b32 v20, v27, v19
	s_waitcnt lgkmcnt(0)
	v_add_f32_e32 v19, v19, v20
	;; [unrolled: 3-line block ×3, first 2 shown]
	s_or_b32 exec_lo, exec_lo, s6
	s_and_saveexec_b32 s6, s5
	s_cbranch_execz .LBB21_57
.LBB21_78:                              ;   in Loop: Header=BB21_58 Depth=1
	s_mul_hi_u32 s23, s15, s18
	s_mul_i32 s22, s15, s18
	s_waitcnt lgkmcnt(0)
	v_mul_f32_e32 v19, s33, v19
	s_lshl_b64 s[22:23], s[22:23], 2
	s_delay_alu instid0(SALU_CYCLE_1)
	s_add_u32 s22, s14, s22
	s_addc_u32 s23, s34, s23
	global_store_b32 v0, v19, s[22:23]
	s_branch .LBB21_57
.LBB21_79:
	s_nop 0
	s_sendmsg sendmsg(MSG_DEALLOC_VGPRS)
	s_endpgm
	.section	.rodata,"a",@progbits
	.p2align	6, 0x0
	.amdhsa_kernel _ZL23rocblas_gemvt_sn_kernelILb0ELi256ELi4ElfPKffEviiT4_lPKT3_lilS5_lilPT5_i
		.amdhsa_group_segment_fixed_size 128
		.amdhsa_private_segment_fixed_size 0
		.amdhsa_kernarg_size 360
		.amdhsa_user_sgpr_count 14
		.amdhsa_user_sgpr_dispatch_ptr 0
		.amdhsa_user_sgpr_queue_ptr 0
		.amdhsa_user_sgpr_kernarg_segment_ptr 1
		.amdhsa_user_sgpr_dispatch_id 0
		.amdhsa_user_sgpr_private_segment_size 0
		.amdhsa_wavefront_size32 1
		.amdhsa_uses_dynamic_stack 0
		.amdhsa_enable_private_segment 0
		.amdhsa_system_sgpr_workgroup_id_x 1
		.amdhsa_system_sgpr_workgroup_id_y 0
		.amdhsa_system_sgpr_workgroup_id_z 1
		.amdhsa_system_sgpr_workgroup_info 0
		.amdhsa_system_vgpr_workitem_id 0
		.amdhsa_next_free_vgpr 59
		.amdhsa_next_free_sgpr 56
		.amdhsa_reserve_vcc 1
		.amdhsa_float_round_mode_32 0
		.amdhsa_float_round_mode_16_64 0
		.amdhsa_float_denorm_mode_32 3
		.amdhsa_float_denorm_mode_16_64 3
		.amdhsa_dx10_clamp 1
		.amdhsa_ieee_mode 1
		.amdhsa_fp16_overflow 0
		.amdhsa_workgroup_processor_mode 1
		.amdhsa_memory_ordered 1
		.amdhsa_forward_progress 0
		.amdhsa_shared_vgpr_count 0
		.amdhsa_exception_fp_ieee_invalid_op 0
		.amdhsa_exception_fp_denorm_src 0
		.amdhsa_exception_fp_ieee_div_zero 0
		.amdhsa_exception_fp_ieee_overflow 0
		.amdhsa_exception_fp_ieee_underflow 0
		.amdhsa_exception_fp_ieee_inexact 0
		.amdhsa_exception_int_div_zero 0
	.end_amdhsa_kernel
	.section	.text._ZL23rocblas_gemvt_sn_kernelILb0ELi256ELi4ElfPKffEviiT4_lPKT3_lilS5_lilPT5_i,"axG",@progbits,_ZL23rocblas_gemvt_sn_kernelILb0ELi256ELi4ElfPKffEviiT4_lPKT3_lilS5_lilPT5_i,comdat
.Lfunc_end21:
	.size	_ZL23rocblas_gemvt_sn_kernelILb0ELi256ELi4ElfPKffEviiT4_lPKT3_lilS5_lilPT5_i, .Lfunc_end21-_ZL23rocblas_gemvt_sn_kernelILb0ELi256ELi4ElfPKffEviiT4_lPKT3_lilS5_lilPT5_i
                                        ; -- End function
	.section	.AMDGPU.csdata,"",@progbits
; Kernel info:
; codeLenInByte = 4204
; NumSgprs: 58
; NumVgprs: 59
; ScratchSize: 0
; MemoryBound: 0
; FloatMode: 240
; IeeeMode: 1
; LDSByteSize: 128 bytes/workgroup (compile time only)
; SGPRBlocks: 7
; VGPRBlocks: 7
; NumSGPRsForWavesPerEU: 58
; NumVGPRsForWavesPerEU: 59
; Occupancy: 16
; WaveLimiterHint : 1
; COMPUTE_PGM_RSRC2:SCRATCH_EN: 0
; COMPUTE_PGM_RSRC2:USER_SGPR: 14
; COMPUTE_PGM_RSRC2:TRAP_HANDLER: 0
; COMPUTE_PGM_RSRC2:TGID_X_EN: 1
; COMPUTE_PGM_RSRC2:TGID_Y_EN: 0
; COMPUTE_PGM_RSRC2:TGID_Z_EN: 1
; COMPUTE_PGM_RSRC2:TIDIG_COMP_CNT: 0
	.section	.text._ZL23rocblas_gemvt_sn_kernelILb0ELi256ELi4EifffEviiT4_lPKT3_lilS3_lilPT5_i,"axG",@progbits,_ZL23rocblas_gemvt_sn_kernelILb0ELi256ELi4EifffEviiT4_lPKT3_lilS3_lilPT5_i,comdat
	.globl	_ZL23rocblas_gemvt_sn_kernelILb0ELi256ELi4EifffEviiT4_lPKT3_lilS3_lilPT5_i ; -- Begin function _ZL23rocblas_gemvt_sn_kernelILb0ELi256ELi4EifffEviiT4_lPKT3_lilS3_lilPT5_i
	.p2align	8
	.type	_ZL23rocblas_gemvt_sn_kernelILb0ELi256ELi4EifffEviiT4_lPKT3_lilS3_lilPT5_i,@function
_ZL23rocblas_gemvt_sn_kernelILb0ELi256ELi4EifffEviiT4_lPKT3_lilS3_lilPT5_i: ; @_ZL23rocblas_gemvt_sn_kernelILb0ELi256ELi4EifffEviiT4_lPKT3_lilS3_lilPT5_i
; %bb.0:
	s_clause 0x2
	s_load_b128 s[16:19], s[0:1], 0x0
	s_load_b32 s10, s[0:1], 0x68
	s_load_b128 s[4:7], s[0:1], 0x50
	s_waitcnt lgkmcnt(0)
	s_ashr_i32 s8, s17, 31
	s_mul_hi_u32 s2, s17, s15
	s_mul_i32 s3, s8, s15
	s_mul_i32 s9, s17, s15
	s_add_i32 s2, s2, s3
	s_mul_hi_u32 s3, s9, s10
	s_mul_i32 s11, s2, s10
	s_mul_i32 s2, s9, s10
	s_add_i32 s3, s3, s11
	v_cmp_neq_f32_e64 s9, s18, 0
	s_lshl_b64 s[2:3], s[2:3], 2
	s_mov_b32 s11, 0
	s_add_u32 s38, s6, s2
	v_cmp_eq_u32_e64 s2, 0, v0
	s_addc_u32 s37, s7, s3
	s_and_b32 vcc_lo, exec_lo, s9
	s_cbranch_vccnz .LBB22_5
; %bb.1:
	s_cmp_gt_i32 s17, 0
	s_cselect_b32 s3, -1, 0
	s_delay_alu instid0(SALU_CYCLE_1) | instskip(NEXT) | instid1(SALU_CYCLE_1)
	s_and_b32 s2, s2, s3
	s_and_saveexec_b32 s9, s2
	s_cbranch_execz .LBB22_4
; %bb.2:
	s_mov_b32 s2, s15
	s_mov_b32 s15, 0
	v_mov_b32_e32 v1, 0
	s_lshl_b64 s[6:7], s[14:15], 2
	s_mov_b32 s15, s2
	s_add_u32 s2, s38, s6
	s_addc_u32 s3, s37, s7
	s_lshl_b64 s[6:7], s[10:11], 2
	s_mov_b32 s11, s17
.LBB22_3:                               ; =>This Inner Loop Header: Depth=1
	s_delay_alu instid0(SALU_CYCLE_1)
	s_add_i32 s11, s11, -1
	global_store_b32 v1, v1, s[2:3]
	s_add_u32 s2, s2, s6
	s_addc_u32 s3, s3, s7
	s_cmp_eq_u32 s11, 0
	s_cbranch_scc0 .LBB22_3
.LBB22_4:
	s_or_b32 exec_lo, exec_lo, s9
	s_cbranch_execz .LBB22_6
	s_branch .LBB22_79
.LBB22_5:
.LBB22_6:
	s_clause 0x2
	s_load_b128 s[24:27], s[0:1], 0x30
	s_load_b64 s[2:3], s[0:1], 0x40
	s_load_b128 s[20:23], s[0:1], 0x18
	s_mul_i32 s5, s15, s5
	s_mul_hi_u32 s6, s15, s4
	s_mul_i32 s4, s15, s4
	s_add_i32 s5, s6, s5
	s_clause 0x1
	s_load_b32 s12, s[0:1], 0x28
	s_load_b32 s33, s[0:1], 0x48
	s_lshl_b64 s[4:5], s[4:5], 2
	v_and_b32_e32 v6, 31, v0
	v_cmp_gt_u32_e64 s0, 32, v0
	v_mbcnt_lo_u32_b32 v22, -1, 0
	v_lshrrev_b32_e32 v23, 3, v0
	s_waitcnt lgkmcnt(0)
	s_add_u32 s6, s26, s4
	s_addc_u32 s5, s27, s5
	s_lshl_b64 s[2:3], s[2:3], 2
	s_mul_i32 s7, s15, s25
	s_mul_hi_u32 s9, s15, s24
	s_add_u32 s11, s6, s2
	s_mul_i32 s4, s15, s24
	s_addc_u32 s19, s5, s3
	s_add_i32 s5, s9, s7
	s_delay_alu instid0(SALU_CYCLE_1) | instskip(NEXT) | instid1(SALU_CYCLE_1)
	s_lshl_b64 s[24:25], s[4:5], 2
	s_add_u32 s1, s20, s24
	s_addc_u32 s2, s21, s25
	s_lshl_b64 s[22:23], s[22:23], 2
	s_delay_alu instid0(SALU_CYCLE_1)
	s_add_u32 s3, s1, s22
	s_addc_u32 s2, s2, s23
	s_lshl_b32 s1, s14, 10
	s_ashr_i32 s4, s16, 31
	v_lshl_or_b32 v1, v0, 2, s1
	s_lshr_b32 s4, s4, 30
	s_lshr_b32 s5, s8, 30
	s_add_i32 s4, s16, s4
	s_add_i32 s5, s17, s5
	v_ashrrev_i32_e32 v2, 31, v1
	s_and_b32 s4, s4, -4
	v_mul_lo_u32 v5, v1, s33
	s_sub_i32 s36, s16, s4
	v_cmp_gt_u32_e64 s1, 8, v0
	v_lshlrev_b64 v[7:8], 2, v[1:2]
	v_add_nc_u32_e32 v24, 4, v1
	v_add_nc_u32_e32 v25, s36, v1
	s_and_b32 s15, s5, -4
	s_delay_alu instid0(SALU_CYCLE_1) | instskip(NEXT) | instid1(VALU_DEP_3)
	s_cmp_lt_i32 s15, 1
	v_add_co_u32 v20, vcc_lo, s3, v7
	v_add_co_ci_u32_e32 v21, vcc_lo, s2, v8, vcc_lo
	s_cbranch_scc1 .LBB22_54
; %bb.7:
	v_cmp_gt_u32_e32 vcc_lo, 16, v22
	v_mul_lo_u32 v9, v1, s33
	s_cmp_gt_i32 s36, 0
	s_mov_b32 s9, 0
	s_cselect_b32 s39, -1, 0
	v_cndmask_b32_e64 v2, 0, 1, vcc_lo
	v_cmp_gt_u32_e32 vcc_lo, 24, v22
	s_lshl_b32 s40, s12, 2
	s_lshl_b32 s8, s12, 1
	s_add_u32 s6, s24, s22
	v_dual_mov_b32 v35, 0 :: v_dual_lshlrev_b32 v2, 4, v2
	v_cndmask_b32_e64 v3, 0, 1, vcc_lo
	v_cmp_gt_u32_e32 vcc_lo, 28, v22
	s_addc_u32 s7, s25, s23
	s_delay_alu instid0(VALU_DEP_3)
	v_add_lshl_u32 v26, v2, v22, 2
	s_add_u32 s6, s20, s6
	v_lshlrev_b32_e32 v2, 3, v3
	v_cndmask_b32_e64 v4, 0, 1, vcc_lo
	v_cmp_gt_u32_e32 vcc_lo, 30, v22
	s_addc_u32 s7, s21, s7
	v_cmp_ge_i32_e64 s2, s16, v24
	v_add_lshl_u32 v27, v2, v22, 2
	v_lshlrev_b32_e32 v3, 2, v4
	v_cndmask_b32_e64 v10, 0, 1, vcc_lo
	v_cmp_ne_u32_e32 vcc_lo, 31, v22
	v_cmp_ge_i32_e64 s3, s16, v25
	v_cmp_eq_u32_e64 s4, 0, v6
	v_add_lshl_u32 v28, v3, v22, 2
	v_lshlrev_b32_e32 v1, 1, v10
	v_ashrrev_i32_e32 v10, 31, v9
	v_add_co_ci_u32_e32 v4, vcc_lo, 0, v22, vcc_lo
	v_lshlrev_b32_e32 v31, 2, v6
	s_delay_alu instid0(VALU_DEP_4)
	v_add_lshl_u32 v29, v1, v22, 2
	v_add_nc_u32_e32 v1, s33, v9
	v_lshlrev_b64 v[10:11], 2, v[9:10]
	v_lshlrev_b32_e32 v30, 2, v4
	v_and_b32_e32 v32, 28, v23
	v_cmp_eq_u32_e64 s5, 0, v0
	v_add_nc_u32_e32 v3, s33, v1
	v_ashrrev_i32_e32 v2, 31, v1
	v_add_co_u32 v10, vcc_lo, s11, v10
	v_add_co_ci_u32_e32 v11, vcc_lo, s19, v11, vcc_lo
	s_delay_alu instid0(VALU_DEP_4) | instskip(NEXT) | instid1(VALU_DEP_4)
	v_add_nc_u32_e32 v14, s33, v3
	v_lshlrev_b64 v[1:2], 2, v[1:2]
	v_ashrrev_i32_e32 v4, 31, v3
	s_mov_b32 s13, s9
	s_mul_i32 s41, s12, 3
	v_ashrrev_i32_e32 v15, 31, v14
	s_mov_b32 s42, s9
	v_lshlrev_b64 v[3:4], 2, v[3:4]
	v_add_co_u32 v12, vcc_lo, s11, v1
	v_add_co_ci_u32_e32 v13, vcc_lo, s19, v2, vcc_lo
	v_lshlrev_b64 v[1:2], 2, v[14:15]
	s_delay_alu instid0(VALU_DEP_4) | instskip(SKIP_2) | instid1(VALU_DEP_3)
	v_add_co_u32 v14, vcc_lo, s11, v3
	v_add_co_ci_u32_e32 v15, vcc_lo, s19, v4, vcc_lo
	s_mov_b32 s26, s9
	v_add_co_u32 v16, vcc_lo, s11, v1
	s_delay_alu instid0(VALU_DEP_4)
	v_add_co_ci_u32_e32 v17, vcc_lo, s19, v2, vcc_lo
	v_add_co_u32 v33, vcc_lo, s6, v7
	v_add_co_ci_u32_e32 v34, vcc_lo, s7, v8, vcc_lo
	s_mov_b64 s[28:29], s[8:9]
	s_mov_b64 s[30:31], s[12:13]
	s_mov_b32 s13, 0
                                        ; implicit-def: $vgpr1_vgpr2_vgpr3_vgpr4
	s_branch .LBB22_9
.LBB22_8:                               ;   in Loop: Header=BB22_9 Depth=1
	s_or_b32 exec_lo, exec_lo, s6
	s_add_i32 s13, s13, 4
	s_add_u32 s30, s30, s40
	s_addc_u32 s31, s31, 0
	s_add_u32 s28, s28, s40
	s_addc_u32 s29, s29, 0
	s_add_u32 s41, s41, s40
	s_addc_u32 s42, s42, 0
	s_add_i32 s26, s26, s40
	s_cmp_ge_i32 s13, s15
	s_cbranch_scc1 .LBB22_55
.LBB22_9:                               ; =>This Loop Header: Depth=1
                                        ;     Child Loop BB22_40 Depth 2
                                        ;     Child Loop BB22_43 Depth 2
                                        ; implicit-def: $vgpr36
                                        ; implicit-def: $vgpr37
                                        ; implicit-def: $vgpr38
                                        ; implicit-def: $vgpr39
	s_and_saveexec_b32 s6, s2
	s_delay_alu instid0(SALU_CYCLE_1)
	s_xor_b32 s6, exec_lo, s6
	s_cbranch_execnz .LBB22_36
; %bb.10:                               ;   in Loop: Header=BB22_9 Depth=1
	s_and_not1_saveexec_b32 s43, s6
	s_cbranch_execnz .LBB22_37
.LBB22_11:                              ;   in Loop: Header=BB22_9 Depth=1
	s_or_b32 exec_lo, exec_lo, s43
	s_and_saveexec_b32 s6, s0
	s_cbranch_execz .LBB22_13
.LBB22_12:                              ;   in Loop: Header=BB22_9 Depth=1
	ds_store_b32 v31, v35
.LBB22_13:                              ;   in Loop: Header=BB22_9 Depth=1
	s_or_b32 exec_lo, exec_lo, s6
	ds_bpermute_b32 v18, v26, v39
	s_waitcnt lgkmcnt(0)
	s_waitcnt_vscnt null, 0x0
	s_barrier
	buffer_gl0_inv
	v_add_f32_e32 v18, v39, v18
	ds_bpermute_b32 v19, v27, v18
	s_waitcnt lgkmcnt(0)
	v_add_f32_e32 v18, v18, v19
	ds_bpermute_b32 v19, v28, v18
	s_waitcnt lgkmcnt(0)
	;; [unrolled: 3-line block ×3, first 2 shown]
	v_add_f32_e32 v18, v18, v19
	ds_bpermute_b32 v19, v30, v18
	s_and_saveexec_b32 s6, s4
	s_cbranch_execz .LBB22_15
; %bb.14:                               ;   in Loop: Header=BB22_9 Depth=1
	s_waitcnt lgkmcnt(0)
	v_add_f32_e32 v18, v18, v19
	ds_store_b32 v32, v18
.LBB22_15:                              ;   in Loop: Header=BB22_9 Depth=1
	s_or_b32 exec_lo, exec_lo, s6
	v_mov_b32_e32 v18, 0
	s_waitcnt lgkmcnt(0)
	s_barrier
	buffer_gl0_inv
	s_and_saveexec_b32 s6, s1
	s_cbranch_execnz .LBB22_45
; %bb.16:                               ;   in Loop: Header=BB22_9 Depth=1
	s_or_b32 exec_lo, exec_lo, s6
	s_and_saveexec_b32 s6, s0
	s_cbranch_execnz .LBB22_46
.LBB22_17:                              ;   in Loop: Header=BB22_9 Depth=1
	s_or_b32 exec_lo, exec_lo, s6
	s_and_saveexec_b32 s6, s0
	s_cbranch_execz .LBB22_19
.LBB22_18:                              ;   in Loop: Header=BB22_9 Depth=1
	ds_store_b32 v31, v35
.LBB22_19:                              ;   in Loop: Header=BB22_9 Depth=1
	s_or_b32 exec_lo, exec_lo, s6
	ds_bpermute_b32 v19, v26, v38
	s_waitcnt lgkmcnt(0)
	s_barrier
	buffer_gl0_inv
	v_add_f32_e32 v19, v38, v19
	ds_bpermute_b32 v38, v27, v19
	s_waitcnt lgkmcnt(0)
	v_add_f32_e32 v19, v19, v38
	ds_bpermute_b32 v38, v28, v19
	s_waitcnt lgkmcnt(0)
	;; [unrolled: 3-line block ×3, first 2 shown]
	v_add_f32_e32 v19, v19, v38
	ds_bpermute_b32 v38, v30, v19
	s_and_saveexec_b32 s6, s4
	s_cbranch_execz .LBB22_21
; %bb.20:                               ;   in Loop: Header=BB22_9 Depth=1
	s_waitcnt lgkmcnt(0)
	v_add_f32_e32 v19, v19, v38
	ds_store_b32 v32, v19
.LBB22_21:                              ;   in Loop: Header=BB22_9 Depth=1
	s_or_b32 exec_lo, exec_lo, s6
	v_mov_b32_e32 v19, 0
	s_waitcnt lgkmcnt(0)
	s_barrier
	buffer_gl0_inv
	s_and_saveexec_b32 s6, s1
	s_cbranch_execnz .LBB22_47
; %bb.22:                               ;   in Loop: Header=BB22_9 Depth=1
	s_or_b32 exec_lo, exec_lo, s6
	s_and_saveexec_b32 s6, s0
	s_cbranch_execnz .LBB22_48
.LBB22_23:                              ;   in Loop: Header=BB22_9 Depth=1
	s_or_b32 exec_lo, exec_lo, s6
	s_and_saveexec_b32 s6, s0
	s_cbranch_execz .LBB22_25
.LBB22_24:                              ;   in Loop: Header=BB22_9 Depth=1
	ds_store_b32 v31, v35
.LBB22_25:                              ;   in Loop: Header=BB22_9 Depth=1
	s_or_b32 exec_lo, exec_lo, s6
	ds_bpermute_b32 v38, v26, v37
	s_waitcnt lgkmcnt(0)
	s_barrier
	buffer_gl0_inv
	v_add_f32_e32 v37, v37, v38
	ds_bpermute_b32 v38, v27, v37
	s_waitcnt lgkmcnt(0)
	v_add_f32_e32 v37, v37, v38
	ds_bpermute_b32 v38, v28, v37
	s_waitcnt lgkmcnt(0)
	;; [unrolled: 3-line block ×3, first 2 shown]
	v_add_f32_e32 v37, v37, v38
	ds_bpermute_b32 v38, v30, v37
	s_and_saveexec_b32 s6, s4
	s_cbranch_execz .LBB22_27
; %bb.26:                               ;   in Loop: Header=BB22_9 Depth=1
	s_waitcnt lgkmcnt(0)
	v_add_f32_e32 v37, v37, v38
	ds_store_b32 v32, v37
.LBB22_27:                              ;   in Loop: Header=BB22_9 Depth=1
	s_or_b32 exec_lo, exec_lo, s6
	v_mov_b32_e32 v37, 0
	s_waitcnt lgkmcnt(0)
	s_barrier
	buffer_gl0_inv
	s_and_saveexec_b32 s6, s1
	s_cbranch_execnz .LBB22_49
; %bb.28:                               ;   in Loop: Header=BB22_9 Depth=1
	s_or_b32 exec_lo, exec_lo, s6
	s_and_saveexec_b32 s6, s0
	s_cbranch_execnz .LBB22_50
.LBB22_29:                              ;   in Loop: Header=BB22_9 Depth=1
	s_or_b32 exec_lo, exec_lo, s6
	s_and_saveexec_b32 s6, s0
	s_cbranch_execz .LBB22_31
.LBB22_30:                              ;   in Loop: Header=BB22_9 Depth=1
	ds_store_b32 v31, v35
.LBB22_31:                              ;   in Loop: Header=BB22_9 Depth=1
	s_or_b32 exec_lo, exec_lo, s6
	ds_bpermute_b32 v38, v26, v36
	s_waitcnt lgkmcnt(0)
	s_barrier
	buffer_gl0_inv
	v_add_f32_e32 v36, v36, v38
	ds_bpermute_b32 v38, v27, v36
	s_waitcnt lgkmcnt(0)
	v_add_f32_e32 v36, v36, v38
	ds_bpermute_b32 v38, v28, v36
	s_waitcnt lgkmcnt(0)
	;; [unrolled: 3-line block ×3, first 2 shown]
	v_add_f32_e32 v36, v36, v38
	ds_bpermute_b32 v38, v30, v36
	s_and_saveexec_b32 s6, s4
	s_cbranch_execz .LBB22_33
; %bb.32:                               ;   in Loop: Header=BB22_9 Depth=1
	s_waitcnt lgkmcnt(0)
	v_add_f32_e32 v36, v36, v38
	ds_store_b32 v32, v36
.LBB22_33:                              ;   in Loop: Header=BB22_9 Depth=1
	s_or_b32 exec_lo, exec_lo, s6
	v_mov_b32_e32 v36, 0
	s_waitcnt lgkmcnt(0)
	s_barrier
	buffer_gl0_inv
	s_and_saveexec_b32 s6, s1
	s_cbranch_execnz .LBB22_51
; %bb.34:                               ;   in Loop: Header=BB22_9 Depth=1
	s_or_b32 exec_lo, exec_lo, s6
	s_and_saveexec_b32 s6, s0
	s_cbranch_execnz .LBB22_52
.LBB22_35:                              ;   in Loop: Header=BB22_9 Depth=1
	s_or_b32 exec_lo, exec_lo, s6
	s_and_saveexec_b32 s6, s5
	s_cbranch_execz .LBB22_8
	s_branch .LBB22_53
.LBB22_36:                              ;   in Loop: Header=BB22_9 Depth=1
	s_mul_i32 s34, s13, s12
	s_delay_alu instid0(SALU_CYCLE_1)
	s_ashr_i32 s35, s34, 31
	s_add_i32 s44, s34, s12
	s_lshl_b64 s[34:35], s[34:35], 2
	s_ashr_i32 s45, s44, 31
	v_add_co_u32 v2, vcc_lo, v20, s34
	v_add_co_ci_u32_e32 v3, vcc_lo, s35, v21, vcc_lo
	s_lshl_b64 s[34:35], s[44:45], 2
	s_add_i32 s44, s44, s12
	v_add_co_u32 v18, vcc_lo, v20, s34
	s_ashr_i32 s45, s44, 31
	s_add_i32 s34, s44, s12
	s_lshl_b64 s[44:45], s[44:45], 2
	v_add_co_ci_u32_e32 v19, vcc_lo, s35, v21, vcc_lo
	s_ashr_i32 s35, s34, 31
	s_waitcnt lgkmcnt(0)
	v_add_co_u32 v36, vcc_lo, v20, s44
	s_lshl_b64 s[34:35], s[34:35], 2
	v_add_co_ci_u32_e32 v37, vcc_lo, s45, v21, vcc_lo
	v_add_co_u32 v51, vcc_lo, v20, s34
	v_add_co_ci_u32_e32 v52, vcc_lo, s35, v21, vcc_lo
	global_load_b32 v1, v[10:11], off
	s_clause 0x3
	global_load_b128 v[39:42], v[2:3], off
	global_load_b128 v[43:46], v[18:19], off
	;; [unrolled: 1-line block ×4, first 2 shown]
	s_clause 0x2
	global_load_b32 v2, v[12:13], off
	global_load_b32 v3, v[14:15], off
	global_load_b32 v4, v[16:17], off
	s_waitcnt vmcnt(6)
	v_fma_f32 v39, v1, v39, 0
	s_waitcnt vmcnt(5)
	v_fma_f32 v38, v1, v43, 0
	s_waitcnt vmcnt(4)
	v_fma_f32 v37, v1, v47, 0
	s_waitcnt vmcnt(3)
	v_fma_f32 v36, v1, v51, 0
	s_waitcnt vmcnt(2)
	v_fmac_f32_e32 v38, v2, v44
	v_fmac_f32_e32 v39, v2, v40
	s_delay_alu instid0(VALU_DEP_3) | instskip(SKIP_1) | instid1(VALU_DEP_3)
	v_fmac_f32_e32 v36, v2, v52
	s_waitcnt vmcnt(1)
	v_dual_fmac_f32 v37, v2, v48 :: v_dual_fmac_f32 v38, v3, v45
	s_delay_alu instid0(VALU_DEP_3) | instskip(NEXT) | instid1(VALU_DEP_3)
	v_fmac_f32_e32 v39, v3, v41
	v_fmac_f32_e32 v36, v3, v53
	s_waitcnt vmcnt(0)
	s_delay_alu instid0(VALU_DEP_3) | instskip(NEXT) | instid1(VALU_DEP_3)
	v_dual_fmac_f32 v37, v3, v49 :: v_dual_fmac_f32 v38, v4, v46
	v_fmac_f32_e32 v39, v4, v42
	s_delay_alu instid0(VALU_DEP_3) | instskip(NEXT) | instid1(VALU_DEP_3)
	v_fmac_f32_e32 v36, v4, v54
	v_fmac_f32_e32 v37, v4, v50
	s_and_not1_saveexec_b32 s43, s6
	s_cbranch_execz .LBB22_11
.LBB22_37:                              ;   in Loop: Header=BB22_9 Depth=1
	s_waitcnt lgkmcnt(0)
	v_dual_mov_b32 v36, 0 :: v_dual_mov_b32 v37, 0
	v_dual_mov_b32 v38, 0 :: v_dual_mov_b32 v39, 0
	s_and_saveexec_b32 s44, s3
	s_cbranch_execz .LBB22_44
; %bb.38:                               ;   in Loop: Header=BB22_9 Depth=1
	s_and_not1_b32 vcc_lo, exec_lo, s39
	s_cbranch_vccnz .LBB22_41
; %bb.39:                               ;   in Loop: Header=BB22_9 Depth=1
	v_mov_b32_e32 v18, v9
	s_mov_b64 s[34:35], 0
	.p2align	6
.LBB22_40:                              ;   Parent Loop BB22_9 Depth=1
                                        ; =>  This Inner Loop Header: Depth=2
	s_delay_alu instid0(VALU_DEP_1) | instskip(SKIP_1) | instid1(VALU_DEP_1)
	v_ashrrev_i32_e32 v19, 31, v18
	s_cmp_eq_u32 s34, 3
	v_lshlrev_b64 v[36:37], 2, v[18:19]
	v_add_nc_u32_e32 v18, s33, v18
	s_delay_alu instid0(VALU_DEP_2) | instskip(NEXT) | instid1(VALU_DEP_3)
	v_add_co_u32 v36, vcc_lo, s11, v36
	v_add_co_ci_u32_e32 v37, vcc_lo, s19, v37, vcc_lo
	s_cselect_b32 vcc_lo, -1, 0
	s_cmp_eq_u32 s34, 2
	s_cselect_b32 s6, -1, 0
	global_load_b32 v19, v[36:37], off
	s_cmp_eq_u32 s34, 1
	s_cselect_b32 s7, -1, 0
	s_cmp_eq_u32 s34, 0
	s_cselect_b32 s8, -1, 0
	s_add_u32 s34, s34, 1
	s_addc_u32 s35, s35, 0
	s_cmp_eq_u32 s36, s34
	s_waitcnt vmcnt(0)
	v_cndmask_b32_e32 v4, v4, v19, vcc_lo
	v_cndmask_b32_e64 v3, v3, v19, s6
	v_cndmask_b32_e64 v2, v2, v19, s7
	;; [unrolled: 1-line block ×3, first 2 shown]
	s_cbranch_scc0 .LBB22_40
.LBB22_41:                              ;   in Loop: Header=BB22_9 Depth=1
	v_dual_mov_b32 v36, 0 :: v_dual_mov_b32 v37, 0
	v_dual_mov_b32 v38, 0 :: v_dual_mov_b32 v39, 0
	s_and_not1_b32 vcc_lo, exec_lo, s39
	s_cbranch_vccnz .LBB22_44
; %bb.42:                               ;   in Loop: Header=BB22_9 Depth=1
	s_ashr_i32 s27, s26, 31
	v_dual_mov_b32 v39, 0 :: v_dual_mov_b32 v38, 0
	s_lshl_b64 s[6:7], s[26:27], 2
	v_dual_mov_b32 v37, 0 :: v_dual_mov_b32 v36, 0
	v_add_co_u32 v18, vcc_lo, v33, s6
	v_add_co_ci_u32_e32 v19, vcc_lo, s7, v34, vcc_lo
	s_mov_b64 s[34:35], 0
.LBB22_43:                              ;   Parent Loop BB22_9 Depth=1
                                        ; =>  This Inner Loop Header: Depth=2
	s_delay_alu instid0(SALU_CYCLE_1)
	s_cmp_eq_u32 s34, 1
	s_cselect_b32 vcc_lo, -1, 0
	s_cmp_eq_u32 s34, 2
	v_cndmask_b32_e32 v40, v1, v2, vcc_lo
	s_cselect_b32 vcc_lo, -1, 0
	s_cmp_eq_u32 s34, 3
	s_delay_alu instid0(VALU_DEP_1)
	v_cndmask_b32_e32 v46, v40, v3, vcc_lo
	s_cselect_b32 vcc_lo, -1, 0
	s_add_i32 s6, s30, s34
	s_add_i32 s46, s28, s34
	s_ashr_i32 s7, s6, 31
	s_ashr_i32 s47, s46, 31
	s_lshl_b64 s[6:7], s[6:7], 2
	s_add_i32 s48, s41, s34
	v_add_co_u32 v40, s6, v20, s6
	s_lshl_b64 s[46:47], s[46:47], 2
	s_ashr_i32 s49, s48, 31
	v_add_co_ci_u32_e64 v41, s6, s7, v21, s6
	v_add_co_u32 v42, s6, v20, s46
	s_lshl_b64 s[48:49], s[48:49], 2
	v_add_co_ci_u32_e64 v43, s6, s47, v21, s6
	v_add_co_u32 v44, s6, v20, s48
	s_delay_alu instid0(VALU_DEP_1)
	v_add_co_ci_u32_e64 v45, s6, s49, v21, s6
	global_load_b32 v47, v[18:19], off
	s_clause 0x2
	global_load_b32 v40, v[40:41], off
	global_load_b32 v41, v[42:43], off
	;; [unrolled: 1-line block ×3, first 2 shown]
	v_cndmask_b32_e32 v43, v46, v4, vcc_lo
	v_add_co_u32 v18, s6, v18, 4
	s_delay_alu instid0(VALU_DEP_1)
	v_add_co_ci_u32_e64 v19, s6, 0, v19, s6
	s_add_u32 s34, s34, 1
	s_addc_u32 s35, s35, 0
	s_cmp_lg_u32 s36, s34
	s_waitcnt vmcnt(3)
	v_fmac_f32_e32 v39, v43, v47
	s_waitcnt vmcnt(2)
	v_fmac_f32_e32 v38, v43, v40
	;; [unrolled: 2-line block ×4, first 2 shown]
	s_cbranch_scc1 .LBB22_43
.LBB22_44:                              ;   in Loop: Header=BB22_9 Depth=1
	s_or_b32 exec_lo, exec_lo, s44
	s_delay_alu instid0(SALU_CYCLE_1)
	s_or_b32 exec_lo, exec_lo, s43
	s_and_saveexec_b32 s6, s0
	s_cbranch_execnz .LBB22_12
	s_branch .LBB22_13
.LBB22_45:                              ;   in Loop: Header=BB22_9 Depth=1
	ds_load_b32 v18, v31
	s_or_b32 exec_lo, exec_lo, s6
	s_and_saveexec_b32 s6, s0
	s_cbranch_execz .LBB22_17
.LBB22_46:                              ;   in Loop: Header=BB22_9 Depth=1
	s_waitcnt lgkmcnt(0)
	ds_bpermute_b32 v19, v28, v18
	s_waitcnt lgkmcnt(0)
	v_add_f32_e32 v18, v18, v19
	ds_bpermute_b32 v19, v29, v18
	s_waitcnt lgkmcnt(0)
	v_add_f32_e32 v18, v18, v19
	;; [unrolled: 3-line block ×3, first 2 shown]
	s_or_b32 exec_lo, exec_lo, s6
	s_and_saveexec_b32 s6, s0
	s_cbranch_execnz .LBB22_18
	s_branch .LBB22_19
.LBB22_47:                              ;   in Loop: Header=BB22_9 Depth=1
	ds_load_b32 v19, v31
	s_or_b32 exec_lo, exec_lo, s6
	s_and_saveexec_b32 s6, s0
	s_cbranch_execz .LBB22_23
.LBB22_48:                              ;   in Loop: Header=BB22_9 Depth=1
	s_waitcnt lgkmcnt(0)
	ds_bpermute_b32 v38, v28, v19
	s_waitcnt lgkmcnt(0)
	v_add_f32_e32 v19, v19, v38
	ds_bpermute_b32 v38, v29, v19
	s_waitcnt lgkmcnt(0)
	v_add_f32_e32 v19, v19, v38
	;; [unrolled: 3-line block ×3, first 2 shown]
	s_or_b32 exec_lo, exec_lo, s6
	s_and_saveexec_b32 s6, s0
	s_cbranch_execnz .LBB22_24
	s_branch .LBB22_25
.LBB22_49:                              ;   in Loop: Header=BB22_9 Depth=1
	ds_load_b32 v37, v31
	s_or_b32 exec_lo, exec_lo, s6
	s_and_saveexec_b32 s6, s0
	s_cbranch_execz .LBB22_29
.LBB22_50:                              ;   in Loop: Header=BB22_9 Depth=1
	s_waitcnt lgkmcnt(0)
	ds_bpermute_b32 v38, v28, v37
	s_waitcnt lgkmcnt(0)
	v_add_f32_e32 v37, v37, v38
	ds_bpermute_b32 v38, v29, v37
	s_waitcnt lgkmcnt(0)
	v_add_f32_e32 v37, v37, v38
	;; [unrolled: 3-line block ×3, first 2 shown]
	s_or_b32 exec_lo, exec_lo, s6
	s_and_saveexec_b32 s6, s0
	s_cbranch_execnz .LBB22_30
	s_branch .LBB22_31
.LBB22_51:                              ;   in Loop: Header=BB22_9 Depth=1
	ds_load_b32 v36, v31
	s_or_b32 exec_lo, exec_lo, s6
	s_and_saveexec_b32 s6, s0
	s_cbranch_execz .LBB22_35
.LBB22_52:                              ;   in Loop: Header=BB22_9 Depth=1
	s_waitcnt lgkmcnt(0)
	ds_bpermute_b32 v38, v28, v36
	s_waitcnt lgkmcnt(0)
	v_add_f32_e32 v36, v36, v38
	ds_bpermute_b32 v38, v29, v36
	s_waitcnt lgkmcnt(0)
	v_add_f32_e32 v36, v36, v38
	ds_bpermute_b32 v38, v30, v36
	s_waitcnt lgkmcnt(0)
	v_add_f32_e32 v36, v36, v38
	s_or_b32 exec_lo, exec_lo, s6
	s_and_saveexec_b32 s6, s5
	s_cbranch_execz .LBB22_8
.LBB22_53:                              ;   in Loop: Header=BB22_9 Depth=1
	s_mul_i32 s7, s13, s10
	v_dual_mul_f32 v18, s18, v18 :: v_dual_mul_f32 v19, s18, v19
	s_add_i32 s8, s7, s14
	v_mul_f32_e32 v37, s18, v37
	s_lshl_b64 s[34:35], s[8:9], 2
	s_delay_alu instid0(SALU_CYCLE_1)
	s_add_u32 s34, s38, s34
	s_addc_u32 s35, s37, s35
	s_add_i32 s8, s8, s10
	global_store_b32 v35, v18, s[34:35]
	s_waitcnt lgkmcnt(0)
	v_mul_f32_e32 v18, s18, v36
	s_lshl_b64 s[44:45], s[8:9], 2
	s_delay_alu instid0(SALU_CYCLE_1) | instskip(SKIP_4) | instid1(SALU_CYCLE_1)
	s_add_u32 s44, s38, s44
	s_addc_u32 s45, s37, s45
	s_add_i32 s8, s8, s10
	global_store_b32 v35, v19, s[44:45]
	s_lshl_b64 s[46:47], s[8:9], 2
	s_add_u32 s34, s38, s46
	s_addc_u32 s35, s37, s47
	s_add_i32 s8, s8, s10
	s_delay_alu instid0(SALU_CYCLE_1) | instskip(NEXT) | instid1(SALU_CYCLE_1)
	s_lshl_b64 s[46:47], s[8:9], 2
	s_add_u32 s44, s38, s46
	s_addc_u32 s45, s37, s47
	s_clause 0x1
	global_store_b32 v35, v37, s[34:35]
	global_store_b32 v35, v18, s[44:45]
	s_branch .LBB22_8
.LBB22_54:
	s_mov_b32 s13, 0
                                        ; implicit-def: $vgpr1_vgpr2_vgpr3_vgpr4
.LBB22_55:
	s_delay_alu instid0(SALU_CYCLE_1)
	s_cmp_ge_i32 s13, s17
	s_cbranch_scc1 .LBB22_79
; %bb.56:
	v_cmp_gt_u32_e32 vcc_lo, 16, v22
	v_lshlrev_b32_e32 v17, 2, v6
	v_cmp_eq_u32_e64 s3, 0, v6
	v_ashrrev_i32_e32 v6, 31, v5
	v_cmp_ge_i32_e64 s0, s16, v24
	v_cndmask_b32_e64 v9, 0, 1, vcc_lo
	v_cmp_gt_u32_e32 vcc_lo, 24, v22
	v_cmp_ge_i32_e64 s1, s16, v25
	s_cmp_gt_i32 s36, 0
	s_mov_b32 s15, 0
	v_lshlrev_b32_e32 v9, 4, v9
	v_cndmask_b32_e64 v10, 0, 1, vcc_lo
	v_cmp_gt_u32_e32 vcc_lo, 28, v22
	s_cselect_b32 s9, -1, 0
	s_lshl_b64 s[6:7], s[14:15], 2
	v_add_lshl_u32 v18, v9, v22, 2
	v_add_nc_u32_e32 v9, s33, v5
	v_cndmask_b32_e64 v11, 0, 1, vcc_lo
	v_cmp_gt_u32_e32 vcc_lo, 30, v22
	v_lshlrev_b32_e32 v10, 3, v10
	s_add_u32 s14, s38, s6
	s_addc_u32 s16, s37, s7
	v_lshlrev_b32_e32 v11, 2, v11
	v_cndmask_b32_e64 v12, 0, 1, vcc_lo
	v_cmp_ne_u32_e32 vcc_lo, 31, v22
	v_add_lshl_u32 v19, v10, v22, 2
	v_ashrrev_i32_e32 v10, 31, v9
	v_add_lshl_u32 v24, v11, v22, 2
	v_add_nc_u32_e32 v11, s33, v9
	v_add_co_ci_u32_e32 v13, vcc_lo, 0, v22, vcc_lo
	v_lshlrev_b32_e32 v12, 1, v12
	v_lshlrev_b64 v[15:16], 2, v[9:10]
	s_delay_alu instid0(VALU_DEP_4) | instskip(NEXT) | instid1(VALU_DEP_4)
	v_add_nc_u32_e32 v26, s33, v11
	v_lshlrev_b32_e32 v25, 2, v13
	v_lshlrev_b64 v[13:14], 2, v[5:6]
	v_add_lshl_u32 v22, v12, v22, 2
	v_ashrrev_i32_e32 v12, 31, v11
	v_ashrrev_i32_e32 v27, 31, v26
	s_add_u32 s6, s24, s22
	s_addc_u32 s7, s25, s23
	v_add_co_u32 v9, vcc_lo, s11, v13
	v_add_co_ci_u32_e32 v10, vcc_lo, s19, v14, vcc_lo
	v_lshlrev_b64 v[13:14], 2, v[11:12]
	v_add_co_u32 v11, vcc_lo, s11, v15
	v_add_co_ci_u32_e32 v12, vcc_lo, s19, v16, vcc_lo
	v_lshlrev_b64 v[15:16], 2, v[26:27]
	v_mov_b32_e32 v26, 0
	v_add_co_u32 v13, vcc_lo, s11, v13
	v_add_co_ci_u32_e32 v14, vcc_lo, s19, v14, vcc_lo
	s_delay_alu instid0(VALU_DEP_4)
	v_add_co_u32 v15, vcc_lo, s11, v15
	s_add_u32 s6, s20, s6
	v_add_co_ci_u32_e32 v16, vcc_lo, s19, v16, vcc_lo
	v_cmp_gt_u32_e64 s2, 32, v0
	v_cmp_gt_u32_e64 s4, 8, v0
	v_cmp_eq_u32_e64 s5, 0, v0
	s_addc_u32 s7, s21, s7
	v_add_co_u32 v0, vcc_lo, s6, v7
	v_and_b32_e32 v23, 28, v23
	v_add_co_ci_u32_e32 v8, vcc_lo, s7, v8, vcc_lo
	s_mul_i32 s20, s13, s12
	s_branch .LBB22_58
.LBB22_57:                              ;   in Loop: Header=BB22_58 Depth=1
	s_or_b32 exec_lo, exec_lo, s6
	s_add_i32 s13, s13, 1
	s_add_i32 s20, s20, s12
	s_cmp_ge_i32 s13, s17
	s_cbranch_scc1 .LBB22_79
.LBB22_58:                              ; =>This Loop Header: Depth=1
                                        ;     Child Loop BB22_71 Depth 2
                                        ;     Child Loop BB22_74 Depth 2
	v_mov_b32_e32 v27, s15
	s_and_saveexec_b32 s6, s0
	s_delay_alu instid0(SALU_CYCLE_1)
	s_xor_b32 s6, exec_lo, s6
	s_cbranch_execnz .LBB22_67
; %bb.59:                               ;   in Loop: Header=BB22_58 Depth=1
	s_and_not1_saveexec_b32 s24, s6
	s_cbranch_execnz .LBB22_68
.LBB22_60:                              ;   in Loop: Header=BB22_58 Depth=1
	s_or_b32 exec_lo, exec_lo, s24
	s_and_saveexec_b32 s6, s2
	s_cbranch_execz .LBB22_62
.LBB22_61:                              ;   in Loop: Header=BB22_58 Depth=1
	ds_store_b32 v17, v26
.LBB22_62:                              ;   in Loop: Header=BB22_58 Depth=1
	s_or_b32 exec_lo, exec_lo, s6
	s_waitcnt lgkmcnt(0)
	ds_bpermute_b32 v6, v18, v27
	s_waitcnt lgkmcnt(0)
	s_waitcnt_vscnt null, 0x0
	s_barrier
	buffer_gl0_inv
	v_add_f32_e32 v6, v27, v6
	ds_bpermute_b32 v7, v19, v6
	s_waitcnt lgkmcnt(0)
	v_add_f32_e32 v6, v6, v7
	ds_bpermute_b32 v7, v24, v6
	s_waitcnt lgkmcnt(0)
	;; [unrolled: 3-line block ×3, first 2 shown]
	v_add_f32_e32 v6, v6, v7
	ds_bpermute_b32 v7, v25, v6
	s_and_saveexec_b32 s6, s3
	s_cbranch_execz .LBB22_64
; %bb.63:                               ;   in Loop: Header=BB22_58 Depth=1
	s_waitcnt lgkmcnt(0)
	v_add_f32_e32 v6, v6, v7
	ds_store_b32 v23, v6
.LBB22_64:                              ;   in Loop: Header=BB22_58 Depth=1
	s_or_b32 exec_lo, exec_lo, s6
	v_mov_b32_e32 v6, 0
	s_waitcnt lgkmcnt(0)
	s_barrier
	buffer_gl0_inv
	s_and_saveexec_b32 s6, s4
	s_cbranch_execnz .LBB22_76
; %bb.65:                               ;   in Loop: Header=BB22_58 Depth=1
	s_or_b32 exec_lo, exec_lo, s6
	s_and_saveexec_b32 s6, s2
	s_cbranch_execnz .LBB22_77
.LBB22_66:                              ;   in Loop: Header=BB22_58 Depth=1
	s_or_b32 exec_lo, exec_lo, s6
	s_and_saveexec_b32 s6, s5
	s_cbranch_execz .LBB22_57
	s_branch .LBB22_78
.LBB22_67:                              ;   in Loop: Header=BB22_58 Depth=1
	s_mul_i32 s22, s13, s12
	s_delay_alu instid0(SALU_CYCLE_1) | instskip(NEXT) | instid1(SALU_CYCLE_1)
	s_ashr_i32 s23, s22, 31
	s_lshl_b64 s[22:23], s[22:23], 2
	s_delay_alu instid0(SALU_CYCLE_1)
	v_add_co_u32 v1, vcc_lo, v20, s22
	v_add_co_ci_u32_e32 v2, vcc_lo, s23, v21, vcc_lo
	global_load_b128 v[27:30], v[1:2], off
	s_clause 0x3
	global_load_b32 v1, v[9:10], off
	global_load_b32 v2, v[11:12], off
	;; [unrolled: 1-line block ×4, first 2 shown]
	s_waitcnt vmcnt(3)
	v_fma_f32 v27, v1, v27, 0
	s_waitcnt vmcnt(2)
	s_delay_alu instid0(VALU_DEP_1) | instskip(SKIP_1) | instid1(VALU_DEP_1)
	v_fmac_f32_e32 v27, v2, v28
	s_waitcnt vmcnt(1)
	v_fmac_f32_e32 v27, v3, v29
	s_waitcnt vmcnt(0)
	s_delay_alu instid0(VALU_DEP_1)
	v_fmac_f32_e32 v27, v4, v30
	s_and_not1_saveexec_b32 s24, s6
	s_cbranch_execz .LBB22_60
.LBB22_68:                              ;   in Loop: Header=BB22_58 Depth=1
	s_and_saveexec_b32 s25, s1
	s_cbranch_execz .LBB22_75
; %bb.69:                               ;   in Loop: Header=BB22_58 Depth=1
	s_and_not1_b32 vcc_lo, exec_lo, s9
	s_cbranch_vccnz .LBB22_72
; %bb.70:                               ;   in Loop: Header=BB22_58 Depth=1
	s_waitcnt lgkmcnt(0)
	v_mov_b32_e32 v6, v5
	s_mov_b64 s[22:23], 0
	.p2align	6
.LBB22_71:                              ;   Parent Loop BB22_58 Depth=1
                                        ; =>  This Inner Loop Header: Depth=2
	s_delay_alu instid0(VALU_DEP_1) | instskip(SKIP_1) | instid1(VALU_DEP_1)
	v_ashrrev_i32_e32 v7, 31, v6
	s_cmp_eq_u32 s22, 3
	v_lshlrev_b64 v[28:29], 2, v[6:7]
	v_add_nc_u32_e32 v6, s33, v6
	s_delay_alu instid0(VALU_DEP_2) | instskip(NEXT) | instid1(VALU_DEP_3)
	v_add_co_u32 v28, vcc_lo, s11, v28
	v_add_co_ci_u32_e32 v29, vcc_lo, s19, v29, vcc_lo
	s_cselect_b32 vcc_lo, -1, 0
	s_cmp_eq_u32 s22, 2
	s_cselect_b32 s6, -1, 0
	global_load_b32 v7, v[28:29], off
	s_cmp_eq_u32 s22, 1
	s_cselect_b32 s7, -1, 0
	s_cmp_eq_u32 s22, 0
	s_cselect_b32 s8, -1, 0
	s_add_u32 s22, s22, 1
	s_addc_u32 s23, s23, 0
	s_cmp_eq_u32 s36, s22
	s_waitcnt vmcnt(0)
	v_cndmask_b32_e32 v4, v4, v7, vcc_lo
	v_cndmask_b32_e64 v3, v3, v7, s6
	v_cndmask_b32_e64 v2, v2, v7, s7
	;; [unrolled: 1-line block ×3, first 2 shown]
	s_cbranch_scc0 .LBB22_71
.LBB22_72:                              ;   in Loop: Header=BB22_58 Depth=1
	s_and_not1_b32 vcc_lo, exec_lo, s9
	s_cbranch_vccnz .LBB22_75
; %bb.73:                               ;   in Loop: Header=BB22_58 Depth=1
	s_ashr_i32 s21, s20, 31
	s_delay_alu instid0(SALU_CYCLE_1)
	s_lshl_b64 s[6:7], s[20:21], 2
	s_waitcnt lgkmcnt(0)
	v_add_co_u32 v6, vcc_lo, v0, s6
	v_add_co_ci_u32_e32 v7, vcc_lo, s7, v8, vcc_lo
	s_mov_b64 s[6:7], 0
	.p2align	6
.LBB22_74:                              ;   Parent Loop BB22_58 Depth=1
                                        ; =>  This Inner Loop Header: Depth=2
	global_load_b32 v28, v[6:7], off
	s_cmp_eq_u32 s6, 1
	s_cselect_b32 vcc_lo, -1, 0
	s_cmp_eq_u32 s6, 2
	v_cndmask_b32_e32 v29, v1, v2, vcc_lo
	s_cselect_b32 vcc_lo, -1, 0
	s_cmp_eq_u32 s6, 3
	s_delay_alu instid0(VALU_DEP_1)
	v_cndmask_b32_e32 v29, v29, v3, vcc_lo
	s_cselect_b32 vcc_lo, -1, 0
	s_add_u32 s6, s6, 1
	s_addc_u32 s7, s7, 0
	s_cmp_lg_u32 s36, s6
	v_cndmask_b32_e32 v29, v29, v4, vcc_lo
	v_add_co_u32 v6, vcc_lo, v6, 4
	v_add_co_ci_u32_e32 v7, vcc_lo, 0, v7, vcc_lo
	s_waitcnt vmcnt(0)
	s_delay_alu instid0(VALU_DEP_3)
	v_fmac_f32_e32 v27, v29, v28
	s_cbranch_scc1 .LBB22_74
.LBB22_75:                              ;   in Loop: Header=BB22_58 Depth=1
	s_or_b32 exec_lo, exec_lo, s25
	s_delay_alu instid0(SALU_CYCLE_1)
	s_or_b32 exec_lo, exec_lo, s24
	s_and_saveexec_b32 s6, s2
	s_cbranch_execnz .LBB22_61
	s_branch .LBB22_62
.LBB22_76:                              ;   in Loop: Header=BB22_58 Depth=1
	ds_load_b32 v6, v17
	s_or_b32 exec_lo, exec_lo, s6
	s_and_saveexec_b32 s6, s2
	s_cbranch_execz .LBB22_66
.LBB22_77:                              ;   in Loop: Header=BB22_58 Depth=1
	s_waitcnt lgkmcnt(0)
	ds_bpermute_b32 v7, v24, v6
	s_waitcnt lgkmcnt(0)
	v_add_f32_e32 v6, v6, v7
	ds_bpermute_b32 v7, v22, v6
	s_waitcnt lgkmcnt(0)
	v_add_f32_e32 v6, v6, v7
	;; [unrolled: 3-line block ×3, first 2 shown]
	s_or_b32 exec_lo, exec_lo, s6
	s_and_saveexec_b32 s6, s5
	s_cbranch_execz .LBB22_57
.LBB22_78:                              ;   in Loop: Header=BB22_58 Depth=1
	s_mul_hi_u32 s23, s13, s10
	s_mul_i32 s22, s13, s10
	s_waitcnt lgkmcnt(0)
	v_mul_f32_e32 v6, s18, v6
	s_lshl_b64 s[22:23], s[22:23], 2
	s_delay_alu instid0(SALU_CYCLE_1)
	s_add_u32 s22, s14, s22
	s_addc_u32 s23, s16, s23
	global_store_b32 v26, v6, s[22:23]
	s_branch .LBB22_57
.LBB22_79:
	s_nop 0
	s_sendmsg sendmsg(MSG_DEALLOC_VGPRS)
	s_endpgm
	.section	.rodata,"a",@progbits
	.p2align	6, 0x0
	.amdhsa_kernel _ZL23rocblas_gemvt_sn_kernelILb0ELi256ELi4EifffEviiT4_lPKT3_lilS3_lilPT5_i
		.amdhsa_group_segment_fixed_size 128
		.amdhsa_private_segment_fixed_size 0
		.amdhsa_kernarg_size 360
		.amdhsa_user_sgpr_count 14
		.amdhsa_user_sgpr_dispatch_ptr 0
		.amdhsa_user_sgpr_queue_ptr 0
		.amdhsa_user_sgpr_kernarg_segment_ptr 1
		.amdhsa_user_sgpr_dispatch_id 0
		.amdhsa_user_sgpr_private_segment_size 0
		.amdhsa_wavefront_size32 1
		.amdhsa_uses_dynamic_stack 0
		.amdhsa_enable_private_segment 0
		.amdhsa_system_sgpr_workgroup_id_x 1
		.amdhsa_system_sgpr_workgroup_id_y 0
		.amdhsa_system_sgpr_workgroup_id_z 1
		.amdhsa_system_sgpr_workgroup_info 0
		.amdhsa_system_vgpr_workitem_id 0
		.amdhsa_next_free_vgpr 55
		.amdhsa_next_free_sgpr 50
		.amdhsa_reserve_vcc 1
		.amdhsa_float_round_mode_32 0
		.amdhsa_float_round_mode_16_64 0
		.amdhsa_float_denorm_mode_32 3
		.amdhsa_float_denorm_mode_16_64 3
		.amdhsa_dx10_clamp 1
		.amdhsa_ieee_mode 1
		.amdhsa_fp16_overflow 0
		.amdhsa_workgroup_processor_mode 1
		.amdhsa_memory_ordered 1
		.amdhsa_forward_progress 0
		.amdhsa_shared_vgpr_count 0
		.amdhsa_exception_fp_ieee_invalid_op 0
		.amdhsa_exception_fp_denorm_src 0
		.amdhsa_exception_fp_ieee_div_zero 0
		.amdhsa_exception_fp_ieee_overflow 0
		.amdhsa_exception_fp_ieee_underflow 0
		.amdhsa_exception_fp_ieee_inexact 0
		.amdhsa_exception_int_div_zero 0
	.end_amdhsa_kernel
	.section	.text._ZL23rocblas_gemvt_sn_kernelILb0ELi256ELi4EifffEviiT4_lPKT3_lilS3_lilPT5_i,"axG",@progbits,_ZL23rocblas_gemvt_sn_kernelILb0ELi256ELi4EifffEviiT4_lPKT3_lilS3_lilPT5_i,comdat
.Lfunc_end22:
	.size	_ZL23rocblas_gemvt_sn_kernelILb0ELi256ELi4EifffEviiT4_lPKT3_lilS3_lilPT5_i, .Lfunc_end22-_ZL23rocblas_gemvt_sn_kernelILb0ELi256ELi4EifffEviiT4_lPKT3_lilS3_lilPT5_i
                                        ; -- End function
	.section	.AMDGPU.csdata,"",@progbits
; Kernel info:
; codeLenInByte = 4108
; NumSgprs: 52
; NumVgprs: 55
; ScratchSize: 0
; MemoryBound: 0
; FloatMode: 240
; IeeeMode: 1
; LDSByteSize: 128 bytes/workgroup (compile time only)
; SGPRBlocks: 6
; VGPRBlocks: 6
; NumSGPRsForWavesPerEU: 52
; NumVGPRsForWavesPerEU: 55
; Occupancy: 16
; WaveLimiterHint : 1
; COMPUTE_PGM_RSRC2:SCRATCH_EN: 0
; COMPUTE_PGM_RSRC2:USER_SGPR: 14
; COMPUTE_PGM_RSRC2:TRAP_HANDLER: 0
; COMPUTE_PGM_RSRC2:TGID_X_EN: 1
; COMPUTE_PGM_RSRC2:TGID_Y_EN: 0
; COMPUTE_PGM_RSRC2:TGID_Z_EN: 1
; COMPUTE_PGM_RSRC2:TIDIG_COMP_CNT: 0
	.section	.text._ZL23rocblas_gemvt_sn_kernelILb0ELi256ELi4ElfffEviiT4_lPKT3_lilS3_lilPT5_i,"axG",@progbits,_ZL23rocblas_gemvt_sn_kernelILb0ELi256ELi4ElfffEviiT4_lPKT3_lilS3_lilPT5_i,comdat
	.globl	_ZL23rocblas_gemvt_sn_kernelILb0ELi256ELi4ElfffEviiT4_lPKT3_lilS3_lilPT5_i ; -- Begin function _ZL23rocblas_gemvt_sn_kernelILb0ELi256ELi4ElfffEviiT4_lPKT3_lilS3_lilPT5_i
	.p2align	8
	.type	_ZL23rocblas_gemvt_sn_kernelILb0ELi256ELi4ElfffEviiT4_lPKT3_lilS3_lilPT5_i,@function
_ZL23rocblas_gemvt_sn_kernelILb0ELi256ELi4ElfffEviiT4_lPKT3_lilS3_lilPT5_i: ; @_ZL23rocblas_gemvt_sn_kernelILb0ELi256ELi4ElfffEviiT4_lPKT3_lilS3_lilPT5_i
; %bb.0:
	s_clause 0x2
	s_load_b128 s[16:19], s[0:1], 0x0
	s_load_b32 s12, s[0:1], 0x68
	s_load_b128 s[4:7], s[0:1], 0x50
	s_mov_b32 s13, 0
	s_waitcnt lgkmcnt(0)
	s_ashr_i32 s36, s17, 31
	s_mul_hi_u32 s2, s17, s15
	s_mul_i32 s3, s36, s15
	s_mul_i32 s8, s17, s15
	s_add_i32 s2, s2, s3
	s_mul_hi_u32 s3, s8, s12
	s_mul_i32 s9, s2, s12
	s_mul_i32 s2, s8, s12
	s_add_i32 s3, s3, s9
	v_cmp_neq_f32_e64 s8, s18, 0
	s_lshl_b64 s[2:3], s[2:3], 2
	s_delay_alu instid0(SALU_CYCLE_1)
	s_add_u32 s19, s6, s2
	v_cmp_eq_u32_e64 s2, 0, v0
	s_addc_u32 s33, s7, s3
	s_and_b32 vcc_lo, exec_lo, s8
	s_cbranch_vccnz .LBB23_5
; %bb.1:
	s_cmp_gt_i32 s17, 0
	s_cselect_b32 s3, -1, 0
	s_delay_alu instid0(SALU_CYCLE_1) | instskip(NEXT) | instid1(SALU_CYCLE_1)
	s_and_b32 s2, s2, s3
	s_and_saveexec_b32 s8, s2
	s_cbranch_execz .LBB23_4
; %bb.2:
	s_mov_b32 s2, s15
	s_mov_b32 s15, 0
	v_mov_b32_e32 v1, 0
	s_lshl_b64 s[6:7], s[14:15], 2
	s_mov_b32 s15, s2
	s_add_u32 s2, s19, s6
	s_addc_u32 s3, s33, s7
	s_lshl_b64 s[6:7], s[12:13], 2
	s_mov_b32 s9, s17
.LBB23_3:                               ; =>This Inner Loop Header: Depth=1
	s_delay_alu instid0(SALU_CYCLE_1)
	s_add_i32 s9, s9, -1
	global_store_b32 v1, v1, s[2:3]
	s_add_u32 s2, s2, s6
	s_addc_u32 s3, s3, s7
	s_cmp_eq_u32 s9, 0
	s_cbranch_scc0 .LBB23_3
.LBB23_4:
	s_or_b32 exec_lo, exec_lo, s8
	s_cbranch_execz .LBB23_6
	s_branch .LBB23_79
.LBB23_5:
.LBB23_6:
	s_clause 0x4
	s_load_b32 s24, s[0:1], 0x28
	s_load_b32 s26, s[0:1], 0x48
	s_load_b128 s[8:11], s[0:1], 0x30
	s_load_b64 s[2:3], s[0:1], 0x40
	s_load_b128 s[20:23], s[0:1], 0x18
	s_mul_i32 s1, s15, s5
	s_mul_hi_u32 s5, s15, s4
	s_mul_i32 s0, s15, s4
	s_add_i32 s1, s5, s1
	v_and_b32_e32 v24, 31, v0
	s_lshl_b64 s[28:29], s[0:1], 2
	v_mbcnt_lo_u32_b32 v27, -1, 0
	v_lshrrev_b32_e32 v29, 3, v0
	s_waitcnt lgkmcnt(0)
	s_ashr_i32 s25, s24, 31
	s_ashr_i32 s27, s26, 31
	s_add_u32 s4, s10, s28
	s_addc_u32 s5, s11, s29
	s_lshl_b64 s[34:35], s[2:3], 2
	s_mul_i32 s0, s15, s9
	s_mul_hi_u32 s1, s15, s8
	s_add_u32 s46, s4, s34
	s_mul_i32 s2, s15, s8
	s_addc_u32 s47, s5, s35
	s_add_i32 s3, s1, s0
	v_cmp_gt_u32_e64 s0, 32, v0
	s_lshl_b64 s[30:31], s[2:3], 2
	v_cmp_gt_u32_e64 s1, 8, v0
	s_add_u32 s2, s20, s30
	s_addc_u32 s3, s21, s31
	s_lshl_b64 s[22:23], s[22:23], 2
	s_delay_alu instid0(SALU_CYCLE_1)
	s_add_u32 s2, s2, s22
	s_addc_u32 s3, s3, s23
	s_lshl_b32 s4, s14, 10
	s_ashr_i32 s5, s16, 31
	v_lshl_or_b32 v9, v0, 2, s4
	s_lshr_b32 s4, s36, 30
	s_lshr_b32 s5, s5, 30
	s_add_i32 s4, s17, s4
	s_add_i32 s5, s16, s5
	v_ashrrev_i32_e32 v10, 31, v9
	s_and_b32 s48, s4, -4
	s_and_b32 s4, s5, -4
	v_add_nc_u32_e32 v30, 4, v9
	s_sub_i32 s13, s16, s4
	v_lshlrev_b64 v[7:8], 2, v[9:10]
	v_or_b32_e32 v28, 1, v9
	v_or_b32_e32 v26, 2, v9
	v_add_nc_u32_e32 v31, s13, v9
	v_or_b32_e32 v25, 3, v9
	s_cmp_lt_i32 s48, 1
	v_add_co_u32 v5, vcc_lo, s2, v7
	v_add_co_ci_u32_e32 v6, vcc_lo, s3, v8, vcc_lo
	s_cbranch_scc1 .LBB23_54
; %bb.7:
	v_cmp_gt_u32_e32 vcc_lo, 16, v27
	v_mad_i64_i32 v[12:13], null, s26, v26, 0
	v_mad_i64_i32 v[14:15], null, s26, v25, 0
	v_cndmask_b32_e64 v1, 0, 1, vcc_lo
	v_cmp_gt_u32_e32 vcc_lo, 24, v27
	s_mov_b32 s15, 0
	s_cmp_gt_i32 s13, 0
	s_delay_alu instid0(VALU_DEP_4)
	v_lshlrev_b64 v[16:17], 2, v[12:13]
	v_lshlrev_b32_e32 v1, 4, v1
	v_cndmask_b32_e64 v2, 0, 1, vcc_lo
	v_cmp_gt_u32_e32 vcc_lo, 28, v27
	s_cselect_b32 s49, -1, 0
	s_lshl_b64 s[6:7], s[14:15], 2
	s_delay_alu instid0(VALU_DEP_2)
	v_dual_mov_b32 v39, 0 :: v_dual_lshlrev_b32 v2, 3, v2
	v_cndmask_b32_e64 v3, 0, 1, vcc_lo
	v_cmp_gt_u32_e32 vcc_lo, 30, v27
	s_add_u32 s50, s19, s6
	s_addc_u32 s51, s33, s7
	v_add_lshl_u32 v33, v2, v27, 2
	v_lshlrev_b32_e32 v3, 2, v3
	v_cndmask_b32_e64 v4, 0, 1, vcc_lo
	v_cmp_ne_u32_e32 vcc_lo, 31, v27
	v_dual_mov_b32 v21, v6 :: v_dual_mov_b32 v20, v5
	v_add_lshl_u32 v32, v1, v27, 2
	s_delay_alu instid0(VALU_DEP_4) | instskip(SKIP_3) | instid1(VALU_DEP_4)
	v_lshlrev_b32_e32 v4, 1, v4
	v_mad_i64_i32 v[1:2], null, s26, v9, 0
	v_add_lshl_u32 v34, v3, v27, 2
	v_add_co_ci_u32_e32 v10, vcc_lo, 0, v27, vcc_lo
	v_add_lshl_u32 v35, v4, v27, 2
	v_mad_i64_i32 v[3:4], null, s26, v28, 0
	v_lshlrev_b64 v[1:2], 2, v[1:2]
	s_delay_alu instid0(VALU_DEP_4) | instskip(SKIP_4) | instid1(VALU_DEP_3)
	v_lshlrev_b32_e32 v36, 2, v10
	s_add_u32 s6, s10, s34
	s_addc_u32 s7, s11, s35
	s_add_u32 s6, s6, s28
	s_addc_u32 s7, s7, s29
	v_lshlrev_b64 v[3:4], 2, v[3:4]
	v_add_co_u32 v10, vcc_lo, s46, v1
	v_add_co_ci_u32_e32 v11, vcc_lo, s47, v2, vcc_lo
	v_cmp_ge_i32_e64 s2, s16, v30
	s_delay_alu instid0(VALU_DEP_4)
	v_add_co_u32 v12, vcc_lo, s46, v3
	v_add_co_ci_u32_e32 v13, vcc_lo, s47, v4, vcc_lo
	v_lshlrev_b64 v[3:4], 2, v[14:15]
	v_add_co_u32 v14, vcc_lo, s46, v16
	v_add_co_ci_u32_e32 v15, vcc_lo, s47, v17, vcc_lo
	v_cmp_ge_i32_e64 s3, s16, v31
	s_delay_alu instid0(VALU_DEP_4)
	v_add_co_u32 v16, vcc_lo, s46, v3
	v_add_co_ci_u32_e32 v17, vcc_lo, s47, v4, vcc_lo
	v_add_co_u32 v18, vcc_lo, s6, v1
	v_cmp_eq_u32_e64 s4, 0, v24
	v_lshlrev_b32_e32 v37, 2, v24
	v_and_b32_e32 v38, 28, v29
	v_cmp_eq_u32_e64 s5, 0, v0
	v_add_co_ci_u32_e32 v19, vcc_lo, s7, v2, vcc_lo
	s_lshl_b64 s[36:37], s[26:27], 2
	s_lshl_b64 s[38:39], s[24:25], 4
	;; [unrolled: 1-line block ×4, first 2 shown]
	s_mul_hi_i32 s52, s24, 12
	s_mul_i32 s53, s24, 12
                                        ; implicit-def: $vgpr1_vgpr2_vgpr3_vgpr4
	s_branch .LBB23_9
.LBB23_8:                               ;   in Loop: Header=BB23_9 Depth=1
	s_or_b32 exec_lo, exec_lo, s6
	v_add_co_u32 v20, vcc_lo, v20, s38
	v_add_co_ci_u32_e32 v21, vcc_lo, s39, v21, vcc_lo
	s_add_i32 s15, s15, 4
	s_delay_alu instid0(SALU_CYCLE_1)
	s_cmp_ge_i32 s15, s48
	s_cbranch_scc1 .LBB23_55
.LBB23_9:                               ; =>This Loop Header: Depth=1
                                        ;     Child Loop BB23_40 Depth 2
                                        ;     Child Loop BB23_43 Depth 2
                                        ; implicit-def: $vgpr40
                                        ; implicit-def: $vgpr41
                                        ; implicit-def: $vgpr42
                                        ; implicit-def: $vgpr43
	s_and_saveexec_b32 s6, s2
	s_delay_alu instid0(SALU_CYCLE_1)
	s_xor_b32 s6, exec_lo, s6
	s_cbranch_execnz .LBB23_36
; %bb.10:                               ;   in Loop: Header=BB23_9 Depth=1
	s_and_not1_saveexec_b32 s54, s6
	s_cbranch_execnz .LBB23_37
.LBB23_11:                              ;   in Loop: Header=BB23_9 Depth=1
	s_or_b32 exec_lo, exec_lo, s54
	s_and_saveexec_b32 s6, s0
	s_cbranch_execz .LBB23_13
.LBB23_12:                              ;   in Loop: Header=BB23_9 Depth=1
	ds_store_b32 v37, v39
.LBB23_13:                              ;   in Loop: Header=BB23_9 Depth=1
	s_or_b32 exec_lo, exec_lo, s6
	ds_bpermute_b32 v22, v32, v43
	s_waitcnt lgkmcnt(0)
	s_waitcnt_vscnt null, 0x0
	s_barrier
	buffer_gl0_inv
	v_add_f32_e32 v22, v43, v22
	ds_bpermute_b32 v23, v33, v22
	s_waitcnt lgkmcnt(0)
	v_add_f32_e32 v22, v22, v23
	ds_bpermute_b32 v23, v34, v22
	s_waitcnt lgkmcnt(0)
	;; [unrolled: 3-line block ×3, first 2 shown]
	v_add_f32_e32 v22, v22, v23
	ds_bpermute_b32 v23, v36, v22
	s_and_saveexec_b32 s6, s4
	s_cbranch_execz .LBB23_15
; %bb.14:                               ;   in Loop: Header=BB23_9 Depth=1
	s_waitcnt lgkmcnt(0)
	v_add_f32_e32 v22, v22, v23
	ds_store_b32 v38, v22
.LBB23_15:                              ;   in Loop: Header=BB23_9 Depth=1
	s_or_b32 exec_lo, exec_lo, s6
	v_mov_b32_e32 v22, 0
	s_waitcnt lgkmcnt(0)
	s_barrier
	buffer_gl0_inv
	s_and_saveexec_b32 s6, s1
	s_cbranch_execnz .LBB23_45
; %bb.16:                               ;   in Loop: Header=BB23_9 Depth=1
	s_or_b32 exec_lo, exec_lo, s6
	s_and_saveexec_b32 s6, s0
	s_cbranch_execnz .LBB23_46
.LBB23_17:                              ;   in Loop: Header=BB23_9 Depth=1
	s_or_b32 exec_lo, exec_lo, s6
	s_and_saveexec_b32 s6, s0
	s_cbranch_execz .LBB23_19
.LBB23_18:                              ;   in Loop: Header=BB23_9 Depth=1
	ds_store_b32 v37, v39
.LBB23_19:                              ;   in Loop: Header=BB23_9 Depth=1
	s_or_b32 exec_lo, exec_lo, s6
	ds_bpermute_b32 v23, v32, v42
	s_waitcnt lgkmcnt(0)
	s_barrier
	buffer_gl0_inv
	v_add_f32_e32 v23, v42, v23
	ds_bpermute_b32 v42, v33, v23
	s_waitcnt lgkmcnt(0)
	v_add_f32_e32 v23, v23, v42
	ds_bpermute_b32 v42, v34, v23
	s_waitcnt lgkmcnt(0)
	;; [unrolled: 3-line block ×3, first 2 shown]
	v_add_f32_e32 v23, v23, v42
	ds_bpermute_b32 v42, v36, v23
	s_and_saveexec_b32 s6, s4
	s_cbranch_execz .LBB23_21
; %bb.20:                               ;   in Loop: Header=BB23_9 Depth=1
	s_waitcnt lgkmcnt(0)
	v_add_f32_e32 v23, v23, v42
	ds_store_b32 v38, v23
.LBB23_21:                              ;   in Loop: Header=BB23_9 Depth=1
	s_or_b32 exec_lo, exec_lo, s6
	v_mov_b32_e32 v23, 0
	s_waitcnt lgkmcnt(0)
	s_barrier
	buffer_gl0_inv
	s_and_saveexec_b32 s6, s1
	s_cbranch_execnz .LBB23_47
; %bb.22:                               ;   in Loop: Header=BB23_9 Depth=1
	s_or_b32 exec_lo, exec_lo, s6
	s_and_saveexec_b32 s6, s0
	s_cbranch_execnz .LBB23_48
.LBB23_23:                              ;   in Loop: Header=BB23_9 Depth=1
	s_or_b32 exec_lo, exec_lo, s6
	s_and_saveexec_b32 s6, s0
	s_cbranch_execz .LBB23_25
.LBB23_24:                              ;   in Loop: Header=BB23_9 Depth=1
	ds_store_b32 v37, v39
.LBB23_25:                              ;   in Loop: Header=BB23_9 Depth=1
	s_or_b32 exec_lo, exec_lo, s6
	ds_bpermute_b32 v42, v32, v41
	s_waitcnt lgkmcnt(0)
	s_barrier
	buffer_gl0_inv
	v_add_f32_e32 v41, v41, v42
	ds_bpermute_b32 v42, v33, v41
	s_waitcnt lgkmcnt(0)
	v_add_f32_e32 v41, v41, v42
	ds_bpermute_b32 v42, v34, v41
	s_waitcnt lgkmcnt(0)
	;; [unrolled: 3-line block ×3, first 2 shown]
	v_add_f32_e32 v41, v41, v42
	ds_bpermute_b32 v42, v36, v41
	s_and_saveexec_b32 s6, s4
	s_cbranch_execz .LBB23_27
; %bb.26:                               ;   in Loop: Header=BB23_9 Depth=1
	s_waitcnt lgkmcnt(0)
	v_add_f32_e32 v41, v41, v42
	ds_store_b32 v38, v41
.LBB23_27:                              ;   in Loop: Header=BB23_9 Depth=1
	s_or_b32 exec_lo, exec_lo, s6
	v_mov_b32_e32 v41, 0
	s_waitcnt lgkmcnt(0)
	s_barrier
	buffer_gl0_inv
	s_and_saveexec_b32 s6, s1
	s_cbranch_execnz .LBB23_49
; %bb.28:                               ;   in Loop: Header=BB23_9 Depth=1
	s_or_b32 exec_lo, exec_lo, s6
	s_and_saveexec_b32 s6, s0
	s_cbranch_execnz .LBB23_50
.LBB23_29:                              ;   in Loop: Header=BB23_9 Depth=1
	s_or_b32 exec_lo, exec_lo, s6
	s_and_saveexec_b32 s6, s0
	s_cbranch_execz .LBB23_31
.LBB23_30:                              ;   in Loop: Header=BB23_9 Depth=1
	ds_store_b32 v37, v39
.LBB23_31:                              ;   in Loop: Header=BB23_9 Depth=1
	s_or_b32 exec_lo, exec_lo, s6
	ds_bpermute_b32 v42, v32, v40
	s_waitcnt lgkmcnt(0)
	s_barrier
	buffer_gl0_inv
	v_add_f32_e32 v40, v40, v42
	ds_bpermute_b32 v42, v33, v40
	s_waitcnt lgkmcnt(0)
	v_add_f32_e32 v40, v40, v42
	ds_bpermute_b32 v42, v34, v40
	s_waitcnt lgkmcnt(0)
	;; [unrolled: 3-line block ×3, first 2 shown]
	v_add_f32_e32 v40, v40, v42
	ds_bpermute_b32 v42, v36, v40
	s_and_saveexec_b32 s6, s4
	s_cbranch_execz .LBB23_33
; %bb.32:                               ;   in Loop: Header=BB23_9 Depth=1
	s_waitcnt lgkmcnt(0)
	v_add_f32_e32 v40, v40, v42
	ds_store_b32 v38, v40
.LBB23_33:                              ;   in Loop: Header=BB23_9 Depth=1
	s_or_b32 exec_lo, exec_lo, s6
	v_mov_b32_e32 v40, 0
	s_waitcnt lgkmcnt(0)
	s_barrier
	buffer_gl0_inv
	s_and_saveexec_b32 s6, s1
	s_cbranch_execnz .LBB23_51
; %bb.34:                               ;   in Loop: Header=BB23_9 Depth=1
	s_or_b32 exec_lo, exec_lo, s6
	s_and_saveexec_b32 s6, s0
	s_cbranch_execnz .LBB23_52
.LBB23_35:                              ;   in Loop: Header=BB23_9 Depth=1
	s_or_b32 exec_lo, exec_lo, s6
	s_and_saveexec_b32 s6, s5
	s_cbranch_execz .LBB23_8
	s_branch .LBB23_53
.LBB23_36:                              ;   in Loop: Header=BB23_9 Depth=1
	s_mul_i32 s7, s15, s25
	s_mul_hi_u32 s8, s15, s24
	s_delay_alu instid0(SALU_CYCLE_1)
	s_add_i32 s9, s8, s7
	s_mul_i32 s8, s15, s24
	s_or_b32 s7, s15, 1
	s_lshl_b64 s[8:9], s[8:9], 2
	s_mul_i32 s44, s7, s25
	s_mul_hi_u32 s45, s7, s24
	v_add_co_u32 v2, vcc_lo, v5, s8
	v_add_co_ci_u32_e32 v3, vcc_lo, s9, v6, vcc_lo
	s_add_i32 s9, s45, s44
	s_mul_i32 s8, s7, s24
	s_or_b32 s7, s15, 2
	s_lshl_b64 s[8:9], s[8:9], 2
	s_mul_i32 s44, s7, s25
	s_mul_hi_u32 s45, s7, s24
	v_add_co_u32 v22, vcc_lo, v5, s8
	v_add_co_ci_u32_e32 v23, vcc_lo, s9, v6, vcc_lo
	s_add_i32 s9, s45, s44
	s_or_b32 s44, s15, 3
	s_mul_i32 s8, s7, s24
	s_mul_i32 s7, s44, s25
	s_mul_hi_u32 s45, s44, s24
	s_lshl_b64 s[8:9], s[8:9], 2
	s_add_i32 s45, s45, s7
	s_mul_i32 s44, s44, s24
	s_waitcnt lgkmcnt(0)
	v_add_co_u32 v40, vcc_lo, v5, s8
	v_add_co_ci_u32_e32 v41, vcc_lo, s9, v6, vcc_lo
	s_lshl_b64 s[8:9], s[44:45], 2
	s_delay_alu instid0(SALU_CYCLE_1)
	v_add_co_u32 v55, vcc_lo, v5, s8
	v_add_co_ci_u32_e32 v56, vcc_lo, s9, v6, vcc_lo
	global_load_b32 v1, v[10:11], off
	s_clause 0x3
	global_load_b128 v[43:46], v[2:3], off
	global_load_b128 v[47:50], v[22:23], off
	;; [unrolled: 1-line block ×4, first 2 shown]
	s_clause 0x2
	global_load_b32 v2, v[12:13], off
	global_load_b32 v3, v[14:15], off
	;; [unrolled: 1-line block ×3, first 2 shown]
	s_waitcnt vmcnt(6)
	v_fma_f32 v43, v1, v43, 0
	s_waitcnt vmcnt(5)
	v_fma_f32 v42, v1, v47, 0
	;; [unrolled: 2-line block ×4, first 2 shown]
	s_waitcnt vmcnt(2)
	v_fmac_f32_e32 v42, v2, v48
	v_fmac_f32_e32 v43, v2, v44
	s_delay_alu instid0(VALU_DEP_3) | instskip(SKIP_1) | instid1(VALU_DEP_3)
	v_fmac_f32_e32 v40, v2, v56
	s_waitcnt vmcnt(1)
	v_dual_fmac_f32 v41, v2, v52 :: v_dual_fmac_f32 v42, v3, v49
	s_delay_alu instid0(VALU_DEP_3) | instskip(NEXT) | instid1(VALU_DEP_3)
	v_fmac_f32_e32 v43, v3, v45
	v_fmac_f32_e32 v40, v3, v57
	s_waitcnt vmcnt(0)
	s_delay_alu instid0(VALU_DEP_3) | instskip(NEXT) | instid1(VALU_DEP_3)
	v_dual_fmac_f32 v41, v3, v53 :: v_dual_fmac_f32 v42, v4, v50
	v_fmac_f32_e32 v43, v4, v46
	s_delay_alu instid0(VALU_DEP_3) | instskip(NEXT) | instid1(VALU_DEP_3)
	v_fmac_f32_e32 v40, v4, v58
	v_fmac_f32_e32 v41, v4, v54
	s_and_not1_saveexec_b32 s54, s6
	s_cbranch_execz .LBB23_11
.LBB23_37:                              ;   in Loop: Header=BB23_9 Depth=1
	s_waitcnt lgkmcnt(0)
	v_dual_mov_b32 v40, 0 :: v_dual_mov_b32 v41, 0
	v_dual_mov_b32 v42, 0 :: v_dual_mov_b32 v43, 0
	s_and_saveexec_b32 s55, s3
	s_cbranch_execz .LBB23_44
; %bb.38:                               ;   in Loop: Header=BB23_9 Depth=1
	s_and_not1_b32 vcc_lo, exec_lo, s49
	s_cbranch_vccnz .LBB23_41
; %bb.39:                               ;   in Loop: Header=BB23_9 Depth=1
	v_dual_mov_b32 v23, v19 :: v_dual_mov_b32 v22, v18
	s_mov_b64 s[44:45], 0
	.p2align	6
.LBB23_40:                              ;   Parent Loop BB23_9 Depth=1
                                        ; =>  This Inner Loop Header: Depth=2
	global_load_b32 v40, v[22:23], off
	v_add_co_u32 v22, vcc_lo, v22, s36
	s_cmp_eq_u32 s44, 3
	v_add_co_ci_u32_e32 v23, vcc_lo, s37, v23, vcc_lo
	s_cselect_b32 vcc_lo, -1, 0
	s_cmp_eq_u32 s44, 2
	s_cselect_b32 s6, -1, 0
	s_cmp_eq_u32 s44, 1
	s_cselect_b32 s7, -1, 0
	s_cmp_eq_u32 s44, 0
	s_cselect_b32 s8, -1, 0
	s_add_u32 s44, s44, 1
	s_addc_u32 s45, s45, 0
	s_cmp_eq_u32 s13, s44
	s_waitcnt vmcnt(0)
	v_cndmask_b32_e32 v4, v4, v40, vcc_lo
	v_cndmask_b32_e64 v3, v3, v40, s6
	v_cndmask_b32_e64 v2, v2, v40, s7
	;; [unrolled: 1-line block ×3, first 2 shown]
	s_cbranch_scc0 .LBB23_40
.LBB23_41:                              ;   in Loop: Header=BB23_9 Depth=1
	v_dual_mov_b32 v40, 0 :: v_dual_mov_b32 v41, 0
	v_dual_mov_b32 v42, 0 :: v_dual_mov_b32 v43, 0
	s_and_not1_b32 vcc_lo, exec_lo, s49
	s_cbranch_vccnz .LBB23_44
; %bb.42:                               ;   in Loop: Header=BB23_9 Depth=1
	v_dual_mov_b32 v23, v21 :: v_dual_mov_b32 v42, 0
	v_dual_mov_b32 v43, 0 :: v_dual_mov_b32 v22, v20
	;; [unrolled: 1-line block ×3, first 2 shown]
	s_mov_b64 s[8:9], 0
	s_set_inst_prefetch_distance 0x1
	.p2align	6
.LBB23_43:                              ;   Parent Loop BB23_9 Depth=1
                                        ; =>  This Inner Loop Header: Depth=2
	s_delay_alu instid0(VALU_DEP_2)
	v_add_co_u32 v44, vcc_lo, v22, s40
	v_add_co_ci_u32_e32 v45, vcc_lo, s41, v23, vcc_lo
	v_add_co_u32 v46, vcc_lo, v22, s42
	v_add_co_ci_u32_e32 v47, vcc_lo, s43, v23, vcc_lo
	;; [unrolled: 2-line block ×3, first 2 shown]
	s_clause 0x3
	global_load_b32 v50, v[22:23], off
	global_load_b32 v44, v[44:45], off
	;; [unrolled: 1-line block ×4, first 2 shown]
	s_cmp_eq_u32 s8, 1
	v_add_co_u32 v22, s6, v22, 4
	s_cselect_b32 vcc_lo, -1, 0
	s_cmp_eq_u32 s8, 2
	v_cndmask_b32_e32 v47, v1, v2, vcc_lo
	s_cselect_b32 vcc_lo, -1, 0
	s_cmp_eq_u32 s8, 3
	v_add_co_ci_u32_e64 v23, s6, 0, v23, s6
	s_delay_alu instid0(VALU_DEP_2)
	v_cndmask_b32_e32 v47, v47, v3, vcc_lo
	s_cselect_b32 vcc_lo, -1, 0
	s_add_u32 s8, s8, 1
	s_addc_u32 s9, s9, 0
	s_cmp_lg_u32 s13, s8
	v_cndmask_b32_e32 v47, v47, v4, vcc_lo
	s_waitcnt vmcnt(3)
	s_delay_alu instid0(VALU_DEP_1)
	v_fmac_f32_e32 v43, v47, v50
	s_waitcnt vmcnt(2)
	v_fmac_f32_e32 v42, v47, v44
	s_waitcnt vmcnt(1)
	;; [unrolled: 2-line block ×3, first 2 shown]
	v_fmac_f32_e32 v40, v47, v46
	s_cbranch_scc1 .LBB23_43
.LBB23_44:                              ;   in Loop: Header=BB23_9 Depth=1
	s_set_inst_prefetch_distance 0x2
	s_or_b32 exec_lo, exec_lo, s55
	s_delay_alu instid0(SALU_CYCLE_1)
	s_or_b32 exec_lo, exec_lo, s54
	s_and_saveexec_b32 s6, s0
	s_cbranch_execnz .LBB23_12
	s_branch .LBB23_13
.LBB23_45:                              ;   in Loop: Header=BB23_9 Depth=1
	ds_load_b32 v22, v37
	s_or_b32 exec_lo, exec_lo, s6
	s_and_saveexec_b32 s6, s0
	s_cbranch_execz .LBB23_17
.LBB23_46:                              ;   in Loop: Header=BB23_9 Depth=1
	s_waitcnt lgkmcnt(0)
	ds_bpermute_b32 v23, v34, v22
	s_waitcnt lgkmcnt(0)
	v_add_f32_e32 v22, v22, v23
	ds_bpermute_b32 v23, v35, v22
	s_waitcnt lgkmcnt(0)
	v_add_f32_e32 v22, v22, v23
	;; [unrolled: 3-line block ×3, first 2 shown]
	s_or_b32 exec_lo, exec_lo, s6
	s_and_saveexec_b32 s6, s0
	s_cbranch_execnz .LBB23_18
	s_branch .LBB23_19
.LBB23_47:                              ;   in Loop: Header=BB23_9 Depth=1
	ds_load_b32 v23, v37
	s_or_b32 exec_lo, exec_lo, s6
	s_and_saveexec_b32 s6, s0
	s_cbranch_execz .LBB23_23
.LBB23_48:                              ;   in Loop: Header=BB23_9 Depth=1
	s_waitcnt lgkmcnt(0)
	ds_bpermute_b32 v42, v34, v23
	s_waitcnt lgkmcnt(0)
	v_add_f32_e32 v23, v23, v42
	ds_bpermute_b32 v42, v35, v23
	s_waitcnt lgkmcnt(0)
	v_add_f32_e32 v23, v23, v42
	;; [unrolled: 3-line block ×3, first 2 shown]
	s_or_b32 exec_lo, exec_lo, s6
	s_and_saveexec_b32 s6, s0
	s_cbranch_execnz .LBB23_24
	s_branch .LBB23_25
.LBB23_49:                              ;   in Loop: Header=BB23_9 Depth=1
	ds_load_b32 v41, v37
	s_or_b32 exec_lo, exec_lo, s6
	s_and_saveexec_b32 s6, s0
	s_cbranch_execz .LBB23_29
.LBB23_50:                              ;   in Loop: Header=BB23_9 Depth=1
	s_waitcnt lgkmcnt(0)
	ds_bpermute_b32 v42, v34, v41
	s_waitcnt lgkmcnt(0)
	v_add_f32_e32 v41, v41, v42
	ds_bpermute_b32 v42, v35, v41
	s_waitcnt lgkmcnt(0)
	v_add_f32_e32 v41, v41, v42
	;; [unrolled: 3-line block ×3, first 2 shown]
	s_or_b32 exec_lo, exec_lo, s6
	s_and_saveexec_b32 s6, s0
	s_cbranch_execnz .LBB23_30
	s_branch .LBB23_31
.LBB23_51:                              ;   in Loop: Header=BB23_9 Depth=1
	ds_load_b32 v40, v37
	s_or_b32 exec_lo, exec_lo, s6
	s_and_saveexec_b32 s6, s0
	s_cbranch_execz .LBB23_35
.LBB23_52:                              ;   in Loop: Header=BB23_9 Depth=1
	s_waitcnt lgkmcnt(0)
	ds_bpermute_b32 v42, v34, v40
	s_waitcnt lgkmcnt(0)
	v_add_f32_e32 v40, v40, v42
	ds_bpermute_b32 v42, v35, v40
	s_waitcnt lgkmcnt(0)
	v_add_f32_e32 v40, v40, v42
	;; [unrolled: 3-line block ×3, first 2 shown]
	s_or_b32 exec_lo, exec_lo, s6
	s_and_saveexec_b32 s6, s5
	s_cbranch_execz .LBB23_8
.LBB23_53:                              ;   in Loop: Header=BB23_9 Depth=1
	s_mul_hi_u32 s9, s15, s12
	s_mul_i32 s8, s15, s12
	v_dual_mul_f32 v22, s18, v22 :: v_dual_mul_f32 v23, s18, v23
	s_lshl_b64 s[8:9], s[8:9], 2
	s_waitcnt lgkmcnt(0)
	v_mul_f32_e32 v40, s18, v40
	s_add_u32 s8, s50, s8
	s_addc_u32 s9, s51, s9
	s_or_b32 s7, s15, 1
	global_store_b32 v39, v22, s[8:9]
	s_mul_hi_u32 s45, s7, s12
	s_mul_i32 s44, s7, s12
	v_mul_f32_e32 v22, s18, v41
	s_lshl_b64 s[44:45], s[44:45], 2
	s_delay_alu instid0(SALU_CYCLE_1)
	s_add_u32 s44, s50, s44
	s_addc_u32 s45, s51, s45
	s_or_b32 s7, s15, 2
	global_store_b32 v39, v23, s[44:45]
	s_mul_hi_u32 s55, s7, s12
	s_mul_i32 s54, s7, s12
	s_delay_alu instid0(SALU_CYCLE_1) | instskip(NEXT) | instid1(SALU_CYCLE_1)
	s_lshl_b64 s[54:55], s[54:55], 2
	s_add_u32 s8, s50, s54
	s_addc_u32 s9, s51, s55
	s_or_b32 s7, s15, 3
	s_delay_alu instid0(SALU_CYCLE_1) | instskip(SKIP_1) | instid1(SALU_CYCLE_1)
	s_mul_hi_u32 s55, s7, s12
	s_mul_i32 s54, s7, s12
	s_lshl_b64 s[54:55], s[54:55], 2
	s_delay_alu instid0(SALU_CYCLE_1)
	s_add_u32 s44, s50, s54
	s_addc_u32 s45, s51, s55
	s_clause 0x1
	global_store_b32 v39, v22, s[8:9]
	global_store_b32 v39, v40, s[44:45]
	s_branch .LBB23_8
.LBB23_54:
	s_mov_b32 s15, 0
                                        ; implicit-def: $vgpr1_vgpr2_vgpr3_vgpr4
.LBB23_55:
	s_delay_alu instid0(SALU_CYCLE_1)
	s_cmp_ge_i32 s15, s17
	s_cbranch_scc1 .LBB23_79
; %bb.56:
	v_cmp_gt_u32_e32 vcc_lo, 16, v27
	v_cmp_ge_i32_e64 s0, s16, v30
	v_cmp_ge_i32_e64 s1, s16, v31
	v_mad_i64_i32 v[19:20], null, s26, v25, 0
	v_cndmask_b32_e64 v10, 0, 1, vcc_lo
	v_cmp_gt_u32_e32 vcc_lo, 24, v27
	s_cmp_gt_i32 s13, 0
	s_mov_b32 s9, 0
	s_mov_b32 s8, s14
	v_lshlrev_b32_e32 v10, 4, v10
	v_cndmask_b32_e64 v11, 0, 1, vcc_lo
	v_cmp_gt_u32_e32 vcc_lo, 28, v27
	s_cselect_b32 s16, -1, 0
	s_lshl_b64 s[6:7], s[8:9], 2
	v_add_lshl_u32 v22, v10, v27, 2
	v_lshlrev_b32_e32 v11, 3, v11
	v_cndmask_b32_e64 v12, 0, 1, vcc_lo
	v_cmp_gt_u32_e32 vcc_lo, 30, v27
	s_add_u32 s14, s19, s6
	s_addc_u32 s19, s33, s7
	v_add_lshl_u32 v23, v11, v27, 2
	v_lshlrev_b32_e32 v12, 2, v12
	v_cndmask_b32_e64 v13, 0, 1, vcc_lo
	v_cmp_ne_u32_e32 vcc_lo, 31, v27
	v_mad_i64_i32 v[10:11], null, s26, v9, 0
	s_delay_alu instid0(VALU_DEP_4) | instskip(NEXT) | instid1(VALU_DEP_4)
	v_add_lshl_u32 v30, v12, v27, 2
	v_lshlrev_b32_e32 v13, 1, v13
	v_add_co_ci_u32_e32 v14, vcc_lo, 0, v27, vcc_lo
	s_add_u32 s6, s10, s34
	s_addc_u32 s7, s11, s35
	s_delay_alu instid0(VALU_DEP_2)
	v_add_lshl_u32 v27, v13, v27, 2
	v_mad_i64_i32 v[12:13], null, s26, v28, 0
	v_lshlrev_b32_e32 v31, 2, v14
	v_mad_i64_i32 v[14:15], null, s26, v26, 0
	v_lshlrev_b64 v[17:18], 2, v[10:11]
	s_add_u32 s8, s6, s28
	s_mul_i32 s6, s25, s15
	s_delay_alu instid0(VALU_DEP_4)
	v_lshlrev_b64 v[11:12], 2, v[12:13]
	s_mul_hi_u32 s10, s24, s15
	s_addc_u32 s11, s7, s29
	v_add_co_u32 v9, vcc_lo, s46, v17
	v_lshlrev_b64 v[13:14], 2, v[14:15]
	v_add_co_ci_u32_e32 v10, vcc_lo, s47, v18, vcc_lo
	v_add_co_u32 v11, vcc_lo, s46, v11
	v_lshlrev_b64 v[15:16], 2, v[19:20]
	v_add_co_ci_u32_e32 v12, vcc_lo, s47, v12, vcc_lo
	v_add_co_u32 v13, vcc_lo, s46, v13
	v_add_co_ci_u32_e32 v14, vcc_lo, s47, v14, vcc_lo
	s_delay_alu instid0(VALU_DEP_4)
	v_add_co_u32 v15, vcc_lo, s46, v15
	v_add_co_ci_u32_e32 v16, vcc_lo, s47, v16, vcc_lo
	s_add_i32 s7, s10, s6
	s_mul_i32 s6, s24, s15
	v_add_co_u32 v17, vcc_lo, s8, v17
	s_lshl_b64 s[6:7], s[6:7], 2
	v_add_co_ci_u32_e32 v18, vcc_lo, s11, v18, vcc_lo
	s_lshl_b64 s[10:11], s[26:27], 2
	s_add_u32 s6, s30, s6
	s_addc_u32 s7, s31, s7
	s_add_u32 s6, s6, s22
	s_addc_u32 s7, s7, s23
	;; [unrolled: 2-line block ×3, first 2 shown]
	v_add_co_u32 v7, vcc_lo, s6, v7
	v_cmp_gt_u32_e64 s2, 32, v0
	v_lshlrev_b32_e32 v21, 2, v24
	v_cmp_eq_u32_e64 s3, 0, v24
	v_and_b32_e32 v24, 28, v29
	v_cmp_gt_u32_e64 s4, 8, v0
	v_cmp_eq_u32_e64 s5, 0, v0
	v_mov_b32_e32 v0, 0
	v_add_co_ci_u32_e32 v8, vcc_lo, s7, v8, vcc_lo
	s_lshl_b64 s[20:21], s[24:25], 2
	s_branch .LBB23_58
.LBB23_57:                              ;   in Loop: Header=BB23_58 Depth=1
	s_or_b32 exec_lo, exec_lo, s6
	v_add_co_u32 v7, vcc_lo, v7, s20
	v_add_co_ci_u32_e32 v8, vcc_lo, s21, v8, vcc_lo
	s_add_i32 s15, s15, 1
	s_delay_alu instid0(SALU_CYCLE_1)
	s_cmp_ge_i32 s15, s17
	s_cbranch_scc1 .LBB23_79
.LBB23_58:                              ; =>This Loop Header: Depth=1
                                        ;     Child Loop BB23_71 Depth 2
                                        ;     Child Loop BB23_74 Depth 2
	v_mov_b32_e32 v25, s9
	s_and_saveexec_b32 s6, s0
	s_delay_alu instid0(SALU_CYCLE_1)
	s_xor_b32 s6, exec_lo, s6
	s_cbranch_execnz .LBB23_67
; %bb.59:                               ;   in Loop: Header=BB23_58 Depth=1
	s_and_not1_saveexec_b32 s26, s6
	s_cbranch_execnz .LBB23_68
.LBB23_60:                              ;   in Loop: Header=BB23_58 Depth=1
	s_or_b32 exec_lo, exec_lo, s26
	s_and_saveexec_b32 s6, s2
	s_cbranch_execz .LBB23_62
.LBB23_61:                              ;   in Loop: Header=BB23_58 Depth=1
	ds_store_b32 v21, v0
.LBB23_62:                              ;   in Loop: Header=BB23_58 Depth=1
	s_or_b32 exec_lo, exec_lo, s6
	s_waitcnt lgkmcnt(0)
	ds_bpermute_b32 v19, v22, v25
	s_waitcnt lgkmcnt(0)
	s_waitcnt_vscnt null, 0x0
	s_barrier
	buffer_gl0_inv
	v_add_f32_e32 v19, v25, v19
	ds_bpermute_b32 v20, v23, v19
	s_waitcnt lgkmcnt(0)
	v_add_f32_e32 v19, v19, v20
	ds_bpermute_b32 v20, v30, v19
	s_waitcnt lgkmcnt(0)
	;; [unrolled: 3-line block ×3, first 2 shown]
	v_add_f32_e32 v19, v19, v20
	ds_bpermute_b32 v20, v31, v19
	s_and_saveexec_b32 s6, s3
	s_cbranch_execz .LBB23_64
; %bb.63:                               ;   in Loop: Header=BB23_58 Depth=1
	s_waitcnt lgkmcnt(0)
	v_add_f32_e32 v19, v19, v20
	ds_store_b32 v24, v19
.LBB23_64:                              ;   in Loop: Header=BB23_58 Depth=1
	s_or_b32 exec_lo, exec_lo, s6
	v_mov_b32_e32 v19, 0
	s_waitcnt lgkmcnt(0)
	s_barrier
	buffer_gl0_inv
	s_and_saveexec_b32 s6, s4
	s_cbranch_execnz .LBB23_76
; %bb.65:                               ;   in Loop: Header=BB23_58 Depth=1
	s_or_b32 exec_lo, exec_lo, s6
	s_and_saveexec_b32 s6, s2
	s_cbranch_execnz .LBB23_77
.LBB23_66:                              ;   in Loop: Header=BB23_58 Depth=1
	s_or_b32 exec_lo, exec_lo, s6
	s_and_saveexec_b32 s6, s5
	s_cbranch_execz .LBB23_57
	s_branch .LBB23_78
.LBB23_67:                              ;   in Loop: Header=BB23_58 Depth=1
	s_mul_i32 s7, s15, s25
	s_mul_hi_u32 s8, s15, s24
	s_mul_i32 s22, s15, s24
	s_add_i32 s23, s8, s7
	s_delay_alu instid0(SALU_CYCLE_1) | instskip(NEXT) | instid1(SALU_CYCLE_1)
	s_lshl_b64 s[22:23], s[22:23], 2
	v_add_co_u32 v1, vcc_lo, v5, s22
	v_add_co_ci_u32_e32 v2, vcc_lo, s23, v6, vcc_lo
	global_load_b128 v[32:35], v[1:2], off
	s_clause 0x3
	global_load_b32 v1, v[9:10], off
	global_load_b32 v2, v[11:12], off
	;; [unrolled: 1-line block ×4, first 2 shown]
	s_waitcnt vmcnt(3)
	v_fma_f32 v25, v1, v32, 0
	s_waitcnt vmcnt(2)
	s_delay_alu instid0(VALU_DEP_1) | instskip(SKIP_1) | instid1(VALU_DEP_1)
	v_fmac_f32_e32 v25, v2, v33
	s_waitcnt vmcnt(1)
	v_fmac_f32_e32 v25, v3, v34
	s_waitcnt vmcnt(0)
	s_delay_alu instid0(VALU_DEP_1)
	v_fmac_f32_e32 v25, v4, v35
	s_and_not1_saveexec_b32 s26, s6
	s_cbranch_execz .LBB23_60
.LBB23_68:                              ;   in Loop: Header=BB23_58 Depth=1
	s_and_saveexec_b32 s27, s1
	s_cbranch_execz .LBB23_75
; %bb.69:                               ;   in Loop: Header=BB23_58 Depth=1
	s_and_not1_b32 vcc_lo, exec_lo, s16
	s_cbranch_vccnz .LBB23_72
; %bb.70:                               ;   in Loop: Header=BB23_58 Depth=1
	s_waitcnt lgkmcnt(0)
	v_dual_mov_b32 v20, v18 :: v_dual_mov_b32 v19, v17
	s_mov_b64 s[22:23], 0
	.p2align	6
.LBB23_71:                              ;   Parent Loop BB23_58 Depth=1
                                        ; =>  This Inner Loop Header: Depth=2
	global_load_b32 v26, v[19:20], off
	v_add_co_u32 v19, vcc_lo, v19, s10
	s_cmp_eq_u32 s22, 3
	v_add_co_ci_u32_e32 v20, vcc_lo, s11, v20, vcc_lo
	s_cselect_b32 vcc_lo, -1, 0
	s_cmp_eq_u32 s22, 2
	s_cselect_b32 s6, -1, 0
	s_cmp_eq_u32 s22, 1
	s_cselect_b32 s7, -1, 0
	;; [unrolled: 2-line block ×3, first 2 shown]
	s_add_u32 s22, s22, 1
	s_addc_u32 s23, s23, 0
	s_cmp_eq_u32 s13, s22
	s_waitcnt vmcnt(0)
	v_cndmask_b32_e32 v4, v4, v26, vcc_lo
	v_cndmask_b32_e64 v3, v3, v26, s6
	v_cndmask_b32_e64 v2, v2, v26, s7
	;; [unrolled: 1-line block ×3, first 2 shown]
	s_cbranch_scc0 .LBB23_71
.LBB23_72:                              ;   in Loop: Header=BB23_58 Depth=1
	s_and_not1_b32 vcc_lo, exec_lo, s16
	s_cbranch_vccnz .LBB23_75
; %bb.73:                               ;   in Loop: Header=BB23_58 Depth=1
	s_waitcnt lgkmcnt(0)
	v_dual_mov_b32 v20, v8 :: v_dual_mov_b32 v19, v7
	s_mov_b64 s[6:7], 0
	.p2align	6
.LBB23_74:                              ;   Parent Loop BB23_58 Depth=1
                                        ; =>  This Inner Loop Header: Depth=2
	global_load_b32 v26, v[19:20], off
	s_cmp_eq_u32 s6, 1
	s_cselect_b32 vcc_lo, -1, 0
	s_cmp_eq_u32 s6, 2
	v_cndmask_b32_e32 v28, v1, v2, vcc_lo
	s_cselect_b32 vcc_lo, -1, 0
	s_cmp_eq_u32 s6, 3
	s_delay_alu instid0(VALU_DEP_1)
	v_cndmask_b32_e32 v28, v28, v3, vcc_lo
	s_cselect_b32 vcc_lo, -1, 0
	s_add_u32 s6, s6, 1
	s_addc_u32 s7, s7, 0
	s_cmp_lg_u32 s13, s6
	v_cndmask_b32_e32 v28, v28, v4, vcc_lo
	v_add_co_u32 v19, vcc_lo, v19, 4
	v_add_co_ci_u32_e32 v20, vcc_lo, 0, v20, vcc_lo
	s_waitcnt vmcnt(0)
	s_delay_alu instid0(VALU_DEP_3)
	v_fmac_f32_e32 v25, v28, v26
	s_cbranch_scc1 .LBB23_74
.LBB23_75:                              ;   in Loop: Header=BB23_58 Depth=1
	s_or_b32 exec_lo, exec_lo, s27
	s_delay_alu instid0(SALU_CYCLE_1)
	s_or_b32 exec_lo, exec_lo, s26
	s_and_saveexec_b32 s6, s2
	s_cbranch_execnz .LBB23_61
	s_branch .LBB23_62
.LBB23_76:                              ;   in Loop: Header=BB23_58 Depth=1
	ds_load_b32 v19, v21
	s_or_b32 exec_lo, exec_lo, s6
	s_and_saveexec_b32 s6, s2
	s_cbranch_execz .LBB23_66
.LBB23_77:                              ;   in Loop: Header=BB23_58 Depth=1
	s_waitcnt lgkmcnt(0)
	ds_bpermute_b32 v20, v30, v19
	s_waitcnt lgkmcnt(0)
	v_add_f32_e32 v19, v19, v20
	ds_bpermute_b32 v20, v27, v19
	s_waitcnt lgkmcnt(0)
	v_add_f32_e32 v19, v19, v20
	;; [unrolled: 3-line block ×3, first 2 shown]
	s_or_b32 exec_lo, exec_lo, s6
	s_and_saveexec_b32 s6, s5
	s_cbranch_execz .LBB23_57
.LBB23_78:                              ;   in Loop: Header=BB23_58 Depth=1
	s_mul_hi_u32 s23, s15, s12
	s_mul_i32 s22, s15, s12
	s_waitcnt lgkmcnt(0)
	v_mul_f32_e32 v19, s18, v19
	s_lshl_b64 s[22:23], s[22:23], 2
	s_delay_alu instid0(SALU_CYCLE_1)
	s_add_u32 s22, s14, s22
	s_addc_u32 s23, s19, s23
	global_store_b32 v0, v19, s[22:23]
	s_branch .LBB23_57
.LBB23_79:
	s_nop 0
	s_sendmsg sendmsg(MSG_DEALLOC_VGPRS)
	s_endpgm
	.section	.rodata,"a",@progbits
	.p2align	6, 0x0
	.amdhsa_kernel _ZL23rocblas_gemvt_sn_kernelILb0ELi256ELi4ElfffEviiT4_lPKT3_lilS3_lilPT5_i
		.amdhsa_group_segment_fixed_size 128
		.amdhsa_private_segment_fixed_size 0
		.amdhsa_kernarg_size 360
		.amdhsa_user_sgpr_count 14
		.amdhsa_user_sgpr_dispatch_ptr 0
		.amdhsa_user_sgpr_queue_ptr 0
		.amdhsa_user_sgpr_kernarg_segment_ptr 1
		.amdhsa_user_sgpr_dispatch_id 0
		.amdhsa_user_sgpr_private_segment_size 0
		.amdhsa_wavefront_size32 1
		.amdhsa_uses_dynamic_stack 0
		.amdhsa_enable_private_segment 0
		.amdhsa_system_sgpr_workgroup_id_x 1
		.amdhsa_system_sgpr_workgroup_id_y 0
		.amdhsa_system_sgpr_workgroup_id_z 1
		.amdhsa_system_sgpr_workgroup_info 0
		.amdhsa_system_vgpr_workitem_id 0
		.amdhsa_next_free_vgpr 59
		.amdhsa_next_free_sgpr 56
		.amdhsa_reserve_vcc 1
		.amdhsa_float_round_mode_32 0
		.amdhsa_float_round_mode_16_64 0
		.amdhsa_float_denorm_mode_32 3
		.amdhsa_float_denorm_mode_16_64 3
		.amdhsa_dx10_clamp 1
		.amdhsa_ieee_mode 1
		.amdhsa_fp16_overflow 0
		.amdhsa_workgroup_processor_mode 1
		.amdhsa_memory_ordered 1
		.amdhsa_forward_progress 0
		.amdhsa_shared_vgpr_count 0
		.amdhsa_exception_fp_ieee_invalid_op 0
		.amdhsa_exception_fp_denorm_src 0
		.amdhsa_exception_fp_ieee_div_zero 0
		.amdhsa_exception_fp_ieee_overflow 0
		.amdhsa_exception_fp_ieee_underflow 0
		.amdhsa_exception_fp_ieee_inexact 0
		.amdhsa_exception_int_div_zero 0
	.end_amdhsa_kernel
	.section	.text._ZL23rocblas_gemvt_sn_kernelILb0ELi256ELi4ElfffEviiT4_lPKT3_lilS3_lilPT5_i,"axG",@progbits,_ZL23rocblas_gemvt_sn_kernelILb0ELi256ELi4ElfffEviiT4_lPKT3_lilS3_lilPT5_i,comdat
.Lfunc_end23:
	.size	_ZL23rocblas_gemvt_sn_kernelILb0ELi256ELi4ElfffEviiT4_lPKT3_lilS3_lilPT5_i, .Lfunc_end23-_ZL23rocblas_gemvt_sn_kernelILb0ELi256ELi4ElfffEviiT4_lPKT3_lilS3_lilPT5_i
                                        ; -- End function
	.section	.AMDGPU.csdata,"",@progbits
; Kernel info:
; codeLenInByte = 4164
; NumSgprs: 58
; NumVgprs: 59
; ScratchSize: 0
; MemoryBound: 0
; FloatMode: 240
; IeeeMode: 1
; LDSByteSize: 128 bytes/workgroup (compile time only)
; SGPRBlocks: 7
; VGPRBlocks: 7
; NumSGPRsForWavesPerEU: 58
; NumVGPRsForWavesPerEU: 59
; Occupancy: 16
; WaveLimiterHint : 1
; COMPUTE_PGM_RSRC2:SCRATCH_EN: 0
; COMPUTE_PGM_RSRC2:USER_SGPR: 14
; COMPUTE_PGM_RSRC2:TRAP_HANDLER: 0
; COMPUTE_PGM_RSRC2:TGID_X_EN: 1
; COMPUTE_PGM_RSRC2:TGID_Y_EN: 0
; COMPUTE_PGM_RSRC2:TGID_Z_EN: 1
; COMPUTE_PGM_RSRC2:TIDIG_COMP_CNT: 0
	.section	.text._ZL36rocblas_gemvt_double_buffered_kernelILb0ELi128ELi8ELi8EfPKffEviiT4_lPKT3_lilS5_lilPT5_lili,"axG",@progbits,_ZL36rocblas_gemvt_double_buffered_kernelILb0ELi128ELi8ELi8EfPKffEviiT4_lPKT3_lilS5_lilPT5_lili,comdat
	.globl	_ZL36rocblas_gemvt_double_buffered_kernelILb0ELi128ELi8ELi8EfPKffEviiT4_lPKT3_lilS5_lilPT5_lili ; -- Begin function _ZL36rocblas_gemvt_double_buffered_kernelILb0ELi128ELi8ELi8EfPKffEviiT4_lPKT3_lilS5_lilPT5_lili
	.p2align	8
	.type	_ZL36rocblas_gemvt_double_buffered_kernelILb0ELi128ELi8ELi8EfPKffEviiT4_lPKT3_lilS5_lilPT5_lili,@function
_ZL36rocblas_gemvt_double_buffered_kernelILb0ELi128ELi8ELi8EfPKffEviiT4_lPKT3_lilS5_lilPT5_lili: ; @_ZL36rocblas_gemvt_double_buffered_kernelILb0ELi128ELi8ELi8EfPKffEviiT4_lPKT3_lilS5_lilPT5_lili
; %bb.0:
	s_load_b256 s[4:11], s[0:1], 0x8
	s_waitcnt lgkmcnt(0)
	s_mul_i32 s2, s15, s7
	s_mul_hi_u32 s3, s15, s6
	s_delay_alu instid0(SALU_CYCLE_1) | instskip(SKIP_1) | instid1(SALU_CYCLE_1)
	s_add_i32 s3, s3, s2
	s_mul_i32 s2, s15, s6
	s_lshl_b64 s[2:3], s[2:3], 2
	s_delay_alu instid0(SALU_CYCLE_1) | instskip(SKIP_4) | instid1(VALU_DEP_1)
	s_add_u32 s2, s4, s2
	s_addc_u32 s3, s5, s3
	s_load_b32 s22, s[2:3], 0x0
	s_waitcnt lgkmcnt(0)
	v_cmp_eq_f32_e64 s2, s22, 0
	s_and_b32 vcc_lo, exec_lo, s2
	s_cbranch_vccnz .LBB24_11
; %bb.1:
	s_clause 0x1
	s_load_b32 s2, s[0:1], 0x84
	s_load_b32 s3, s[0:1], 0x0
	s_waitcnt lgkmcnt(0)
	v_cvt_f32_u32_e32 v1, s2
	s_ashr_i32 s5, s3, 31
	s_sub_i32 s6, 0, s2
	s_lshr_b32 s5, s5, 25
	s_delay_alu instid0(SALU_CYCLE_1) | instskip(SKIP_4) | instid1(VALU_DEP_1)
	s_add_i32 s3, s3, s5
	v_rcp_iflag_f32_e32 v1, v1
	s_ashr_i32 s3, s3, 7
	s_waitcnt_depctr 0xfff
	v_mul_f32_e32 v1, 0x4f7ffffe, v1
	v_cvt_u32_f32_e32 v1, v1
	s_delay_alu instid0(VALU_DEP_1) | instskip(NEXT) | instid1(VALU_DEP_1)
	v_readfirstlane_b32 s4, v1
	s_mul_i32 s6, s6, s4
	s_delay_alu instid0(SALU_CYCLE_1) | instskip(NEXT) | instid1(SALU_CYCLE_1)
	s_mul_hi_u32 s5, s4, s6
	s_add_i32 s4, s4, s5
	s_delay_alu instid0(SALU_CYCLE_1) | instskip(NEXT) | instid1(SALU_CYCLE_1)
	s_mul_hi_u32 s4, s3, s4
	s_mul_i32 s5, s4, s2
	s_add_i32 s6, s4, 1
	s_sub_i32 s5, s3, s5
	s_delay_alu instid0(SALU_CYCLE_1)
	s_sub_i32 s7, s5, s2
	s_cmp_ge_u32 s5, s2
	s_cselect_b32 s4, s6, s4
	s_cselect_b32 s5, s7, s5
	s_add_i32 s6, s4, 1
	s_cmp_ge_u32 s5, s2
	s_cselect_b32 s12, s6, s4
	s_delay_alu instid0(SALU_CYCLE_1) | instskip(NEXT) | instid1(SALU_CYCLE_1)
	s_mul_i32 s2, s12, s2
	s_sub_i32 s18, s3, s2
	s_delay_alu instid0(SALU_CYCLE_1) | instskip(SKIP_1) | instid1(SALU_CYCLE_1)
	s_cmp_lt_u32 s14, s18
	s_cselect_b32 s2, -1, 0
	s_cmp_lg_u32 s2, 0
	s_addc_u32 s23, s12, 0
	s_delay_alu instid0(SALU_CYCLE_1)
	s_cmp_eq_u32 s23, 0
	s_cbranch_scc1 .LBB24_11
; %bb.2:
	v_dual_mov_b32 v37, 0 :: v_dual_and_b32 v10, 0x3ff, v0
	v_bfe_u32 v11, v0, 10, 10
	s_clause 0x1
	s_load_b128 s[4:7], s[0:1], 0x50
	s_load_b64 s[16:17], s[0:1], 0x60
	s_lshl_b32 s2, s13, 7
	v_dual_mov_b32 v1, 0 :: v_dual_and_b32 v0, 63, v10
	v_lshl_add_u32 v2, v11, 7, v10
	v_dual_mov_b32 v32, 0 :: v_dual_mov_b32 v39, 0
	v_dual_mov_b32 v36, 0 :: v_dual_mov_b32 v41, 0
	s_delay_alu instid0(VALU_DEP_3)
	v_lshrrev_b32_e32 v13, 3, v2
	v_mov_b32_e32 v38, 0
	v_mov_b32_e32 v40, 0
	v_lshlrev_b32_e32 v12, 2, v0
	s_ashr_i32 s3, s2, 31
	v_and_b32_e32 v14, 0x7ff8, v13
	s_cmp_lt_i32 s23, 1
	s_cbranch_scc1 .LBB24_8
; %bb.3:
	v_cvt_f64_i32_e32 v[3:4], s14
	v_cvt_f64_u32_e32 v[5:6], s18
	s_mul_i32 s12, s12, s14
	s_clause 0x1
	s_load_b128 s[24:27], s[0:1], 0x30
	s_load_b32 s18, s[0:1], 0x28
	v_cvt_f64_u32_e32 v[7:8], s12
	s_clause 0x1
	s_load_b32 s12, s[0:1], 0x48
	s_load_b64 s[20:21], s[0:1], 0x40
	s_waitcnt lgkmcnt(0)
	s_mul_i32 s5, s15, s5
	s_mul_hi_u32 s14, s15, s4
	s_mul_i32 s4, s15, s4
	v_lshrrev_b32_e32 v2, 1, v2
	s_delay_alu instid0(VALU_DEP_1)
	v_dual_mov_b32 v1, 0 :: v_dual_and_b32 v2, 0x1ffe0, v2
	s_mul_i32 s13, s15, s25
	s_mul_hi_u32 s19, s15, s24
	s_mul_i32 s24, s15, s24
	s_add_i32 s25, s19, s13
	s_ashr_i32 s19, s18, 31
	s_lshl_b64 s[28:29], s[24:25], 2
	s_ashr_i32 s13, s12, 31
	s_add_u32 s24, s8, s28
	s_addc_u32 s25, s9, s29
	s_lshl_b64 s[30:31], s[10:11], 2
	s_mul_hi_i32 s11, s18, s2
	s_add_u32 s33, s24, s30
	s_addc_u32 s25, s25, s31
	s_add_i32 s5, s14, s5
	s_mul_i32 s10, s18, s2
	s_lshl_b64 s[4:5], s[4:5], 2
	s_delay_alu instid0(VALU_DEP_4) | instskip(SKIP_3) | instid1(SALU_CYCLE_1)
	v_min_f64 v[3:4], v[3:4], v[5:6]
	s_add_u32 s14, s26, s4
	s_addc_u32 s24, s27, s5
	s_lshl_b64 s[4:5], s[20:21], 2
	s_add_u32 s14, s14, s4
	s_addc_u32 s24, s24, s5
	s_lshl_b64 s[4:5], s[10:11], 2
	s_delay_alu instid0(SALU_CYCLE_1) | instskip(SKIP_1) | instid1(VALU_DEP_1)
	s_add_u32 s10, s33, s4
	s_addc_u32 s11, s25, s5
	v_add_f64 v[3:4], v[3:4], v[7:8]
	s_delay_alu instid0(VALU_DEP_1) | instskip(SKIP_1) | instid1(VALU_DEP_1)
	v_cvt_i32_f64_e32 v5, v[3:4]
	v_mad_i64_i32 v[3:4], null, s18, v14, v[0:1]
	v_lshlrev_b64 v[3:4], 2, v[3:4]
	s_delay_alu instid0(VALU_DEP_3) | instskip(NEXT) | instid1(VALU_DEP_1)
	v_readfirstlane_b32 s20, v5
	s_lshl_b32 s4, s20, 7
	s_delay_alu instid0(SALU_CYCLE_1) | instskip(NEXT) | instid1(SALU_CYCLE_1)
	s_ashr_i32 s5, s4, 31
	s_lshl_b64 s[20:21], s[4:5], 2
	s_delay_alu instid0(SALU_CYCLE_1)
	s_add_u32 s4, s10, s20
	s_addc_u32 s5, s11, s21
	v_add_co_u32 v3, vcc_lo, s4, v3
	v_add_co_ci_u32_e32 v4, vcc_lo, s5, v4, vcc_lo
	s_lshl_b64 s[4:5], s[18:19], 2
	s_lshl_b64 s[10:11], s[2:3], 2
	s_delay_alu instid0(VALU_DEP_2) | instskip(NEXT) | instid1(VALU_DEP_2)
	v_add_co_u32 v5, vcc_lo, v3, s4
	v_add_co_ci_u32_e32 v6, vcc_lo, s5, v4, vcc_lo
	s_clause 0x1
	global_load_b32 v21, v[3:4], off
	global_load_b32 v22, v[5:6], off
	v_add_co_u32 v7, vcc_lo, v5, s4
	v_add_co_ci_u32_e32 v8, vcc_lo, s5, v6, vcc_lo
	v_add_co_u32 v32, s3, v2, s10
	s_delay_alu instid0(VALU_DEP_3) | instskip(NEXT) | instid1(VALU_DEP_3)
	v_add_co_u32 v15, vcc_lo, v7, s4
	v_add_co_ci_u32_e32 v16, vcc_lo, s5, v8, vcc_lo
	global_load_b32 v23, v[7:8], off
	v_add_co_u32 v17, vcc_lo, v15, s4
	v_add_co_ci_u32_e32 v18, vcc_lo, s5, v16, vcc_lo
	v_add_co_ci_u32_e64 v36, null, 0, s11, s3
	s_delay_alu instid0(VALU_DEP_3) | instskip(NEXT) | instid1(VALU_DEP_3)
	v_add_co_u32 v19, vcc_lo, v17, s4
	v_add_co_ci_u32_e32 v20, vcc_lo, s5, v18, vcc_lo
	s_add_i32 s25, s23, -1
	s_delay_alu instid0(VALU_DEP_2) | instskip(NEXT) | instid1(VALU_DEP_2)
	v_add_co_u32 v3, vcc_lo, v19, s4
	v_add_co_ci_u32_e32 v4, vcc_lo, s5, v20, vcc_lo
	s_lshl_b64 s[10:11], s[12:13], 9
	s_delay_alu instid0(VALU_DEP_2) | instskip(NEXT) | instid1(VALU_DEP_2)
	v_add_co_u32 v5, vcc_lo, v3, s4
	v_add_co_ci_u32_e32 v6, vcc_lo, s5, v4, vcc_lo
	global_load_b32 v24, v[15:16], off
	global_load_b32 v25, v[17:18], off
	;; [unrolled: 1-line block ×5, first 2 shown]
	v_add_co_u32 v4, vcc_lo, v32, 4
	s_add_u32 s3, s8, s20
	s_addc_u32 s8, s9, s21
	v_add_co_ci_u32_e32 v5, vcc_lo, 0, v36, vcc_lo
	s_add_u32 s3, s3, s30
	s_addc_u32 s9, s8, s31
	s_add_u32 s8, s3, s28
	s_addc_u32 s9, s9, s29
	v_mul_lo_u32 v5, v5, s18
	v_mad_u64_u32 v[2:3], null, v4, s18, s[8:9]
	v_mul_lo_u32 v4, v4, s19
	v_add_co_u32 v6, vcc_lo, v32, 8
	v_or_b32_e32 v37, s20, v12
	s_mul_i32 s3, s21, s12
	v_mov_b32_e32 v41, v1
	s_delay_alu instid0(VALU_DEP_3)
	v_mul_lo_u32 v8, v6, s19
	v_mov_b32_e32 v40, v1
	v_add3_u32 v7, v5, v3, v4
	v_add_co_ci_u32_e32 v5, vcc_lo, 0, v36, vcc_lo
	v_add_co_u32 v9, vcc_lo, v32, 12
	v_mad_u64_u32 v[3:4], null, v6, s18, s[8:9]
	v_add_co_ci_u32_e32 v15, vcc_lo, 0, v36, vcc_lo
	s_delay_alu instid0(VALU_DEP_4) | instskip(NEXT) | instid1(VALU_DEP_4)
	v_mul_lo_u32 v17, v5, s18
	v_mad_u64_u32 v[5:6], null, v9, s18, s[8:9]
	s_delay_alu instid0(VALU_DEP_3)
	v_mul_lo_u32 v18, v15, s18
	v_add_co_u32 v15, vcc_lo, 0x200, v2
	v_mul_lo_u32 v9, v9, s19
	v_add_co_ci_u32_e32 v16, vcc_lo, 0, v7, vcc_lo
	v_add3_u32 v2, v17, v4, v8
	v_add_co_u32 v4, vcc_lo, v32, 16
	v_add_co_ci_u32_e32 v8, vcc_lo, 0, v36, vcc_lo
	v_add3_u32 v9, v18, v6, v9
	s_delay_alu instid0(VALU_DEP_3) | instskip(SKIP_1) | instid1(VALU_DEP_4)
	v_mad_u64_u32 v[6:7], null, v4, s18, s[8:9]
	v_mul_lo_u32 v4, v4, s19
	v_mul_lo_u32 v8, v8, s18
	v_add_co_u32 v17, vcc_lo, 0x200, v3
	v_add_co_ci_u32_e32 v18, vcc_lo, 0, v2, vcc_lo
	v_add_co_u32 v19, vcc_lo, 0x200, v5
	v_add_co_ci_u32_e32 v20, vcc_lo, 0, v9, vcc_lo
	v_add_co_u32 v5, vcc_lo, v32, 20
	v_add3_u32 v7, v8, v7, v4
	v_add_co_ci_u32_e32 v4, vcc_lo, 0, v36, vcc_lo
	v_add_co_u32 v9, vcc_lo, v32, 24
	v_add_co_ci_u32_e32 v29, vcc_lo, 0, v36, vcc_lo
	v_mad_u64_u32 v[2:3], null, v5, s18, s[8:9]
	v_mul_lo_u32 v8, v5, s19
	s_delay_alu instid0(VALU_DEP_3)
	v_mul_lo_u32 v33, v29, s18
	v_add_co_u32 v29, vcc_lo, 0x200, v6
	v_mul_lo_u32 v31, v4, s18
	v_mad_u64_u32 v[4:5], null, v9, s18, s[8:9]
	v_mul_lo_u32 v9, v9, s19
	v_add_co_ci_u32_e32 v30, vcc_lo, 0, v7, vcc_lo
	v_add_co_u32 v6, vcc_lo, v32, 28
	v_add_co_ci_u32_e32 v7, vcc_lo, 0, v36, vcc_lo
	v_add3_u32 v3, v31, v3, v8
	v_add3_u32 v5, v33, v5, v9
	s_delay_alu instid0(VALU_DEP_4)
	v_mad_u64_u32 v[8:9], null, v6, s18, s[8:9]
	v_mul_lo_u32 v6, v6, s19
	v_mul_lo_u32 v7, v7, s18
	v_add_co_u32 v31, vcc_lo, 0x200, v2
	v_or_b32_e32 v38, 0x100, v37
	v_add_co_ci_u32_e32 v33, vcc_lo, 0, v3, vcc_lo
	v_add_co_u32 v34, vcc_lo, 0x200, v4
	v_add_co_ci_u32_e32 v35, vcc_lo, 0, v5, vcc_lo
	v_add3_u32 v9, v7, v9, v6
	v_mad_u64_u32 v[2:3], null, v32, s18, s[8:9]
	v_mul_lo_u32 v32, v32, s19
	v_mul_lo_u32 v36, v36, s18
	;; [unrolled: 1-line block ×3, first 2 shown]
	v_mad_u64_u32 v[4:5], null, v37, s12, 0
	v_mul_lo_u32 v37, v38, s13
	v_mad_u64_u32 v[6:7], null, v38, s12, 0
	v_add_co_u32 v42, vcc_lo, 0x200, v8
	v_add_co_ci_u32_e32 v43, vcc_lo, 0, v9, vcc_lo
	v_add3_u32 v3, v36, v3, v32
	v_add3_u32 v5, v5, v39, s3
	;; [unrolled: 1-line block ×3, first 2 shown]
	v_mov_b32_e32 v39, v1
	v_mov_b32_e32 v38, v1
	;; [unrolled: 1-line block ×5, first 2 shown]
	s_mov_b32 s3, 0
	s_waitcnt vmcnt(6)
	v_dual_mov_b32 v44, v21 :: v_dual_mov_b32 v45, v22
	s_waitcnt vmcnt(4)
	v_dual_mov_b32 v46, v23 :: v_dual_mov_b32 v47, v24
	;; [unrolled: 2-line block ×4, first 2 shown]
.LBB24_4:                               ; =>This Inner Loop Header: Depth=1
	v_add_co_u32 v8, vcc_lo, v2, v12
	v_add_co_ci_u32_e32 v9, vcc_lo, 0, v3, vcc_lo
	s_cmp_lg_u32 s25, s3
	s_delay_alu instid0(VALU_DEP_2) | instskip(NEXT) | instid1(VALU_DEP_2)
	v_add_co_u32 v52, vcc_lo, 0x100, v8
	v_add_co_ci_u32_e32 v54, vcc_lo, 0, v9, vcc_lo
	s_delay_alu instid0(VALU_DEP_2) | instskip(NEXT) | instid1(VALU_DEP_2)
	v_add_co_u32 v53, vcc_lo, v52, s4
	v_add_co_ci_u32_e32 v54, vcc_lo, s5, v54, vcc_lo
	s_delay_alu instid0(VALU_DEP_2) | instskip(NEXT) | instid1(VALU_DEP_2)
	v_add_co_u32 v55, vcc_lo, v53, s4
	v_add_co_ci_u32_e32 v56, vcc_lo, s5, v54, vcc_lo
	s_delay_alu instid0(VALU_DEP_2) | instskip(NEXT) | instid1(VALU_DEP_2)
	v_add_co_u32 v57, vcc_lo, v55, s4
	v_add_co_ci_u32_e32 v58, vcc_lo, s5, v56, vcc_lo
	s_delay_alu instid0(VALU_DEP_2) | instskip(NEXT) | instid1(VALU_DEP_2)
	v_add_co_u32 v59, vcc_lo, v57, s4
	v_add_co_ci_u32_e32 v60, vcc_lo, s5, v58, vcc_lo
	s_delay_alu instid0(VALU_DEP_2) | instskip(NEXT) | instid1(VALU_DEP_2)
	v_add_co_u32 v61, vcc_lo, v59, s4
	v_add_co_ci_u32_e32 v62, vcc_lo, s5, v60, vcc_lo
	s_delay_alu instid0(VALU_DEP_2) | instskip(NEXT) | instid1(VALU_DEP_2)
	v_add_co_u32 v63, vcc_lo, v61, s4
	v_add_co_ci_u32_e32 v64, vcc_lo, s5, v62, vcc_lo
	v_add_co_u32 v65, vcc_lo, s14, v4
	v_add_co_ci_u32_e32 v66, vcc_lo, s24, v5, vcc_lo
	s_delay_alu instid0(VALU_DEP_4) | instskip(NEXT) | instid1(VALU_DEP_4)
	v_add_co_u32 v67, vcc_lo, v63, s4
	v_add_co_ci_u32_e32 v68, vcc_lo, s5, v64, vcc_lo
	s_clause 0x4
	global_load_b32 v52, v[8:9], off offset:256
	global_load_b32 v53, v[53:54], off
	global_load_b32 v54, v[55:56], off
	;; [unrolled: 1-line block ×8, first 2 shown]
	s_cbranch_scc0 .LBB24_6
; %bb.5:                                ;   in Loop: Header=BB24_4 Depth=1
	v_add_co_u32 v45, vcc_lo, v15, v12
	v_add_co_ci_u32_e32 v46, vcc_lo, 0, v16, vcc_lo
	v_add_co_u32 v47, vcc_lo, v17, v12
	v_add_co_ci_u32_e32 v48, vcc_lo, 0, v18, vcc_lo
	global_load_b32 v44, v[8:9], off offset:512
	global_load_b32 v45, v[45:46], off
	global_load_b32 v46, v[47:48], off
	v_add_co_u32 v8, vcc_lo, v19, v12
	v_add_co_ci_u32_e32 v9, vcc_lo, 0, v20, vcc_lo
	v_add_co_u32 v48, vcc_lo, v29, v12
	v_add_co_ci_u32_e32 v49, vcc_lo, 0, v30, vcc_lo
	v_add_co_u32 v50, vcc_lo, v31, v12
	v_add_co_ci_u32_e32 v51, vcc_lo, 0, v33, vcc_lo
	v_add_co_u32 v61, vcc_lo, v34, v12
	v_add_co_ci_u32_e32 v62, vcc_lo, 0, v35, vcc_lo
	v_add_co_u32 v63, vcc_lo, v42, v12
	v_add_co_ci_u32_e32 v64, vcc_lo, 0, v43, vcc_lo
	global_load_b32 v47, v[8:9], off
	global_load_b32 v48, v[48:49], off
	global_load_b32 v49, v[50:51], off
	global_load_b32 v50, v[61:62], off
	global_load_b32 v51, v[63:64], off
.LBB24_6:                               ;   in Loop: Header=BB24_4 Depth=1
	v_add_co_u32 v8, vcc_lo, s14, v6
	v_add_co_ci_u32_e32 v9, vcc_lo, s24, v7, vcc_lo
	v_add_co_u32 v15, vcc_lo, 0x200, v15
	v_add_co_ci_u32_e32 v16, vcc_lo, 0, v16, vcc_lo
	global_load_b32 v8, v[8:9], off
	v_add_co_u32 v17, vcc_lo, 0x200, v17
	v_add_co_ci_u32_e32 v18, vcc_lo, 0, v18, vcc_lo
	v_add_co_u32 v19, vcc_lo, 0x200, v19
	v_add_co_ci_u32_e32 v20, vcc_lo, 0, v20, vcc_lo
	;; [unrolled: 2-line block ×5, first 2 shown]
	s_waitcnt vmcnt(1)
	v_fmac_f32_e32 v1, v21, v60
	v_fmac_f32_e32 v41, v22, v60
	;; [unrolled: 1-line block ×8, first 2 shown]
	v_add_co_u32 v42, vcc_lo, 0x200, v42
	v_add_co_ci_u32_e32 v43, vcc_lo, 0, v43, vcc_lo
	v_add_co_u32 v2, vcc_lo, 0x200, v2
	s_add_i32 s3, s3, 1
	v_add_co_ci_u32_e32 v3, vcc_lo, 0, v3, vcc_lo
	s_add_u32 s14, s14, s10
	s_addc_u32 s24, s24, s11
	s_cmp_ge_i32 s3, s23
	s_waitcnt vmcnt(0)
	v_fmac_f32_e32 v1, v52, v8
	v_fmac_f32_e32 v41, v53, v8
	;; [unrolled: 1-line block ×8, first 2 shown]
	s_cbranch_scc1 .LBB24_8
; %bb.7:                                ;   in Loop: Header=BB24_4 Depth=1
	v_dual_mov_b32 v21, v44 :: v_dual_mov_b32 v22, v45
	v_dual_mov_b32 v23, v46 :: v_dual_mov_b32 v24, v47
	v_dual_mov_b32 v25, v48 :: v_dual_mov_b32 v26, v49
	v_dual_mov_b32 v27, v50 :: v_dual_mov_b32 v28, v51
	s_branch .LBB24_4
.LBB24_8:
	v_lshlrev_b32_e32 v2, 8, v13
	s_delay_alu instid0(VALU_DEP_2)
	v_lshl_or_b32 v3, v14, 8, v12
	s_mov_b32 s3, 0
	s_waitcnt lgkmcnt(0)
	s_mov_b32 s4, exec_lo
	v_or3_b32 v2, v2, v12, 0x700
	ds_store_2addr_stride64_b32 v3, v1, v41 offset1:1
	ds_store_2addr_stride64_b32 v3, v39, v40 offset0:2 offset1:3
	ds_store_2addr_stride64_b32 v3, v38, v37 offset0:4 offset1:5
	ds_store_b32 v3, v36 offset:1536
	ds_store_b32 v2, v32
	s_waitcnt lgkmcnt(0)
	s_barrier
	buffer_gl0_inv
	v_cmpx_eq_u32_e32 0, v11
	s_cbranch_execz .LBB24_11
; %bb.9:
	v_lshlrev_b32_e32 v2, 6, v10
	v_add_nc_u32_e32 v1, 1, v10
	s_clause 0x1
	s_load_b32 s4, s[0:1], 0x68
	s_load_b64 s[0:1], s[0:1], 0x70
	v_add_nc_u32_e32 v5, 4, v10
	v_add_nc_u32_e32 v7, 5, v10
	v_or_b32_e32 v4, v0, v2
	v_add_nc_u32_e32 v0, 2, v10
	v_and_or_b32 v1, v1, 63, v2
	v_add_nc_u32_e32 v8, 6, v10
	v_add_nc_u32_e32 v9, 7, v10
	v_lshlrev_b32_e32 v6, 2, v4
	v_and_or_b32 v0, v0, 63, v2
	v_add_nc_u32_e32 v11, 8, v10
	v_add_nc_u32_e32 v12, 9, v10
	;; [unrolled: 1-line block ×3, first 2 shown]
	ds_load_b32 v6, v6
	v_lshlrev_b32_e32 v1, 2, v1
	v_lshlrev_b32_e32 v0, 2, v0
	v_add_nc_u32_e32 v14, 11, v10
	v_add_nc_u32_e32 v15, 13, v10
	;; [unrolled: 1-line block ×3, first 2 shown]
	ds_load_b32 v1, v1
	ds_load_b32 v0, v0
	v_add_nc_u32_e32 v17, 15, v10
	s_waitcnt lgkmcnt(0)
	s_mul_i32 s1, s15, s1
	s_mul_hi_u32 s5, s15, s0
	s_mul_i32 s0, s15, s0
	s_add_i32 s1, s5, s1
	v_xor_b32_e32 v4, 32, v4
	s_lshl_b64 s[0:1], s[0:1], 2
	s_delay_alu instid0(SALU_CYCLE_1)
	s_add_u32 s6, s6, s0
	s_addc_u32 s5, s7, s1
	s_lshl_b64 s[0:1], s[16:17], 2
	s_mul_hi_i32 s7, s4, s2
	v_add_f32_e32 v6, 0, v6
	s_add_u32 s8, s6, s0
	s_mul_i32 s6, s4, s2
	s_addc_u32 s2, s5, s1
	s_lshl_b64 s[0:1], s[6:7], 2
	v_dual_add_f32 v1, v6, v1 :: v_dual_lshlrev_b32 v4, 2, v4
	v_add_nc_u32_e32 v3, 3, v10
	v_and_or_b32 v5, v5, 63, v2
	v_and_or_b32 v7, v7, 63, v2
	;; [unrolled: 1-line block ×3, first 2 shown]
	v_add_f32_e32 v0, v1, v0
	v_and_or_b32 v3, v3, 63, v2
	v_and_or_b32 v9, v9, 63, v2
	v_lshlrev_b32_e32 v5, 2, v5
	v_lshlrev_b32_e32 v7, 2, v7
	;; [unrolled: 1-line block ×5, first 2 shown]
	v_and_or_b32 v1, v11, 63, v2
	ds_load_b32 v3, v3
	ds_load_b32 v5, v5
	;; [unrolled: 1-line block ×5, first 2 shown]
	v_and_or_b32 v12, v12, 63, v2
	v_lshlrev_b32_e32 v1, 2, v1
	v_and_or_b32 v13, v13, 63, v2
	v_add_nc_u32_e32 v6, 12, v10
	v_add_nc_u32_e32 v11, 16, v10
	v_lshlrev_b32_e32 v12, 2, v12
	ds_load_b32 v1, v1
	v_lshlrev_b32_e32 v13, 2, v13
	v_and_or_b32 v6, v6, 63, v2
	v_and_or_b32 v11, v11, 63, v2
	s_add_u32 s0, s8, s0
	s_addc_u32 s1, s2, s1
	s_delay_alu instid0(VALU_DEP_2) | instskip(NEXT) | instid1(VALU_DEP_2)
	v_lshlrev_b32_e32 v6, 2, v6
	v_lshlrev_b32_e32 v11, 2, v11
	s_waitcnt lgkmcnt(5)
	v_add_f32_e32 v0, v0, v3
	v_and_or_b32 v3, v14, 63, v2
	v_and_or_b32 v14, v16, 63, v2
	v_add_nc_u32_e32 v16, 22, v10
	s_waitcnt lgkmcnt(4)
	v_add_f32_e32 v0, v0, v5
	v_and_or_b32 v5, v15, 63, v2
	v_lshlrev_b32_e32 v3, 2, v3
	s_waitcnt lgkmcnt(3)
	s_delay_alu instid0(VALU_DEP_3)
	v_dual_add_f32 v0, v0, v7 :: v_dual_add_nc_u32 v15, 20, v10
	ds_load_b32 v7, v12
	s_waitcnt lgkmcnt(3)
	v_dual_add_f32 v0, v0, v8 :: v_dual_lshlrev_b32 v5, 2, v5
	ds_load_b32 v8, v13
	v_and_or_b32 v12, v17, 63, v2
	v_lshlrev_b32_e32 v13, 2, v14
	v_add_nc_u32_e32 v14, 19, v10
	s_waitcnt lgkmcnt(3)
	v_dual_add_f32 v0, v0, v9 :: v_dual_add_nc_u32 v17, 23, v10
	v_lshlrev_b32_e32 v12, 2, v12
	ds_load_b32 v3, v3
	ds_load_b32 v6, v6
	;; [unrolled: 1-line block ×5, first 2 shown]
	s_waitcnt lgkmcnt(7)
	v_dual_add_f32 v0, v0, v1 :: v_dual_add_nc_u32 v13, 18, v10
	s_waitcnt lgkmcnt(6)
	s_delay_alu instid0(VALU_DEP_1) | instskip(NEXT) | instid1(VALU_DEP_1)
	v_dual_add_f32 v0, v0, v7 :: v_dual_add_nc_u32 v1, 17, v10
	v_and_or_b32 v1, v1, 63, v2
	s_waitcnt lgkmcnt(5)
	s_delay_alu instid0(VALU_DEP_2) | instskip(SKIP_1) | instid1(VALU_DEP_3)
	v_dual_add_f32 v0, v0, v8 :: v_dual_add_nc_u32 v7, 21, v10
	v_and_or_b32 v8, v13, 63, v2
	v_lshlrev_b32_e32 v1, 2, v1
	v_and_or_b32 v13, v14, 63, v2
	v_and_or_b32 v14, v15, 63, v2
	s_waitcnt lgkmcnt(4)
	v_add_f32_e32 v0, v0, v3
	v_and_or_b32 v3, v7, 63, v2
	v_and_or_b32 v7, v16, 63, v2
	;; [unrolled: 1-line block ×3, first 2 shown]
	s_waitcnt lgkmcnt(3)
	v_add_f32_e32 v0, v0, v6
	v_lshlrev_b32_e32 v6, 2, v8
	ds_load_b32 v8, v1
	v_lshlrev_b32_e32 v3, 2, v3
	s_waitcnt lgkmcnt(3)
	v_dual_add_f32 v0, v0, v5 :: v_dual_lshlrev_b32 v7, 2, v7
	ds_load_b32 v5, v11
	ds_load_b32 v6, v6
	v_lshlrev_b32_e32 v1, 2, v13
	s_waitcnt lgkmcnt(4)
	v_dual_add_f32 v0, v0, v9 :: v_dual_lshlrev_b32 v11, 2, v15
	v_lshlrev_b32_e32 v9, 2, v14
	v_add_nc_u32_e32 v14, 31, v10
	s_waitcnt lgkmcnt(3)
	s_delay_alu instid0(VALU_DEP_3)
	v_add_f32_e32 v0, v0, v12
	ds_load_b32 v12, v1
	ds_load_b32 v9, v9
	;; [unrolled: 1-line block ×5, first 2 shown]
	v_and_or_b32 v14, v14, 63, v2
	s_waitcnt lgkmcnt(6)
	s_delay_alu instid0(VALU_DEP_1) | instskip(SKIP_1) | instid1(VALU_DEP_2)
	v_dual_add_f32 v3, v0, v5 :: v_dual_lshlrev_b32 v14, 2, v14
	v_mad_i64_i32 v[0:1], null, s4, v10, 0
	v_dual_add_f32 v3, v3, v8 :: v_dual_add_nc_u32 v8, 25, v10
	s_delay_alu instid0(VALU_DEP_2) | instskip(SKIP_1) | instid1(VALU_DEP_2)
	v_lshlrev_b64 v[0:1], 2, v[0:1]
	s_waitcnt lgkmcnt(5)
	v_add_f32_e32 v3, v3, v6
	v_add_nc_u32_e32 v6, 24, v10
	s_delay_alu instid0(VALU_DEP_3) | instskip(SKIP_1) | instid1(VALU_DEP_3)
	v_add_co_u32 v0, vcc_lo, s0, v0
	s_waitcnt lgkmcnt(4)
	v_add_f32_e32 v3, v3, v12
	v_add_co_ci_u32_e32 v1, vcc_lo, s1, v1, vcc_lo
	v_and_or_b32 v6, v6, 63, v2
	s_waitcnt lgkmcnt(3)
	s_delay_alu instid0(VALU_DEP_3)
	v_dual_add_f32 v5, v3, v9 :: v_dual_add_nc_u32 v12, 27, v10
	global_load_b32 v3, v[0:1], off
	v_add_nc_u32_e32 v9, 26, v10
	s_waitcnt lgkmcnt(2)
	v_dual_add_f32 v5, v5, v13 :: v_dual_lshlrev_b32 v6, 2, v6
	v_add_nc_u32_e32 v13, 30, v10
	ds_load_b32 v6, v6
	s_waitcnt lgkmcnt(2)
	v_add_f32_e32 v5, v5, v7
	v_and_or_b32 v7, v8, 63, v2
	v_and_or_b32 v8, v9, 63, v2
	;; [unrolled: 1-line block ×3, first 2 shown]
	s_waitcnt lgkmcnt(1)
	v_dual_add_f32 v5, v5, v11 :: v_dual_add_nc_u32 v12, 29, v10
	v_lshlrev_b32_e32 v7, 2, v7
	v_lshlrev_b32_e32 v8, 2, v8
	v_add_nc_u32_e32 v11, 28, v10
	s_delay_alu instid0(VALU_DEP_4)
	v_and_or_b32 v12, v12, 63, v2
	v_and_or_b32 v13, v13, 63, v2
	ds_load_b32 v7, v7
	ds_load_b32 v8, v8
	v_and_or_b32 v11, v11, 63, v2
	v_lshlrev_b32_e32 v9, 2, v9
	v_lshlrev_b32_e32 v12, 2, v12
	;; [unrolled: 1-line block ×3, first 2 shown]
	s_delay_alu instid0(VALU_DEP_4)
	v_lshlrev_b32_e32 v11, 2, v11
	ds_load_b32 v9, v9
	ds_load_b32 v11, v11
	;; [unrolled: 1-line block ×5, first 2 shown]
	s_waitcnt lgkmcnt(7)
	v_add_f32_e32 v5, v5, v6
	v_add_nc_u32_e32 v6, 33, v10
	ds_load_b32 v4, v4
	v_and_or_b32 v6, v6, 63, v2
	s_waitcnt lgkmcnt(7)
	v_add_f32_e32 v5, v5, v7
	v_add_nc_u32_e32 v7, 34, v10
	s_waitcnt lgkmcnt(6)
	s_delay_alu instid0(VALU_DEP_2) | instskip(NEXT) | instid1(VALU_DEP_2)
	v_dual_add_f32 v5, v5, v8 :: v_dual_lshlrev_b32 v6, 2, v6
	v_and_or_b32 v7, v7, 63, v2
	v_add_nc_u32_e32 v8, 35, v10
	ds_load_b32 v6, v6
	s_waitcnt lgkmcnt(6)
	v_add_f32_e32 v5, v5, v9
	v_lshlrev_b32_e32 v7, 2, v7
	v_add_nc_u32_e32 v9, 36, v10
	v_and_or_b32 v8, v8, 63, v2
	s_waitcnt lgkmcnt(5)
	v_add_f32_e32 v5, v5, v11
	v_add_nc_u32_e32 v11, 37, v10
	v_and_or_b32 v9, v9, 63, v2
	ds_load_b32 v7, v7
	v_lshlrev_b32_e32 v8, 2, v8
	s_waitcnt lgkmcnt(5)
	v_dual_add_f32 v5, v5, v12 :: v_dual_add_nc_u32 v12, 38, v10
	v_and_or_b32 v11, v11, 63, v2
	v_lshlrev_b32_e32 v9, 2, v9
	s_waitcnt lgkmcnt(4)
	s_delay_alu instid0(VALU_DEP_3)
	v_add_f32_e32 v5, v5, v13
	v_add_nc_u32_e32 v13, 39, v10
	v_and_or_b32 v12, v12, 63, v2
	v_lshlrev_b32_e32 v11, 2, v11
	s_waitcnt lgkmcnt(3)
	v_add_f32_e32 v5, v5, v14
	v_and_or_b32 v13, v13, 63, v2
	v_lshlrev_b32_e32 v12, 2, v12
	s_waitcnt lgkmcnt(2)
	s_delay_alu instid0(VALU_DEP_2)
	v_dual_add_f32 v4, v5, v4 :: v_dual_lshlrev_b32 v13, 2, v13
	ds_load_b32 v8, v8
	ds_load_b32 v9, v9
	;; [unrolled: 1-line block ×5, first 2 shown]
	v_add_nc_u32_e32 v5, 40, v10
	s_waitcnt lgkmcnt(6)
	v_add_f32_e32 v4, v4, v6
	v_add_nc_u32_e32 v6, 41, v10
	s_delay_alu instid0(VALU_DEP_3) | instskip(SKIP_1) | instid1(VALU_DEP_3)
	v_and_or_b32 v5, v5, 63, v2
	s_waitcnt lgkmcnt(5)
	v_dual_add_f32 v4, v4, v7 :: v_dual_add_nc_u32 v7, 42, v10
	s_delay_alu instid0(VALU_DEP_3) | instskip(NEXT) | instid1(VALU_DEP_3)
	v_and_or_b32 v6, v6, 63, v2
	v_lshlrev_b32_e32 v5, 2, v5
	s_delay_alu instid0(VALU_DEP_3) | instskip(NEXT) | instid1(VALU_DEP_3)
	v_and_or_b32 v7, v7, 63, v2
	v_lshlrev_b32_e32 v6, 2, v6
	s_waitcnt lgkmcnt(4)
	v_add_f32_e32 v4, v4, v8
	ds_load_b32 v5, v5
	v_add_nc_u32_e32 v8, 43, v10
	v_lshlrev_b32_e32 v7, 2, v7
	ds_load_b32 v6, v6
	s_waitcnt lgkmcnt(5)
	v_dual_add_f32 v4, v4, v9 :: v_dual_add_nc_u32 v9, 44, v10
	v_and_or_b32 v8, v8, 63, v2
	ds_load_b32 v7, v7
	s_waitcnt lgkmcnt(5)
	v_dual_add_f32 v4, v4, v11 :: v_dual_add_nc_u32 v11, 45, v10
	v_and_or_b32 v9, v9, 63, v2
	v_lshlrev_b32_e32 v8, 2, v8
	s_waitcnt lgkmcnt(4)
	s_delay_alu instid0(VALU_DEP_3)
	v_add_f32_e32 v4, v4, v12
	v_add_nc_u32_e32 v12, 46, v10
	v_and_or_b32 v11, v11, 63, v2
	v_lshlrev_b32_e32 v9, 2, v9
	s_waitcnt lgkmcnt(3)
	v_dual_add_f32 v4, v4, v13 :: v_dual_add_nc_u32 v13, 47, v10
	v_and_or_b32 v12, v12, 63, v2
	s_waitcnt lgkmcnt(2)
	s_delay_alu instid0(VALU_DEP_2) | instskip(NEXT) | instid1(VALU_DEP_3)
	v_dual_add_f32 v4, v4, v5 :: v_dual_lshlrev_b32 v11, 2, v11
	v_and_or_b32 v13, v13, 63, v2
	s_delay_alu instid0(VALU_DEP_3) | instskip(SKIP_2) | instid1(VALU_DEP_3)
	v_lshlrev_b32_e32 v12, 2, v12
	v_add_nc_u32_e32 v5, 48, v10
	s_waitcnt lgkmcnt(1)
	v_dual_add_f32 v4, v4, v6 :: v_dual_lshlrev_b32 v13, 2, v13
	ds_load_b32 v8, v8
	ds_load_b32 v9, v9
	;; [unrolled: 1-line block ×5, first 2 shown]
	v_add_nc_u32_e32 v6, 49, v10
	v_and_or_b32 v5, v5, 63, v2
	s_waitcnt lgkmcnt(5)
	v_dual_add_f32 v4, v4, v7 :: v_dual_add_nc_u32 v7, 50, v10
	s_delay_alu instid0(VALU_DEP_3) | instskip(NEXT) | instid1(VALU_DEP_3)
	v_and_or_b32 v6, v6, 63, v2
	v_lshlrev_b32_e32 v5, 2, v5
	s_delay_alu instid0(VALU_DEP_3) | instskip(NEXT) | instid1(VALU_DEP_3)
	v_and_or_b32 v7, v7, 63, v2
	v_lshlrev_b32_e32 v6, 2, v6
	ds_load_b32 v5, v5
	v_lshlrev_b32_e32 v7, 2, v7
	ds_load_b32 v6, v6
	s_waitcnt lgkmcnt(6)
	v_add_f32_e32 v4, v4, v8
	v_add_nc_u32_e32 v8, 51, v10
	ds_load_b32 v7, v7
	s_waitcnt lgkmcnt(6)
	v_dual_add_f32 v4, v4, v9 :: v_dual_add_nc_u32 v9, 52, v10
	v_and_or_b32 v8, v8, 63, v2
	s_waitcnt lgkmcnt(5)
	s_delay_alu instid0(VALU_DEP_2) | instskip(NEXT) | instid1(VALU_DEP_3)
	v_dual_add_f32 v4, v4, v11 :: v_dual_add_nc_u32 v11, 53, v10
	v_and_or_b32 v9, v9, 63, v2
	s_delay_alu instid0(VALU_DEP_3) | instskip(SKIP_1) | instid1(VALU_DEP_3)
	v_lshlrev_b32_e32 v8, 2, v8
	s_waitcnt lgkmcnt(4)
	v_add_f32_e32 v4, v4, v12
	v_add_nc_u32_e32 v12, 54, v10
	v_and_or_b32 v11, v11, 63, v2
	v_lshlrev_b32_e32 v9, 2, v9
	s_waitcnt lgkmcnt(3)
	v_dual_add_f32 v4, v4, v13 :: v_dual_add_nc_u32 v13, 55, v10
	v_and_or_b32 v12, v12, 63, v2
	s_waitcnt lgkmcnt(2)
	s_delay_alu instid0(VALU_DEP_2) | instskip(NEXT) | instid1(VALU_DEP_3)
	v_dual_add_f32 v4, v4, v5 :: v_dual_lshlrev_b32 v11, 2, v11
	v_and_or_b32 v13, v13, 63, v2
	s_delay_alu instid0(VALU_DEP_3) | instskip(SKIP_2) | instid1(VALU_DEP_3)
	v_lshlrev_b32_e32 v12, 2, v12
	v_add_nc_u32_e32 v5, 56, v10
	s_waitcnt lgkmcnt(1)
	v_dual_add_f32 v4, v4, v6 :: v_dual_lshlrev_b32 v13, 2, v13
	ds_load_b32 v8, v8
	ds_load_b32 v9, v9
	ds_load_b32 v11, v11
	ds_load_b32 v12, v12
	ds_load_b32 v13, v13
	v_add_nc_u32_e32 v6, 57, v10
	v_and_or_b32 v5, v5, 63, v2
	s_waitcnt lgkmcnt(5)
	v_dual_add_f32 v4, v4, v7 :: v_dual_add_nc_u32 v7, 58, v10
	s_delay_alu instid0(VALU_DEP_3) | instskip(NEXT) | instid1(VALU_DEP_3)
	v_and_or_b32 v6, v6, 63, v2
	v_lshlrev_b32_e32 v5, 2, v5
	s_delay_alu instid0(VALU_DEP_3) | instskip(NEXT) | instid1(VALU_DEP_3)
	v_and_or_b32 v7, v7, 63, v2
	v_lshlrev_b32_e32 v6, 2, v6
	ds_load_b32 v5, v5
	v_lshlrev_b32_e32 v7, 2, v7
	ds_load_b32 v6, v6
	s_waitcnt lgkmcnt(6)
	v_add_f32_e32 v4, v4, v8
	v_add_nc_u32_e32 v8, 59, v10
	ds_load_b32 v7, v7
	s_waitcnt lgkmcnt(6)
	v_dual_add_f32 v4, v4, v9 :: v_dual_add_nc_u32 v9, 60, v10
	v_and_or_b32 v8, v8, 63, v2
	s_waitcnt lgkmcnt(5)
	s_delay_alu instid0(VALU_DEP_2) | instskip(NEXT) | instid1(VALU_DEP_3)
	v_dual_add_f32 v4, v4, v11 :: v_dual_add_nc_u32 v11, 61, v10
	v_and_or_b32 v9, v9, 63, v2
	s_delay_alu instid0(VALU_DEP_3) | instskip(SKIP_1) | instid1(VALU_DEP_3)
	v_lshlrev_b32_e32 v8, 2, v8
	s_waitcnt lgkmcnt(4)
	v_add_f32_e32 v4, v4, v12
	v_add_nc_u32_e32 v12, 62, v10
	v_add_nc_u32_e32 v10, -1, v10
	v_and_or_b32 v11, v11, 63, v2
	v_lshlrev_b32_e32 v9, 2, v9
	s_waitcnt lgkmcnt(3)
	v_add_f32_e32 v4, v4, v13
	v_and_or_b32 v12, v12, 63, v2
	v_and_or_b32 v2, v10, 63, v2
	v_lshlrev_b32_e32 v10, 2, v11
	s_waitcnt lgkmcnt(2)
	s_delay_alu instid0(VALU_DEP_3) | instskip(NEXT) | instid1(VALU_DEP_3)
	v_dual_add_f32 v4, v4, v5 :: v_dual_lshlrev_b32 v11, 2, v12
	v_lshlrev_b32_e32 v2, 2, v2
	ds_load_b32 v8, v8
	ds_load_b32 v9, v9
	;; [unrolled: 1-line block ×5, first 2 shown]
	s_waitcnt lgkmcnt(6)
	v_add_f32_e32 v4, v4, v6
	s_waitcnt lgkmcnt(5)
	s_delay_alu instid0(VALU_DEP_1) | instskip(SKIP_1) | instid1(VALU_DEP_1)
	v_add_f32_e32 v4, v4, v7
	s_waitcnt lgkmcnt(4)
	v_add_f32_e32 v4, v4, v8
	s_waitcnt lgkmcnt(3)
	s_delay_alu instid0(VALU_DEP_1) | instskip(SKIP_1) | instid1(VALU_DEP_1)
	v_add_f32_e32 v4, v4, v9
	;; [unrolled: 5-line block ×3, first 2 shown]
	s_waitcnt lgkmcnt(0)
	v_add_f32_e32 v2, v4, v2
	s_delay_alu instid0(VALU_DEP_1)
	v_mul_f32_e32 v4, s22, v2
.LBB24_10:                              ; =>This Inner Loop Header: Depth=1
	s_waitcnt vmcnt(0)
	s_delay_alu instid0(VALU_DEP_1)
	v_add_f32_e32 v2, v3, v4
	global_atomic_cmpswap_b32 v2, v[0:1], v[2:3], off glc
	s_waitcnt vmcnt(0)
	v_cmp_eq_u32_e32 vcc_lo, v2, v3
	v_mov_b32_e32 v3, v2
	s_or_b32 s3, vcc_lo, s3
	s_delay_alu instid0(SALU_CYCLE_1)
	s_and_not1_b32 exec_lo, exec_lo, s3
	s_cbranch_execnz .LBB24_10
.LBB24_11:
	s_endpgm
	.section	.rodata,"a",@progbits
	.p2align	6, 0x0
	.amdhsa_kernel _ZL36rocblas_gemvt_double_buffered_kernelILb0ELi128ELi8ELi8EfPKffEviiT4_lPKT3_lilS5_lilPT5_lili
		.amdhsa_group_segment_fixed_size 32768
		.amdhsa_private_segment_fixed_size 0
		.amdhsa_kernarg_size 384
		.amdhsa_user_sgpr_count 13
		.amdhsa_user_sgpr_dispatch_ptr 0
		.amdhsa_user_sgpr_queue_ptr 0
		.amdhsa_user_sgpr_kernarg_segment_ptr 1
		.amdhsa_user_sgpr_dispatch_id 0
		.amdhsa_user_sgpr_private_segment_size 0
		.amdhsa_wavefront_size32 1
		.amdhsa_uses_dynamic_stack 0
		.amdhsa_enable_private_segment 0
		.amdhsa_system_sgpr_workgroup_id_x 1
		.amdhsa_system_sgpr_workgroup_id_y 1
		.amdhsa_system_sgpr_workgroup_id_z 1
		.amdhsa_system_sgpr_workgroup_info 0
		.amdhsa_system_vgpr_workitem_id 1
		.amdhsa_next_free_vgpr 69
		.amdhsa_next_free_sgpr 34
		.amdhsa_reserve_vcc 1
		.amdhsa_float_round_mode_32 0
		.amdhsa_float_round_mode_16_64 0
		.amdhsa_float_denorm_mode_32 3
		.amdhsa_float_denorm_mode_16_64 3
		.amdhsa_dx10_clamp 1
		.amdhsa_ieee_mode 1
		.amdhsa_fp16_overflow 0
		.amdhsa_workgroup_processor_mode 1
		.amdhsa_memory_ordered 1
		.amdhsa_forward_progress 0
		.amdhsa_shared_vgpr_count 0
		.amdhsa_exception_fp_ieee_invalid_op 0
		.amdhsa_exception_fp_denorm_src 0
		.amdhsa_exception_fp_ieee_div_zero 0
		.amdhsa_exception_fp_ieee_overflow 0
		.amdhsa_exception_fp_ieee_underflow 0
		.amdhsa_exception_fp_ieee_inexact 0
		.amdhsa_exception_int_div_zero 0
	.end_amdhsa_kernel
	.section	.text._ZL36rocblas_gemvt_double_buffered_kernelILb0ELi128ELi8ELi8EfPKffEviiT4_lPKT3_lilS5_lilPT5_lili,"axG",@progbits,_ZL36rocblas_gemvt_double_buffered_kernelILb0ELi128ELi8ELi8EfPKffEviiT4_lPKT3_lilS5_lilPT5_lili,comdat
.Lfunc_end24:
	.size	_ZL36rocblas_gemvt_double_buffered_kernelILb0ELi128ELi8ELi8EfPKffEviiT4_lPKT3_lilS5_lilPT5_lili, .Lfunc_end24-_ZL36rocblas_gemvt_double_buffered_kernelILb0ELi128ELi8ELi8EfPKffEviiT4_lPKT3_lilS5_lilPT5_lili
                                        ; -- End function
	.section	.AMDGPU.csdata,"",@progbits
; Kernel info:
; codeLenInByte = 4624
; NumSgprs: 36
; NumVgprs: 69
; ScratchSize: 0
; MemoryBound: 0
; FloatMode: 240
; IeeeMode: 1
; LDSByteSize: 32768 bytes/workgroup (compile time only)
; SGPRBlocks: 4
; VGPRBlocks: 8
; NumSGPRsForWavesPerEU: 36
; NumVGPRsForWavesPerEU: 69
; Occupancy: 16
; WaveLimiterHint : 0
; COMPUTE_PGM_RSRC2:SCRATCH_EN: 0
; COMPUTE_PGM_RSRC2:USER_SGPR: 13
; COMPUTE_PGM_RSRC2:TRAP_HANDLER: 0
; COMPUTE_PGM_RSRC2:TGID_X_EN: 1
; COMPUTE_PGM_RSRC2:TGID_Y_EN: 1
; COMPUTE_PGM_RSRC2:TGID_Z_EN: 1
; COMPUTE_PGM_RSRC2:TIDIG_COMP_CNT: 1
	.section	.text._ZL36rocblas_gemvt_double_buffered_kernelILb0ELi128ELi8ELi8EfffEviiT4_lPKT3_lilS3_lilPT5_lili,"axG",@progbits,_ZL36rocblas_gemvt_double_buffered_kernelILb0ELi128ELi8ELi8EfffEviiT4_lPKT3_lilS3_lilPT5_lili,comdat
	.globl	_ZL36rocblas_gemvt_double_buffered_kernelILb0ELi128ELi8ELi8EfffEviiT4_lPKT3_lilS3_lilPT5_lili ; -- Begin function _ZL36rocblas_gemvt_double_buffered_kernelILb0ELi128ELi8ELi8EfffEviiT4_lPKT3_lilS3_lilPT5_lili
	.p2align	8
	.type	_ZL36rocblas_gemvt_double_buffered_kernelILb0ELi128ELi8ELi8EfffEviiT4_lPKT3_lilS3_lilPT5_lili,@function
_ZL36rocblas_gemvt_double_buffered_kernelILb0ELi128ELi8ELi8EfffEviiT4_lPKT3_lilS3_lilPT5_lili: ; @_ZL36rocblas_gemvt_double_buffered_kernelILb0ELi128ELi8ELi8EfffEviiT4_lPKT3_lilS3_lilPT5_lili
; %bb.0:
	s_load_b32 s22, s[0:1], 0x8
	s_waitcnt lgkmcnt(0)
	v_cmp_eq_f32_e64 s2, s22, 0
	s_delay_alu instid0(VALU_DEP_1)
	s_and_b32 vcc_lo, exec_lo, s2
	s_cbranch_vccnz .LBB25_11
; %bb.1:
	s_clause 0x1
	s_load_b32 s2, s[0:1], 0x84
	s_load_b32 s3, s[0:1], 0x0
	s_waitcnt lgkmcnt(0)
	v_cvt_f32_u32_e32 v1, s2
	s_ashr_i32 s5, s3, 31
	s_sub_i32 s6, 0, s2
	s_lshr_b32 s5, s5, 25
	s_delay_alu instid0(SALU_CYCLE_1) | instskip(SKIP_4) | instid1(VALU_DEP_1)
	s_add_i32 s3, s3, s5
	v_rcp_iflag_f32_e32 v1, v1
	s_ashr_i32 s3, s3, 7
	s_waitcnt_depctr 0xfff
	v_mul_f32_e32 v1, 0x4f7ffffe, v1
	v_cvt_u32_f32_e32 v1, v1
	s_delay_alu instid0(VALU_DEP_1) | instskip(NEXT) | instid1(VALU_DEP_1)
	v_readfirstlane_b32 s4, v1
	s_mul_i32 s6, s6, s4
	s_delay_alu instid0(SALU_CYCLE_1) | instskip(NEXT) | instid1(SALU_CYCLE_1)
	s_mul_hi_u32 s5, s4, s6
	s_add_i32 s4, s4, s5
	s_delay_alu instid0(SALU_CYCLE_1) | instskip(NEXT) | instid1(SALU_CYCLE_1)
	s_mul_hi_u32 s4, s3, s4
	s_mul_i32 s5, s4, s2
	s_add_i32 s6, s4, 1
	s_sub_i32 s5, s3, s5
	s_delay_alu instid0(SALU_CYCLE_1)
	s_sub_i32 s7, s5, s2
	s_cmp_ge_u32 s5, s2
	s_cselect_b32 s4, s6, s4
	s_cselect_b32 s5, s7, s5
	s_add_i32 s6, s4, 1
	s_cmp_ge_u32 s5, s2
	s_cselect_b32 s8, s6, s4
	s_delay_alu instid0(SALU_CYCLE_1) | instskip(NEXT) | instid1(SALU_CYCLE_1)
	s_mul_i32 s2, s8, s2
	s_sub_i32 s9, s3, s2
	s_delay_alu instid0(SALU_CYCLE_1) | instskip(SKIP_1) | instid1(SALU_CYCLE_1)
	s_cmp_lt_u32 s14, s9
	s_cselect_b32 s2, -1, 0
	s_cmp_lg_u32 s2, 0
	s_addc_u32 s23, s8, 0
	s_delay_alu instid0(SALU_CYCLE_1)
	s_cmp_eq_u32 s23, 0
	s_cbranch_scc1 .LBB25_11
; %bb.2:
	v_dual_mov_b32 v31, 0 :: v_dual_and_b32 v10, 0x3ff, v0
	v_bfe_u32 v11, v0, 10, 10
	s_clause 0x1
	s_load_b128 s[4:7], s[0:1], 0x50
	s_load_b64 s[16:17], s[0:1], 0x60
	s_lshl_b32 s2, s13, 7
	v_dual_mov_b32 v1, 0 :: v_dual_and_b32 v0, 63, v10
	v_lshl_add_u32 v2, v11, 7, v10
	v_dual_mov_b32 v34, 0 :: v_dual_mov_b32 v39, 0
	v_dual_mov_b32 v36, 0 :: v_dual_mov_b32 v41, 0
	s_delay_alu instid0(VALU_DEP_3)
	v_lshrrev_b32_e32 v13, 3, v2
	v_mov_b32_e32 v38, 0
	v_mov_b32_e32 v40, 0
	v_lshlrev_b32_e32 v12, 2, v0
	s_ashr_i32 s3, s2, 31
	v_and_b32_e32 v14, 0x7ff8, v13
	s_cmp_lt_i32 s23, 1
	s_mov_b32 s24, 0
	s_cbranch_scc1 .LBB25_8
; %bb.3:
	v_cvt_f64_i32_e32 v[3:4], s14
	v_cvt_f64_u32_e32 v[5:6], s9
	s_mul_i32 s8, s8, s14
	s_clause 0x2
	s_load_b128 s[28:31], s[0:1], 0x30
	s_load_b32 s18, s[0:1], 0x28
	s_load_b32 s12, s[0:1], 0x48
	v_cvt_f64_u32_e32 v[7:8], s8
	s_clause 0x1
	s_load_b128 s[8:11], s[0:1], 0x18
	s_load_b64 s[20:21], s[0:1], 0x40
	s_waitcnt lgkmcnt(0)
	s_mul_i32 s5, s15, s5
	s_mul_hi_u32 s14, s15, s4
	s_mul_i32 s4, s15, s4
	v_lshrrev_b32_e32 v2, 1, v2
	s_delay_alu instid0(VALU_DEP_1)
	v_dual_mov_b32 v1, 0 :: v_dual_and_b32 v2, 0x1ffe0, v2
	s_mul_i32 s13, s15, s29
	s_mul_hi_u32 s19, s15, s28
	s_mul_i32 s26, s15, s28
	s_add_i32 s27, s19, s13
	s_ashr_i32 s19, s18, 31
	s_lshl_b64 s[28:29], s[26:27], 2
	s_ashr_i32 s13, s12, 31
	s_add_u32 s25, s8, s28
	s_addc_u32 s26, s9, s29
	s_lshl_b64 s[34:35], s[10:11], 2
	s_mul_hi_i32 s11, s18, s2
	s_add_u32 s27, s25, s34
	s_addc_u32 s26, s26, s35
	s_add_i32 s5, s14, s5
	s_mul_i32 s10, s18, s2
	s_lshl_b64 s[4:5], s[4:5], 2
	s_delay_alu instid0(SALU_CYCLE_1) | instskip(NEXT) | instid1(VALU_DEP_4)
	s_add_u32 s14, s30, s4
	v_min_f64 v[3:4], v[3:4], v[5:6]
	s_addc_u32 s25, s31, s5
	s_lshl_b64 s[4:5], s[20:21], 2
	s_delay_alu instid0(SALU_CYCLE_1) | instskip(SKIP_2) | instid1(SALU_CYCLE_1)
	s_add_u32 s14, s14, s4
	s_addc_u32 s25, s25, s5
	s_lshl_b64 s[4:5], s[10:11], 2
	s_add_u32 s10, s27, s4
	s_addc_u32 s11, s26, s5
	s_delay_alu instid0(VALU_DEP_1) | instskip(NEXT) | instid1(VALU_DEP_1)
	v_add_f64 v[3:4], v[3:4], v[7:8]
	v_cvt_i32_f64_e32 v5, v[3:4]
	v_mad_i64_i32 v[3:4], null, s18, v14, v[0:1]
	s_delay_alu instid0(VALU_DEP_1) | instskip(NEXT) | instid1(VALU_DEP_3)
	v_lshlrev_b64 v[3:4], 2, v[3:4]
	v_readfirstlane_b32 s20, v5
	s_delay_alu instid0(VALU_DEP_1) | instskip(NEXT) | instid1(SALU_CYCLE_1)
	s_lshl_b32 s4, s20, 7
	s_ashr_i32 s5, s4, 31
	s_delay_alu instid0(SALU_CYCLE_1) | instskip(NEXT) | instid1(SALU_CYCLE_1)
	s_lshl_b64 s[20:21], s[4:5], 2
	s_add_u32 s4, s10, s20
	s_addc_u32 s5, s11, s21
	v_add_co_u32 v3, vcc_lo, s4, v3
	v_add_co_ci_u32_e32 v4, vcc_lo, s5, v4, vcc_lo
	s_lshl_b64 s[4:5], s[18:19], 2
	s_lshl_b64 s[10:11], s[2:3], 2
	s_delay_alu instid0(VALU_DEP_2) | instskip(NEXT) | instid1(VALU_DEP_2)
	v_add_co_u32 v5, vcc_lo, v3, s4
	v_add_co_ci_u32_e32 v6, vcc_lo, s5, v4, vcc_lo
	s_clause 0x1
	global_load_b32 v21, v[3:4], off
	global_load_b32 v22, v[5:6], off
	v_add_co_u32 v7, vcc_lo, v5, s4
	v_add_co_ci_u32_e32 v8, vcc_lo, s5, v6, vcc_lo
	v_add_co_u32 v31, s3, v2, s10
	s_delay_alu instid0(VALU_DEP_3) | instskip(NEXT) | instid1(VALU_DEP_3)
	v_add_co_u32 v15, vcc_lo, v7, s4
	v_add_co_ci_u32_e32 v16, vcc_lo, s5, v8, vcc_lo
	global_load_b32 v23, v[7:8], off
	v_add_co_u32 v17, vcc_lo, v15, s4
	v_add_co_ci_u32_e32 v18, vcc_lo, s5, v16, vcc_lo
	v_add_co_ci_u32_e64 v34, null, 0, s11, s3
	s_delay_alu instid0(VALU_DEP_3) | instskip(NEXT) | instid1(VALU_DEP_3)
	v_add_co_u32 v19, vcc_lo, v17, s4
	v_add_co_ci_u32_e32 v20, vcc_lo, s5, v18, vcc_lo
	s_add_i32 s26, s23, -1
	s_delay_alu instid0(VALU_DEP_2) | instskip(NEXT) | instid1(VALU_DEP_2)
	v_add_co_u32 v3, vcc_lo, v19, s4
	v_add_co_ci_u32_e32 v4, vcc_lo, s5, v20, vcc_lo
	s_lshl_b64 s[10:11], s[12:13], 9
	s_delay_alu instid0(VALU_DEP_2) | instskip(NEXT) | instid1(VALU_DEP_2)
	v_add_co_u32 v5, vcc_lo, v3, s4
	v_add_co_ci_u32_e32 v6, vcc_lo, s5, v4, vcc_lo
	global_load_b32 v24, v[15:16], off
	global_load_b32 v25, v[17:18], off
	;; [unrolled: 1-line block ×5, first 2 shown]
	v_add_co_u32 v4, vcc_lo, v31, 4
	s_add_u32 s3, s8, s20
	s_addc_u32 s8, s9, s21
	v_add_co_ci_u32_e32 v5, vcc_lo, 0, v34, vcc_lo
	s_add_u32 s3, s3, s34
	s_addc_u32 s9, s8, s35
	s_add_u32 s8, s3, s28
	s_addc_u32 s9, s9, s29
	v_mul_lo_u32 v5, v5, s18
	v_mad_u64_u32 v[2:3], null, v4, s18, s[8:9]
	v_mul_lo_u32 v4, v4, s19
	v_add_co_u32 v6, vcc_lo, v31, 8
	v_or_b32_e32 v36, s20, v12
	s_mul_i32 s3, s21, s12
	v_mov_b32_e32 v41, v1
	s_delay_alu instid0(VALU_DEP_3)
	v_mul_lo_u32 v8, v6, s19
	v_mov_b32_e32 v40, v1
	v_add3_u32 v7, v5, v3, v4
	v_add_co_ci_u32_e32 v5, vcc_lo, 0, v34, vcc_lo
	v_add_co_u32 v9, vcc_lo, v31, 12
	v_mad_u64_u32 v[3:4], null, v6, s18, s[8:9]
	v_add_co_ci_u32_e32 v15, vcc_lo, 0, v34, vcc_lo
	s_delay_alu instid0(VALU_DEP_4) | instskip(NEXT) | instid1(VALU_DEP_4)
	v_mul_lo_u32 v17, v5, s18
	v_mad_u64_u32 v[5:6], null, v9, s18, s[8:9]
	s_delay_alu instid0(VALU_DEP_3)
	v_mul_lo_u32 v18, v15, s18
	v_add_co_u32 v15, vcc_lo, 0x200, v2
	v_mul_lo_u32 v9, v9, s19
	v_add_co_ci_u32_e32 v16, vcc_lo, 0, v7, vcc_lo
	v_add3_u32 v2, v17, v4, v8
	v_add_co_u32 v4, vcc_lo, v31, 16
	v_add_co_ci_u32_e32 v8, vcc_lo, 0, v34, vcc_lo
	v_add3_u32 v9, v18, v6, v9
	s_delay_alu instid0(VALU_DEP_3) | instskip(SKIP_1) | instid1(VALU_DEP_4)
	v_mad_u64_u32 v[6:7], null, v4, s18, s[8:9]
	v_mul_lo_u32 v4, v4, s19
	v_mul_lo_u32 v8, v8, s18
	v_add_co_u32 v17, vcc_lo, 0x200, v3
	v_add_co_ci_u32_e32 v18, vcc_lo, 0, v2, vcc_lo
	v_add_co_u32 v19, vcc_lo, 0x200, v5
	v_add_co_ci_u32_e32 v20, vcc_lo, 0, v9, vcc_lo
	v_add_co_u32 v5, vcc_lo, v31, 20
	v_add3_u32 v7, v8, v7, v4
	v_add_co_ci_u32_e32 v4, vcc_lo, 0, v34, vcc_lo
	v_add_co_u32 v9, vcc_lo, v31, 24
	v_add_co_ci_u32_e32 v29, vcc_lo, 0, v34, vcc_lo
	v_mad_u64_u32 v[2:3], null, v5, s18, s[8:9]
	v_mul_lo_u32 v8, v5, s19
	s_delay_alu instid0(VALU_DEP_3)
	v_mul_lo_u32 v33, v29, s18
	v_add_co_u32 v29, vcc_lo, 0x200, v6
	v_mul_lo_u32 v32, v4, s18
	v_mad_u64_u32 v[4:5], null, v9, s18, s[8:9]
	v_mul_lo_u32 v9, v9, s19
	v_add_co_ci_u32_e32 v30, vcc_lo, 0, v7, vcc_lo
	v_add_co_u32 v6, vcc_lo, v31, 28
	v_add_co_ci_u32_e32 v7, vcc_lo, 0, v34, vcc_lo
	v_add3_u32 v3, v32, v3, v8
	v_add3_u32 v5, v33, v5, v9
	s_delay_alu instid0(VALU_DEP_4)
	v_mad_u64_u32 v[8:9], null, v6, s18, s[8:9]
	v_mul_lo_u32 v6, v6, s19
	v_mul_lo_u32 v7, v7, s18
	v_add_co_u32 v32, vcc_lo, 0x200, v2
	v_or_b32_e32 v38, 0x100, v36
	v_add_co_ci_u32_e32 v33, vcc_lo, 0, v3, vcc_lo
	v_add_co_u32 v35, vcc_lo, 0x200, v4
	v_add_co_ci_u32_e32 v37, vcc_lo, 0, v5, vcc_lo
	v_add3_u32 v9, v7, v9, v6
	v_mad_u64_u32 v[2:3], null, v31, s18, s[8:9]
	v_mul_lo_u32 v31, v31, s19
	v_mul_lo_u32 v34, v34, s18
	;; [unrolled: 1-line block ×3, first 2 shown]
	v_mad_u64_u32 v[4:5], null, v36, s12, 0
	v_mul_lo_u32 v36, v38, s13
	v_mad_u64_u32 v[6:7], null, v38, s12, 0
	v_add_co_u32 v42, vcc_lo, 0x200, v8
	v_add_co_ci_u32_e32 v43, vcc_lo, 0, v9, vcc_lo
	v_add3_u32 v3, v34, v3, v31
	v_add3_u32 v5, v5, v39, s3
	;; [unrolled: 1-line block ×3, first 2 shown]
	v_mov_b32_e32 v39, v1
	v_mov_b32_e32 v38, v1
	;; [unrolled: 1-line block ×5, first 2 shown]
	s_waitcnt vmcnt(6)
	v_dual_mov_b32 v44, v21 :: v_dual_mov_b32 v45, v22
	s_waitcnt vmcnt(4)
	v_dual_mov_b32 v46, v23 :: v_dual_mov_b32 v47, v24
	;; [unrolled: 2-line block ×4, first 2 shown]
.LBB25_4:                               ; =>This Inner Loop Header: Depth=1
	v_add_co_u32 v8, vcc_lo, v2, v12
	v_add_co_ci_u32_e32 v9, vcc_lo, 0, v3, vcc_lo
	s_cmp_lg_u32 s26, s24
	s_delay_alu instid0(VALU_DEP_2) | instskip(NEXT) | instid1(VALU_DEP_2)
	v_add_co_u32 v52, vcc_lo, 0x100, v8
	v_add_co_ci_u32_e32 v54, vcc_lo, 0, v9, vcc_lo
	s_delay_alu instid0(VALU_DEP_2) | instskip(NEXT) | instid1(VALU_DEP_2)
	v_add_co_u32 v53, vcc_lo, v52, s4
	v_add_co_ci_u32_e32 v54, vcc_lo, s5, v54, vcc_lo
	;; [unrolled: 3-line block ×7, first 2 shown]
	v_add_co_u32 v65, vcc_lo, s14, v4
	v_add_co_ci_u32_e32 v66, vcc_lo, s25, v5, vcc_lo
	s_delay_alu instid0(VALU_DEP_4) | instskip(NEXT) | instid1(VALU_DEP_4)
	v_add_co_u32 v67, vcc_lo, v63, s4
	v_add_co_ci_u32_e32 v68, vcc_lo, s5, v64, vcc_lo
	s_clause 0x4
	global_load_b32 v52, v[8:9], off offset:256
	global_load_b32 v53, v[53:54], off
	global_load_b32 v54, v[55:56], off
	;; [unrolled: 1-line block ×8, first 2 shown]
	s_cbranch_scc0 .LBB25_6
; %bb.5:                                ;   in Loop: Header=BB25_4 Depth=1
	v_add_co_u32 v45, vcc_lo, v15, v12
	v_add_co_ci_u32_e32 v46, vcc_lo, 0, v16, vcc_lo
	v_add_co_u32 v47, vcc_lo, v17, v12
	v_add_co_ci_u32_e32 v48, vcc_lo, 0, v18, vcc_lo
	global_load_b32 v44, v[8:9], off offset:512
	global_load_b32 v45, v[45:46], off
	global_load_b32 v46, v[47:48], off
	v_add_co_u32 v8, vcc_lo, v19, v12
	v_add_co_ci_u32_e32 v9, vcc_lo, 0, v20, vcc_lo
	v_add_co_u32 v48, vcc_lo, v29, v12
	v_add_co_ci_u32_e32 v49, vcc_lo, 0, v30, vcc_lo
	;; [unrolled: 2-line block ×5, first 2 shown]
	global_load_b32 v47, v[8:9], off
	global_load_b32 v48, v[48:49], off
	;; [unrolled: 1-line block ×5, first 2 shown]
.LBB25_6:                               ;   in Loop: Header=BB25_4 Depth=1
	v_add_co_u32 v8, vcc_lo, s14, v6
	v_add_co_ci_u32_e32 v9, vcc_lo, s25, v7, vcc_lo
	v_add_co_u32 v15, vcc_lo, 0x200, v15
	v_add_co_ci_u32_e32 v16, vcc_lo, 0, v16, vcc_lo
	global_load_b32 v8, v[8:9], off
	v_add_co_u32 v17, vcc_lo, 0x200, v17
	v_add_co_ci_u32_e32 v18, vcc_lo, 0, v18, vcc_lo
	v_add_co_u32 v19, vcc_lo, 0x200, v19
	v_add_co_ci_u32_e32 v20, vcc_lo, 0, v20, vcc_lo
	;; [unrolled: 2-line block ×5, first 2 shown]
	s_waitcnt vmcnt(1)
	v_fmac_f32_e32 v1, v21, v60
	v_fmac_f32_e32 v41, v22, v60
	;; [unrolled: 1-line block ×8, first 2 shown]
	v_add_co_u32 v42, vcc_lo, 0x200, v42
	v_add_co_ci_u32_e32 v43, vcc_lo, 0, v43, vcc_lo
	v_add_co_u32 v2, vcc_lo, 0x200, v2
	s_add_i32 s24, s24, 1
	v_add_co_ci_u32_e32 v3, vcc_lo, 0, v3, vcc_lo
	s_add_u32 s14, s14, s10
	s_addc_u32 s25, s25, s11
	s_cmp_ge_i32 s24, s23
	s_waitcnt vmcnt(0)
	v_fmac_f32_e32 v1, v52, v8
	v_fmac_f32_e32 v41, v53, v8
	;; [unrolled: 1-line block ×8, first 2 shown]
	s_cbranch_scc1 .LBB25_8
; %bb.7:                                ;   in Loop: Header=BB25_4 Depth=1
	v_dual_mov_b32 v21, v44 :: v_dual_mov_b32 v22, v45
	v_dual_mov_b32 v23, v46 :: v_dual_mov_b32 v24, v47
	;; [unrolled: 1-line block ×4, first 2 shown]
	s_branch .LBB25_4
.LBB25_8:
	v_lshlrev_b32_e32 v2, 8, v13
	v_lshl_or_b32 v3, v14, 8, v12
	s_mov_b32 s3, 0
	s_waitcnt lgkmcnt(0)
	s_mov_b32 s4, exec_lo
	v_or3_b32 v2, v2, v12, 0x700
	ds_store_2addr_stride64_b32 v3, v1, v41 offset1:1
	ds_store_2addr_stride64_b32 v3, v39, v40 offset0:2 offset1:3
	ds_store_2addr_stride64_b32 v3, v38, v36 offset0:4 offset1:5
	ds_store_b32 v3, v34 offset:1536
	ds_store_b32 v2, v31
	s_waitcnt lgkmcnt(0)
	s_barrier
	buffer_gl0_inv
	v_cmpx_eq_u32_e32 0, v11
	s_cbranch_execz .LBB25_11
; %bb.9:
	v_lshlrev_b32_e32 v2, 6, v10
	v_add_nc_u32_e32 v1, 1, v10
	s_clause 0x1
	s_load_b32 s4, s[0:1], 0x68
	s_load_b64 s[0:1], s[0:1], 0x70
	v_add_nc_u32_e32 v5, 4, v10
	v_add_nc_u32_e32 v7, 5, v10
	v_or_b32_e32 v4, v0, v2
	v_add_nc_u32_e32 v0, 2, v10
	v_and_or_b32 v1, v1, 63, v2
	v_add_nc_u32_e32 v8, 6, v10
	v_add_nc_u32_e32 v9, 7, v10
	v_lshlrev_b32_e32 v6, 2, v4
	v_and_or_b32 v0, v0, 63, v2
	v_add_nc_u32_e32 v11, 8, v10
	v_add_nc_u32_e32 v12, 9, v10
	;; [unrolled: 1-line block ×3, first 2 shown]
	ds_load_b32 v6, v6
	v_lshlrev_b32_e32 v1, 2, v1
	v_lshlrev_b32_e32 v0, 2, v0
	v_add_nc_u32_e32 v14, 11, v10
	v_add_nc_u32_e32 v15, 13, v10
	v_add_nc_u32_e32 v16, 14, v10
	ds_load_b32 v1, v1
	ds_load_b32 v0, v0
	v_add_nc_u32_e32 v17, 15, v10
	s_waitcnt lgkmcnt(0)
	s_mul_i32 s1, s15, s1
	s_mul_hi_u32 s5, s15, s0
	s_mul_i32 s0, s15, s0
	s_add_i32 s1, s5, s1
	v_xor_b32_e32 v4, 32, v4
	s_lshl_b64 s[0:1], s[0:1], 2
	s_delay_alu instid0(SALU_CYCLE_1)
	s_add_u32 s6, s6, s0
	s_addc_u32 s5, s7, s1
	s_lshl_b64 s[0:1], s[16:17], 2
	s_mul_hi_i32 s7, s4, s2
	v_add_f32_e32 v6, 0, v6
	s_add_u32 s8, s6, s0
	s_mul_i32 s6, s4, s2
	s_addc_u32 s2, s5, s1
	s_lshl_b64 s[0:1], s[6:7], 2
	v_dual_add_f32 v1, v6, v1 :: v_dual_lshlrev_b32 v4, 2, v4
	v_add_nc_u32_e32 v3, 3, v10
	v_and_or_b32 v5, v5, 63, v2
	v_and_or_b32 v7, v7, 63, v2
	;; [unrolled: 1-line block ×3, first 2 shown]
	v_add_f32_e32 v0, v1, v0
	v_and_or_b32 v3, v3, 63, v2
	v_and_or_b32 v9, v9, 63, v2
	v_lshlrev_b32_e32 v5, 2, v5
	v_lshlrev_b32_e32 v7, 2, v7
	;; [unrolled: 1-line block ×5, first 2 shown]
	v_and_or_b32 v1, v11, 63, v2
	ds_load_b32 v3, v3
	ds_load_b32 v5, v5
	;; [unrolled: 1-line block ×5, first 2 shown]
	v_and_or_b32 v12, v12, 63, v2
	v_lshlrev_b32_e32 v1, 2, v1
	v_and_or_b32 v13, v13, 63, v2
	v_add_nc_u32_e32 v6, 12, v10
	v_add_nc_u32_e32 v11, 16, v10
	v_lshlrev_b32_e32 v12, 2, v12
	ds_load_b32 v1, v1
	v_lshlrev_b32_e32 v13, 2, v13
	v_and_or_b32 v6, v6, 63, v2
	v_and_or_b32 v11, v11, 63, v2
	s_add_u32 s0, s8, s0
	s_addc_u32 s1, s2, s1
	s_delay_alu instid0(VALU_DEP_2) | instskip(NEXT) | instid1(VALU_DEP_2)
	v_lshlrev_b32_e32 v6, 2, v6
	v_lshlrev_b32_e32 v11, 2, v11
	s_waitcnt lgkmcnt(5)
	v_add_f32_e32 v0, v0, v3
	v_and_or_b32 v3, v14, 63, v2
	v_and_or_b32 v14, v16, 63, v2
	v_add_nc_u32_e32 v16, 22, v10
	s_waitcnt lgkmcnt(4)
	v_add_f32_e32 v0, v0, v5
	v_and_or_b32 v5, v15, 63, v2
	v_lshlrev_b32_e32 v3, 2, v3
	s_waitcnt lgkmcnt(3)
	s_delay_alu instid0(VALU_DEP_3)
	v_dual_add_f32 v0, v0, v7 :: v_dual_add_nc_u32 v15, 20, v10
	ds_load_b32 v7, v12
	s_waitcnt lgkmcnt(3)
	v_dual_add_f32 v0, v0, v8 :: v_dual_lshlrev_b32 v5, 2, v5
	ds_load_b32 v8, v13
	v_and_or_b32 v12, v17, 63, v2
	v_lshlrev_b32_e32 v13, 2, v14
	v_add_nc_u32_e32 v14, 19, v10
	s_waitcnt lgkmcnt(3)
	v_dual_add_f32 v0, v0, v9 :: v_dual_add_nc_u32 v17, 23, v10
	v_lshlrev_b32_e32 v12, 2, v12
	ds_load_b32 v3, v3
	ds_load_b32 v6, v6
	ds_load_b32 v5, v5
	ds_load_b32 v9, v13
	ds_load_b32 v12, v12
	s_waitcnt lgkmcnt(7)
	v_dual_add_f32 v0, v0, v1 :: v_dual_add_nc_u32 v13, 18, v10
	s_waitcnt lgkmcnt(6)
	s_delay_alu instid0(VALU_DEP_1) | instskip(NEXT) | instid1(VALU_DEP_1)
	v_dual_add_f32 v0, v0, v7 :: v_dual_add_nc_u32 v1, 17, v10
	v_and_or_b32 v1, v1, 63, v2
	s_waitcnt lgkmcnt(5)
	s_delay_alu instid0(VALU_DEP_2) | instskip(SKIP_1) | instid1(VALU_DEP_3)
	v_dual_add_f32 v0, v0, v8 :: v_dual_add_nc_u32 v7, 21, v10
	v_and_or_b32 v8, v13, 63, v2
	v_lshlrev_b32_e32 v1, 2, v1
	v_and_or_b32 v13, v14, 63, v2
	v_and_or_b32 v14, v15, 63, v2
	s_waitcnt lgkmcnt(4)
	v_add_f32_e32 v0, v0, v3
	v_and_or_b32 v3, v7, 63, v2
	v_and_or_b32 v7, v16, 63, v2
	v_and_or_b32 v15, v17, 63, v2
	s_waitcnt lgkmcnt(3)
	v_add_f32_e32 v0, v0, v6
	v_lshlrev_b32_e32 v6, 2, v8
	ds_load_b32 v8, v1
	v_lshlrev_b32_e32 v3, 2, v3
	s_waitcnt lgkmcnt(3)
	v_dual_add_f32 v0, v0, v5 :: v_dual_lshlrev_b32 v7, 2, v7
	ds_load_b32 v5, v11
	ds_load_b32 v6, v6
	v_lshlrev_b32_e32 v1, 2, v13
	s_waitcnt lgkmcnt(4)
	v_dual_add_f32 v0, v0, v9 :: v_dual_lshlrev_b32 v11, 2, v15
	v_lshlrev_b32_e32 v9, 2, v14
	v_add_nc_u32_e32 v14, 31, v10
	s_waitcnt lgkmcnt(3)
	s_delay_alu instid0(VALU_DEP_3)
	v_add_f32_e32 v0, v0, v12
	ds_load_b32 v12, v1
	ds_load_b32 v9, v9
	;; [unrolled: 1-line block ×5, first 2 shown]
	v_and_or_b32 v14, v14, 63, v2
	s_waitcnt lgkmcnt(6)
	s_delay_alu instid0(VALU_DEP_1) | instskip(SKIP_1) | instid1(VALU_DEP_2)
	v_dual_add_f32 v3, v0, v5 :: v_dual_lshlrev_b32 v14, 2, v14
	v_mad_i64_i32 v[0:1], null, s4, v10, 0
	v_dual_add_f32 v3, v3, v8 :: v_dual_add_nc_u32 v8, 25, v10
	s_delay_alu instid0(VALU_DEP_2) | instskip(SKIP_1) | instid1(VALU_DEP_2)
	v_lshlrev_b64 v[0:1], 2, v[0:1]
	s_waitcnt lgkmcnt(5)
	v_add_f32_e32 v3, v3, v6
	v_add_nc_u32_e32 v6, 24, v10
	s_delay_alu instid0(VALU_DEP_3) | instskip(SKIP_1) | instid1(VALU_DEP_3)
	v_add_co_u32 v0, vcc_lo, s0, v0
	s_waitcnt lgkmcnt(4)
	v_add_f32_e32 v3, v3, v12
	v_add_co_ci_u32_e32 v1, vcc_lo, s1, v1, vcc_lo
	v_and_or_b32 v6, v6, 63, v2
	s_waitcnt lgkmcnt(3)
	s_delay_alu instid0(VALU_DEP_3)
	v_dual_add_f32 v5, v3, v9 :: v_dual_add_nc_u32 v12, 27, v10
	global_load_b32 v3, v[0:1], off
	v_add_nc_u32_e32 v9, 26, v10
	s_waitcnt lgkmcnt(2)
	v_dual_add_f32 v5, v5, v13 :: v_dual_lshlrev_b32 v6, 2, v6
	v_add_nc_u32_e32 v13, 30, v10
	ds_load_b32 v6, v6
	s_waitcnt lgkmcnt(2)
	v_add_f32_e32 v5, v5, v7
	v_and_or_b32 v7, v8, 63, v2
	v_and_or_b32 v8, v9, 63, v2
	;; [unrolled: 1-line block ×3, first 2 shown]
	s_waitcnt lgkmcnt(1)
	v_dual_add_f32 v5, v5, v11 :: v_dual_add_nc_u32 v12, 29, v10
	v_lshlrev_b32_e32 v7, 2, v7
	v_lshlrev_b32_e32 v8, 2, v8
	v_add_nc_u32_e32 v11, 28, v10
	s_delay_alu instid0(VALU_DEP_4)
	v_and_or_b32 v12, v12, 63, v2
	v_and_or_b32 v13, v13, 63, v2
	ds_load_b32 v7, v7
	ds_load_b32 v8, v8
	v_and_or_b32 v11, v11, 63, v2
	v_lshlrev_b32_e32 v9, 2, v9
	v_lshlrev_b32_e32 v12, 2, v12
	;; [unrolled: 1-line block ×3, first 2 shown]
	s_delay_alu instid0(VALU_DEP_4)
	v_lshlrev_b32_e32 v11, 2, v11
	ds_load_b32 v9, v9
	ds_load_b32 v11, v11
	ds_load_b32 v12, v12
	ds_load_b32 v13, v13
	ds_load_b32 v14, v14
	s_waitcnt lgkmcnt(7)
	v_add_f32_e32 v5, v5, v6
	v_add_nc_u32_e32 v6, 33, v10
	ds_load_b32 v4, v4
	v_and_or_b32 v6, v6, 63, v2
	s_waitcnt lgkmcnt(7)
	v_add_f32_e32 v5, v5, v7
	v_add_nc_u32_e32 v7, 34, v10
	s_waitcnt lgkmcnt(6)
	s_delay_alu instid0(VALU_DEP_2) | instskip(NEXT) | instid1(VALU_DEP_2)
	v_dual_add_f32 v5, v5, v8 :: v_dual_lshlrev_b32 v6, 2, v6
	v_and_or_b32 v7, v7, 63, v2
	v_add_nc_u32_e32 v8, 35, v10
	ds_load_b32 v6, v6
	s_waitcnt lgkmcnt(6)
	v_add_f32_e32 v5, v5, v9
	v_lshlrev_b32_e32 v7, 2, v7
	v_add_nc_u32_e32 v9, 36, v10
	v_and_or_b32 v8, v8, 63, v2
	s_waitcnt lgkmcnt(5)
	v_add_f32_e32 v5, v5, v11
	v_add_nc_u32_e32 v11, 37, v10
	v_and_or_b32 v9, v9, 63, v2
	ds_load_b32 v7, v7
	v_lshlrev_b32_e32 v8, 2, v8
	s_waitcnt lgkmcnt(5)
	v_dual_add_f32 v5, v5, v12 :: v_dual_add_nc_u32 v12, 38, v10
	v_and_or_b32 v11, v11, 63, v2
	v_lshlrev_b32_e32 v9, 2, v9
	s_waitcnt lgkmcnt(4)
	s_delay_alu instid0(VALU_DEP_3)
	v_add_f32_e32 v5, v5, v13
	v_add_nc_u32_e32 v13, 39, v10
	v_and_or_b32 v12, v12, 63, v2
	v_lshlrev_b32_e32 v11, 2, v11
	s_waitcnt lgkmcnt(3)
	v_add_f32_e32 v5, v5, v14
	v_and_or_b32 v13, v13, 63, v2
	v_lshlrev_b32_e32 v12, 2, v12
	s_waitcnt lgkmcnt(2)
	s_delay_alu instid0(VALU_DEP_2)
	v_dual_add_f32 v4, v5, v4 :: v_dual_lshlrev_b32 v13, 2, v13
	ds_load_b32 v8, v8
	ds_load_b32 v9, v9
	;; [unrolled: 1-line block ×5, first 2 shown]
	v_add_nc_u32_e32 v5, 40, v10
	s_waitcnt lgkmcnt(6)
	v_add_f32_e32 v4, v4, v6
	v_add_nc_u32_e32 v6, 41, v10
	s_delay_alu instid0(VALU_DEP_3) | instskip(SKIP_1) | instid1(VALU_DEP_3)
	v_and_or_b32 v5, v5, 63, v2
	s_waitcnt lgkmcnt(5)
	v_dual_add_f32 v4, v4, v7 :: v_dual_add_nc_u32 v7, 42, v10
	s_delay_alu instid0(VALU_DEP_3) | instskip(NEXT) | instid1(VALU_DEP_3)
	v_and_or_b32 v6, v6, 63, v2
	v_lshlrev_b32_e32 v5, 2, v5
	s_delay_alu instid0(VALU_DEP_3) | instskip(NEXT) | instid1(VALU_DEP_3)
	v_and_or_b32 v7, v7, 63, v2
	v_lshlrev_b32_e32 v6, 2, v6
	s_waitcnt lgkmcnt(4)
	v_add_f32_e32 v4, v4, v8
	ds_load_b32 v5, v5
	v_add_nc_u32_e32 v8, 43, v10
	v_lshlrev_b32_e32 v7, 2, v7
	ds_load_b32 v6, v6
	s_waitcnt lgkmcnt(5)
	v_dual_add_f32 v4, v4, v9 :: v_dual_add_nc_u32 v9, 44, v10
	v_and_or_b32 v8, v8, 63, v2
	ds_load_b32 v7, v7
	s_waitcnt lgkmcnt(5)
	v_dual_add_f32 v4, v4, v11 :: v_dual_add_nc_u32 v11, 45, v10
	v_and_or_b32 v9, v9, 63, v2
	v_lshlrev_b32_e32 v8, 2, v8
	s_waitcnt lgkmcnt(4)
	s_delay_alu instid0(VALU_DEP_3)
	v_add_f32_e32 v4, v4, v12
	v_add_nc_u32_e32 v12, 46, v10
	v_and_or_b32 v11, v11, 63, v2
	v_lshlrev_b32_e32 v9, 2, v9
	s_waitcnt lgkmcnt(3)
	v_dual_add_f32 v4, v4, v13 :: v_dual_add_nc_u32 v13, 47, v10
	v_and_or_b32 v12, v12, 63, v2
	s_waitcnt lgkmcnt(2)
	s_delay_alu instid0(VALU_DEP_2) | instskip(NEXT) | instid1(VALU_DEP_3)
	v_dual_add_f32 v4, v4, v5 :: v_dual_lshlrev_b32 v11, 2, v11
	v_and_or_b32 v13, v13, 63, v2
	s_delay_alu instid0(VALU_DEP_3) | instskip(SKIP_2) | instid1(VALU_DEP_3)
	v_lshlrev_b32_e32 v12, 2, v12
	v_add_nc_u32_e32 v5, 48, v10
	s_waitcnt lgkmcnt(1)
	v_dual_add_f32 v4, v4, v6 :: v_dual_lshlrev_b32 v13, 2, v13
	ds_load_b32 v8, v8
	ds_load_b32 v9, v9
	;; [unrolled: 1-line block ×5, first 2 shown]
	v_add_nc_u32_e32 v6, 49, v10
	v_and_or_b32 v5, v5, 63, v2
	s_waitcnt lgkmcnt(5)
	v_dual_add_f32 v4, v4, v7 :: v_dual_add_nc_u32 v7, 50, v10
	s_delay_alu instid0(VALU_DEP_3) | instskip(NEXT) | instid1(VALU_DEP_3)
	v_and_or_b32 v6, v6, 63, v2
	v_lshlrev_b32_e32 v5, 2, v5
	s_delay_alu instid0(VALU_DEP_3) | instskip(NEXT) | instid1(VALU_DEP_3)
	v_and_or_b32 v7, v7, 63, v2
	v_lshlrev_b32_e32 v6, 2, v6
	ds_load_b32 v5, v5
	v_lshlrev_b32_e32 v7, 2, v7
	ds_load_b32 v6, v6
	s_waitcnt lgkmcnt(6)
	v_add_f32_e32 v4, v4, v8
	v_add_nc_u32_e32 v8, 51, v10
	ds_load_b32 v7, v7
	s_waitcnt lgkmcnt(6)
	v_dual_add_f32 v4, v4, v9 :: v_dual_add_nc_u32 v9, 52, v10
	v_and_or_b32 v8, v8, 63, v2
	s_waitcnt lgkmcnt(5)
	s_delay_alu instid0(VALU_DEP_2) | instskip(NEXT) | instid1(VALU_DEP_3)
	v_dual_add_f32 v4, v4, v11 :: v_dual_add_nc_u32 v11, 53, v10
	v_and_or_b32 v9, v9, 63, v2
	s_delay_alu instid0(VALU_DEP_3) | instskip(SKIP_1) | instid1(VALU_DEP_3)
	v_lshlrev_b32_e32 v8, 2, v8
	s_waitcnt lgkmcnt(4)
	v_add_f32_e32 v4, v4, v12
	v_add_nc_u32_e32 v12, 54, v10
	v_and_or_b32 v11, v11, 63, v2
	v_lshlrev_b32_e32 v9, 2, v9
	s_waitcnt lgkmcnt(3)
	v_dual_add_f32 v4, v4, v13 :: v_dual_add_nc_u32 v13, 55, v10
	v_and_or_b32 v12, v12, 63, v2
	s_waitcnt lgkmcnt(2)
	s_delay_alu instid0(VALU_DEP_2) | instskip(NEXT) | instid1(VALU_DEP_3)
	v_dual_add_f32 v4, v4, v5 :: v_dual_lshlrev_b32 v11, 2, v11
	v_and_or_b32 v13, v13, 63, v2
	s_delay_alu instid0(VALU_DEP_3) | instskip(SKIP_2) | instid1(VALU_DEP_3)
	v_lshlrev_b32_e32 v12, 2, v12
	v_add_nc_u32_e32 v5, 56, v10
	s_waitcnt lgkmcnt(1)
	v_dual_add_f32 v4, v4, v6 :: v_dual_lshlrev_b32 v13, 2, v13
	ds_load_b32 v8, v8
	ds_load_b32 v9, v9
	;; [unrolled: 1-line block ×5, first 2 shown]
	v_add_nc_u32_e32 v6, 57, v10
	v_and_or_b32 v5, v5, 63, v2
	s_waitcnt lgkmcnt(5)
	v_dual_add_f32 v4, v4, v7 :: v_dual_add_nc_u32 v7, 58, v10
	s_delay_alu instid0(VALU_DEP_3) | instskip(NEXT) | instid1(VALU_DEP_3)
	v_and_or_b32 v6, v6, 63, v2
	v_lshlrev_b32_e32 v5, 2, v5
	s_delay_alu instid0(VALU_DEP_3) | instskip(NEXT) | instid1(VALU_DEP_3)
	v_and_or_b32 v7, v7, 63, v2
	v_lshlrev_b32_e32 v6, 2, v6
	ds_load_b32 v5, v5
	v_lshlrev_b32_e32 v7, 2, v7
	ds_load_b32 v6, v6
	s_waitcnt lgkmcnt(6)
	v_add_f32_e32 v4, v4, v8
	v_add_nc_u32_e32 v8, 59, v10
	ds_load_b32 v7, v7
	s_waitcnt lgkmcnt(6)
	v_dual_add_f32 v4, v4, v9 :: v_dual_add_nc_u32 v9, 60, v10
	v_and_or_b32 v8, v8, 63, v2
	s_waitcnt lgkmcnt(5)
	s_delay_alu instid0(VALU_DEP_2) | instskip(NEXT) | instid1(VALU_DEP_3)
	v_dual_add_f32 v4, v4, v11 :: v_dual_add_nc_u32 v11, 61, v10
	v_and_or_b32 v9, v9, 63, v2
	s_delay_alu instid0(VALU_DEP_3) | instskip(SKIP_1) | instid1(VALU_DEP_3)
	v_lshlrev_b32_e32 v8, 2, v8
	s_waitcnt lgkmcnt(4)
	v_add_f32_e32 v4, v4, v12
	v_add_nc_u32_e32 v12, 62, v10
	v_add_nc_u32_e32 v10, -1, v10
	v_and_or_b32 v11, v11, 63, v2
	v_lshlrev_b32_e32 v9, 2, v9
	s_waitcnt lgkmcnt(3)
	v_add_f32_e32 v4, v4, v13
	v_and_or_b32 v12, v12, 63, v2
	v_and_or_b32 v2, v10, 63, v2
	v_lshlrev_b32_e32 v10, 2, v11
	s_waitcnt lgkmcnt(2)
	s_delay_alu instid0(VALU_DEP_3) | instskip(NEXT) | instid1(VALU_DEP_3)
	v_dual_add_f32 v4, v4, v5 :: v_dual_lshlrev_b32 v11, 2, v12
	v_lshlrev_b32_e32 v2, 2, v2
	ds_load_b32 v8, v8
	ds_load_b32 v9, v9
	;; [unrolled: 1-line block ×5, first 2 shown]
	s_waitcnt lgkmcnt(6)
	v_add_f32_e32 v4, v4, v6
	s_waitcnt lgkmcnt(5)
	s_delay_alu instid0(VALU_DEP_1) | instskip(SKIP_1) | instid1(VALU_DEP_1)
	v_add_f32_e32 v4, v4, v7
	s_waitcnt lgkmcnt(4)
	v_add_f32_e32 v4, v4, v8
	s_waitcnt lgkmcnt(3)
	s_delay_alu instid0(VALU_DEP_1) | instskip(SKIP_1) | instid1(VALU_DEP_1)
	v_add_f32_e32 v4, v4, v9
	;; [unrolled: 5-line block ×3, first 2 shown]
	s_waitcnt lgkmcnt(0)
	v_add_f32_e32 v2, v4, v2
	s_delay_alu instid0(VALU_DEP_1)
	v_mul_f32_e32 v4, s22, v2
.LBB25_10:                              ; =>This Inner Loop Header: Depth=1
	s_waitcnt vmcnt(0)
	s_delay_alu instid0(VALU_DEP_1)
	v_add_f32_e32 v2, v3, v4
	global_atomic_cmpswap_b32 v2, v[0:1], v[2:3], off glc
	s_waitcnt vmcnt(0)
	v_cmp_eq_u32_e32 vcc_lo, v2, v3
	v_mov_b32_e32 v3, v2
	s_or_b32 s3, vcc_lo, s3
	s_delay_alu instid0(SALU_CYCLE_1)
	s_and_not1_b32 exec_lo, exec_lo, s3
	s_cbranch_execnz .LBB25_10
.LBB25_11:
	s_endpgm
	.section	.rodata,"a",@progbits
	.p2align	6, 0x0
	.amdhsa_kernel _ZL36rocblas_gemvt_double_buffered_kernelILb0ELi128ELi8ELi8EfffEviiT4_lPKT3_lilS3_lilPT5_lili
		.amdhsa_group_segment_fixed_size 32768
		.amdhsa_private_segment_fixed_size 0
		.amdhsa_kernarg_size 384
		.amdhsa_user_sgpr_count 13
		.amdhsa_user_sgpr_dispatch_ptr 0
		.amdhsa_user_sgpr_queue_ptr 0
		.amdhsa_user_sgpr_kernarg_segment_ptr 1
		.amdhsa_user_sgpr_dispatch_id 0
		.amdhsa_user_sgpr_private_segment_size 0
		.amdhsa_wavefront_size32 1
		.amdhsa_uses_dynamic_stack 0
		.amdhsa_enable_private_segment 0
		.amdhsa_system_sgpr_workgroup_id_x 1
		.amdhsa_system_sgpr_workgroup_id_y 1
		.amdhsa_system_sgpr_workgroup_id_z 1
		.amdhsa_system_sgpr_workgroup_info 0
		.amdhsa_system_vgpr_workitem_id 1
		.amdhsa_next_free_vgpr 69
		.amdhsa_next_free_sgpr 36
		.amdhsa_reserve_vcc 1
		.amdhsa_float_round_mode_32 0
		.amdhsa_float_round_mode_16_64 0
		.amdhsa_float_denorm_mode_32 3
		.amdhsa_float_denorm_mode_16_64 3
		.amdhsa_dx10_clamp 1
		.amdhsa_ieee_mode 1
		.amdhsa_fp16_overflow 0
		.amdhsa_workgroup_processor_mode 1
		.amdhsa_memory_ordered 1
		.amdhsa_forward_progress 0
		.amdhsa_shared_vgpr_count 0
		.amdhsa_exception_fp_ieee_invalid_op 0
		.amdhsa_exception_fp_denorm_src 0
		.amdhsa_exception_fp_ieee_div_zero 0
		.amdhsa_exception_fp_ieee_overflow 0
		.amdhsa_exception_fp_ieee_underflow 0
		.amdhsa_exception_fp_ieee_inexact 0
		.amdhsa_exception_int_div_zero 0
	.end_amdhsa_kernel
	.section	.text._ZL36rocblas_gemvt_double_buffered_kernelILb0ELi128ELi8ELi8EfffEviiT4_lPKT3_lilS3_lilPT5_lili,"axG",@progbits,_ZL36rocblas_gemvt_double_buffered_kernelILb0ELi128ELi8ELi8EfffEviiT4_lPKT3_lilS3_lilPT5_lili,comdat
.Lfunc_end25:
	.size	_ZL36rocblas_gemvt_double_buffered_kernelILb0ELi128ELi8ELi8EfffEviiT4_lPKT3_lilS3_lilPT5_lili, .Lfunc_end25-_ZL36rocblas_gemvt_double_buffered_kernelILb0ELi128ELi8ELi8EfffEviiT4_lPKT3_lilS3_lilPT5_lili
                                        ; -- End function
	.section	.AMDGPU.csdata,"",@progbits
; Kernel info:
; codeLenInByte = 4584
; NumSgprs: 38
; NumVgprs: 69
; ScratchSize: 0
; MemoryBound: 0
; FloatMode: 240
; IeeeMode: 1
; LDSByteSize: 32768 bytes/workgroup (compile time only)
; SGPRBlocks: 4
; VGPRBlocks: 8
; NumSGPRsForWavesPerEU: 38
; NumVGPRsForWavesPerEU: 69
; Occupancy: 16
; WaveLimiterHint : 0
; COMPUTE_PGM_RSRC2:SCRATCH_EN: 0
; COMPUTE_PGM_RSRC2:USER_SGPR: 13
; COMPUTE_PGM_RSRC2:TRAP_HANDLER: 0
; COMPUTE_PGM_RSRC2:TGID_X_EN: 1
; COMPUTE_PGM_RSRC2:TGID_Y_EN: 1
; COMPUTE_PGM_RSRC2:TGID_Z_EN: 1
; COMPUTE_PGM_RSRC2:TIDIG_COMP_CNT: 1
	.section	.text._ZL32rocblas_gemvt_warp_reduce_kernelILb0ELi256EifPKffEviiT3_lPKT2_lT1_lS5_lS6_lS2_lPT4_lS6_li,"axG",@progbits,_ZL32rocblas_gemvt_warp_reduce_kernelILb0ELi256EifPKffEviiT3_lPKT2_lT1_lS5_lS6_lS2_lPT4_lS6_li,comdat
	.globl	_ZL32rocblas_gemvt_warp_reduce_kernelILb0ELi256EifPKffEviiT3_lPKT2_lT1_lS5_lS6_lS2_lPT4_lS6_li ; -- Begin function _ZL32rocblas_gemvt_warp_reduce_kernelILb0ELi256EifPKffEviiT3_lPKT2_lT1_lS5_lS6_lS2_lPT4_lS6_li
	.p2align	8
	.type	_ZL32rocblas_gemvt_warp_reduce_kernelILb0ELi256EifPKffEviiT3_lPKT2_lT1_lS5_lS6_lS2_lPT4_lS6_li,@function
_ZL32rocblas_gemvt_warp_reduce_kernelILb0ELi256EifPKffEviiT3_lPKT2_lT1_lS5_lS6_lS2_lPT4_lS6_li: ; @_ZL32rocblas_gemvt_warp_reduce_kernelILb0ELi256EifPKffEviiT3_lPKT2_lT1_lS5_lS6_lS2_lPT4_lS6_li
; %bb.0:
	s_clause 0x1
	s_load_b256 s[4:11], s[0:1], 0x8
	s_load_b256 s[16:23], s[0:1], 0x50
	s_mov_b32 s13, 0
	s_waitcnt lgkmcnt(0)
	s_mul_i32 s3, s15, s7
	s_mul_hi_u32 s7, s15, s6
	s_mul_i32 s2, s15, s6
	s_add_i32 s3, s7, s3
	s_mul_i32 s6, s15, s21
	s_lshl_b64 s[2:3], s[2:3], 2
	s_mul_hi_u32 s7, s15, s20
	s_add_u32 s2, s4, s2
	s_addc_u32 s3, s5, s3
	s_add_i32 s5, s7, s6
	s_mul_i32 s4, s15, s20
	s_delay_alu instid0(SALU_CYCLE_1) | instskip(NEXT) | instid1(SALU_CYCLE_1)
	s_lshl_b64 s[4:5], s[4:5], 2
	s_add_u32 s4, s18, s4
	s_addc_u32 s5, s19, s5
	s_load_b32 s18, s[2:3], 0x0
	s_load_b32 s12, s[4:5], 0x0
	s_waitcnt lgkmcnt(0)
	v_cmp_eq_f32_e64 s2, s18, 0
	v_cmp_eq_f32_e64 s3, s12, 1.0
	s_delay_alu instid0(VALU_DEP_1) | instskip(NEXT) | instid1(SALU_CYCLE_1)
	s_and_b32 s2, s2, s3
	s_and_b32 vcc_lo, exec_lo, s2
	s_cbranch_vccnz .LBB26_29
; %bb.1:
	s_clause 0x2
	s_load_b64 s[2:3], s[0:1], 0x80
	s_load_b64 s[4:5], s[0:1], 0x70
	s_load_b32 s19, s[0:1], 0x78
	v_cmp_neq_f32_e64 s20, s18, 0
	s_waitcnt lgkmcnt(0)
	s_mul_i32 s3, s15, s3
	s_mul_hi_u32 s6, s15, s2
	s_mul_i32 s2, s15, s2
	s_add_i32 s3, s6, s3
	s_delay_alu instid0(SALU_CYCLE_1) | instskip(NEXT) | instid1(SALU_CYCLE_1)
	s_lshl_b64 s[2:3], s[2:3], 2
	s_add_u32 s6, s22, s2
	s_addc_u32 s7, s23, s3
	s_lshl_b64 s[2:3], s[4:5], 2
	s_delay_alu instid0(SALU_CYCLE_1)
	s_add_u32 s6, s6, s2
	v_cmp_eq_u32_e64 s2, 0, v0
	s_addc_u32 s7, s7, s3
	s_and_b32 vcc_lo, exec_lo, s20
	s_cbranch_vccnz .LBB26_6
; %bb.2:
	s_mov_b32 s3, 0
                                        ; implicit-def: $vgpr1
                                        ; implicit-def: $sgpr4_sgpr5
	s_and_saveexec_b32 s20, s2
	s_cbranch_execz .LBB26_7
; %bb.3:
	v_cmp_eq_f32_e64 s2, s12, 0
	v_mov_b32_e32 v1, 0
	s_mul_i32 s4, s14, s19
	s_delay_alu instid0(SALU_CYCLE_1) | instskip(NEXT) | instid1(VALU_DEP_2)
	s_ashr_i32 s5, s4, 31
	s_and_b32 vcc_lo, exec_lo, s2
	s_cbranch_vccnz .LBB26_5
; %bb.4:
	s_lshl_b64 s[22:23], s[4:5], 2
	s_delay_alu instid0(SALU_CYCLE_1)
	s_add_u32 s22, s6, s22
	s_addc_u32 s23, s7, s23
	s_load_b32 s2, s[22:23], 0x0
	s_waitcnt lgkmcnt(0)
	v_mul_f32_e64 v1, s12, s2
.LBB26_5:
	s_mov_b32 s13, exec_lo
	s_or_b32 exec_lo, exec_lo, s20
	s_delay_alu instid0(SALU_CYCLE_1)
	s_and_b32 vcc_lo, exec_lo, s3
	s_cbranch_vccnz .LBB26_8
	s_branch .LBB26_27
.LBB26_6:
                                        ; implicit-def: $vgpr1
                                        ; implicit-def: $sgpr4_sgpr5
	s_cbranch_execnz .LBB26_8
	s_branch .LBB26_27
.LBB26_7:
	s_or_b32 exec_lo, exec_lo, s20
	s_delay_alu instid0(SALU_CYCLE_1)
	s_and_b32 vcc_lo, exec_lo, s3
	s_cbranch_vccz .LBB26_27
.LBB26_8:
	s_mul_i32 s3, s15, s17
	s_mul_hi_u32 s17, s15, s16
	s_mul_i32 s2, s15, s16
	s_add_i32 s3, s17, s3
	s_clause 0x2
	s_load_b128 s[20:23], s[0:1], 0x30
	s_load_b64 s[4:5], s[0:1], 0x40
	s_load_b32 s24, s[0:1], 0x28
	s_lshl_b64 s[16:17], s[2:3], 2
	s_clause 0x1
	s_load_b32 s3, s[0:1], 0x0
	s_load_b32 s1, s[0:1], 0x48
	v_mov_b32_e32 v7, 0
	s_waitcnt lgkmcnt(0)
	s_add_u32 s2, s22, s16
	s_addc_u32 s17, s23, s17
	s_lshl_b64 s[4:5], s[4:5], 2
	s_mul_i32 s21, s15, s21
	s_mul_hi_u32 s22, s15, s20
	s_add_u32 s4, s2, s4
	v_cmp_gt_i32_e32 vcc_lo, s3, v0
	s_mul_i32 s16, s15, s20
	s_addc_u32 s5, s17, s5
	s_add_i32 s17, s22, s21
	s_delay_alu instid0(SALU_CYCLE_1)
	s_lshl_b64 s[16:17], s[16:17], 2
	v_cndmask_b32_e32 v1, 0, v0, vcc_lo
	s_add_u32 s2, s8, s16
	s_addc_u32 s15, s9, s17
	s_lshl_b64 s[8:9], s[10:11], 2
	s_mul_i32 s10, s14, s24
	s_add_u32 s2, s2, s8
	s_addc_u32 s15, s15, s9
	s_ashr_i32 s11, s10, 31
	v_lshlrev_b32_e32 v1, 2, v1
	s_lshl_b64 s[8:9], s[10:11], 2
	s_delay_alu instid0(SALU_CYCLE_1)
	s_add_u32 s0, s8, s2
	s_addc_u32 s8, s9, s15
	s_ashr_i32 s2, s3, 31
	v_add_co_u32 v1, s0, s0, v1
	s_lshr_b32 s2, s2, 24
	v_add_co_ci_u32_e64 v2, null, s8, 0, s0
	s_add_i32 s2, s3, s2
	s_mov_b32 s9, 0
	s_and_b32 s2, s2, 0xffffff00
	s_mov_b32 s8, exec_lo
	v_cmpx_gt_i32_e64 s2, v0
	s_cbranch_execz .LBB26_12
; %bb.9:
	v_mul_lo_u32 v3, v0, s1
	v_dual_mov_b32 v7, 0 :: v_dual_mov_b32 v6, v2
	v_dual_mov_b32 v5, v1 :: v_dual_mov_b32 v8, v0
	s_lshl_b32 s10, s1, 8
	.p2align	6
.LBB26_10:                              ; =>This Inner Loop Header: Depth=1
	s_delay_alu instid0(VALU_DEP_3) | instskip(NEXT) | instid1(VALU_DEP_1)
	v_ashrrev_i32_e32 v4, 31, v3
	v_lshlrev_b64 v[9:10], 2, v[3:4]
	v_add_nc_u32_e32 v3, s10, v3
	s_delay_alu instid0(VALU_DEP_2) | instskip(NEXT) | instid1(VALU_DEP_3)
	v_add_co_u32 v9, vcc_lo, s4, v9
	v_add_co_ci_u32_e32 v10, vcc_lo, s5, v10, vcc_lo
	global_load_b32 v4, v[5:6], off
	global_load_b32 v9, v[9:10], off
	v_add_nc_u32_e32 v8, 0x100, v8
	v_add_co_u32 v5, vcc_lo, 0x400, v5
	v_add_co_ci_u32_e32 v6, vcc_lo, 0, v6, vcc_lo
	s_waitcnt vmcnt(0)
	v_fmac_f32_e32 v7, v4, v9
	v_cmp_le_i32_e64 s0, s2, v8
	s_delay_alu instid0(VALU_DEP_1) | instskip(NEXT) | instid1(SALU_CYCLE_1)
	s_or_b32 s9, s0, s9
	s_and_not1_b32 exec_lo, exec_lo, s9
	s_cbranch_execnz .LBB26_10
; %bb.11:
	s_or_b32 exec_lo, exec_lo, s9
.LBB26_12:
	s_delay_alu instid0(SALU_CYCLE_1) | instskip(SKIP_2) | instid1(VALU_DEP_1)
	s_or_b32 exec_lo, exec_lo, s8
	v_add_nc_u32_e32 v3, s2, v0
	s_mov_b32 s0, exec_lo
	v_cmpx_gt_i32_e64 s3, v3
	s_cbranch_execz .LBB26_14
; %bb.13:
	v_mul_lo_u32 v3, v3, s1
	s_ashr_i32 s3, s2, 31
	s_delay_alu instid0(SALU_CYCLE_1) | instskip(NEXT) | instid1(SALU_CYCLE_1)
	s_lshl_b64 s[2:3], s[2:3], 2
	v_add_co_u32 v1, vcc_lo, v1, s2
	v_add_co_ci_u32_e32 v2, vcc_lo, s3, v2, vcc_lo
	s_delay_alu instid0(VALU_DEP_3) | instskip(NEXT) | instid1(VALU_DEP_1)
	v_ashrrev_i32_e32 v4, 31, v3
	v_lshlrev_b64 v[3:4], 2, v[3:4]
	s_delay_alu instid0(VALU_DEP_1) | instskip(NEXT) | instid1(VALU_DEP_2)
	v_add_co_u32 v3, vcc_lo, s4, v3
	v_add_co_ci_u32_e32 v4, vcc_lo, s5, v4, vcc_lo
	global_load_b32 v1, v[1:2], off
	global_load_b32 v2, v[3:4], off
	s_waitcnt vmcnt(0)
	v_fmac_f32_e32 v7, v1, v2
.LBB26_14:
	s_or_b32 exec_lo, exec_lo, s0
	v_and_b32_e32 v4, 31, v0
	v_cmp_gt_u32_e32 vcc_lo, 32, v0
	s_delay_alu instid0(VALU_DEP_2)
	v_lshlrev_b32_e32 v1, 2, v4
	s_and_saveexec_b32 s0, vcc_lo
	s_cbranch_execz .LBB26_16
; %bb.15:
	v_mov_b32_e32 v2, 0
	ds_store_b32 v1, v2
.LBB26_16:
	s_or_b32 exec_lo, exec_lo, s0
	v_mbcnt_lo_u32_b32 v5, -1, 0
	s_mov_b32 s1, exec_lo
	s_waitcnt lgkmcnt(0)
	s_barrier
	buffer_gl0_inv
	v_cmp_gt_u32_e64 s0, 16, v5
	s_delay_alu instid0(VALU_DEP_1) | instskip(SKIP_1) | instid1(VALU_DEP_2)
	v_cndmask_b32_e64 v2, 0, 1, s0
	v_cmp_gt_u32_e64 s0, 24, v5
	v_lshlrev_b32_e32 v2, 4, v2
	s_delay_alu instid0(VALU_DEP_2) | instskip(SKIP_1) | instid1(VALU_DEP_3)
	v_cndmask_b32_e64 v3, 0, 1, s0
	v_cmp_gt_u32_e64 s0, 28, v5
	v_add_lshl_u32 v2, v2, v5, 2
	ds_bpermute_b32 v2, v2, v7
	s_waitcnt lgkmcnt(0)
	v_dual_add_f32 v6, v7, v2 :: v_dual_lshlrev_b32 v3, 3, v3
	s_delay_alu instid0(VALU_DEP_1) | instskip(SKIP_4) | instid1(VALU_DEP_1)
	v_add_lshl_u32 v3, v3, v5, 2
	v_cndmask_b32_e64 v2, 0, 1, s0
	v_cmp_gt_u32_e64 s0, 30, v5
	ds_bpermute_b32 v3, v3, v6
	v_lshlrev_b32_e32 v2, 2, v2
	v_add_lshl_u32 v2, v2, v5, 2
	s_waitcnt lgkmcnt(0)
	v_add_f32_e32 v6, v6, v3
	v_cndmask_b32_e64 v3, 0, 1, s0
	v_cmp_ne_u32_e64 s0, 31, v5
	s_delay_alu instid0(VALU_DEP_2) | instskip(NEXT) | instid1(VALU_DEP_1)
	v_lshlrev_b32_e32 v3, 1, v3
	v_add_lshl_u32 v3, v3, v5, 2
	s_delay_alu instid0(VALU_DEP_3) | instskip(NEXT) | instid1(VALU_DEP_1)
	v_add_co_ci_u32_e64 v5, s0, 0, v5, s0
	v_lshlrev_b32_e32 v5, 2, v5
	ds_bpermute_b32 v7, v2, v6
	s_waitcnt lgkmcnt(0)
	v_add_f32_e32 v6, v6, v7
	ds_bpermute_b32 v7, v3, v6
	s_waitcnt lgkmcnt(0)
	v_add_f32_e32 v6, v6, v7
	ds_bpermute_b32 v7, v5, v6
	v_cmpx_eq_u32_e32 0, v4
	s_cbranch_execz .LBB26_18
; %bb.17:
	v_lshrrev_b32_e32 v4, 3, v0
	s_waitcnt lgkmcnt(0)
	v_add_f32_e32 v6, v6, v7
	s_delay_alu instid0(VALU_DEP_2)
	v_and_b32_e32 v4, 28, v4
	ds_store_b32 v4, v6
.LBB26_18:
	s_or_b32 exec_lo, exec_lo, s1
	v_mov_b32_e32 v4, 0
	s_mov_b32 s1, exec_lo
	s_waitcnt lgkmcnt(0)
	s_barrier
	buffer_gl0_inv
	v_cmpx_gt_u32_e32 8, v0
	s_cbranch_execz .LBB26_20
; %bb.19:
	ds_load_b32 v4, v1
.LBB26_20:
	s_or_b32 exec_lo, exec_lo, s1
	s_and_saveexec_b32 s0, vcc_lo
	s_cbranch_execz .LBB26_22
; %bb.21:
	s_waitcnt lgkmcnt(0)
	ds_bpermute_b32 v1, v2, v4
	s_waitcnt lgkmcnt(0)
	v_add_f32_e32 v1, v4, v1
	ds_bpermute_b32 v2, v3, v1
	s_waitcnt lgkmcnt(0)
	v_add_f32_e32 v1, v1, v2
	;; [unrolled: 3-line block ×3, first 2 shown]
.LBB26_22:
	s_or_b32 exec_lo, exec_lo, s0
	s_delay_alu instid0(SALU_CYCLE_1)
	s_mov_b32 s0, exec_lo
                                        ; implicit-def: $vgpr1
                                        ; implicit-def: $sgpr4_sgpr5
	v_cmpx_eq_u32_e32 0, v0
	s_cbranch_execz .LBB26_26
; %bb.23:
	v_cmp_eq_f32_e64 s1, s12, 0
	s_waitcnt lgkmcnt(0)
	v_mul_f32_e32 v1, s18, v4
	s_mul_i32 s4, s14, s19
	s_delay_alu instid0(SALU_CYCLE_1)
	s_ashr_i32 s5, s4, 31
	s_and_b32 vcc_lo, exec_lo, s1
	s_cbranch_vccnz .LBB26_25
; %bb.24:
	s_lshl_b64 s[2:3], s[4:5], 2
	s_delay_alu instid0(SALU_CYCLE_1)
	s_add_u32 s2, s6, s2
	s_addc_u32 s3, s7, s3
	s_load_b32 s1, s[2:3], 0x0
	s_waitcnt lgkmcnt(0)
	v_fmac_f32_e64 v1, s12, s1
.LBB26_25:
	s_or_b32 s13, s13, exec_lo
.LBB26_26:
	s_or_b32 exec_lo, exec_lo, s0
.LBB26_27:
	s_and_saveexec_b32 s0, s13
	s_cbranch_execz .LBB26_29
; %bb.28:
	s_lshl_b64 s[0:1], s[4:5], 2
	v_mov_b32_e32 v0, 0
	s_add_u32 s0, s6, s0
	s_addc_u32 s1, s7, s1
	global_store_b32 v0, v1, s[0:1]
.LBB26_29:
	s_nop 0
	s_sendmsg sendmsg(MSG_DEALLOC_VGPRS)
	s_endpgm
	.section	.rodata,"a",@progbits
	.p2align	6, 0x0
	.amdhsa_kernel _ZL32rocblas_gemvt_warp_reduce_kernelILb0ELi256EifPKffEviiT3_lPKT2_lT1_lS5_lS6_lS2_lPT4_lS6_li
		.amdhsa_group_segment_fixed_size 128
		.amdhsa_private_segment_fixed_size 0
		.amdhsa_kernarg_size 140
		.amdhsa_user_sgpr_count 14
		.amdhsa_user_sgpr_dispatch_ptr 0
		.amdhsa_user_sgpr_queue_ptr 0
		.amdhsa_user_sgpr_kernarg_segment_ptr 1
		.amdhsa_user_sgpr_dispatch_id 0
		.amdhsa_user_sgpr_private_segment_size 0
		.amdhsa_wavefront_size32 1
		.amdhsa_uses_dynamic_stack 0
		.amdhsa_enable_private_segment 0
		.amdhsa_system_sgpr_workgroup_id_x 1
		.amdhsa_system_sgpr_workgroup_id_y 0
		.amdhsa_system_sgpr_workgroup_id_z 1
		.amdhsa_system_sgpr_workgroup_info 0
		.amdhsa_system_vgpr_workitem_id 0
		.amdhsa_next_free_vgpr 11
		.amdhsa_next_free_sgpr 25
		.amdhsa_reserve_vcc 1
		.amdhsa_float_round_mode_32 0
		.amdhsa_float_round_mode_16_64 0
		.amdhsa_float_denorm_mode_32 3
		.amdhsa_float_denorm_mode_16_64 3
		.amdhsa_dx10_clamp 1
		.amdhsa_ieee_mode 1
		.amdhsa_fp16_overflow 0
		.amdhsa_workgroup_processor_mode 1
		.amdhsa_memory_ordered 1
		.amdhsa_forward_progress 0
		.amdhsa_shared_vgpr_count 0
		.amdhsa_exception_fp_ieee_invalid_op 0
		.amdhsa_exception_fp_denorm_src 0
		.amdhsa_exception_fp_ieee_div_zero 0
		.amdhsa_exception_fp_ieee_overflow 0
		.amdhsa_exception_fp_ieee_underflow 0
		.amdhsa_exception_fp_ieee_inexact 0
		.amdhsa_exception_int_div_zero 0
	.end_amdhsa_kernel
	.section	.text._ZL32rocblas_gemvt_warp_reduce_kernelILb0ELi256EifPKffEviiT3_lPKT2_lT1_lS5_lS6_lS2_lPT4_lS6_li,"axG",@progbits,_ZL32rocblas_gemvt_warp_reduce_kernelILb0ELi256EifPKffEviiT3_lPKT2_lT1_lS5_lS6_lS2_lPT4_lS6_li,comdat
.Lfunc_end26:
	.size	_ZL32rocblas_gemvt_warp_reduce_kernelILb0ELi256EifPKffEviiT3_lPKT2_lT1_lS5_lS6_lS2_lPT4_lS6_li, .Lfunc_end26-_ZL32rocblas_gemvt_warp_reduce_kernelILb0ELi256EifPKffEviiT3_lPKT2_lT1_lS5_lS6_lS2_lPT4_lS6_li
                                        ; -- End function
	.section	.AMDGPU.csdata,"",@progbits
; Kernel info:
; codeLenInByte = 1444
; NumSgprs: 27
; NumVgprs: 11
; ScratchSize: 0
; MemoryBound: 0
; FloatMode: 240
; IeeeMode: 1
; LDSByteSize: 128 bytes/workgroup (compile time only)
; SGPRBlocks: 3
; VGPRBlocks: 1
; NumSGPRsForWavesPerEU: 27
; NumVGPRsForWavesPerEU: 11
; Occupancy: 16
; WaveLimiterHint : 1
; COMPUTE_PGM_RSRC2:SCRATCH_EN: 0
; COMPUTE_PGM_RSRC2:USER_SGPR: 14
; COMPUTE_PGM_RSRC2:TRAP_HANDLER: 0
; COMPUTE_PGM_RSRC2:TGID_X_EN: 1
; COMPUTE_PGM_RSRC2:TGID_Y_EN: 0
; COMPUTE_PGM_RSRC2:TGID_Z_EN: 1
; COMPUTE_PGM_RSRC2:TIDIG_COMP_CNT: 0
	.section	.text._ZL32rocblas_gemvt_warp_reduce_kernelILb0ELi256ElfPKffEviiT3_lPKT2_lT1_lS5_lS6_lS2_lPT4_lS6_li,"axG",@progbits,_ZL32rocblas_gemvt_warp_reduce_kernelILb0ELi256ElfPKffEviiT3_lPKT2_lT1_lS5_lS6_lS2_lPT4_lS6_li,comdat
	.globl	_ZL32rocblas_gemvt_warp_reduce_kernelILb0ELi256ElfPKffEviiT3_lPKT2_lT1_lS5_lS6_lS2_lPT4_lS6_li ; -- Begin function _ZL32rocblas_gemvt_warp_reduce_kernelILb0ELi256ElfPKffEviiT3_lPKT2_lT1_lS5_lS6_lS2_lPT4_lS6_li
	.p2align	8
	.type	_ZL32rocblas_gemvt_warp_reduce_kernelILb0ELi256ElfPKffEviiT3_lPKT2_lT1_lS5_lS6_lS2_lPT4_lS6_li,@function
_ZL32rocblas_gemvt_warp_reduce_kernelILb0ELi256ElfPKffEviiT3_lPKT2_lT1_lS5_lS6_lS2_lPT4_lS6_li: ; @_ZL32rocblas_gemvt_warp_reduce_kernelILb0ELi256ElfPKffEviiT3_lPKT2_lT1_lS5_lS6_lS2_lPT4_lS6_li
; %bb.0:
	s_clause 0x1
	s_load_b512 s[36:51], s[0:1], 0x8
	s_load_b512 s[16:31], s[0:1], 0x48
	s_mov_b32 s11, 0
	s_waitcnt lgkmcnt(0)
	s_mul_i32 s3, s15, s39
	s_mul_hi_u32 s4, s15, s38
	s_mul_i32 s2, s15, s38
	s_add_i32 s3, s4, s3
	s_mul_i32 s4, s15, s23
	s_lshl_b64 s[2:3], s[2:3], 2
	s_mul_hi_u32 s5, s15, s22
	s_add_u32 s2, s36, s2
	s_addc_u32 s3, s37, s3
	s_add_i32 s5, s5, s4
	s_mul_i32 s4, s15, s22
	s_delay_alu instid0(SALU_CYCLE_1) | instskip(NEXT) | instid1(SALU_CYCLE_1)
	s_lshl_b64 s[4:5], s[4:5], 2
	s_add_u32 s4, s20, s4
	s_addc_u32 s5, s21, s5
	s_load_b32 s12, s[2:3], 0x0
	s_load_b32 s10, s[4:5], 0x0
	s_waitcnt lgkmcnt(0)
	v_cmp_eq_f32_e64 s2, s12, 0
	v_cmp_eq_f32_e64 s3, s10, 1.0
	s_delay_alu instid0(VALU_DEP_1) | instskip(NEXT) | instid1(SALU_CYCLE_1)
	s_and_b32 s2, s2, s3
	s_and_b32 vcc_lo, exec_lo, s2
	s_cbranch_vccnz .LBB27_29
; %bb.1:
	s_mul_i32 s3, s15, s31
	s_mul_hi_u32 s4, s15, s30
	s_mul_i32 s2, s15, s30
	s_add_i32 s3, s4, s3
	v_cmp_neq_f32_e64 s4, s12, 0
	s_lshl_b64 s[2:3], s[2:3], 2
	s_delay_alu instid0(SALU_CYCLE_1) | instskip(SKIP_2) | instid1(SALU_CYCLE_1)
	s_add_u32 s5, s24, s2
	s_addc_u32 s6, s25, s3
	s_lshl_b64 s[2:3], s[26:27], 2
	s_add_u32 s8, s5, s2
	v_cmp_eq_u32_e64 s2, 0, v0
	s_addc_u32 s9, s6, s3
	s_and_b32 vcc_lo, exec_lo, s4
	s_cbranch_vccnz .LBB27_6
; %bb.2:
	s_mov_b32 s3, 0
                                        ; implicit-def: $vgpr1
                                        ; implicit-def: $sgpr4_sgpr5
	s_and_saveexec_b32 s6, s2
	s_cbranch_execz .LBB27_7
; %bb.3:
	v_cmp_eq_f32_e64 s2, s10, 0
	s_mul_i32 s4, s14, s29
	s_mul_hi_u32 s5, s14, s28
	s_ashr_i32 s7, s14, 31
	v_mov_b32_e32 v1, 0
	s_add_i32 s4, s5, s4
	s_mul_i32 s7, s7, s28
	s_and_b32 vcc_lo, exec_lo, s2
	s_add_i32 s5, s4, s7
	s_mul_i32 s4, s14, s28
	s_cbranch_vccnz .LBB27_5
; %bb.4:
	s_lshl_b64 s[20:21], s[4:5], 2
	s_delay_alu instid0(SALU_CYCLE_1)
	s_add_u32 s20, s8, s20
	s_addc_u32 s21, s9, s21
	s_load_b32 s2, s[20:21], 0x0
	s_waitcnt lgkmcnt(0)
	v_mul_f32_e64 v1, s10, s2
.LBB27_5:
	s_mov_b32 s11, exec_lo
	s_or_b32 exec_lo, exec_lo, s6
	s_delay_alu instid0(SALU_CYCLE_1)
	s_and_b32 vcc_lo, exec_lo, s3
	s_cbranch_vccnz .LBB27_8
	s_branch .LBB27_27
.LBB27_6:
                                        ; implicit-def: $vgpr1
                                        ; implicit-def: $sgpr4_sgpr5
	s_cbranch_execnz .LBB27_8
	s_branch .LBB27_27
.LBB27_7:
	s_or_b32 exec_lo, exec_lo, s6
	s_delay_alu instid0(SALU_CYCLE_1)
	s_and_b32 vcc_lo, exec_lo, s3
	s_cbranch_vccz .LBB27_27
.LBB27_8:
	s_load_b32 s5, s[0:1], 0x0
	s_mul_i32 s3, s15, s47
	s_mul_hi_u32 s4, s15, s46
	s_mul_i32 s0, s15, s46
	s_add_i32 s1, s4, s3
	s_mul_i32 s2, s15, s19
	s_mul_hi_u32 s3, s15, s18
	s_lshl_b64 s[0:1], s[0:1], 2
	s_add_i32 s3, s3, s2
	s_add_u32 s2, s40, s0
	s_addc_u32 s4, s41, s1
	s_lshl_b64 s[0:1], s[42:43], 2
	s_mul_hi_u32 s6, s14, s44
	s_add_u32 s0, s2, s0
	s_addc_u32 s2, s4, s1
	s_mul_i32 s4, s14, s45
	s_ashr_i32 s1, s14, 31
	s_add_i32 s4, s6, s4
	s_mul_i32 s6, s1, s44
	v_mov_b32_e32 v7, 0
	s_waitcnt lgkmcnt(0)
	v_cmp_gt_i32_e32 vcc_lo, s5, v0
	s_add_i32 s7, s4, s6
	s_mul_i32 s6, s14, s44
	s_mov_b32 s13, exec_lo
	s_lshl_b64 s[6:7], s[6:7], 2
	v_cndmask_b32_e32 v1, 0, v0, vcc_lo
	s_add_u32 s0, s6, s0
	s_addc_u32 s2, s7, s2
	s_ashr_i32 s4, s5, 31
	s_delay_alu instid0(SALU_CYCLE_1) | instskip(SKIP_2) | instid1(SALU_CYCLE_1)
	s_lshr_b32 s4, s4, 24
	v_lshlrev_b32_e32 v1, 2, v1
	s_add_i32 s4, s5, s4
	s_and_b32 s4, s4, 0xffffff00
	s_delay_alu instid0(VALU_DEP_1) | instskip(NEXT) | instid1(VALU_DEP_1)
	v_add_co_u32 v1, s0, s0, v1
	v_add_co_ci_u32_e64 v2, null, s2, 0, s0
	s_mul_i32 s2, s15, s18
	s_mov_b32 s15, 0
	v_cmpx_gt_i32_e64 s4, v0
	s_cbranch_execz .LBB27_12
; %bb.9:
	v_mad_u64_u32 v[5:6], null, s16, v0, 0
	s_lshl_b64 s[18:19], s[50:51], 2
	s_lshl_b64 s[6:7], s[2:3], 2
	s_add_u32 s0, s48, s18
	s_addc_u32 s18, s49, s19
	s_add_u32 s0, s0, s6
	s_addc_u32 s6, s18, s7
	s_delay_alu instid0(VALU_DEP_1) | instskip(NEXT) | instid1(VALU_DEP_1)
	v_dual_mov_b32 v3, v6 :: v_dual_mov_b32 v8, v0
	v_mad_u64_u32 v[6:7], null, s17, v0, v[3:4]
	v_dual_mov_b32 v7, 0 :: v_dual_mov_b32 v4, v2
	v_mov_b32_e32 v3, v1
	s_delay_alu instid0(VALU_DEP_3) | instskip(NEXT) | instid1(VALU_DEP_1)
	v_lshlrev_b64 v[5:6], 2, v[5:6]
	v_add_co_u32 v5, vcc_lo, s0, v5
	s_delay_alu instid0(VALU_DEP_2)
	v_add_co_ci_u32_e32 v6, vcc_lo, s6, v6, vcc_lo
	s_lshl_b64 s[6:7], s[16:17], 10
	.p2align	6
.LBB27_10:                              ; =>This Inner Loop Header: Depth=1
	global_load_b32 v9, v[3:4], off
	global_load_b32 v10, v[5:6], off
	v_add_nc_u32_e32 v8, 0x100, v8
	v_add_co_u32 v3, vcc_lo, 0x400, v3
	v_add_co_ci_u32_e32 v4, vcc_lo, 0, v4, vcc_lo
	v_add_co_u32 v5, vcc_lo, v5, s6
	v_add_co_ci_u32_e32 v6, vcc_lo, s7, v6, vcc_lo
	s_waitcnt vmcnt(0)
	v_fmac_f32_e32 v7, v9, v10
	v_cmp_le_i32_e64 s0, s4, v8
	s_delay_alu instid0(VALU_DEP_1) | instskip(NEXT) | instid1(SALU_CYCLE_1)
	s_or_b32 s15, s0, s15
	s_and_not1_b32 exec_lo, exec_lo, s15
	s_cbranch_execnz .LBB27_10
; %bb.11:
	s_or_b32 exec_lo, exec_lo, s15
.LBB27_12:
	s_delay_alu instid0(SALU_CYCLE_1) | instskip(SKIP_2) | instid1(VALU_DEP_1)
	s_or_b32 exec_lo, exec_lo, s13
	v_add_nc_u32_e32 v3, s4, v0
	s_mov_b32 s0, exec_lo
	v_cmpx_gt_i32_e64 s5, v3
	s_cbranch_execz .LBB27_14
; %bb.13:
	v_ashrrev_i32_e32 v6, 31, v3
	v_mul_lo_u32 v8, v3, s17
	v_mad_u64_u32 v[4:5], null, v3, s16, 0
	s_lshl_b64 s[2:3], s[2:3], 2
	s_delay_alu instid0(VALU_DEP_3) | instskip(SKIP_3) | instid1(SALU_CYCLE_1)
	v_mul_lo_u32 v3, v6, s16
	s_add_u32 s5, s48, s2
	s_addc_u32 s6, s49, s3
	s_lshl_b64 s[2:3], s[50:51], 2
	s_add_u32 s7, s5, s2
	s_addc_u32 s6, s6, s3
	s_ashr_i32 s5, s4, 31
	s_delay_alu instid0(VALU_DEP_1) | instskip(SKIP_1) | instid1(SALU_CYCLE_1)
	v_add3_u32 v5, v5, v8, v3
	s_lshl_b64 s[2:3], s[4:5], 2
	v_add_co_u32 v1, vcc_lo, v1, s2
	s_delay_alu instid0(VALU_DEP_2) | instskip(SKIP_1) | instid1(VALU_DEP_2)
	v_lshlrev_b64 v[3:4], 2, v[4:5]
	v_add_co_ci_u32_e32 v2, vcc_lo, s3, v2, vcc_lo
	v_add_co_u32 v3, vcc_lo, s7, v3
	s_delay_alu instid0(VALU_DEP_3)
	v_add_co_ci_u32_e32 v4, vcc_lo, s6, v4, vcc_lo
	global_load_b32 v1, v[1:2], off
	global_load_b32 v2, v[3:4], off
	s_waitcnt vmcnt(0)
	v_fmac_f32_e32 v7, v1, v2
.LBB27_14:
	s_or_b32 exec_lo, exec_lo, s0
	v_and_b32_e32 v4, 31, v0
	v_cmp_gt_u32_e32 vcc_lo, 32, v0
	s_delay_alu instid0(VALU_DEP_2)
	v_lshlrev_b32_e32 v1, 2, v4
	s_and_saveexec_b32 s0, vcc_lo
	s_cbranch_execz .LBB27_16
; %bb.15:
	v_mov_b32_e32 v2, 0
	ds_store_b32 v1, v2
.LBB27_16:
	s_or_b32 exec_lo, exec_lo, s0
	v_mbcnt_lo_u32_b32 v5, -1, 0
	s_mov_b32 s2, exec_lo
	s_waitcnt lgkmcnt(0)
	s_barrier
	buffer_gl0_inv
	v_cmp_gt_u32_e64 s0, 16, v5
	s_delay_alu instid0(VALU_DEP_1) | instskip(SKIP_1) | instid1(VALU_DEP_2)
	v_cndmask_b32_e64 v2, 0, 1, s0
	v_cmp_gt_u32_e64 s0, 24, v5
	v_lshlrev_b32_e32 v2, 4, v2
	s_delay_alu instid0(VALU_DEP_2) | instskip(SKIP_1) | instid1(VALU_DEP_3)
	v_cndmask_b32_e64 v3, 0, 1, s0
	v_cmp_gt_u32_e64 s0, 28, v5
	v_add_lshl_u32 v2, v2, v5, 2
	ds_bpermute_b32 v2, v2, v7
	s_waitcnt lgkmcnt(0)
	v_dual_add_f32 v6, v7, v2 :: v_dual_lshlrev_b32 v3, 3, v3
	s_delay_alu instid0(VALU_DEP_1) | instskip(SKIP_4) | instid1(VALU_DEP_1)
	v_add_lshl_u32 v3, v3, v5, 2
	v_cndmask_b32_e64 v2, 0, 1, s0
	v_cmp_gt_u32_e64 s0, 30, v5
	ds_bpermute_b32 v3, v3, v6
	v_lshlrev_b32_e32 v2, 2, v2
	v_add_lshl_u32 v2, v2, v5, 2
	s_waitcnt lgkmcnt(0)
	v_add_f32_e32 v6, v6, v3
	v_cndmask_b32_e64 v3, 0, 1, s0
	v_cmp_ne_u32_e64 s0, 31, v5
	s_delay_alu instid0(VALU_DEP_2) | instskip(NEXT) | instid1(VALU_DEP_1)
	v_lshlrev_b32_e32 v3, 1, v3
	v_add_lshl_u32 v3, v3, v5, 2
	s_delay_alu instid0(VALU_DEP_3) | instskip(NEXT) | instid1(VALU_DEP_1)
	v_add_co_ci_u32_e64 v5, s0, 0, v5, s0
	v_lshlrev_b32_e32 v5, 2, v5
	ds_bpermute_b32 v7, v2, v6
	s_waitcnt lgkmcnt(0)
	v_add_f32_e32 v6, v6, v7
	ds_bpermute_b32 v7, v3, v6
	s_waitcnt lgkmcnt(0)
	v_add_f32_e32 v6, v6, v7
	ds_bpermute_b32 v7, v5, v6
	v_cmpx_eq_u32_e32 0, v4
	s_cbranch_execz .LBB27_18
; %bb.17:
	v_lshrrev_b32_e32 v4, 3, v0
	s_waitcnt lgkmcnt(0)
	v_add_f32_e32 v6, v6, v7
	s_delay_alu instid0(VALU_DEP_2)
	v_and_b32_e32 v4, 28, v4
	ds_store_b32 v4, v6
.LBB27_18:
	s_or_b32 exec_lo, exec_lo, s2
	v_mov_b32_e32 v4, 0
	s_mov_b32 s2, exec_lo
	s_waitcnt lgkmcnt(0)
	s_barrier
	buffer_gl0_inv
	v_cmpx_gt_u32_e32 8, v0
	s_cbranch_execz .LBB27_20
; %bb.19:
	ds_load_b32 v4, v1
.LBB27_20:
	s_or_b32 exec_lo, exec_lo, s2
	s_and_saveexec_b32 s0, vcc_lo
	s_cbranch_execz .LBB27_22
; %bb.21:
	s_waitcnt lgkmcnt(0)
	ds_bpermute_b32 v1, v2, v4
	s_waitcnt lgkmcnt(0)
	v_add_f32_e32 v1, v4, v1
	ds_bpermute_b32 v2, v3, v1
	s_waitcnt lgkmcnt(0)
	v_add_f32_e32 v1, v1, v2
	;; [unrolled: 3-line block ×3, first 2 shown]
.LBB27_22:
	s_or_b32 exec_lo, exec_lo, s0
	s_delay_alu instid0(SALU_CYCLE_1)
	s_mov_b32 s0, exec_lo
                                        ; implicit-def: $vgpr1
                                        ; implicit-def: $sgpr4_sgpr5
	v_cmpx_eq_u32_e32 0, v0
	s_cbranch_execz .LBB27_26
; %bb.23:
	v_cmp_eq_f32_e64 s4, s10, 0
	s_mul_i32 s2, s14, s29
	s_mul_hi_u32 s3, s14, s28
	s_waitcnt lgkmcnt(0)
	v_mul_f32_e32 v1, s12, v4
	s_add_i32 s2, s3, s2
	s_mul_i32 s1, s1, s28
	s_and_b32 vcc_lo, exec_lo, s4
	s_add_i32 s5, s2, s1
	s_mul_i32 s4, s14, s28
	s_cbranch_vccnz .LBB27_25
; %bb.24:
	s_lshl_b64 s[2:3], s[4:5], 2
	s_delay_alu instid0(SALU_CYCLE_1)
	s_add_u32 s2, s8, s2
	s_addc_u32 s3, s9, s3
	s_load_b32 s1, s[2:3], 0x0
	s_waitcnt lgkmcnt(0)
	v_fmac_f32_e64 v1, s10, s1
.LBB27_25:
	s_or_b32 s11, s11, exec_lo
.LBB27_26:
	s_or_b32 exec_lo, exec_lo, s0
.LBB27_27:
	s_and_saveexec_b32 s0, s11
	s_cbranch_execz .LBB27_29
; %bb.28:
	s_lshl_b64 s[0:1], s[4:5], 2
	v_mov_b32_e32 v0, 0
	s_add_u32 s0, s8, s0
	s_addc_u32 s1, s9, s1
	global_store_b32 v0, v1, s[0:1]
.LBB27_29:
	s_nop 0
	s_sendmsg sendmsg(MSG_DEALLOC_VGPRS)
	s_endpgm
	.section	.rodata,"a",@progbits
	.p2align	6, 0x0
	.amdhsa_kernel _ZL32rocblas_gemvt_warp_reduce_kernelILb0ELi256ElfPKffEviiT3_lPKT2_lT1_lS5_lS6_lS2_lPT4_lS6_li
		.amdhsa_group_segment_fixed_size 128
		.amdhsa_private_segment_fixed_size 0
		.amdhsa_kernarg_size 140
		.amdhsa_user_sgpr_count 14
		.amdhsa_user_sgpr_dispatch_ptr 0
		.amdhsa_user_sgpr_queue_ptr 0
		.amdhsa_user_sgpr_kernarg_segment_ptr 1
		.amdhsa_user_sgpr_dispatch_id 0
		.amdhsa_user_sgpr_private_segment_size 0
		.amdhsa_wavefront_size32 1
		.amdhsa_uses_dynamic_stack 0
		.amdhsa_enable_private_segment 0
		.amdhsa_system_sgpr_workgroup_id_x 1
		.amdhsa_system_sgpr_workgroup_id_y 0
		.amdhsa_system_sgpr_workgroup_id_z 1
		.amdhsa_system_sgpr_workgroup_info 0
		.amdhsa_system_vgpr_workitem_id 0
		.amdhsa_next_free_vgpr 11
		.amdhsa_next_free_sgpr 52
		.amdhsa_reserve_vcc 1
		.amdhsa_float_round_mode_32 0
		.amdhsa_float_round_mode_16_64 0
		.amdhsa_float_denorm_mode_32 3
		.amdhsa_float_denorm_mode_16_64 3
		.amdhsa_dx10_clamp 1
		.amdhsa_ieee_mode 1
		.amdhsa_fp16_overflow 0
		.amdhsa_workgroup_processor_mode 1
		.amdhsa_memory_ordered 1
		.amdhsa_forward_progress 0
		.amdhsa_shared_vgpr_count 0
		.amdhsa_exception_fp_ieee_invalid_op 0
		.amdhsa_exception_fp_denorm_src 0
		.amdhsa_exception_fp_ieee_div_zero 0
		.amdhsa_exception_fp_ieee_overflow 0
		.amdhsa_exception_fp_ieee_underflow 0
		.amdhsa_exception_fp_ieee_inexact 0
		.amdhsa_exception_int_div_zero 0
	.end_amdhsa_kernel
	.section	.text._ZL32rocblas_gemvt_warp_reduce_kernelILb0ELi256ElfPKffEviiT3_lPKT2_lT1_lS5_lS6_lS2_lPT4_lS6_li,"axG",@progbits,_ZL32rocblas_gemvt_warp_reduce_kernelILb0ELi256ElfPKffEviiT3_lPKT2_lT1_lS5_lS6_lS2_lPT4_lS6_li,comdat
.Lfunc_end27:
	.size	_ZL32rocblas_gemvt_warp_reduce_kernelILb0ELi256ElfPKffEviiT3_lPKT2_lT1_lS5_lS6_lS2_lPT4_lS6_li, .Lfunc_end27-_ZL32rocblas_gemvt_warp_reduce_kernelILb0ELi256ElfPKffEviiT3_lPKT2_lT1_lS5_lS6_lS2_lPT4_lS6_li
                                        ; -- End function
	.section	.AMDGPU.csdata,"",@progbits
; Kernel info:
; codeLenInByte = 1488
; NumSgprs: 54
; NumVgprs: 11
; ScratchSize: 0
; MemoryBound: 0
; FloatMode: 240
; IeeeMode: 1
; LDSByteSize: 128 bytes/workgroup (compile time only)
; SGPRBlocks: 6
; VGPRBlocks: 1
; NumSGPRsForWavesPerEU: 54
; NumVGPRsForWavesPerEU: 11
; Occupancy: 16
; WaveLimiterHint : 0
; COMPUTE_PGM_RSRC2:SCRATCH_EN: 0
; COMPUTE_PGM_RSRC2:USER_SGPR: 14
; COMPUTE_PGM_RSRC2:TRAP_HANDLER: 0
; COMPUTE_PGM_RSRC2:TGID_X_EN: 1
; COMPUTE_PGM_RSRC2:TGID_Y_EN: 0
; COMPUTE_PGM_RSRC2:TGID_Z_EN: 1
; COMPUTE_PGM_RSRC2:TIDIG_COMP_CNT: 0
	.section	.text._ZL32rocblas_gemvt_warp_reduce_kernelILb0ELi256EifffEviiT3_lPKT2_lT1_lS3_lS4_lS0_lPT4_lS4_li,"axG",@progbits,_ZL32rocblas_gemvt_warp_reduce_kernelILb0ELi256EifffEviiT3_lPKT2_lT1_lS3_lS4_lS0_lPT4_lS4_li,comdat
	.globl	_ZL32rocblas_gemvt_warp_reduce_kernelILb0ELi256EifffEviiT3_lPKT2_lT1_lS3_lS4_lS0_lPT4_lS4_li ; -- Begin function _ZL32rocblas_gemvt_warp_reduce_kernelILb0ELi256EifffEviiT3_lPKT2_lT1_lS3_lS4_lS0_lPT4_lS4_li
	.p2align	8
	.type	_ZL32rocblas_gemvt_warp_reduce_kernelILb0ELi256EifffEviiT3_lPKT2_lT1_lS3_lS4_lS0_lPT4_lS4_li,@function
_ZL32rocblas_gemvt_warp_reduce_kernelILb0ELi256EifffEviiT3_lPKT2_lT1_lS3_lS4_lS0_lPT4_lS4_li: ; @_ZL32rocblas_gemvt_warp_reduce_kernelILb0ELi256EifffEviiT3_lPKT2_lT1_lS3_lS4_lS0_lPT4_lS4_li
; %bb.0:
	s_clause 0x1
	s_load_b32 s10, s[0:1], 0x8
	s_load_b32 s8, s[0:1], 0x58
	s_mov_b32 s9, 0
	s_waitcnt lgkmcnt(0)
	v_cmp_eq_f32_e64 s2, s10, 0
	v_cmp_eq_f32_e64 s3, s8, 1.0
	s_delay_alu instid0(VALU_DEP_1) | instskip(NEXT) | instid1(SALU_CYCLE_1)
	s_and_b32 s2, s2, s3
	s_and_b32 vcc_lo, exec_lo, s2
	s_cbranch_vccnz .LBB28_29
; %bb.1:
	s_clause 0x2
	s_load_b64 s[2:3], s[0:1], 0x80
	s_load_b128 s[4:7], s[0:1], 0x68
	s_load_b32 s11, s[0:1], 0x78
	s_waitcnt lgkmcnt(0)
	s_mul_i32 s3, s15, s3
	s_mul_hi_u32 s12, s15, s2
	s_mul_i32 s2, s15, s2
	s_add_i32 s3, s12, s3
	v_cmp_neq_f32_e64 s12, s10, 0
	s_lshl_b64 s[2:3], s[2:3], 2
	s_delay_alu instid0(SALU_CYCLE_1) | instskip(SKIP_2) | instid1(SALU_CYCLE_1)
	s_add_u32 s4, s4, s2
	s_addc_u32 s5, s5, s3
	s_lshl_b64 s[2:3], s[6:7], 2
	s_add_u32 s6, s4, s2
	v_cmp_eq_u32_e64 s2, 0, v0
	s_addc_u32 s7, s5, s3
	s_and_b32 vcc_lo, exec_lo, s12
	s_cbranch_vccnz .LBB28_6
; %bb.2:
	s_mov_b32 s3, 0
                                        ; implicit-def: $vgpr1
                                        ; implicit-def: $sgpr4_sgpr5
	s_and_saveexec_b32 s12, s2
	s_cbranch_execz .LBB28_7
; %bb.3:
	v_cmp_eq_f32_e64 s2, s8, 0
	v_mov_b32_e32 v1, 0
	s_mul_i32 s4, s14, s11
	s_delay_alu instid0(SALU_CYCLE_1) | instskip(NEXT) | instid1(VALU_DEP_2)
	s_ashr_i32 s5, s4, 31
	s_and_b32 vcc_lo, exec_lo, s2
	s_cbranch_vccnz .LBB28_5
; %bb.4:
	s_lshl_b64 s[16:17], s[4:5], 2
	s_delay_alu instid0(SALU_CYCLE_1)
	s_add_u32 s16, s6, s16
	s_addc_u32 s17, s7, s17
	s_load_b32 s2, s[16:17], 0x0
	s_waitcnt lgkmcnt(0)
	v_mul_f32_e64 v1, s2, s8
.LBB28_5:
	s_mov_b32 s9, exec_lo
	s_or_b32 exec_lo, exec_lo, s12
	s_delay_alu instid0(SALU_CYCLE_1)
	s_and_b32 vcc_lo, exec_lo, s3
	s_cbranch_vccnz .LBB28_8
	s_branch .LBB28_27
.LBB28_6:
                                        ; implicit-def: $vgpr1
                                        ; implicit-def: $sgpr4_sgpr5
	s_cbranch_execnz .LBB28_8
	s_branch .LBB28_27
.LBB28_7:
	s_or_b32 exec_lo, exec_lo, s12
	s_delay_alu instid0(SALU_CYCLE_1)
	s_and_b32 vcc_lo, exec_lo, s3
	s_cbranch_vccz .LBB28_27
.LBB28_8:
	s_clause 0x6
	s_load_b64 s[4:5], s[0:1], 0x50
	s_load_b128 s[16:19], s[0:1], 0x30
	s_load_b64 s[12:13], s[0:1], 0x40
	s_load_b32 s3, s[0:1], 0x0
	s_load_b128 s[20:23], s[0:1], 0x18
	s_load_b32 s2, s[0:1], 0x28
	s_load_b32 s1, s[0:1], 0x48
	v_mov_b32_e32 v7, 0
	s_waitcnt lgkmcnt(0)
	s_mul_i32 s0, s15, s5
	s_mul_hi_u32 s5, s15, s4
	s_mul_i32 s4, s15, s4
	s_add_i32 s5, s5, s0
	s_mul_i32 s0, s15, s17
	s_lshl_b64 s[4:5], s[4:5], 2
	s_mul_hi_u32 s17, s15, s16
	s_add_u32 s18, s18, s4
	s_addc_u32 s19, s19, s5
	s_lshl_b64 s[4:5], s[12:13], 2
	v_cmp_gt_i32_e32 vcc_lo, s3, v0
	s_add_u32 s4, s18, s4
	s_mul_i32 s12, s15, s16
	s_addc_u32 s5, s19, s5
	s_add_i32 s13, s17, s0
	v_cndmask_b32_e32 v1, 0, v0, vcc_lo
	s_lshl_b64 s[12:13], s[12:13], 2
	s_mul_i32 s16, s14, s2
	s_add_u32 s0, s20, s12
	s_addc_u32 s15, s21, s13
	s_lshl_b64 s[12:13], s[22:23], 2
	v_lshlrev_b32_e32 v1, 2, v1
	s_add_u32 s0, s0, s12
	s_addc_u32 s2, s15, s13
	s_ashr_i32 s17, s16, 31
	s_delay_alu instid0(SALU_CYCLE_1) | instskip(NEXT) | instid1(SALU_CYCLE_1)
	s_lshl_b64 s[12:13], s[16:17], 2
	s_add_u32 s0, s12, s0
	s_addc_u32 s12, s13, s2
	s_ashr_i32 s2, s3, 31
	v_add_co_u32 v1, s0, s0, v1
	s_lshr_b32 s2, s2, 24
	v_add_co_ci_u32_e64 v2, null, s12, 0, s0
	s_add_i32 s2, s3, s2
	s_mov_b32 s13, 0
	s_and_b32 s2, s2, 0xffffff00
	s_mov_b32 s12, exec_lo
	v_cmpx_gt_i32_e64 s2, v0
	s_cbranch_execz .LBB28_12
; %bb.9:
	v_mul_lo_u32 v3, v0, s1
	v_dual_mov_b32 v7, 0 :: v_dual_mov_b32 v6, v2
	v_dual_mov_b32 v5, v1 :: v_dual_mov_b32 v8, v0
	s_lshl_b32 s15, s1, 8
	.p2align	6
.LBB28_10:                              ; =>This Inner Loop Header: Depth=1
	s_delay_alu instid0(VALU_DEP_3) | instskip(NEXT) | instid1(VALU_DEP_1)
	v_ashrrev_i32_e32 v4, 31, v3
	v_lshlrev_b64 v[9:10], 2, v[3:4]
	v_add_nc_u32_e32 v3, s15, v3
	s_delay_alu instid0(VALU_DEP_2) | instskip(NEXT) | instid1(VALU_DEP_3)
	v_add_co_u32 v9, vcc_lo, s4, v9
	v_add_co_ci_u32_e32 v10, vcc_lo, s5, v10, vcc_lo
	global_load_b32 v4, v[5:6], off
	global_load_b32 v9, v[9:10], off
	v_add_nc_u32_e32 v8, 0x100, v8
	v_add_co_u32 v5, vcc_lo, 0x400, v5
	v_add_co_ci_u32_e32 v6, vcc_lo, 0, v6, vcc_lo
	s_waitcnt vmcnt(0)
	v_fmac_f32_e32 v7, v4, v9
	v_cmp_le_i32_e64 s0, s2, v8
	s_delay_alu instid0(VALU_DEP_1) | instskip(NEXT) | instid1(SALU_CYCLE_1)
	s_or_b32 s13, s0, s13
	s_and_not1_b32 exec_lo, exec_lo, s13
	s_cbranch_execnz .LBB28_10
; %bb.11:
	s_or_b32 exec_lo, exec_lo, s13
.LBB28_12:
	s_delay_alu instid0(SALU_CYCLE_1) | instskip(SKIP_2) | instid1(VALU_DEP_1)
	s_or_b32 exec_lo, exec_lo, s12
	v_add_nc_u32_e32 v3, s2, v0
	s_mov_b32 s0, exec_lo
	v_cmpx_gt_i32_e64 s3, v3
	s_cbranch_execz .LBB28_14
; %bb.13:
	v_mul_lo_u32 v3, v3, s1
	s_ashr_i32 s3, s2, 31
	s_delay_alu instid0(SALU_CYCLE_1) | instskip(NEXT) | instid1(SALU_CYCLE_1)
	s_lshl_b64 s[2:3], s[2:3], 2
	v_add_co_u32 v1, vcc_lo, v1, s2
	v_add_co_ci_u32_e32 v2, vcc_lo, s3, v2, vcc_lo
	s_delay_alu instid0(VALU_DEP_3) | instskip(NEXT) | instid1(VALU_DEP_1)
	v_ashrrev_i32_e32 v4, 31, v3
	v_lshlrev_b64 v[3:4], 2, v[3:4]
	s_delay_alu instid0(VALU_DEP_1) | instskip(NEXT) | instid1(VALU_DEP_2)
	v_add_co_u32 v3, vcc_lo, s4, v3
	v_add_co_ci_u32_e32 v4, vcc_lo, s5, v4, vcc_lo
	global_load_b32 v1, v[1:2], off
	global_load_b32 v2, v[3:4], off
	s_waitcnt vmcnt(0)
	v_fmac_f32_e32 v7, v1, v2
.LBB28_14:
	s_or_b32 exec_lo, exec_lo, s0
	v_and_b32_e32 v4, 31, v0
	v_cmp_gt_u32_e32 vcc_lo, 32, v0
	s_delay_alu instid0(VALU_DEP_2)
	v_lshlrev_b32_e32 v1, 2, v4
	s_and_saveexec_b32 s0, vcc_lo
	s_cbranch_execz .LBB28_16
; %bb.15:
	v_mov_b32_e32 v2, 0
	ds_store_b32 v1, v2
.LBB28_16:
	s_or_b32 exec_lo, exec_lo, s0
	v_mbcnt_lo_u32_b32 v5, -1, 0
	s_mov_b32 s1, exec_lo
	s_waitcnt lgkmcnt(0)
	s_barrier
	buffer_gl0_inv
	v_cmp_gt_u32_e64 s0, 16, v5
	s_delay_alu instid0(VALU_DEP_1) | instskip(SKIP_1) | instid1(VALU_DEP_2)
	v_cndmask_b32_e64 v2, 0, 1, s0
	v_cmp_gt_u32_e64 s0, 24, v5
	v_lshlrev_b32_e32 v2, 4, v2
	s_delay_alu instid0(VALU_DEP_2) | instskip(SKIP_1) | instid1(VALU_DEP_3)
	v_cndmask_b32_e64 v3, 0, 1, s0
	v_cmp_gt_u32_e64 s0, 28, v5
	v_add_lshl_u32 v2, v2, v5, 2
	ds_bpermute_b32 v2, v2, v7
	s_waitcnt lgkmcnt(0)
	v_dual_add_f32 v6, v7, v2 :: v_dual_lshlrev_b32 v3, 3, v3
	s_delay_alu instid0(VALU_DEP_1) | instskip(SKIP_4) | instid1(VALU_DEP_1)
	v_add_lshl_u32 v3, v3, v5, 2
	v_cndmask_b32_e64 v2, 0, 1, s0
	v_cmp_gt_u32_e64 s0, 30, v5
	ds_bpermute_b32 v3, v3, v6
	v_lshlrev_b32_e32 v2, 2, v2
	v_add_lshl_u32 v2, v2, v5, 2
	s_waitcnt lgkmcnt(0)
	v_add_f32_e32 v6, v6, v3
	v_cndmask_b32_e64 v3, 0, 1, s0
	v_cmp_ne_u32_e64 s0, 31, v5
	s_delay_alu instid0(VALU_DEP_2) | instskip(NEXT) | instid1(VALU_DEP_1)
	v_lshlrev_b32_e32 v3, 1, v3
	v_add_lshl_u32 v3, v3, v5, 2
	s_delay_alu instid0(VALU_DEP_3) | instskip(NEXT) | instid1(VALU_DEP_1)
	v_add_co_ci_u32_e64 v5, s0, 0, v5, s0
	v_lshlrev_b32_e32 v5, 2, v5
	ds_bpermute_b32 v7, v2, v6
	s_waitcnt lgkmcnt(0)
	v_add_f32_e32 v6, v6, v7
	ds_bpermute_b32 v7, v3, v6
	s_waitcnt lgkmcnt(0)
	v_add_f32_e32 v6, v6, v7
	ds_bpermute_b32 v7, v5, v6
	v_cmpx_eq_u32_e32 0, v4
	s_cbranch_execz .LBB28_18
; %bb.17:
	v_lshrrev_b32_e32 v4, 3, v0
	s_waitcnt lgkmcnt(0)
	v_add_f32_e32 v6, v6, v7
	s_delay_alu instid0(VALU_DEP_2)
	v_and_b32_e32 v4, 28, v4
	ds_store_b32 v4, v6
.LBB28_18:
	s_or_b32 exec_lo, exec_lo, s1
	v_mov_b32_e32 v4, 0
	s_mov_b32 s1, exec_lo
	s_waitcnt lgkmcnt(0)
	s_barrier
	buffer_gl0_inv
	v_cmpx_gt_u32_e32 8, v0
	s_cbranch_execz .LBB28_20
; %bb.19:
	ds_load_b32 v4, v1
.LBB28_20:
	s_or_b32 exec_lo, exec_lo, s1
	s_and_saveexec_b32 s0, vcc_lo
	s_cbranch_execz .LBB28_22
; %bb.21:
	s_waitcnt lgkmcnt(0)
	ds_bpermute_b32 v1, v2, v4
	s_waitcnt lgkmcnt(0)
	v_add_f32_e32 v1, v4, v1
	ds_bpermute_b32 v2, v3, v1
	s_waitcnt lgkmcnt(0)
	v_add_f32_e32 v1, v1, v2
	;; [unrolled: 3-line block ×3, first 2 shown]
.LBB28_22:
	s_or_b32 exec_lo, exec_lo, s0
	s_delay_alu instid0(SALU_CYCLE_1)
	s_mov_b32 s0, exec_lo
                                        ; implicit-def: $vgpr1
                                        ; implicit-def: $sgpr4_sgpr5
	v_cmpx_eq_u32_e32 0, v0
	s_cbranch_execz .LBB28_26
; %bb.23:
	v_cmp_eq_f32_e64 s1, s8, 0
	s_waitcnt lgkmcnt(0)
	v_mul_f32_e32 v1, s10, v4
	s_mul_i32 s4, s14, s11
	s_delay_alu instid0(SALU_CYCLE_1)
	s_ashr_i32 s5, s4, 31
	s_and_b32 vcc_lo, exec_lo, s1
	s_cbranch_vccnz .LBB28_25
; %bb.24:
	s_lshl_b64 s[2:3], s[4:5], 2
	s_delay_alu instid0(SALU_CYCLE_1)
	s_add_u32 s2, s6, s2
	s_addc_u32 s3, s7, s3
	s_load_b32 s1, s[2:3], 0x0
	s_waitcnt lgkmcnt(0)
	v_fmac_f32_e64 v1, s1, s8
.LBB28_25:
	s_or_b32 s9, s9, exec_lo
.LBB28_26:
	s_or_b32 exec_lo, exec_lo, s0
.LBB28_27:
	s_and_saveexec_b32 s0, s9
	s_cbranch_execz .LBB28_29
; %bb.28:
	s_lshl_b64 s[0:1], s[4:5], 2
	v_mov_b32_e32 v0, 0
	s_add_u32 s0, s6, s0
	s_addc_u32 s1, s7, s1
	global_store_b32 v0, v1, s[0:1]
.LBB28_29:
	s_nop 0
	s_sendmsg sendmsg(MSG_DEALLOC_VGPRS)
	s_endpgm
	.section	.rodata,"a",@progbits
	.p2align	6, 0x0
	.amdhsa_kernel _ZL32rocblas_gemvt_warp_reduce_kernelILb0ELi256EifffEviiT3_lPKT2_lT1_lS3_lS4_lS0_lPT4_lS4_li
		.amdhsa_group_segment_fixed_size 128
		.amdhsa_private_segment_fixed_size 0
		.amdhsa_kernarg_size 140
		.amdhsa_user_sgpr_count 14
		.amdhsa_user_sgpr_dispatch_ptr 0
		.amdhsa_user_sgpr_queue_ptr 0
		.amdhsa_user_sgpr_kernarg_segment_ptr 1
		.amdhsa_user_sgpr_dispatch_id 0
		.amdhsa_user_sgpr_private_segment_size 0
		.amdhsa_wavefront_size32 1
		.amdhsa_uses_dynamic_stack 0
		.amdhsa_enable_private_segment 0
		.amdhsa_system_sgpr_workgroup_id_x 1
		.amdhsa_system_sgpr_workgroup_id_y 0
		.amdhsa_system_sgpr_workgroup_id_z 1
		.amdhsa_system_sgpr_workgroup_info 0
		.amdhsa_system_vgpr_workitem_id 0
		.amdhsa_next_free_vgpr 11
		.amdhsa_next_free_sgpr 24
		.amdhsa_reserve_vcc 1
		.amdhsa_float_round_mode_32 0
		.amdhsa_float_round_mode_16_64 0
		.amdhsa_float_denorm_mode_32 3
		.amdhsa_float_denorm_mode_16_64 3
		.amdhsa_dx10_clamp 1
		.amdhsa_ieee_mode 1
		.amdhsa_fp16_overflow 0
		.amdhsa_workgroup_processor_mode 1
		.amdhsa_memory_ordered 1
		.amdhsa_forward_progress 0
		.amdhsa_shared_vgpr_count 0
		.amdhsa_exception_fp_ieee_invalid_op 0
		.amdhsa_exception_fp_denorm_src 0
		.amdhsa_exception_fp_ieee_div_zero 0
		.amdhsa_exception_fp_ieee_overflow 0
		.amdhsa_exception_fp_ieee_underflow 0
		.amdhsa_exception_fp_ieee_inexact 0
		.amdhsa_exception_int_div_zero 0
	.end_amdhsa_kernel
	.section	.text._ZL32rocblas_gemvt_warp_reduce_kernelILb0ELi256EifffEviiT3_lPKT2_lT1_lS3_lS4_lS0_lPT4_lS4_li,"axG",@progbits,_ZL32rocblas_gemvt_warp_reduce_kernelILb0ELi256EifffEviiT3_lPKT2_lT1_lS3_lS4_lS0_lPT4_lS4_li,comdat
.Lfunc_end28:
	.size	_ZL32rocblas_gemvt_warp_reduce_kernelILb0ELi256EifffEviiT3_lPKT2_lT1_lS3_lS4_lS0_lPT4_lS4_li, .Lfunc_end28-_ZL32rocblas_gemvt_warp_reduce_kernelILb0ELi256EifffEviiT3_lPKT2_lT1_lS3_lS4_lS0_lPT4_lS4_li
                                        ; -- End function
	.section	.AMDGPU.csdata,"",@progbits
; Kernel info:
; codeLenInByte = 1368
; NumSgprs: 26
; NumVgprs: 11
; ScratchSize: 0
; MemoryBound: 0
; FloatMode: 240
; IeeeMode: 1
; LDSByteSize: 128 bytes/workgroup (compile time only)
; SGPRBlocks: 3
; VGPRBlocks: 1
; NumSGPRsForWavesPerEU: 26
; NumVGPRsForWavesPerEU: 11
; Occupancy: 16
; WaveLimiterHint : 1
; COMPUTE_PGM_RSRC2:SCRATCH_EN: 0
; COMPUTE_PGM_RSRC2:USER_SGPR: 14
; COMPUTE_PGM_RSRC2:TRAP_HANDLER: 0
; COMPUTE_PGM_RSRC2:TGID_X_EN: 1
; COMPUTE_PGM_RSRC2:TGID_Y_EN: 0
; COMPUTE_PGM_RSRC2:TGID_Z_EN: 1
; COMPUTE_PGM_RSRC2:TIDIG_COMP_CNT: 0
	.section	.text._ZL32rocblas_gemvt_warp_reduce_kernelILb0ELi256ElfffEviiT3_lPKT2_lT1_lS3_lS4_lS0_lPT4_lS4_li,"axG",@progbits,_ZL32rocblas_gemvt_warp_reduce_kernelILb0ELi256ElfffEviiT3_lPKT2_lT1_lS3_lS4_lS0_lPT4_lS4_li,comdat
	.globl	_ZL32rocblas_gemvt_warp_reduce_kernelILb0ELi256ElfffEviiT3_lPKT2_lT1_lS3_lS4_lS0_lPT4_lS4_li ; -- Begin function _ZL32rocblas_gemvt_warp_reduce_kernelILb0ELi256ElfffEviiT3_lPKT2_lT1_lS3_lS4_lS0_lPT4_lS4_li
	.p2align	8
	.type	_ZL32rocblas_gemvt_warp_reduce_kernelILb0ELi256ElfffEviiT3_lPKT2_lT1_lS3_lS4_lS0_lPT4_lS4_li,@function
_ZL32rocblas_gemvt_warp_reduce_kernelILb0ELi256ElfffEviiT3_lPKT2_lT1_lS3_lS4_lS0_lPT4_lS4_li: ; @_ZL32rocblas_gemvt_warp_reduce_kernelILb0ELi256ElfffEviiT3_lPKT2_lT1_lS3_lS4_lS0_lPT4_lS4_li
; %bb.0:
	s_clause 0x1
	s_load_b32 s33, s[0:1], 0x8
	s_load_b32 s12, s[0:1], 0x58
	s_mov_b32 s13, 0
	s_waitcnt lgkmcnt(0)
	v_cmp_eq_f32_e64 s2, s33, 0
	v_cmp_eq_f32_e64 s3, s12, 1.0
	s_delay_alu instid0(VALU_DEP_1) | instskip(NEXT) | instid1(SALU_CYCLE_1)
	s_and_b32 s2, s2, s3
	s_and_b32 vcc_lo, exec_lo, s2
	s_cbranch_vccnz .LBB29_29
; %bb.1:
	s_load_b256 s[4:11], s[0:1], 0x68
	v_cmp_neq_f32_e64 s16, s33, 0
	s_waitcnt lgkmcnt(0)
	s_mul_i32 s3, s15, s11
	s_mul_hi_u32 s11, s15, s10
	s_mul_i32 s2, s15, s10
	s_add_i32 s3, s11, s3
	s_delay_alu instid0(SALU_CYCLE_1) | instskip(NEXT) | instid1(SALU_CYCLE_1)
	s_lshl_b64 s[2:3], s[2:3], 2
	s_add_u32 s4, s4, s2
	s_addc_u32 s5, s5, s3
	s_lshl_b64 s[2:3], s[6:7], 2
	s_delay_alu instid0(SALU_CYCLE_1)
	s_add_u32 s10, s4, s2
	v_cmp_eq_u32_e64 s2, 0, v0
	s_addc_u32 s11, s5, s3
	s_and_b32 vcc_lo, exec_lo, s16
	s_cbranch_vccnz .LBB29_6
; %bb.2:
	s_mov_b32 s3, 0
                                        ; implicit-def: $vgpr1
                                        ; implicit-def: $sgpr4_sgpr5
	s_and_saveexec_b32 s6, s2
	s_cbranch_execz .LBB29_7
; %bb.3:
	v_cmp_eq_f32_e64 s2, s12, 0
	s_mul_i32 s4, s14, s9
	s_mul_hi_u32 s5, s14, s8
	s_ashr_i32 s7, s14, 31
	v_mov_b32_e32 v1, 0
	s_add_i32 s4, s5, s4
	s_mul_i32 s7, s7, s8
	s_and_b32 vcc_lo, exec_lo, s2
	s_add_i32 s5, s4, s7
	s_mul_i32 s4, s14, s8
	s_cbranch_vccnz .LBB29_5
; %bb.4:
	s_lshl_b64 s[16:17], s[4:5], 2
	s_delay_alu instid0(SALU_CYCLE_1)
	s_add_u32 s16, s10, s16
	s_addc_u32 s17, s11, s17
	s_load_b32 s2, s[16:17], 0x0
	s_waitcnt lgkmcnt(0)
	v_mul_f32_e64 v1, s2, s12
.LBB29_5:
	s_mov_b32 s13, exec_lo
	s_or_b32 exec_lo, exec_lo, s6
	s_delay_alu instid0(SALU_CYCLE_1)
	s_and_b32 vcc_lo, exec_lo, s3
	s_cbranch_vccnz .LBB29_8
	s_branch .LBB29_27
.LBB29_6:
                                        ; implicit-def: $vgpr1
                                        ; implicit-def: $sgpr4_sgpr5
	s_cbranch_execnz .LBB29_8
	s_branch .LBB29_27
.LBB29_7:
	s_or_b32 exec_lo, exec_lo, s6
	s_delay_alu instid0(SALU_CYCLE_1)
	s_and_b32 vcc_lo, exec_lo, s3
	s_cbranch_vccz .LBB29_27
.LBB29_8:
	s_clause 0x1
	s_load_b512 s[16:31], s[0:1], 0x18
	s_load_b32 s5, s[0:1], 0x0
	v_mov_b32_e32 v7, 0
	s_waitcnt lgkmcnt(0)
	s_mul_i32 s1, s15, s23
	s_mul_hi_u32 s4, s15, s22
	s_mul_i32 s0, s15, s22
	s_add_i32 s1, s4, s1
	s_mul_i32 s2, s15, s31
	s_mul_hi_u32 s3, s15, s30
	s_lshl_b64 s[0:1], s[0:1], 2
	s_add_i32 s3, s3, s2
	v_cmp_gt_i32_e32 vcc_lo, s5, v0
	s_add_u32 s2, s16, s0
	s_addc_u32 s6, s17, s1
	s_lshl_b64 s[0:1], s[18:19], 2
	s_mul_i32 s4, s14, s21
	s_add_u32 s0, s2, s0
	s_mul_hi_u32 s7, s14, s20
	s_addc_u32 s2, s6, s1
	s_ashr_i32 s1, s14, 31
	v_cndmask_b32_e32 v1, 0, v0, vcc_lo
	s_add_i32 s4, s7, s4
	s_mul_i32 s7, s1, s20
	s_mul_i32 s6, s14, s20
	s_add_i32 s7, s4, s7
	v_lshlrev_b32_e32 v1, 2, v1
	s_lshl_b64 s[6:7], s[6:7], 2
	s_mov_b32 s16, 0
	s_add_u32 s0, s6, s0
	s_addc_u32 s2, s7, s2
	s_ashr_i32 s4, s5, 31
	v_add_co_u32 v1, s0, s0, v1
	s_lshr_b32 s4, s4, 24
	v_add_co_ci_u32_e64 v2, null, s2, 0, s0
	s_add_i32 s4, s5, s4
	s_mul_i32 s2, s15, s30
	s_and_b32 s4, s4, 0xffffff00
	s_mov_b32 s15, exec_lo
	v_cmpx_gt_i32_e64 s4, v0
	s_cbranch_execz .LBB29_12
; %bb.9:
	v_mad_u64_u32 v[5:6], null, s28, v0, 0
	s_lshl_b64 s[18:19], s[26:27], 2
	s_lshl_b64 s[6:7], s[2:3], 2
	s_add_u32 s0, s24, s18
	s_addc_u32 s17, s25, s19
	s_add_u32 s0, s0, s6
	s_addc_u32 s6, s17, s7
	s_delay_alu instid0(VALU_DEP_1) | instskip(NEXT) | instid1(VALU_DEP_1)
	v_dual_mov_b32 v3, v6 :: v_dual_mov_b32 v8, v0
	v_mad_u64_u32 v[6:7], null, s29, v0, v[3:4]
	v_dual_mov_b32 v7, 0 :: v_dual_mov_b32 v4, v2
	v_mov_b32_e32 v3, v1
	s_delay_alu instid0(VALU_DEP_3) | instskip(NEXT) | instid1(VALU_DEP_1)
	v_lshlrev_b64 v[5:6], 2, v[5:6]
	v_add_co_u32 v5, vcc_lo, s0, v5
	s_delay_alu instid0(VALU_DEP_2)
	v_add_co_ci_u32_e32 v6, vcc_lo, s6, v6, vcc_lo
	s_lshl_b64 s[6:7], s[28:29], 10
	.p2align	6
.LBB29_10:                              ; =>This Inner Loop Header: Depth=1
	global_load_b32 v9, v[3:4], off
	global_load_b32 v10, v[5:6], off
	v_add_nc_u32_e32 v8, 0x100, v8
	v_add_co_u32 v3, vcc_lo, 0x400, v3
	v_add_co_ci_u32_e32 v4, vcc_lo, 0, v4, vcc_lo
	v_add_co_u32 v5, vcc_lo, v5, s6
	v_add_co_ci_u32_e32 v6, vcc_lo, s7, v6, vcc_lo
	s_waitcnt vmcnt(0)
	v_fmac_f32_e32 v7, v9, v10
	v_cmp_le_i32_e64 s0, s4, v8
	s_delay_alu instid0(VALU_DEP_1) | instskip(NEXT) | instid1(SALU_CYCLE_1)
	s_or_b32 s16, s0, s16
	s_and_not1_b32 exec_lo, exec_lo, s16
	s_cbranch_execnz .LBB29_10
; %bb.11:
	s_or_b32 exec_lo, exec_lo, s16
.LBB29_12:
	s_delay_alu instid0(SALU_CYCLE_1) | instskip(SKIP_2) | instid1(VALU_DEP_1)
	s_or_b32 exec_lo, exec_lo, s15
	v_add_nc_u32_e32 v3, s4, v0
	s_mov_b32 s0, exec_lo
	v_cmpx_gt_i32_e64 s5, v3
	s_cbranch_execz .LBB29_14
; %bb.13:
	v_ashrrev_i32_e32 v6, 31, v3
	v_mul_lo_u32 v8, v3, s29
	v_mad_u64_u32 v[4:5], null, v3, s28, 0
	s_lshl_b64 s[2:3], s[2:3], 2
	s_delay_alu instid0(VALU_DEP_3) | instskip(SKIP_3) | instid1(SALU_CYCLE_1)
	v_mul_lo_u32 v3, v6, s28
	s_add_u32 s5, s24, s2
	s_addc_u32 s6, s25, s3
	s_lshl_b64 s[2:3], s[26:27], 2
	s_add_u32 s7, s5, s2
	s_addc_u32 s6, s6, s3
	s_ashr_i32 s5, s4, 31
	s_delay_alu instid0(VALU_DEP_1) | instskip(SKIP_1) | instid1(SALU_CYCLE_1)
	v_add3_u32 v5, v5, v8, v3
	s_lshl_b64 s[2:3], s[4:5], 2
	v_add_co_u32 v1, vcc_lo, v1, s2
	s_delay_alu instid0(VALU_DEP_2) | instskip(SKIP_1) | instid1(VALU_DEP_2)
	v_lshlrev_b64 v[3:4], 2, v[4:5]
	v_add_co_ci_u32_e32 v2, vcc_lo, s3, v2, vcc_lo
	v_add_co_u32 v3, vcc_lo, s7, v3
	s_delay_alu instid0(VALU_DEP_3)
	v_add_co_ci_u32_e32 v4, vcc_lo, s6, v4, vcc_lo
	global_load_b32 v1, v[1:2], off
	global_load_b32 v2, v[3:4], off
	s_waitcnt vmcnt(0)
	v_fmac_f32_e32 v7, v1, v2
.LBB29_14:
	s_or_b32 exec_lo, exec_lo, s0
	v_and_b32_e32 v4, 31, v0
	v_cmp_gt_u32_e32 vcc_lo, 32, v0
	s_delay_alu instid0(VALU_DEP_2)
	v_lshlrev_b32_e32 v1, 2, v4
	s_and_saveexec_b32 s0, vcc_lo
	s_cbranch_execz .LBB29_16
; %bb.15:
	v_mov_b32_e32 v2, 0
	ds_store_b32 v1, v2
.LBB29_16:
	s_or_b32 exec_lo, exec_lo, s0
	v_mbcnt_lo_u32_b32 v5, -1, 0
	s_mov_b32 s2, exec_lo
	s_waitcnt lgkmcnt(0)
	s_barrier
	buffer_gl0_inv
	v_cmp_gt_u32_e64 s0, 16, v5
	s_delay_alu instid0(VALU_DEP_1) | instskip(SKIP_1) | instid1(VALU_DEP_2)
	v_cndmask_b32_e64 v2, 0, 1, s0
	v_cmp_gt_u32_e64 s0, 24, v5
	v_lshlrev_b32_e32 v2, 4, v2
	s_delay_alu instid0(VALU_DEP_2) | instskip(SKIP_1) | instid1(VALU_DEP_3)
	v_cndmask_b32_e64 v3, 0, 1, s0
	v_cmp_gt_u32_e64 s0, 28, v5
	v_add_lshl_u32 v2, v2, v5, 2
	ds_bpermute_b32 v2, v2, v7
	s_waitcnt lgkmcnt(0)
	v_dual_add_f32 v6, v7, v2 :: v_dual_lshlrev_b32 v3, 3, v3
	s_delay_alu instid0(VALU_DEP_1) | instskip(SKIP_4) | instid1(VALU_DEP_1)
	v_add_lshl_u32 v3, v3, v5, 2
	v_cndmask_b32_e64 v2, 0, 1, s0
	v_cmp_gt_u32_e64 s0, 30, v5
	ds_bpermute_b32 v3, v3, v6
	v_lshlrev_b32_e32 v2, 2, v2
	v_add_lshl_u32 v2, v2, v5, 2
	s_waitcnt lgkmcnt(0)
	v_add_f32_e32 v6, v6, v3
	v_cndmask_b32_e64 v3, 0, 1, s0
	v_cmp_ne_u32_e64 s0, 31, v5
	s_delay_alu instid0(VALU_DEP_2) | instskip(NEXT) | instid1(VALU_DEP_1)
	v_lshlrev_b32_e32 v3, 1, v3
	v_add_lshl_u32 v3, v3, v5, 2
	s_delay_alu instid0(VALU_DEP_3) | instskip(NEXT) | instid1(VALU_DEP_1)
	v_add_co_ci_u32_e64 v5, s0, 0, v5, s0
	v_lshlrev_b32_e32 v5, 2, v5
	ds_bpermute_b32 v7, v2, v6
	s_waitcnt lgkmcnt(0)
	v_add_f32_e32 v6, v6, v7
	ds_bpermute_b32 v7, v3, v6
	s_waitcnt lgkmcnt(0)
	v_add_f32_e32 v6, v6, v7
	ds_bpermute_b32 v7, v5, v6
	v_cmpx_eq_u32_e32 0, v4
	s_cbranch_execz .LBB29_18
; %bb.17:
	v_lshrrev_b32_e32 v4, 3, v0
	s_waitcnt lgkmcnt(0)
	v_add_f32_e32 v6, v6, v7
	s_delay_alu instid0(VALU_DEP_2)
	v_and_b32_e32 v4, 28, v4
	ds_store_b32 v4, v6
.LBB29_18:
	s_or_b32 exec_lo, exec_lo, s2
	v_mov_b32_e32 v4, 0
	s_mov_b32 s2, exec_lo
	s_waitcnt lgkmcnt(0)
	s_barrier
	buffer_gl0_inv
	v_cmpx_gt_u32_e32 8, v0
	s_cbranch_execz .LBB29_20
; %bb.19:
	ds_load_b32 v4, v1
.LBB29_20:
	s_or_b32 exec_lo, exec_lo, s2
	s_and_saveexec_b32 s0, vcc_lo
	s_cbranch_execz .LBB29_22
; %bb.21:
	s_waitcnt lgkmcnt(0)
	ds_bpermute_b32 v1, v2, v4
	s_waitcnt lgkmcnt(0)
	v_add_f32_e32 v1, v4, v1
	ds_bpermute_b32 v2, v3, v1
	s_waitcnt lgkmcnt(0)
	v_add_f32_e32 v1, v1, v2
	ds_bpermute_b32 v2, v5, v1
	s_waitcnt lgkmcnt(0)
	v_add_f32_e32 v4, v1, v2
.LBB29_22:
	s_or_b32 exec_lo, exec_lo, s0
	s_delay_alu instid0(SALU_CYCLE_1)
	s_mov_b32 s0, exec_lo
                                        ; implicit-def: $vgpr1
                                        ; implicit-def: $sgpr4_sgpr5
	v_cmpx_eq_u32_e32 0, v0
	s_cbranch_execz .LBB29_26
; %bb.23:
	v_cmp_eq_f32_e64 s4, s12, 0
	s_mul_i32 s2, s14, s9
	s_mul_hi_u32 s3, s14, s8
	s_waitcnt lgkmcnt(0)
	v_mul_f32_e32 v1, s33, v4
	s_add_i32 s2, s3, s2
	s_mul_i32 s1, s1, s8
	s_and_b32 vcc_lo, exec_lo, s4
	s_add_i32 s5, s2, s1
	s_mul_i32 s4, s14, s8
	s_cbranch_vccnz .LBB29_25
; %bb.24:
	s_lshl_b64 s[2:3], s[4:5], 2
	s_delay_alu instid0(SALU_CYCLE_1)
	s_add_u32 s2, s10, s2
	s_addc_u32 s3, s11, s3
	s_load_b32 s1, s[2:3], 0x0
	s_waitcnt lgkmcnt(0)
	v_fmac_f32_e64 v1, s1, s12
.LBB29_25:
	s_or_b32 s13, s13, exec_lo
.LBB29_26:
	s_or_b32 exec_lo, exec_lo, s0
.LBB29_27:
	s_and_saveexec_b32 s0, s13
	s_cbranch_execz .LBB29_29
; %bb.28:
	s_lshl_b64 s[0:1], s[4:5], 2
	v_mov_b32_e32 v0, 0
	s_add_u32 s0, s10, s0
	s_addc_u32 s1, s11, s1
	global_store_b32 v0, v1, s[0:1]
.LBB29_29:
	s_nop 0
	s_sendmsg sendmsg(MSG_DEALLOC_VGPRS)
	s_endpgm
	.section	.rodata,"a",@progbits
	.p2align	6, 0x0
	.amdhsa_kernel _ZL32rocblas_gemvt_warp_reduce_kernelILb0ELi256ElfffEviiT3_lPKT2_lT1_lS3_lS4_lS0_lPT4_lS4_li
		.amdhsa_group_segment_fixed_size 128
		.amdhsa_private_segment_fixed_size 0
		.amdhsa_kernarg_size 140
		.amdhsa_user_sgpr_count 14
		.amdhsa_user_sgpr_dispatch_ptr 0
		.amdhsa_user_sgpr_queue_ptr 0
		.amdhsa_user_sgpr_kernarg_segment_ptr 1
		.amdhsa_user_sgpr_dispatch_id 0
		.amdhsa_user_sgpr_private_segment_size 0
		.amdhsa_wavefront_size32 1
		.amdhsa_uses_dynamic_stack 0
		.amdhsa_enable_private_segment 0
		.amdhsa_system_sgpr_workgroup_id_x 1
		.amdhsa_system_sgpr_workgroup_id_y 0
		.amdhsa_system_sgpr_workgroup_id_z 1
		.amdhsa_system_sgpr_workgroup_info 0
		.amdhsa_system_vgpr_workitem_id 0
		.amdhsa_next_free_vgpr 11
		.amdhsa_next_free_sgpr 34
		.amdhsa_reserve_vcc 1
		.amdhsa_float_round_mode_32 0
		.amdhsa_float_round_mode_16_64 0
		.amdhsa_float_denorm_mode_32 3
		.amdhsa_float_denorm_mode_16_64 3
		.amdhsa_dx10_clamp 1
		.amdhsa_ieee_mode 1
		.amdhsa_fp16_overflow 0
		.amdhsa_workgroup_processor_mode 1
		.amdhsa_memory_ordered 1
		.amdhsa_forward_progress 0
		.amdhsa_shared_vgpr_count 0
		.amdhsa_exception_fp_ieee_invalid_op 0
		.amdhsa_exception_fp_denorm_src 0
		.amdhsa_exception_fp_ieee_div_zero 0
		.amdhsa_exception_fp_ieee_overflow 0
		.amdhsa_exception_fp_ieee_underflow 0
		.amdhsa_exception_fp_ieee_inexact 0
		.amdhsa_exception_int_div_zero 0
	.end_amdhsa_kernel
	.section	.text._ZL32rocblas_gemvt_warp_reduce_kernelILb0ELi256ElfffEviiT3_lPKT2_lT1_lS3_lS4_lS0_lPT4_lS4_li,"axG",@progbits,_ZL32rocblas_gemvt_warp_reduce_kernelILb0ELi256ElfffEviiT3_lPKT2_lT1_lS3_lS4_lS0_lPT4_lS4_li,comdat
.Lfunc_end29:
	.size	_ZL32rocblas_gemvt_warp_reduce_kernelILb0ELi256ElfffEviiT3_lPKT2_lT1_lS3_lS4_lS0_lPT4_lS4_li, .Lfunc_end29-_ZL32rocblas_gemvt_warp_reduce_kernelILb0ELi256ElfffEviiT3_lPKT2_lT1_lS3_lS4_lS0_lPT4_lS4_li
                                        ; -- End function
	.section	.AMDGPU.csdata,"",@progbits
; Kernel info:
; codeLenInByte = 1428
; NumSgprs: 36
; NumVgprs: 11
; ScratchSize: 0
; MemoryBound: 0
; FloatMode: 240
; IeeeMode: 1
; LDSByteSize: 128 bytes/workgroup (compile time only)
; SGPRBlocks: 4
; VGPRBlocks: 1
; NumSGPRsForWavesPerEU: 36
; NumVGPRsForWavesPerEU: 11
; Occupancy: 16
; WaveLimiterHint : 1
; COMPUTE_PGM_RSRC2:SCRATCH_EN: 0
; COMPUTE_PGM_RSRC2:USER_SGPR: 14
; COMPUTE_PGM_RSRC2:TRAP_HANDLER: 0
; COMPUTE_PGM_RSRC2:TGID_X_EN: 1
; COMPUTE_PGM_RSRC2:TGID_Y_EN: 0
; COMPUTE_PGM_RSRC2:TGID_Z_EN: 1
; COMPUTE_PGM_RSRC2:TIDIG_COMP_CNT: 0
	.section	.text._ZL20rocblas_gemvt_kernelILb0ELi256EfPKffEviiT2_lPKT1_lilS5_lilS2_lPT3_lili,"axG",@progbits,_ZL20rocblas_gemvt_kernelILb0ELi256EfPKffEviiT2_lPKT1_lilS5_lilS2_lPT3_lili,comdat
	.globl	_ZL20rocblas_gemvt_kernelILb0ELi256EfPKffEviiT2_lPKT1_lilS5_lilS2_lPT3_lili ; -- Begin function _ZL20rocblas_gemvt_kernelILb0ELi256EfPKffEviiT2_lPKT1_lilS5_lilS2_lPT3_lili
	.p2align	8
	.type	_ZL20rocblas_gemvt_kernelILb0ELi256EfPKffEviiT2_lPKT1_lilS5_lilS2_lPT3_lili,@function
_ZL20rocblas_gemvt_kernelILb0ELi256EfPKffEviiT2_lPKT1_lilS5_lilS2_lPT3_lili: ; @_ZL20rocblas_gemvt_kernelILb0ELi256EfPKffEviiT2_lPKT1_lilS5_lilS2_lPT3_lili
; %bb.0:
	s_clause 0x1
	s_load_b256 s[16:23], s[0:1], 0x8
	s_load_b256 s[4:11], s[0:1], 0x50
	s_waitcnt lgkmcnt(0)
	s_mul_i32 s3, s15, s19
	s_mul_hi_u32 s12, s15, s18
	s_mul_i32 s2, s15, s18
	s_add_i32 s3, s12, s3
	s_mul_i32 s9, s15, s9
	s_lshl_b64 s[2:3], s[2:3], 2
	s_mul_hi_u32 s12, s15, s8
	s_add_u32 s2, s16, s2
	s_addc_u32 s3, s17, s3
	s_add_i32 s9, s12, s9
	s_mul_i32 s8, s15, s8
	s_mov_b32 s17, 0
	s_lshl_b64 s[8:9], s[8:9], 2
	s_delay_alu instid0(SALU_CYCLE_1)
	s_add_u32 s6, s6, s8
	s_addc_u32 s7, s7, s9
	s_load_b32 s18, s[2:3], 0x0
	s_load_b32 s16, s[6:7], 0x0
	s_waitcnt lgkmcnt(0)
	v_cmp_eq_f32_e64 s2, s18, 0
	v_cmp_eq_f32_e64 s3, s16, 1.0
	s_delay_alu instid0(VALU_DEP_1) | instskip(NEXT) | instid1(SALU_CYCLE_1)
	s_and_b32 s2, s2, s3
	s_and_b32 vcc_lo, exec_lo, s2
	s_cbranch_vccnz .LBB30_36
; %bb.1:
	s_clause 0x2
	s_load_b64 s[2:3], s[0:1], 0x80
	s_load_b64 s[6:7], s[0:1], 0x70
	s_load_b32 s19, s[0:1], 0x78
	s_waitcnt lgkmcnt(0)
	s_mul_i32 s3, s15, s3
	s_mul_hi_u32 s8, s15, s2
	s_mul_i32 s2, s15, s2
	s_add_i32 s3, s8, s3
	v_cmp_neq_f32_e64 s8, s18, 0
	s_lshl_b64 s[2:3], s[2:3], 2
	s_delay_alu instid0(SALU_CYCLE_1) | instskip(SKIP_2) | instid1(SALU_CYCLE_1)
	s_add_u32 s9, s10, s2
	s_addc_u32 s10, s11, s3
	s_lshl_b64 s[2:3], s[6:7], 2
	s_add_u32 s12, s9, s2
	v_cmp_eq_u32_e64 s2, 0, v0
	s_addc_u32 s13, s10, s3
	s_and_b32 vcc_lo, exec_lo, s8
	s_cbranch_vccnz .LBB30_6
; %bb.2:
	s_mov_b32 s3, 0
                                        ; implicit-def: $vgpr1
                                        ; implicit-def: $sgpr6_sgpr7
	s_and_saveexec_b32 s8, s2
	s_cbranch_execz .LBB30_7
; %bb.3:
	v_cmp_eq_f32_e64 s2, s16, 0
	v_mov_b32_e32 v1, 0
	s_mul_hi_i32 s7, s19, s14
	s_mul_i32 s6, s19, s14
	s_delay_alu instid0(VALU_DEP_2)
	s_and_b32 vcc_lo, exec_lo, s2
	s_cbranch_vccnz .LBB30_5
; %bb.4:
	s_lshl_b64 s[10:11], s[6:7], 2
	s_delay_alu instid0(SALU_CYCLE_1)
	s_add_u32 s10, s12, s10
	s_addc_u32 s11, s13, s11
	s_load_b32 s2, s[10:11], 0x0
	s_waitcnt lgkmcnt(0)
	v_mul_f32_e64 v1, s16, s2
.LBB30_5:
	s_mov_b32 s17, exec_lo
	s_or_b32 exec_lo, exec_lo, s8
	s_delay_alu instid0(SALU_CYCLE_1)
	s_and_b32 vcc_lo, exec_lo, s3
	s_cbranch_vccnz .LBB30_8
	s_branch .LBB30_34
.LBB30_6:
                                        ; implicit-def: $vgpr1
                                        ; implicit-def: $sgpr6_sgpr7
	s_cbranch_execnz .LBB30_8
	s_branch .LBB30_34
.LBB30_7:
	s_or_b32 exec_lo, exec_lo, s8
	s_delay_alu instid0(SALU_CYCLE_1)
	s_and_b32 vcc_lo, exec_lo, s3
	s_cbranch_vccz .LBB30_34
.LBB30_8:
	s_clause 0x4
	s_load_b128 s[8:11], s[0:1], 0x30
	s_load_b32 s7, s[0:1], 0x0
	s_load_b32 s6, s[0:1], 0x28
	s_load_b64 s[2:3], s[0:1], 0x40
	s_load_b32 s0, s[0:1], 0x48
	s_mul_i32 s5, s15, s5
	s_mul_hi_u32 s24, s15, s4
	v_mov_b32_e32 v7, 0
	s_add_i32 s5, s24, s5
	s_mul_i32 s4, s15, s4
	s_waitcnt lgkmcnt(0)
	s_mul_i32 s1, s15, s9
	s_mul_hi_u32 s9, s15, s8
	v_cmp_gt_i32_e32 vcc_lo, s7, v0
	s_mul_i32 s8, s15, s8
	s_add_i32 s9, s9, s1
	s_mul_hi_i32 s25, s6, s14
	s_lshl_b64 s[8:9], s[8:9], 2
	v_cndmask_b32_e32 v1, 0, v0, vcc_lo
	s_add_u32 s1, s20, s8
	s_addc_u32 s20, s21, s9
	s_lshl_b64 s[8:9], s[22:23], 2
	s_mul_i32 s24, s6, s14
	s_add_u32 s1, s1, s8
	s_addc_u32 s6, s20, s9
	s_lshl_b64 s[8:9], s[24:25], 2
	v_lshlrev_b32_e32 v1, 2, v1
	s_add_u32 s1, s8, s1
	s_addc_u32 s6, s9, s6
	s_ashr_i32 s8, s7, 31
	s_mov_b32 s15, 0
	s_lshr_b32 s8, s8, 24
	v_add_co_u32 v1, s1, s1, v1
	s_add_i32 s8, s7, s8
	v_add_co_ci_u32_e64 v2, null, s6, 0, s1
	s_and_b32 s6, s8, 0xffffff00
	s_cmpk_lt_i32 s7, 0x100
	s_cbranch_scc1 .LBB30_11
; %bb.9:
	v_mad_i64_i32 v[3:4], null, s0, v0, 0
	s_lshl_b64 s[20:21], s[2:3], 2
	s_ashr_i32 s1, s0, 31
	s_lshl_b64 s[8:9], s[4:5], 2
	s_add_u32 s20, s10, s20
	s_addc_u32 s21, s11, s21
	s_add_u32 s8, s20, s8
	s_delay_alu instid0(VALU_DEP_1) | instskip(SKIP_3) | instid1(VALU_DEP_3)
	v_lshlrev_b64 v[3:4], 2, v[3:4]
	s_addc_u32 s9, s21, s9
	v_dual_mov_b32 v7, 0 :: v_dual_mov_b32 v6, v2
	v_mov_b32_e32 v5, v1
	v_add_co_u32 v3, vcc_lo, s8, v3
	s_delay_alu instid0(VALU_DEP_4)
	v_add_co_ci_u32_e32 v4, vcc_lo, s9, v4, vcc_lo
	s_lshl_b64 s[8:9], s[0:1], 10
.LBB30_10:                              ; =>This Inner Loop Header: Depth=1
	global_load_b32 v8, v[5:6], off
	global_load_b32 v9, v[3:4], off
	v_add_co_u32 v3, vcc_lo, v3, s8
	v_add_co_ci_u32_e32 v4, vcc_lo, s9, v4, vcc_lo
	v_add_co_u32 v5, vcc_lo, 0x400, v5
	v_add_co_ci_u32_e32 v6, vcc_lo, 0, v6, vcc_lo
	s_addk_i32 s15, 0x100
	s_delay_alu instid0(SALU_CYCLE_1)
	s_cmp_ge_i32 s15, s6
	s_waitcnt vmcnt(0)
	v_fmac_f32_e32 v7, v8, v9
	s_cbranch_scc0 .LBB30_10
.LBB30_11:
	v_add_nc_u32_e32 v3, s6, v0
	s_mov_b32 s1, exec_lo
	s_delay_alu instid0(VALU_DEP_1)
	v_cmpx_gt_i32_e64 s7, v3
	s_cbranch_execz .LBB30_13
; %bb.12:
	v_mad_i64_i32 v[4:5], null, s0, v3, 0
	s_lshl_b64 s[4:5], s[4:5], 2
	s_delay_alu instid0(SALU_CYCLE_1) | instskip(SKIP_2) | instid1(SALU_CYCLE_1)
	s_add_u32 s4, s10, s4
	s_addc_u32 s5, s11, s5
	s_lshl_b64 s[2:3], s[2:3], 2
	s_add_u32 s0, s4, s2
	s_addc_u32 s4, s5, s3
	s_ashr_i32 s7, s6, 31
	v_lshlrev_b64 v[3:4], 2, v[4:5]
	s_lshl_b64 s[2:3], s[6:7], 2
	s_delay_alu instid0(SALU_CYCLE_1) | instskip(SKIP_1) | instid1(VALU_DEP_3)
	v_add_co_u32 v1, vcc_lo, v1, s2
	v_add_co_ci_u32_e32 v2, vcc_lo, s3, v2, vcc_lo
	v_add_co_u32 v3, vcc_lo, s0, v3
	s_delay_alu instid0(VALU_DEP_4)
	v_add_co_ci_u32_e32 v4, vcc_lo, s4, v4, vcc_lo
	global_load_b32 v1, v[1:2], off
	global_load_b32 v2, v[3:4], off
	s_waitcnt vmcnt(0)
	v_fmac_f32_e32 v7, v1, v2
.LBB30_13:
	s_or_b32 exec_lo, exec_lo, s1
	v_lshlrev_b32_e32 v1, 2, v0
	s_mov_b32 s0, exec_lo
	ds_store_b32 v1, v7
	s_waitcnt lgkmcnt(0)
	s_barrier
	buffer_gl0_inv
	v_cmpx_gt_u32_e32 0x80, v0
	s_cbranch_execz .LBB30_15
; %bb.14:
	ds_load_2addr_stride64_b32 v[2:3], v1 offset1:2
	s_waitcnt lgkmcnt(0)
	v_add_f32_e32 v2, v3, v2
	ds_store_b32 v1, v2
.LBB30_15:
	s_or_b32 exec_lo, exec_lo, s0
	s_delay_alu instid0(SALU_CYCLE_1)
	s_mov_b32 s0, exec_lo
	s_waitcnt lgkmcnt(0)
	s_barrier
	buffer_gl0_inv
	v_cmpx_gt_u32_e32 64, v0
	s_cbranch_execz .LBB30_17
; %bb.16:
	ds_load_2addr_stride64_b32 v[2:3], v1 offset1:1
	s_waitcnt lgkmcnt(0)
	v_add_f32_e32 v2, v3, v2
	ds_store_b32 v1, v2
.LBB30_17:
	s_or_b32 exec_lo, exec_lo, s0
	s_delay_alu instid0(SALU_CYCLE_1)
	s_mov_b32 s0, exec_lo
	s_waitcnt lgkmcnt(0)
	s_barrier
	buffer_gl0_inv
	v_cmpx_gt_u32_e32 32, v0
	s_cbranch_execz .LBB30_19
; %bb.18:
	ds_load_2addr_b32 v[2:3], v1 offset1:32
	s_waitcnt lgkmcnt(0)
	v_add_f32_e32 v2, v3, v2
	ds_store_b32 v1, v2
.LBB30_19:
	s_or_b32 exec_lo, exec_lo, s0
	s_delay_alu instid0(SALU_CYCLE_1)
	s_mov_b32 s0, exec_lo
	s_waitcnt lgkmcnt(0)
	s_barrier
	buffer_gl0_inv
	v_cmpx_gt_u32_e32 16, v0
	s_cbranch_execz .LBB30_21
; %bb.20:
	ds_load_2addr_b32 v[2:3], v1 offset1:16
	s_waitcnt lgkmcnt(0)
	v_add_f32_e32 v2, v3, v2
	ds_store_b32 v1, v2
.LBB30_21:
	;; [unrolled: 14-line block ×5, first 2 shown]
	s_or_b32 exec_lo, exec_lo, s0
	v_cmp_eq_u32_e32 vcc_lo, 0, v0
	s_waitcnt lgkmcnt(0)
	s_barrier
	buffer_gl0_inv
	s_and_saveexec_b32 s0, vcc_lo
	s_cbranch_execz .LBB30_29
; %bb.28:
	v_mov_b32_e32 v2, 0
	ds_load_b64 v[0:1], v2
	s_waitcnt lgkmcnt(0)
	v_add_f32_e32 v0, v1, v0
	ds_store_b32 v2, v0
.LBB30_29:
	s_or_b32 exec_lo, exec_lo, s0
	s_waitcnt lgkmcnt(0)
	s_barrier
	buffer_gl0_inv
                                        ; implicit-def: $vgpr1
                                        ; implicit-def: $sgpr6_sgpr7
	s_and_saveexec_b32 s0, vcc_lo
	s_cbranch_execz .LBB30_33
; %bb.30:
	v_mov_b32_e32 v0, 0
	v_cmp_eq_f32_e64 s1, s16, 0
	s_mul_hi_i32 s7, s19, s14
	s_mul_i32 s6, s19, s14
	ds_load_b32 v0, v0
	s_and_b32 vcc_lo, exec_lo, s1
	s_waitcnt lgkmcnt(0)
	v_mul_f32_e32 v1, s18, v0
	s_cbranch_vccnz .LBB30_32
; %bb.31:
	s_lshl_b64 s[2:3], s[6:7], 2
	s_delay_alu instid0(SALU_CYCLE_1)
	s_add_u32 s2, s12, s2
	s_addc_u32 s3, s13, s3
	s_load_b32 s1, s[2:3], 0x0
	s_waitcnt lgkmcnt(0)
	v_fmac_f32_e64 v1, s16, s1
.LBB30_32:
	s_or_b32 s17, s17, exec_lo
.LBB30_33:
	s_or_b32 exec_lo, exec_lo, s0
.LBB30_34:
	s_and_saveexec_b32 s0, s17
	s_cbranch_execz .LBB30_36
; %bb.35:
	s_lshl_b64 s[0:1], s[6:7], 2
	v_mov_b32_e32 v0, 0
	s_add_u32 s0, s12, s0
	s_addc_u32 s1, s13, s1
	global_store_b32 v0, v1, s[0:1]
.LBB30_36:
	s_nop 0
	s_sendmsg sendmsg(MSG_DEALLOC_VGPRS)
	s_endpgm
	.section	.rodata,"a",@progbits
	.p2align	6, 0x0
	.amdhsa_kernel _ZL20rocblas_gemvt_kernelILb0ELi256EfPKffEviiT2_lPKT1_lilS5_lilS2_lPT3_lili
		.amdhsa_group_segment_fixed_size 1024
		.amdhsa_private_segment_fixed_size 0
		.amdhsa_kernarg_size 140
		.amdhsa_user_sgpr_count 14
		.amdhsa_user_sgpr_dispatch_ptr 0
		.amdhsa_user_sgpr_queue_ptr 0
		.amdhsa_user_sgpr_kernarg_segment_ptr 1
		.amdhsa_user_sgpr_dispatch_id 0
		.amdhsa_user_sgpr_private_segment_size 0
		.amdhsa_wavefront_size32 1
		.amdhsa_uses_dynamic_stack 0
		.amdhsa_enable_private_segment 0
		.amdhsa_system_sgpr_workgroup_id_x 1
		.amdhsa_system_sgpr_workgroup_id_y 0
		.amdhsa_system_sgpr_workgroup_id_z 1
		.amdhsa_system_sgpr_workgroup_info 0
		.amdhsa_system_vgpr_workitem_id 0
		.amdhsa_next_free_vgpr 10
		.amdhsa_next_free_sgpr 26
		.amdhsa_reserve_vcc 1
		.amdhsa_float_round_mode_32 0
		.amdhsa_float_round_mode_16_64 0
		.amdhsa_float_denorm_mode_32 3
		.amdhsa_float_denorm_mode_16_64 3
		.amdhsa_dx10_clamp 1
		.amdhsa_ieee_mode 1
		.amdhsa_fp16_overflow 0
		.amdhsa_workgroup_processor_mode 1
		.amdhsa_memory_ordered 1
		.amdhsa_forward_progress 0
		.amdhsa_shared_vgpr_count 0
		.amdhsa_exception_fp_ieee_invalid_op 0
		.amdhsa_exception_fp_denorm_src 0
		.amdhsa_exception_fp_ieee_div_zero 0
		.amdhsa_exception_fp_ieee_overflow 0
		.amdhsa_exception_fp_ieee_underflow 0
		.amdhsa_exception_fp_ieee_inexact 0
		.amdhsa_exception_int_div_zero 0
	.end_amdhsa_kernel
	.section	.text._ZL20rocblas_gemvt_kernelILb0ELi256EfPKffEviiT2_lPKT1_lilS5_lilS2_lPT3_lili,"axG",@progbits,_ZL20rocblas_gemvt_kernelILb0ELi256EfPKffEviiT2_lPKT1_lilS5_lilS2_lPT3_lili,comdat
.Lfunc_end30:
	.size	_ZL20rocblas_gemvt_kernelILb0ELi256EfPKffEviiT2_lPKT1_lilS5_lilS2_lPT3_lili, .Lfunc_end30-_ZL20rocblas_gemvt_kernelILb0ELi256EfPKffEviiT2_lPKT1_lilS5_lilS2_lPT3_lili
                                        ; -- End function
	.section	.AMDGPU.csdata,"",@progbits
; Kernel info:
; codeLenInByte = 1488
; NumSgprs: 28
; NumVgprs: 10
; ScratchSize: 0
; MemoryBound: 0
; FloatMode: 240
; IeeeMode: 1
; LDSByteSize: 1024 bytes/workgroup (compile time only)
; SGPRBlocks: 3
; VGPRBlocks: 1
; NumSGPRsForWavesPerEU: 28
; NumVGPRsForWavesPerEU: 10
; Occupancy: 16
; WaveLimiterHint : 1
; COMPUTE_PGM_RSRC2:SCRATCH_EN: 0
; COMPUTE_PGM_RSRC2:USER_SGPR: 14
; COMPUTE_PGM_RSRC2:TRAP_HANDLER: 0
; COMPUTE_PGM_RSRC2:TGID_X_EN: 1
; COMPUTE_PGM_RSRC2:TGID_Y_EN: 0
; COMPUTE_PGM_RSRC2:TGID_Z_EN: 1
; COMPUTE_PGM_RSRC2:TIDIG_COMP_CNT: 0
	.section	.text._ZL20rocblas_gemvt_kernelILb0ELi256EfffEviiT2_lPKT1_lilS3_lilS0_lPT3_lili,"axG",@progbits,_ZL20rocblas_gemvt_kernelILb0ELi256EfffEviiT2_lPKT1_lilS3_lilS0_lPT3_lili,comdat
	.globl	_ZL20rocblas_gemvt_kernelILb0ELi256EfffEviiT2_lPKT1_lilS3_lilS0_lPT3_lili ; -- Begin function _ZL20rocblas_gemvt_kernelILb0ELi256EfffEviiT2_lPKT1_lilS3_lilS0_lPT3_lili
	.p2align	8
	.type	_ZL20rocblas_gemvt_kernelILb0ELi256EfffEviiT2_lPKT1_lilS3_lilS0_lPT3_lili,@function
_ZL20rocblas_gemvt_kernelILb0ELi256EfffEviiT2_lPKT1_lilS3_lilS0_lPT3_lili: ; @_ZL20rocblas_gemvt_kernelILb0ELi256EfffEviiT2_lPKT1_lilS3_lilS0_lPT3_lili
; %bb.0:
	s_clause 0x1
	s_load_b32 s18, s[0:1], 0x8
	s_load_b32 s16, s[0:1], 0x58
	s_mov_b32 s17, 0
	s_waitcnt lgkmcnt(0)
	v_cmp_eq_f32_e64 s2, s18, 0
	v_cmp_eq_f32_e64 s3, s16, 1.0
	s_delay_alu instid0(VALU_DEP_1) | instskip(NEXT) | instid1(SALU_CYCLE_1)
	s_and_b32 s2, s2, s3
	s_and_b32 vcc_lo, exec_lo, s2
	s_cbranch_vccnz .LBB31_36
; %bb.1:
	s_clause 0x2
	s_load_b64 s[2:3], s[0:1], 0x80
	s_load_b128 s[4:7], s[0:1], 0x68
	s_load_b32 s19, s[0:1], 0x78
	s_waitcnt lgkmcnt(0)
	s_mul_i32 s3, s15, s3
	s_mul_hi_u32 s8, s15, s2
	s_mul_i32 s2, s15, s2
	s_add_i32 s3, s8, s3
	v_cmp_neq_f32_e64 s8, s18, 0
	s_lshl_b64 s[2:3], s[2:3], 2
	s_delay_alu instid0(SALU_CYCLE_1) | instskip(SKIP_2) | instid1(SALU_CYCLE_1)
	s_add_u32 s4, s4, s2
	s_addc_u32 s5, s5, s3
	s_lshl_b64 s[2:3], s[6:7], 2
	s_add_u32 s12, s4, s2
	v_cmp_eq_u32_e64 s2, 0, v0
	s_addc_u32 s13, s5, s3
	s_and_b32 vcc_lo, exec_lo, s8
	s_cbranch_vccnz .LBB31_6
; %bb.2:
	s_mov_b32 s3, 0
                                        ; implicit-def: $vgpr1
                                        ; implicit-def: $sgpr4_sgpr5
	s_and_saveexec_b32 s6, s2
	s_cbranch_execz .LBB31_7
; %bb.3:
	v_cmp_eq_f32_e64 s2, s16, 0
	v_mov_b32_e32 v1, 0
	s_mul_hi_i32 s5, s19, s14
	s_mul_i32 s4, s19, s14
	s_delay_alu instid0(VALU_DEP_2)
	s_and_b32 vcc_lo, exec_lo, s2
	s_cbranch_vccnz .LBB31_5
; %bb.4:
	s_lshl_b64 s[8:9], s[4:5], 2
	s_delay_alu instid0(SALU_CYCLE_1)
	s_add_u32 s8, s12, s8
	s_addc_u32 s9, s13, s9
	s_load_b32 s2, s[8:9], 0x0
	s_waitcnt lgkmcnt(0)
	v_mul_f32_e64 v1, s2, s16
.LBB31_5:
	s_mov_b32 s17, exec_lo
	s_or_b32 exec_lo, exec_lo, s6
	s_delay_alu instid0(SALU_CYCLE_1)
	s_and_b32 vcc_lo, exec_lo, s3
	s_cbranch_vccnz .LBB31_8
	s_branch .LBB31_34
.LBB31_6:
                                        ; implicit-def: $vgpr1
                                        ; implicit-def: $sgpr4_sgpr5
	s_cbranch_execnz .LBB31_8
	s_branch .LBB31_34
.LBB31_7:
	s_or_b32 exec_lo, exec_lo, s6
	s_delay_alu instid0(SALU_CYCLE_1)
	s_and_b32 vcc_lo, exec_lo, s3
	s_cbranch_vccz .LBB31_34
.LBB31_8:
	s_clause 0x6
	s_load_b64 s[10:11], s[0:1], 0x50
	s_load_b128 s[4:7], s[0:1], 0x30
	s_load_b32 s9, s[0:1], 0x0
	s_load_b32 s8, s[0:1], 0x28
	s_load_b128 s[20:23], s[0:1], 0x18
	s_load_b64 s[2:3], s[0:1], 0x40
	s_load_b32 s0, s[0:1], 0x48
	v_mov_b32_e32 v7, 0
	s_waitcnt lgkmcnt(0)
	s_mul_i32 s1, s15, s11
	s_mul_i32 s5, s15, s5
	s_mul_hi_u32 s24, s15, s4
	v_cmp_gt_i32_e32 vcc_lo, s9, v0
	s_mul_i32 s4, s15, s4
	s_add_i32 s5, s24, s5
	s_mul_hi_u32 s11, s15, s10
	s_lshl_b64 s[26:27], s[4:5], 2
	v_cndmask_b32_e32 v1, 0, v0, vcc_lo
	s_add_i32 s5, s11, s1
	s_add_u32 s1, s20, s26
	s_addc_u32 s4, s21, s27
	s_lshl_b64 s[20:21], s[22:23], 2
	s_mul_hi_i32 s25, s8, s14
	s_mul_i32 s24, s8, s14
	s_add_u32 s1, s1, s20
	s_addc_u32 s4, s4, s21
	s_lshl_b64 s[20:21], s[24:25], 2
	v_lshlrev_b32_e32 v1, 2, v1
	s_add_u32 s1, s20, s1
	s_addc_u32 s8, s21, s4
	s_ashr_i32 s4, s9, 31
	s_delay_alu instid0(SALU_CYCLE_1)
	s_lshr_b32 s11, s4, 24
	v_add_co_u32 v1, s1, s1, v1
	s_mul_i32 s4, s15, s10
	s_add_i32 s10, s9, s11
	v_add_co_ci_u32_e64 v2, null, s8, 0, s1
	s_and_b32 s8, s10, 0xffffff00
	s_cmpk_lt_i32 s9, 0x100
	s_mov_b32 s15, 0
	s_cbranch_scc1 .LBB31_11
; %bb.9:
	v_mad_i64_i32 v[3:4], null, s0, v0, 0
	s_lshl_b64 s[20:21], s[2:3], 2
	s_ashr_i32 s1, s0, 31
	s_lshl_b64 s[10:11], s[4:5], 2
	s_add_u32 s20, s6, s20
	s_addc_u32 s21, s7, s21
	s_add_u32 s10, s20, s10
	s_delay_alu instid0(VALU_DEP_1) | instskip(SKIP_3) | instid1(VALU_DEP_3)
	v_lshlrev_b64 v[3:4], 2, v[3:4]
	s_addc_u32 s11, s21, s11
	v_dual_mov_b32 v7, 0 :: v_dual_mov_b32 v6, v2
	v_mov_b32_e32 v5, v1
	v_add_co_u32 v3, vcc_lo, s10, v3
	s_delay_alu instid0(VALU_DEP_4)
	v_add_co_ci_u32_e32 v4, vcc_lo, s11, v4, vcc_lo
	s_lshl_b64 s[10:11], s[0:1], 10
.LBB31_10:                              ; =>This Inner Loop Header: Depth=1
	global_load_b32 v8, v[5:6], off
	global_load_b32 v9, v[3:4], off
	v_add_co_u32 v3, vcc_lo, v3, s10
	v_add_co_ci_u32_e32 v4, vcc_lo, s11, v4, vcc_lo
	v_add_co_u32 v5, vcc_lo, 0x400, v5
	v_add_co_ci_u32_e32 v6, vcc_lo, 0, v6, vcc_lo
	s_addk_i32 s15, 0x100
	s_delay_alu instid0(SALU_CYCLE_1)
	s_cmp_ge_i32 s15, s8
	s_waitcnt vmcnt(0)
	v_fmac_f32_e32 v7, v8, v9
	s_cbranch_scc0 .LBB31_10
.LBB31_11:
	v_add_nc_u32_e32 v3, s8, v0
	s_mov_b32 s1, exec_lo
	s_delay_alu instid0(VALU_DEP_1)
	v_cmpx_gt_i32_e64 s9, v3
	s_cbranch_execz .LBB31_13
; %bb.12:
	v_mad_i64_i32 v[4:5], null, s0, v3, 0
	s_lshl_b64 s[4:5], s[4:5], 2
	s_delay_alu instid0(SALU_CYCLE_1) | instskip(SKIP_2) | instid1(SALU_CYCLE_1)
	s_add_u32 s4, s6, s4
	s_addc_u32 s5, s7, s5
	s_lshl_b64 s[2:3], s[2:3], 2
	s_add_u32 s0, s4, s2
	s_addc_u32 s4, s5, s3
	s_ashr_i32 s9, s8, 31
	v_lshlrev_b64 v[3:4], 2, v[4:5]
	s_lshl_b64 s[2:3], s[8:9], 2
	s_delay_alu instid0(SALU_CYCLE_1) | instskip(SKIP_1) | instid1(VALU_DEP_3)
	v_add_co_u32 v1, vcc_lo, v1, s2
	v_add_co_ci_u32_e32 v2, vcc_lo, s3, v2, vcc_lo
	v_add_co_u32 v3, vcc_lo, s0, v3
	s_delay_alu instid0(VALU_DEP_4)
	v_add_co_ci_u32_e32 v4, vcc_lo, s4, v4, vcc_lo
	global_load_b32 v1, v[1:2], off
	global_load_b32 v2, v[3:4], off
	s_waitcnt vmcnt(0)
	v_fmac_f32_e32 v7, v1, v2
.LBB31_13:
	s_or_b32 exec_lo, exec_lo, s1
	v_lshlrev_b32_e32 v1, 2, v0
	s_mov_b32 s0, exec_lo
	ds_store_b32 v1, v7
	s_waitcnt lgkmcnt(0)
	s_barrier
	buffer_gl0_inv
	v_cmpx_gt_u32_e32 0x80, v0
	s_cbranch_execz .LBB31_15
; %bb.14:
	ds_load_2addr_stride64_b32 v[2:3], v1 offset1:2
	s_waitcnt lgkmcnt(0)
	v_add_f32_e32 v2, v3, v2
	ds_store_b32 v1, v2
.LBB31_15:
	s_or_b32 exec_lo, exec_lo, s0
	s_delay_alu instid0(SALU_CYCLE_1)
	s_mov_b32 s0, exec_lo
	s_waitcnt lgkmcnt(0)
	s_barrier
	buffer_gl0_inv
	v_cmpx_gt_u32_e32 64, v0
	s_cbranch_execz .LBB31_17
; %bb.16:
	ds_load_2addr_stride64_b32 v[2:3], v1 offset1:1
	s_waitcnt lgkmcnt(0)
	v_add_f32_e32 v2, v3, v2
	ds_store_b32 v1, v2
.LBB31_17:
	s_or_b32 exec_lo, exec_lo, s0
	s_delay_alu instid0(SALU_CYCLE_1)
	s_mov_b32 s0, exec_lo
	s_waitcnt lgkmcnt(0)
	s_barrier
	buffer_gl0_inv
	v_cmpx_gt_u32_e32 32, v0
	s_cbranch_execz .LBB31_19
; %bb.18:
	ds_load_2addr_b32 v[2:3], v1 offset1:32
	s_waitcnt lgkmcnt(0)
	v_add_f32_e32 v2, v3, v2
	ds_store_b32 v1, v2
.LBB31_19:
	s_or_b32 exec_lo, exec_lo, s0
	s_delay_alu instid0(SALU_CYCLE_1)
	s_mov_b32 s0, exec_lo
	s_waitcnt lgkmcnt(0)
	s_barrier
	buffer_gl0_inv
	v_cmpx_gt_u32_e32 16, v0
	s_cbranch_execz .LBB31_21
; %bb.20:
	ds_load_2addr_b32 v[2:3], v1 offset1:16
	s_waitcnt lgkmcnt(0)
	v_add_f32_e32 v2, v3, v2
	ds_store_b32 v1, v2
.LBB31_21:
	;; [unrolled: 14-line block ×5, first 2 shown]
	s_or_b32 exec_lo, exec_lo, s0
	v_cmp_eq_u32_e32 vcc_lo, 0, v0
	s_waitcnt lgkmcnt(0)
	s_barrier
	buffer_gl0_inv
	s_and_saveexec_b32 s0, vcc_lo
	s_cbranch_execz .LBB31_29
; %bb.28:
	v_mov_b32_e32 v2, 0
	ds_load_b64 v[0:1], v2
	s_waitcnt lgkmcnt(0)
	v_add_f32_e32 v0, v1, v0
	ds_store_b32 v2, v0
.LBB31_29:
	s_or_b32 exec_lo, exec_lo, s0
	s_waitcnt lgkmcnt(0)
	s_barrier
	buffer_gl0_inv
                                        ; implicit-def: $vgpr1
                                        ; implicit-def: $sgpr4_sgpr5
	s_and_saveexec_b32 s0, vcc_lo
	s_cbranch_execz .LBB31_33
; %bb.30:
	v_mov_b32_e32 v0, 0
	v_cmp_eq_f32_e64 s1, s16, 0
	s_mul_hi_i32 s5, s19, s14
	s_mul_i32 s4, s19, s14
	ds_load_b32 v0, v0
	s_and_b32 vcc_lo, exec_lo, s1
	s_waitcnt lgkmcnt(0)
	v_mul_f32_e32 v1, s18, v0
	s_cbranch_vccnz .LBB31_32
; %bb.31:
	s_lshl_b64 s[2:3], s[4:5], 2
	s_delay_alu instid0(SALU_CYCLE_1)
	s_add_u32 s2, s12, s2
	s_addc_u32 s3, s13, s3
	s_load_b32 s1, s[2:3], 0x0
	s_waitcnt lgkmcnt(0)
	v_fmac_f32_e64 v1, s1, s16
.LBB31_32:
	s_or_b32 s17, s17, exec_lo
.LBB31_33:
	s_or_b32 exec_lo, exec_lo, s0
.LBB31_34:
	s_and_saveexec_b32 s0, s17
	s_cbranch_execz .LBB31_36
; %bb.35:
	s_lshl_b64 s[0:1], s[4:5], 2
	v_mov_b32_e32 v0, 0
	s_add_u32 s0, s12, s0
	s_addc_u32 s1, s13, s1
	global_store_b32 v0, v1, s[0:1]
.LBB31_36:
	s_nop 0
	s_sendmsg sendmsg(MSG_DEALLOC_VGPRS)
	s_endpgm
	.section	.rodata,"a",@progbits
	.p2align	6, 0x0
	.amdhsa_kernel _ZL20rocblas_gemvt_kernelILb0ELi256EfffEviiT2_lPKT1_lilS3_lilS0_lPT3_lili
		.amdhsa_group_segment_fixed_size 1024
		.amdhsa_private_segment_fixed_size 0
		.amdhsa_kernarg_size 140
		.amdhsa_user_sgpr_count 14
		.amdhsa_user_sgpr_dispatch_ptr 0
		.amdhsa_user_sgpr_queue_ptr 0
		.amdhsa_user_sgpr_kernarg_segment_ptr 1
		.amdhsa_user_sgpr_dispatch_id 0
		.amdhsa_user_sgpr_private_segment_size 0
		.amdhsa_wavefront_size32 1
		.amdhsa_uses_dynamic_stack 0
		.amdhsa_enable_private_segment 0
		.amdhsa_system_sgpr_workgroup_id_x 1
		.amdhsa_system_sgpr_workgroup_id_y 0
		.amdhsa_system_sgpr_workgroup_id_z 1
		.amdhsa_system_sgpr_workgroup_info 0
		.amdhsa_system_vgpr_workitem_id 0
		.amdhsa_next_free_vgpr 10
		.amdhsa_next_free_sgpr 28
		.amdhsa_reserve_vcc 1
		.amdhsa_float_round_mode_32 0
		.amdhsa_float_round_mode_16_64 0
		.amdhsa_float_denorm_mode_32 3
		.amdhsa_float_denorm_mode_16_64 3
		.amdhsa_dx10_clamp 1
		.amdhsa_ieee_mode 1
		.amdhsa_fp16_overflow 0
		.amdhsa_workgroup_processor_mode 1
		.amdhsa_memory_ordered 1
		.amdhsa_forward_progress 0
		.amdhsa_shared_vgpr_count 0
		.amdhsa_exception_fp_ieee_invalid_op 0
		.amdhsa_exception_fp_denorm_src 0
		.amdhsa_exception_fp_ieee_div_zero 0
		.amdhsa_exception_fp_ieee_overflow 0
		.amdhsa_exception_fp_ieee_underflow 0
		.amdhsa_exception_fp_ieee_inexact 0
		.amdhsa_exception_int_div_zero 0
	.end_amdhsa_kernel
	.section	.text._ZL20rocblas_gemvt_kernelILb0ELi256EfffEviiT2_lPKT1_lilS3_lilS0_lPT3_lili,"axG",@progbits,_ZL20rocblas_gemvt_kernelILb0ELi256EfffEviiT2_lPKT1_lilS3_lilS0_lPT3_lili,comdat
.Lfunc_end31:
	.size	_ZL20rocblas_gemvt_kernelILb0ELi256EfffEviiT2_lPKT1_lilS3_lilS0_lPT3_lili, .Lfunc_end31-_ZL20rocblas_gemvt_kernelILb0ELi256EfffEviiT2_lPKT1_lilS3_lilS0_lPT3_lili
                                        ; -- End function
	.section	.AMDGPU.csdata,"",@progbits
; Kernel info:
; codeLenInByte = 1428
; NumSgprs: 30
; NumVgprs: 10
; ScratchSize: 0
; MemoryBound: 0
; FloatMode: 240
; IeeeMode: 1
; LDSByteSize: 1024 bytes/workgroup (compile time only)
; SGPRBlocks: 3
; VGPRBlocks: 1
; NumSGPRsForWavesPerEU: 30
; NumVGPRsForWavesPerEU: 10
; Occupancy: 16
; WaveLimiterHint : 1
; COMPUTE_PGM_RSRC2:SCRATCH_EN: 0
; COMPUTE_PGM_RSRC2:USER_SGPR: 14
; COMPUTE_PGM_RSRC2:TRAP_HANDLER: 0
; COMPUTE_PGM_RSRC2:TGID_X_EN: 1
; COMPUTE_PGM_RSRC2:TGID_Y_EN: 0
; COMPUTE_PGM_RSRC2:TGID_Z_EN: 1
; COMPUTE_PGM_RSRC2:TIDIG_COMP_CNT: 0
	.section	.text._ZL32rocblas_gemvt_warp_reduce_kernelILb0ELi1024EifPKffEviiT3_lPKT2_lT1_lS5_lS6_lS2_lPT4_lS6_li,"axG",@progbits,_ZL32rocblas_gemvt_warp_reduce_kernelILb0ELi1024EifPKffEviiT3_lPKT2_lT1_lS5_lS6_lS2_lPT4_lS6_li,comdat
	.globl	_ZL32rocblas_gemvt_warp_reduce_kernelILb0ELi1024EifPKffEviiT3_lPKT2_lT1_lS5_lS6_lS2_lPT4_lS6_li ; -- Begin function _ZL32rocblas_gemvt_warp_reduce_kernelILb0ELi1024EifPKffEviiT3_lPKT2_lT1_lS5_lS6_lS2_lPT4_lS6_li
	.p2align	8
	.type	_ZL32rocblas_gemvt_warp_reduce_kernelILb0ELi1024EifPKffEviiT3_lPKT2_lT1_lS5_lS6_lS2_lPT4_lS6_li,@function
_ZL32rocblas_gemvt_warp_reduce_kernelILb0ELi1024EifPKffEviiT3_lPKT2_lT1_lS5_lS6_lS2_lPT4_lS6_li: ; @_ZL32rocblas_gemvt_warp_reduce_kernelILb0ELi1024EifPKffEviiT3_lPKT2_lT1_lS5_lS6_lS2_lPT4_lS6_li
; %bb.0:
	s_clause 0x1
	s_load_b256 s[4:11], s[0:1], 0x8
	s_load_b256 s[16:23], s[0:1], 0x50
	s_mov_b32 s13, 0
	s_waitcnt lgkmcnt(0)
	s_mul_i32 s3, s15, s7
	s_mul_hi_u32 s7, s15, s6
	s_mul_i32 s2, s15, s6
	s_add_i32 s3, s7, s3
	s_mul_i32 s6, s15, s21
	s_lshl_b64 s[2:3], s[2:3], 2
	s_mul_hi_u32 s7, s15, s20
	s_add_u32 s2, s4, s2
	s_addc_u32 s3, s5, s3
	s_add_i32 s5, s7, s6
	s_mul_i32 s4, s15, s20
	s_delay_alu instid0(SALU_CYCLE_1) | instskip(NEXT) | instid1(SALU_CYCLE_1)
	s_lshl_b64 s[4:5], s[4:5], 2
	s_add_u32 s4, s18, s4
	s_addc_u32 s5, s19, s5
	s_load_b32 s18, s[2:3], 0x0
	s_load_b32 s12, s[4:5], 0x0
	s_waitcnt lgkmcnt(0)
	v_cmp_eq_f32_e64 s2, s18, 0
	v_cmp_eq_f32_e64 s3, s12, 1.0
	s_delay_alu instid0(VALU_DEP_1) | instskip(NEXT) | instid1(SALU_CYCLE_1)
	s_and_b32 s2, s2, s3
	s_and_b32 vcc_lo, exec_lo, s2
	s_cbranch_vccnz .LBB32_29
; %bb.1:
	s_clause 0x2
	s_load_b64 s[2:3], s[0:1], 0x80
	s_load_b64 s[4:5], s[0:1], 0x70
	s_load_b32 s19, s[0:1], 0x78
	v_cmp_neq_f32_e64 s20, s18, 0
	s_waitcnt lgkmcnt(0)
	s_mul_i32 s3, s15, s3
	s_mul_hi_u32 s6, s15, s2
	s_mul_i32 s2, s15, s2
	s_add_i32 s3, s6, s3
	s_delay_alu instid0(SALU_CYCLE_1) | instskip(NEXT) | instid1(SALU_CYCLE_1)
	s_lshl_b64 s[2:3], s[2:3], 2
	s_add_u32 s6, s22, s2
	s_addc_u32 s7, s23, s3
	s_lshl_b64 s[2:3], s[4:5], 2
	s_delay_alu instid0(SALU_CYCLE_1)
	s_add_u32 s6, s6, s2
	v_cmp_eq_u32_e64 s2, 0, v0
	s_addc_u32 s7, s7, s3
	s_and_b32 vcc_lo, exec_lo, s20
	s_cbranch_vccnz .LBB32_6
; %bb.2:
	s_mov_b32 s3, 0
                                        ; implicit-def: $vgpr1
                                        ; implicit-def: $sgpr4_sgpr5
	s_and_saveexec_b32 s20, s2
	s_cbranch_execz .LBB32_7
; %bb.3:
	v_cmp_eq_f32_e64 s2, s12, 0
	v_mov_b32_e32 v1, 0
	s_mul_i32 s4, s14, s19
	s_delay_alu instid0(SALU_CYCLE_1) | instskip(NEXT) | instid1(VALU_DEP_2)
	s_ashr_i32 s5, s4, 31
	s_and_b32 vcc_lo, exec_lo, s2
	s_cbranch_vccnz .LBB32_5
; %bb.4:
	s_lshl_b64 s[22:23], s[4:5], 2
	s_delay_alu instid0(SALU_CYCLE_1)
	s_add_u32 s22, s6, s22
	s_addc_u32 s23, s7, s23
	s_load_b32 s2, s[22:23], 0x0
	s_waitcnt lgkmcnt(0)
	v_mul_f32_e64 v1, s12, s2
.LBB32_5:
	s_mov_b32 s13, exec_lo
	s_or_b32 exec_lo, exec_lo, s20
	s_delay_alu instid0(SALU_CYCLE_1)
	s_and_b32 vcc_lo, exec_lo, s3
	s_cbranch_vccnz .LBB32_8
	s_branch .LBB32_27
.LBB32_6:
                                        ; implicit-def: $vgpr1
                                        ; implicit-def: $sgpr4_sgpr5
	s_cbranch_execnz .LBB32_8
	s_branch .LBB32_27
.LBB32_7:
	s_or_b32 exec_lo, exec_lo, s20
	s_delay_alu instid0(SALU_CYCLE_1)
	s_and_b32 vcc_lo, exec_lo, s3
	s_cbranch_vccz .LBB32_27
.LBB32_8:
	s_mul_i32 s3, s15, s17
	s_mul_hi_u32 s17, s15, s16
	s_mul_i32 s2, s15, s16
	s_add_i32 s3, s17, s3
	s_clause 0x2
	s_load_b128 s[20:23], s[0:1], 0x30
	s_load_b64 s[4:5], s[0:1], 0x40
	s_load_b32 s24, s[0:1], 0x28
	s_lshl_b64 s[16:17], s[2:3], 2
	s_clause 0x1
	s_load_b32 s3, s[0:1], 0x0
	s_load_b32 s1, s[0:1], 0x48
	v_mov_b32_e32 v7, 0
	s_waitcnt lgkmcnt(0)
	s_add_u32 s2, s22, s16
	s_addc_u32 s17, s23, s17
	s_lshl_b64 s[4:5], s[4:5], 2
	s_mul_i32 s21, s15, s21
	s_mul_hi_u32 s22, s15, s20
	s_add_u32 s4, s2, s4
	v_cmp_gt_i32_e32 vcc_lo, s3, v0
	s_mul_i32 s16, s15, s20
	s_addc_u32 s5, s17, s5
	s_add_i32 s17, s22, s21
	s_delay_alu instid0(SALU_CYCLE_1)
	s_lshl_b64 s[16:17], s[16:17], 2
	v_cndmask_b32_e32 v1, 0, v0, vcc_lo
	s_add_u32 s2, s8, s16
	s_addc_u32 s15, s9, s17
	s_lshl_b64 s[8:9], s[10:11], 2
	s_mul_i32 s10, s14, s24
	s_add_u32 s2, s2, s8
	s_addc_u32 s15, s15, s9
	s_ashr_i32 s11, s10, 31
	v_lshlrev_b32_e32 v1, 2, v1
	s_lshl_b64 s[8:9], s[10:11], 2
	s_delay_alu instid0(SALU_CYCLE_1)
	s_add_u32 s0, s8, s2
	s_addc_u32 s8, s9, s15
	s_ashr_i32 s2, s3, 31
	v_add_co_u32 v1, s0, s0, v1
	s_lshr_b32 s2, s2, 22
	v_add_co_ci_u32_e64 v2, null, s8, 0, s0
	s_add_i32 s2, s3, s2
	s_mov_b32 s9, 0
	s_and_b32 s2, s2, 0xfffffc00
	s_mov_b32 s8, exec_lo
	v_cmpx_gt_i32_e64 s2, v0
	s_cbranch_execz .LBB32_12
; %bb.9:
	v_mul_lo_u32 v3, v0, s1
	v_dual_mov_b32 v7, 0 :: v_dual_mov_b32 v6, v2
	v_dual_mov_b32 v5, v1 :: v_dual_mov_b32 v8, v0
	s_lshl_b32 s10, s1, 10
	.p2align	6
.LBB32_10:                              ; =>This Inner Loop Header: Depth=1
	s_delay_alu instid0(VALU_DEP_3) | instskip(NEXT) | instid1(VALU_DEP_1)
	v_ashrrev_i32_e32 v4, 31, v3
	v_lshlrev_b64 v[9:10], 2, v[3:4]
	v_add_nc_u32_e32 v3, s10, v3
	s_delay_alu instid0(VALU_DEP_2) | instskip(NEXT) | instid1(VALU_DEP_3)
	v_add_co_u32 v9, vcc_lo, s4, v9
	v_add_co_ci_u32_e32 v10, vcc_lo, s5, v10, vcc_lo
	global_load_b32 v4, v[5:6], off
	global_load_b32 v9, v[9:10], off
	v_add_nc_u32_e32 v8, 0x400, v8
	v_add_co_u32 v5, vcc_lo, 0x1000, v5
	v_add_co_ci_u32_e32 v6, vcc_lo, 0, v6, vcc_lo
	s_waitcnt vmcnt(0)
	v_fmac_f32_e32 v7, v4, v9
	v_cmp_le_i32_e64 s0, s2, v8
	s_delay_alu instid0(VALU_DEP_1) | instskip(NEXT) | instid1(SALU_CYCLE_1)
	s_or_b32 s9, s0, s9
	s_and_not1_b32 exec_lo, exec_lo, s9
	s_cbranch_execnz .LBB32_10
; %bb.11:
	s_or_b32 exec_lo, exec_lo, s9
.LBB32_12:
	s_delay_alu instid0(SALU_CYCLE_1) | instskip(SKIP_2) | instid1(VALU_DEP_1)
	s_or_b32 exec_lo, exec_lo, s8
	v_or_b32_e32 v3, s2, v0
	s_mov_b32 s0, exec_lo
	v_cmpx_gt_i32_e64 s3, v3
	s_cbranch_execz .LBB32_14
; %bb.13:
	v_mul_lo_u32 v3, v3, s1
	s_ashr_i32 s3, s2, 31
	s_delay_alu instid0(SALU_CYCLE_1) | instskip(NEXT) | instid1(SALU_CYCLE_1)
	s_lshl_b64 s[2:3], s[2:3], 2
	v_add_co_u32 v1, vcc_lo, v1, s2
	v_add_co_ci_u32_e32 v2, vcc_lo, s3, v2, vcc_lo
	s_delay_alu instid0(VALU_DEP_3) | instskip(NEXT) | instid1(VALU_DEP_1)
	v_ashrrev_i32_e32 v4, 31, v3
	v_lshlrev_b64 v[3:4], 2, v[3:4]
	s_delay_alu instid0(VALU_DEP_1) | instskip(NEXT) | instid1(VALU_DEP_2)
	v_add_co_u32 v3, vcc_lo, s4, v3
	v_add_co_ci_u32_e32 v4, vcc_lo, s5, v4, vcc_lo
	global_load_b32 v1, v[1:2], off
	global_load_b32 v2, v[3:4], off
	s_waitcnt vmcnt(0)
	v_fmac_f32_e32 v7, v1, v2
.LBB32_14:
	s_or_b32 exec_lo, exec_lo, s0
	v_and_b32_e32 v6, 31, v0
	v_cmp_gt_u32_e32 vcc_lo, 32, v0
	s_delay_alu instid0(VALU_DEP_2)
	v_lshlrev_b32_e32 v1, 2, v6
	s_and_saveexec_b32 s0, vcc_lo
	s_cbranch_execz .LBB32_16
; %bb.15:
	v_mov_b32_e32 v2, 0
	ds_store_b32 v1, v2
.LBB32_16:
	s_or_b32 exec_lo, exec_lo, s0
	v_mbcnt_lo_u32_b32 v8, -1, 0
	s_mov_b32 s1, exec_lo
	s_waitcnt lgkmcnt(0)
	s_barrier
	buffer_gl0_inv
	v_cmp_gt_u32_e64 s0, 16, v8
	s_delay_alu instid0(VALU_DEP_1) | instskip(SKIP_1) | instid1(VALU_DEP_2)
	v_cndmask_b32_e64 v2, 0, 1, s0
	v_cmp_gt_u32_e64 s0, 24, v8
	v_lshlrev_b32_e32 v2, 4, v2
	s_delay_alu instid0(VALU_DEP_2) | instskip(SKIP_1) | instid1(VALU_DEP_3)
	v_cndmask_b32_e64 v3, 0, 1, s0
	v_cmp_gt_u32_e64 s0, 28, v8
	v_add_lshl_u32 v2, v2, v8, 2
	s_delay_alu instid0(VALU_DEP_3)
	v_lshlrev_b32_e32 v3, 3, v3
	ds_bpermute_b32 v4, v2, v7
	v_add_lshl_u32 v3, v3, v8, 2
	s_waitcnt lgkmcnt(0)
	v_add_f32_e32 v5, v7, v4
	v_cndmask_b32_e64 v4, 0, 1, s0
	v_cmp_gt_u32_e64 s0, 30, v8
	ds_bpermute_b32 v7, v3, v5
	s_waitcnt lgkmcnt(0)
	v_dual_add_f32 v7, v5, v7 :: v_dual_lshlrev_b32 v4, 2, v4
	s_delay_alu instid0(VALU_DEP_1)
	v_add_lshl_u32 v4, v4, v8, 2
	v_cndmask_b32_e64 v5, 0, 1, s0
	v_cmp_ne_u32_e64 s0, 31, v8
	ds_bpermute_b32 v9, v4, v7
	v_lshlrev_b32_e32 v5, 1, v5
	v_add_co_ci_u32_e64 v10, s0, 0, v8, s0
	s_delay_alu instid0(VALU_DEP_2)
	v_add_lshl_u32 v5, v5, v8, 2
	s_waitcnt lgkmcnt(0)
	v_add_f32_e32 v7, v7, v9
	ds_bpermute_b32 v9, v5, v7
	s_waitcnt lgkmcnt(0)
	v_dual_add_f32 v8, v7, v9 :: v_dual_lshlrev_b32 v7, 2, v10
	ds_bpermute_b32 v9, v7, v8
	v_cmpx_eq_u32_e32 0, v6
	s_cbranch_execz .LBB32_18
; %bb.17:
	v_lshrrev_b32_e32 v6, 3, v0
	s_waitcnt lgkmcnt(0)
	v_add_f32_e32 v8, v8, v9
	s_delay_alu instid0(VALU_DEP_2)
	v_and_b32_e32 v6, 0x7c, v6
	ds_store_b32 v6, v8
.LBB32_18:
	s_or_b32 exec_lo, exec_lo, s1
	v_mov_b32_e32 v6, 0
	s_waitcnt lgkmcnt(0)
	s_barrier
	buffer_gl0_inv
	s_and_saveexec_b32 s0, vcc_lo
	s_cbranch_execz .LBB32_20
; %bb.19:
	ds_load_b32 v6, v1
.LBB32_20:
	s_or_b32 exec_lo, exec_lo, s0
	s_and_saveexec_b32 s0, vcc_lo
	s_cbranch_execz .LBB32_22
; %bb.21:
	s_waitcnt lgkmcnt(0)
	ds_bpermute_b32 v1, v2, v6
	s_waitcnt lgkmcnt(0)
	v_add_f32_e32 v1, v6, v1
	ds_bpermute_b32 v2, v3, v1
	s_waitcnt lgkmcnt(0)
	v_add_f32_e32 v1, v1, v2
	;; [unrolled: 3-line block ×5, first 2 shown]
.LBB32_22:
	s_or_b32 exec_lo, exec_lo, s0
	s_delay_alu instid0(SALU_CYCLE_1)
	s_mov_b32 s0, exec_lo
                                        ; implicit-def: $vgpr1
                                        ; implicit-def: $sgpr4_sgpr5
	v_cmpx_eq_u32_e32 0, v0
	s_cbranch_execz .LBB32_26
; %bb.23:
	v_cmp_eq_f32_e64 s1, s12, 0
	s_waitcnt lgkmcnt(0)
	v_mul_f32_e32 v1, s18, v6
	s_mul_i32 s4, s14, s19
	s_delay_alu instid0(SALU_CYCLE_1)
	s_ashr_i32 s5, s4, 31
	s_and_b32 vcc_lo, exec_lo, s1
	s_cbranch_vccnz .LBB32_25
; %bb.24:
	s_lshl_b64 s[2:3], s[4:5], 2
	s_delay_alu instid0(SALU_CYCLE_1)
	s_add_u32 s2, s6, s2
	s_addc_u32 s3, s7, s3
	s_load_b32 s1, s[2:3], 0x0
	s_waitcnt lgkmcnt(0)
	v_fmac_f32_e64 v1, s12, s1
.LBB32_25:
	s_or_b32 s13, s13, exec_lo
.LBB32_26:
	s_or_b32 exec_lo, exec_lo, s0
.LBB32_27:
	s_and_saveexec_b32 s0, s13
	s_cbranch_execz .LBB32_29
; %bb.28:
	s_lshl_b64 s[0:1], s[4:5], 2
	v_mov_b32_e32 v0, 0
	s_add_u32 s0, s6, s0
	s_addc_u32 s1, s7, s1
	global_store_b32 v0, v1, s[0:1]
.LBB32_29:
	s_nop 0
	s_sendmsg sendmsg(MSG_DEALLOC_VGPRS)
	s_endpgm
	.section	.rodata,"a",@progbits
	.p2align	6, 0x0
	.amdhsa_kernel _ZL32rocblas_gemvt_warp_reduce_kernelILb0ELi1024EifPKffEviiT3_lPKT2_lT1_lS5_lS6_lS2_lPT4_lS6_li
		.amdhsa_group_segment_fixed_size 128
		.amdhsa_private_segment_fixed_size 0
		.amdhsa_kernarg_size 140
		.amdhsa_user_sgpr_count 14
		.amdhsa_user_sgpr_dispatch_ptr 0
		.amdhsa_user_sgpr_queue_ptr 0
		.amdhsa_user_sgpr_kernarg_segment_ptr 1
		.amdhsa_user_sgpr_dispatch_id 0
		.amdhsa_user_sgpr_private_segment_size 0
		.amdhsa_wavefront_size32 1
		.amdhsa_uses_dynamic_stack 0
		.amdhsa_enable_private_segment 0
		.amdhsa_system_sgpr_workgroup_id_x 1
		.amdhsa_system_sgpr_workgroup_id_y 0
		.amdhsa_system_sgpr_workgroup_id_z 1
		.amdhsa_system_sgpr_workgroup_info 0
		.amdhsa_system_vgpr_workitem_id 0
		.amdhsa_next_free_vgpr 11
		.amdhsa_next_free_sgpr 25
		.amdhsa_reserve_vcc 1
		.amdhsa_float_round_mode_32 0
		.amdhsa_float_round_mode_16_64 0
		.amdhsa_float_denorm_mode_32 3
		.amdhsa_float_denorm_mode_16_64 3
		.amdhsa_dx10_clamp 1
		.amdhsa_ieee_mode 1
		.amdhsa_fp16_overflow 0
		.amdhsa_workgroup_processor_mode 1
		.amdhsa_memory_ordered 1
		.amdhsa_forward_progress 0
		.amdhsa_shared_vgpr_count 0
		.amdhsa_exception_fp_ieee_invalid_op 0
		.amdhsa_exception_fp_denorm_src 0
		.amdhsa_exception_fp_ieee_div_zero 0
		.amdhsa_exception_fp_ieee_overflow 0
		.amdhsa_exception_fp_ieee_underflow 0
		.amdhsa_exception_fp_ieee_inexact 0
		.amdhsa_exception_int_div_zero 0
	.end_amdhsa_kernel
	.section	.text._ZL32rocblas_gemvt_warp_reduce_kernelILb0ELi1024EifPKffEviiT3_lPKT2_lT1_lS5_lS6_lS2_lPT4_lS6_li,"axG",@progbits,_ZL32rocblas_gemvt_warp_reduce_kernelILb0ELi1024EifPKffEviiT3_lPKT2_lT1_lS5_lS6_lS2_lPT4_lS6_li,comdat
.Lfunc_end32:
	.size	_ZL32rocblas_gemvt_warp_reduce_kernelILb0ELi1024EifPKffEviiT3_lPKT2_lT1_lS5_lS6_lS2_lPT4_lS6_li, .Lfunc_end32-_ZL32rocblas_gemvt_warp_reduce_kernelILb0ELi1024EifPKffEviiT3_lPKT2_lT1_lS5_lS6_lS2_lPT4_lS6_li
                                        ; -- End function
	.section	.AMDGPU.csdata,"",@progbits
; Kernel info:
; codeLenInByte = 1476
; NumSgprs: 27
; NumVgprs: 11
; ScratchSize: 0
; MemoryBound: 0
; FloatMode: 240
; IeeeMode: 1
; LDSByteSize: 128 bytes/workgroup (compile time only)
; SGPRBlocks: 3
; VGPRBlocks: 1
; NumSGPRsForWavesPerEU: 27
; NumVGPRsForWavesPerEU: 11
; Occupancy: 16
; WaveLimiterHint : 1
; COMPUTE_PGM_RSRC2:SCRATCH_EN: 0
; COMPUTE_PGM_RSRC2:USER_SGPR: 14
; COMPUTE_PGM_RSRC2:TRAP_HANDLER: 0
; COMPUTE_PGM_RSRC2:TGID_X_EN: 1
; COMPUTE_PGM_RSRC2:TGID_Y_EN: 0
; COMPUTE_PGM_RSRC2:TGID_Z_EN: 1
; COMPUTE_PGM_RSRC2:TIDIG_COMP_CNT: 0
	.section	.text._ZL32rocblas_gemvt_warp_reduce_kernelILb0ELi1024ElfPKffEviiT3_lPKT2_lT1_lS5_lS6_lS2_lPT4_lS6_li,"axG",@progbits,_ZL32rocblas_gemvt_warp_reduce_kernelILb0ELi1024ElfPKffEviiT3_lPKT2_lT1_lS5_lS6_lS2_lPT4_lS6_li,comdat
	.globl	_ZL32rocblas_gemvt_warp_reduce_kernelILb0ELi1024ElfPKffEviiT3_lPKT2_lT1_lS5_lS6_lS2_lPT4_lS6_li ; -- Begin function _ZL32rocblas_gemvt_warp_reduce_kernelILb0ELi1024ElfPKffEviiT3_lPKT2_lT1_lS5_lS6_lS2_lPT4_lS6_li
	.p2align	8
	.type	_ZL32rocblas_gemvt_warp_reduce_kernelILb0ELi1024ElfPKffEviiT3_lPKT2_lT1_lS5_lS6_lS2_lPT4_lS6_li,@function
_ZL32rocblas_gemvt_warp_reduce_kernelILb0ELi1024ElfPKffEviiT3_lPKT2_lT1_lS5_lS6_lS2_lPT4_lS6_li: ; @_ZL32rocblas_gemvt_warp_reduce_kernelILb0ELi1024ElfPKffEviiT3_lPKT2_lT1_lS5_lS6_lS2_lPT4_lS6_li
; %bb.0:
	s_clause 0x1
	s_load_b512 s[36:51], s[0:1], 0x8
	s_load_b512 s[16:31], s[0:1], 0x48
	s_mov_b32 s11, 0
	s_waitcnt lgkmcnt(0)
	s_mul_i32 s3, s15, s39
	s_mul_hi_u32 s4, s15, s38
	s_mul_i32 s2, s15, s38
	s_add_i32 s3, s4, s3
	s_mul_i32 s4, s15, s23
	s_lshl_b64 s[2:3], s[2:3], 2
	s_mul_hi_u32 s5, s15, s22
	s_add_u32 s2, s36, s2
	s_addc_u32 s3, s37, s3
	s_add_i32 s5, s5, s4
	s_mul_i32 s4, s15, s22
	s_delay_alu instid0(SALU_CYCLE_1) | instskip(NEXT) | instid1(SALU_CYCLE_1)
	s_lshl_b64 s[4:5], s[4:5], 2
	s_add_u32 s4, s20, s4
	s_addc_u32 s5, s21, s5
	s_load_b32 s12, s[2:3], 0x0
	s_load_b32 s10, s[4:5], 0x0
	s_waitcnt lgkmcnt(0)
	v_cmp_eq_f32_e64 s2, s12, 0
	v_cmp_eq_f32_e64 s3, s10, 1.0
	s_delay_alu instid0(VALU_DEP_1) | instskip(NEXT) | instid1(SALU_CYCLE_1)
	s_and_b32 s2, s2, s3
	s_and_b32 vcc_lo, exec_lo, s2
	s_cbranch_vccnz .LBB33_29
; %bb.1:
	s_mul_i32 s3, s15, s31
	s_mul_hi_u32 s4, s15, s30
	s_mul_i32 s2, s15, s30
	s_add_i32 s3, s4, s3
	v_cmp_neq_f32_e64 s4, s12, 0
	s_lshl_b64 s[2:3], s[2:3], 2
	s_delay_alu instid0(SALU_CYCLE_1) | instskip(SKIP_2) | instid1(SALU_CYCLE_1)
	s_add_u32 s5, s24, s2
	s_addc_u32 s6, s25, s3
	s_lshl_b64 s[2:3], s[26:27], 2
	s_add_u32 s8, s5, s2
	v_cmp_eq_u32_e64 s2, 0, v0
	s_addc_u32 s9, s6, s3
	s_and_b32 vcc_lo, exec_lo, s4
	s_cbranch_vccnz .LBB33_6
; %bb.2:
	s_mov_b32 s3, 0
                                        ; implicit-def: $vgpr1
                                        ; implicit-def: $sgpr4_sgpr5
	s_and_saveexec_b32 s6, s2
	s_cbranch_execz .LBB33_7
; %bb.3:
	v_cmp_eq_f32_e64 s2, s10, 0
	s_mul_i32 s4, s14, s29
	s_mul_hi_u32 s5, s14, s28
	s_ashr_i32 s7, s14, 31
	v_mov_b32_e32 v1, 0
	s_add_i32 s4, s5, s4
	s_mul_i32 s7, s7, s28
	s_and_b32 vcc_lo, exec_lo, s2
	s_add_i32 s5, s4, s7
	s_mul_i32 s4, s14, s28
	s_cbranch_vccnz .LBB33_5
; %bb.4:
	s_lshl_b64 s[20:21], s[4:5], 2
	s_delay_alu instid0(SALU_CYCLE_1)
	s_add_u32 s20, s8, s20
	s_addc_u32 s21, s9, s21
	s_load_b32 s2, s[20:21], 0x0
	s_waitcnt lgkmcnt(0)
	v_mul_f32_e64 v1, s10, s2
.LBB33_5:
	s_mov_b32 s11, exec_lo
	s_or_b32 exec_lo, exec_lo, s6
	s_delay_alu instid0(SALU_CYCLE_1)
	s_and_b32 vcc_lo, exec_lo, s3
	s_cbranch_vccnz .LBB33_8
	s_branch .LBB33_27
.LBB33_6:
                                        ; implicit-def: $vgpr1
                                        ; implicit-def: $sgpr4_sgpr5
	s_cbranch_execnz .LBB33_8
	s_branch .LBB33_27
.LBB33_7:
	s_or_b32 exec_lo, exec_lo, s6
	s_delay_alu instid0(SALU_CYCLE_1)
	s_and_b32 vcc_lo, exec_lo, s3
	s_cbranch_vccz .LBB33_27
.LBB33_8:
	s_load_b32 s5, s[0:1], 0x0
	s_mul_i32 s3, s15, s47
	s_mul_hi_u32 s4, s15, s46
	s_mul_i32 s0, s15, s46
	s_add_i32 s1, s4, s3
	s_mul_i32 s2, s15, s19
	s_mul_hi_u32 s3, s15, s18
	s_lshl_b64 s[0:1], s[0:1], 2
	s_add_i32 s3, s3, s2
	s_add_u32 s2, s40, s0
	s_addc_u32 s4, s41, s1
	s_lshl_b64 s[0:1], s[42:43], 2
	s_mul_hi_u32 s6, s14, s44
	s_add_u32 s0, s2, s0
	s_addc_u32 s2, s4, s1
	s_mul_i32 s4, s14, s45
	s_ashr_i32 s1, s14, 31
	s_add_i32 s4, s6, s4
	s_mul_i32 s6, s1, s44
	v_mov_b32_e32 v7, 0
	s_waitcnt lgkmcnt(0)
	v_cmp_gt_i32_e32 vcc_lo, s5, v0
	s_add_i32 s7, s4, s6
	s_mul_i32 s6, s14, s44
	s_mov_b32 s13, exec_lo
	s_lshl_b64 s[6:7], s[6:7], 2
	v_cndmask_b32_e32 v1, 0, v0, vcc_lo
	s_add_u32 s0, s6, s0
	s_addc_u32 s2, s7, s2
	s_ashr_i32 s4, s5, 31
	s_delay_alu instid0(SALU_CYCLE_1) | instskip(SKIP_2) | instid1(SALU_CYCLE_1)
	s_lshr_b32 s4, s4, 22
	v_lshlrev_b32_e32 v1, 2, v1
	s_add_i32 s4, s5, s4
	s_and_b32 s4, s4, 0xfffffc00
	s_delay_alu instid0(VALU_DEP_1) | instskip(NEXT) | instid1(VALU_DEP_1)
	v_add_co_u32 v1, s0, s0, v1
	v_add_co_ci_u32_e64 v2, null, s2, 0, s0
	s_mul_i32 s2, s15, s18
	s_mov_b32 s15, 0
	v_cmpx_gt_i32_e64 s4, v0
	s_cbranch_execz .LBB33_12
; %bb.9:
	v_mad_u64_u32 v[5:6], null, s16, v0, 0
	s_lshl_b64 s[18:19], s[50:51], 2
	s_lshl_b64 s[6:7], s[2:3], 2
	s_add_u32 s0, s48, s18
	s_addc_u32 s18, s49, s19
	s_add_u32 s0, s0, s6
	s_addc_u32 s6, s18, s7
	s_delay_alu instid0(VALU_DEP_1) | instskip(NEXT) | instid1(VALU_DEP_1)
	v_dual_mov_b32 v3, v6 :: v_dual_mov_b32 v8, v0
	v_mad_u64_u32 v[6:7], null, s17, v0, v[3:4]
	v_dual_mov_b32 v7, 0 :: v_dual_mov_b32 v4, v2
	v_mov_b32_e32 v3, v1
	s_delay_alu instid0(VALU_DEP_3) | instskip(NEXT) | instid1(VALU_DEP_1)
	v_lshlrev_b64 v[5:6], 2, v[5:6]
	v_add_co_u32 v5, vcc_lo, s0, v5
	s_delay_alu instid0(VALU_DEP_2)
	v_add_co_ci_u32_e32 v6, vcc_lo, s6, v6, vcc_lo
	s_lshl_b64 s[6:7], s[16:17], 12
	.p2align	6
.LBB33_10:                              ; =>This Inner Loop Header: Depth=1
	global_load_b32 v9, v[3:4], off
	global_load_b32 v10, v[5:6], off
	v_add_nc_u32_e32 v8, 0x400, v8
	v_add_co_u32 v3, vcc_lo, 0x1000, v3
	v_add_co_ci_u32_e32 v4, vcc_lo, 0, v4, vcc_lo
	v_add_co_u32 v5, vcc_lo, v5, s6
	v_add_co_ci_u32_e32 v6, vcc_lo, s7, v6, vcc_lo
	s_waitcnt vmcnt(0)
	v_fmac_f32_e32 v7, v9, v10
	v_cmp_le_i32_e64 s0, s4, v8
	s_delay_alu instid0(VALU_DEP_1) | instskip(NEXT) | instid1(SALU_CYCLE_1)
	s_or_b32 s15, s0, s15
	s_and_not1_b32 exec_lo, exec_lo, s15
	s_cbranch_execnz .LBB33_10
; %bb.11:
	s_or_b32 exec_lo, exec_lo, s15
.LBB33_12:
	s_delay_alu instid0(SALU_CYCLE_1) | instskip(SKIP_2) | instid1(VALU_DEP_1)
	s_or_b32 exec_lo, exec_lo, s13
	v_or_b32_e32 v3, s4, v0
	s_mov_b32 s0, exec_lo
	v_cmpx_gt_i32_e64 s5, v3
	s_cbranch_execz .LBB33_14
; %bb.13:
	v_ashrrev_i32_e32 v6, 31, v3
	v_mul_lo_u32 v8, v3, s17
	v_mad_u64_u32 v[4:5], null, v3, s16, 0
	s_lshl_b64 s[2:3], s[2:3], 2
	s_delay_alu instid0(VALU_DEP_3) | instskip(SKIP_3) | instid1(SALU_CYCLE_1)
	v_mul_lo_u32 v3, v6, s16
	s_add_u32 s5, s48, s2
	s_addc_u32 s6, s49, s3
	s_lshl_b64 s[2:3], s[50:51], 2
	s_add_u32 s7, s5, s2
	s_addc_u32 s6, s6, s3
	s_ashr_i32 s5, s4, 31
	s_delay_alu instid0(VALU_DEP_1) | instskip(SKIP_1) | instid1(SALU_CYCLE_1)
	v_add3_u32 v5, v5, v8, v3
	s_lshl_b64 s[2:3], s[4:5], 2
	v_add_co_u32 v1, vcc_lo, v1, s2
	s_delay_alu instid0(VALU_DEP_2) | instskip(SKIP_1) | instid1(VALU_DEP_2)
	v_lshlrev_b64 v[3:4], 2, v[4:5]
	v_add_co_ci_u32_e32 v2, vcc_lo, s3, v2, vcc_lo
	v_add_co_u32 v3, vcc_lo, s7, v3
	s_delay_alu instid0(VALU_DEP_3)
	v_add_co_ci_u32_e32 v4, vcc_lo, s6, v4, vcc_lo
	global_load_b32 v1, v[1:2], off
	global_load_b32 v2, v[3:4], off
	s_waitcnt vmcnt(0)
	v_fmac_f32_e32 v7, v1, v2
.LBB33_14:
	s_or_b32 exec_lo, exec_lo, s0
	v_and_b32_e32 v6, 31, v0
	v_cmp_gt_u32_e32 vcc_lo, 32, v0
	s_delay_alu instid0(VALU_DEP_2)
	v_lshlrev_b32_e32 v1, 2, v6
	s_and_saveexec_b32 s0, vcc_lo
	s_cbranch_execz .LBB33_16
; %bb.15:
	v_mov_b32_e32 v2, 0
	ds_store_b32 v1, v2
.LBB33_16:
	s_or_b32 exec_lo, exec_lo, s0
	v_mbcnt_lo_u32_b32 v8, -1, 0
	s_mov_b32 s2, exec_lo
	s_waitcnt lgkmcnt(0)
	s_barrier
	buffer_gl0_inv
	v_cmp_gt_u32_e64 s0, 16, v8
	s_delay_alu instid0(VALU_DEP_1) | instskip(SKIP_1) | instid1(VALU_DEP_2)
	v_cndmask_b32_e64 v2, 0, 1, s0
	v_cmp_gt_u32_e64 s0, 24, v8
	v_lshlrev_b32_e32 v2, 4, v2
	s_delay_alu instid0(VALU_DEP_2) | instskip(SKIP_1) | instid1(VALU_DEP_3)
	v_cndmask_b32_e64 v3, 0, 1, s0
	v_cmp_gt_u32_e64 s0, 28, v8
	v_add_lshl_u32 v2, v2, v8, 2
	s_delay_alu instid0(VALU_DEP_3)
	v_lshlrev_b32_e32 v3, 3, v3
	ds_bpermute_b32 v4, v2, v7
	v_add_lshl_u32 v3, v3, v8, 2
	s_waitcnt lgkmcnt(0)
	v_add_f32_e32 v5, v7, v4
	v_cndmask_b32_e64 v4, 0, 1, s0
	v_cmp_gt_u32_e64 s0, 30, v8
	ds_bpermute_b32 v7, v3, v5
	s_waitcnt lgkmcnt(0)
	v_dual_add_f32 v7, v5, v7 :: v_dual_lshlrev_b32 v4, 2, v4
	s_delay_alu instid0(VALU_DEP_1)
	v_add_lshl_u32 v4, v4, v8, 2
	v_cndmask_b32_e64 v5, 0, 1, s0
	v_cmp_ne_u32_e64 s0, 31, v8
	ds_bpermute_b32 v9, v4, v7
	v_lshlrev_b32_e32 v5, 1, v5
	v_add_co_ci_u32_e64 v10, s0, 0, v8, s0
	s_delay_alu instid0(VALU_DEP_2)
	v_add_lshl_u32 v5, v5, v8, 2
	s_waitcnt lgkmcnt(0)
	v_add_f32_e32 v7, v7, v9
	ds_bpermute_b32 v9, v5, v7
	s_waitcnt lgkmcnt(0)
	v_dual_add_f32 v8, v7, v9 :: v_dual_lshlrev_b32 v7, 2, v10
	ds_bpermute_b32 v9, v7, v8
	v_cmpx_eq_u32_e32 0, v6
	s_cbranch_execz .LBB33_18
; %bb.17:
	v_lshrrev_b32_e32 v6, 3, v0
	s_waitcnt lgkmcnt(0)
	v_add_f32_e32 v8, v8, v9
	s_delay_alu instid0(VALU_DEP_2)
	v_and_b32_e32 v6, 0x7c, v6
	ds_store_b32 v6, v8
.LBB33_18:
	s_or_b32 exec_lo, exec_lo, s2
	v_mov_b32_e32 v6, 0
	s_waitcnt lgkmcnt(0)
	s_barrier
	buffer_gl0_inv
	s_and_saveexec_b32 s0, vcc_lo
	s_cbranch_execz .LBB33_20
; %bb.19:
	ds_load_b32 v6, v1
.LBB33_20:
	s_or_b32 exec_lo, exec_lo, s0
	s_and_saveexec_b32 s0, vcc_lo
	s_cbranch_execz .LBB33_22
; %bb.21:
	s_waitcnt lgkmcnt(0)
	ds_bpermute_b32 v1, v2, v6
	s_waitcnt lgkmcnt(0)
	v_add_f32_e32 v1, v6, v1
	ds_bpermute_b32 v2, v3, v1
	s_waitcnt lgkmcnt(0)
	v_add_f32_e32 v1, v1, v2
	;; [unrolled: 3-line block ×5, first 2 shown]
.LBB33_22:
	s_or_b32 exec_lo, exec_lo, s0
	s_delay_alu instid0(SALU_CYCLE_1)
	s_mov_b32 s0, exec_lo
                                        ; implicit-def: $vgpr1
                                        ; implicit-def: $sgpr4_sgpr5
	v_cmpx_eq_u32_e32 0, v0
	s_cbranch_execz .LBB33_26
; %bb.23:
	v_cmp_eq_f32_e64 s4, s10, 0
	s_mul_i32 s2, s14, s29
	s_mul_hi_u32 s3, s14, s28
	s_waitcnt lgkmcnt(0)
	v_mul_f32_e32 v1, s12, v6
	s_add_i32 s2, s3, s2
	s_mul_i32 s1, s1, s28
	s_and_b32 vcc_lo, exec_lo, s4
	s_add_i32 s5, s2, s1
	s_mul_i32 s4, s14, s28
	s_cbranch_vccnz .LBB33_25
; %bb.24:
	s_lshl_b64 s[2:3], s[4:5], 2
	s_delay_alu instid0(SALU_CYCLE_1)
	s_add_u32 s2, s8, s2
	s_addc_u32 s3, s9, s3
	s_load_b32 s1, s[2:3], 0x0
	s_waitcnt lgkmcnt(0)
	v_fmac_f32_e64 v1, s10, s1
.LBB33_25:
	s_or_b32 s11, s11, exec_lo
.LBB33_26:
	s_or_b32 exec_lo, exec_lo, s0
.LBB33_27:
	s_and_saveexec_b32 s0, s11
	s_cbranch_execz .LBB33_29
; %bb.28:
	s_lshl_b64 s[0:1], s[4:5], 2
	v_mov_b32_e32 v0, 0
	s_add_u32 s0, s8, s0
	s_addc_u32 s1, s9, s1
	global_store_b32 v0, v1, s[0:1]
.LBB33_29:
	s_nop 0
	s_sendmsg sendmsg(MSG_DEALLOC_VGPRS)
	s_endpgm
	.section	.rodata,"a",@progbits
	.p2align	6, 0x0
	.amdhsa_kernel _ZL32rocblas_gemvt_warp_reduce_kernelILb0ELi1024ElfPKffEviiT3_lPKT2_lT1_lS5_lS6_lS2_lPT4_lS6_li
		.amdhsa_group_segment_fixed_size 128
		.amdhsa_private_segment_fixed_size 0
		.amdhsa_kernarg_size 140
		.amdhsa_user_sgpr_count 14
		.amdhsa_user_sgpr_dispatch_ptr 0
		.amdhsa_user_sgpr_queue_ptr 0
		.amdhsa_user_sgpr_kernarg_segment_ptr 1
		.amdhsa_user_sgpr_dispatch_id 0
		.amdhsa_user_sgpr_private_segment_size 0
		.amdhsa_wavefront_size32 1
		.amdhsa_uses_dynamic_stack 0
		.amdhsa_enable_private_segment 0
		.amdhsa_system_sgpr_workgroup_id_x 1
		.amdhsa_system_sgpr_workgroup_id_y 0
		.amdhsa_system_sgpr_workgroup_id_z 1
		.amdhsa_system_sgpr_workgroup_info 0
		.amdhsa_system_vgpr_workitem_id 0
		.amdhsa_next_free_vgpr 11
		.amdhsa_next_free_sgpr 52
		.amdhsa_reserve_vcc 1
		.amdhsa_float_round_mode_32 0
		.amdhsa_float_round_mode_16_64 0
		.amdhsa_float_denorm_mode_32 3
		.amdhsa_float_denorm_mode_16_64 3
		.amdhsa_dx10_clamp 1
		.amdhsa_ieee_mode 1
		.amdhsa_fp16_overflow 0
		.amdhsa_workgroup_processor_mode 1
		.amdhsa_memory_ordered 1
		.amdhsa_forward_progress 0
		.amdhsa_shared_vgpr_count 0
		.amdhsa_exception_fp_ieee_invalid_op 0
		.amdhsa_exception_fp_denorm_src 0
		.amdhsa_exception_fp_ieee_div_zero 0
		.amdhsa_exception_fp_ieee_overflow 0
		.amdhsa_exception_fp_ieee_underflow 0
		.amdhsa_exception_fp_ieee_inexact 0
		.amdhsa_exception_int_div_zero 0
	.end_amdhsa_kernel
	.section	.text._ZL32rocblas_gemvt_warp_reduce_kernelILb0ELi1024ElfPKffEviiT3_lPKT2_lT1_lS5_lS6_lS2_lPT4_lS6_li,"axG",@progbits,_ZL32rocblas_gemvt_warp_reduce_kernelILb0ELi1024ElfPKffEviiT3_lPKT2_lT1_lS5_lS6_lS2_lPT4_lS6_li,comdat
.Lfunc_end33:
	.size	_ZL32rocblas_gemvt_warp_reduce_kernelILb0ELi1024ElfPKffEviiT3_lPKT2_lT1_lS5_lS6_lS2_lPT4_lS6_li, .Lfunc_end33-_ZL32rocblas_gemvt_warp_reduce_kernelILb0ELi1024ElfPKffEviiT3_lPKT2_lT1_lS5_lS6_lS2_lPT4_lS6_li
                                        ; -- End function
	.section	.AMDGPU.csdata,"",@progbits
; Kernel info:
; codeLenInByte = 1520
; NumSgprs: 54
; NumVgprs: 11
; ScratchSize: 0
; MemoryBound: 0
; FloatMode: 240
; IeeeMode: 1
; LDSByteSize: 128 bytes/workgroup (compile time only)
; SGPRBlocks: 6
; VGPRBlocks: 1
; NumSGPRsForWavesPerEU: 54
; NumVGPRsForWavesPerEU: 11
; Occupancy: 16
; WaveLimiterHint : 0
; COMPUTE_PGM_RSRC2:SCRATCH_EN: 0
; COMPUTE_PGM_RSRC2:USER_SGPR: 14
; COMPUTE_PGM_RSRC2:TRAP_HANDLER: 0
; COMPUTE_PGM_RSRC2:TGID_X_EN: 1
; COMPUTE_PGM_RSRC2:TGID_Y_EN: 0
; COMPUTE_PGM_RSRC2:TGID_Z_EN: 1
; COMPUTE_PGM_RSRC2:TIDIG_COMP_CNT: 0
	.section	.text._ZL32rocblas_gemvt_warp_reduce_kernelILb0ELi1024EifffEviiT3_lPKT2_lT1_lS3_lS4_lS0_lPT4_lS4_li,"axG",@progbits,_ZL32rocblas_gemvt_warp_reduce_kernelILb0ELi1024EifffEviiT3_lPKT2_lT1_lS3_lS4_lS0_lPT4_lS4_li,comdat
	.globl	_ZL32rocblas_gemvt_warp_reduce_kernelILb0ELi1024EifffEviiT3_lPKT2_lT1_lS3_lS4_lS0_lPT4_lS4_li ; -- Begin function _ZL32rocblas_gemvt_warp_reduce_kernelILb0ELi1024EifffEviiT3_lPKT2_lT1_lS3_lS4_lS0_lPT4_lS4_li
	.p2align	8
	.type	_ZL32rocblas_gemvt_warp_reduce_kernelILb0ELi1024EifffEviiT3_lPKT2_lT1_lS3_lS4_lS0_lPT4_lS4_li,@function
_ZL32rocblas_gemvt_warp_reduce_kernelILb0ELi1024EifffEviiT3_lPKT2_lT1_lS3_lS4_lS0_lPT4_lS4_li: ; @_ZL32rocblas_gemvt_warp_reduce_kernelILb0ELi1024EifffEviiT3_lPKT2_lT1_lS3_lS4_lS0_lPT4_lS4_li
; %bb.0:
	s_clause 0x1
	s_load_b32 s10, s[0:1], 0x8
	s_load_b32 s8, s[0:1], 0x58
	s_mov_b32 s9, 0
	s_waitcnt lgkmcnt(0)
	v_cmp_eq_f32_e64 s2, s10, 0
	v_cmp_eq_f32_e64 s3, s8, 1.0
	s_delay_alu instid0(VALU_DEP_1) | instskip(NEXT) | instid1(SALU_CYCLE_1)
	s_and_b32 s2, s2, s3
	s_and_b32 vcc_lo, exec_lo, s2
	s_cbranch_vccnz .LBB34_29
; %bb.1:
	s_clause 0x2
	s_load_b64 s[2:3], s[0:1], 0x80
	s_load_b128 s[4:7], s[0:1], 0x68
	s_load_b32 s11, s[0:1], 0x78
	s_waitcnt lgkmcnt(0)
	s_mul_i32 s3, s15, s3
	s_mul_hi_u32 s12, s15, s2
	s_mul_i32 s2, s15, s2
	s_add_i32 s3, s12, s3
	v_cmp_neq_f32_e64 s12, s10, 0
	s_lshl_b64 s[2:3], s[2:3], 2
	s_delay_alu instid0(SALU_CYCLE_1) | instskip(SKIP_2) | instid1(SALU_CYCLE_1)
	s_add_u32 s4, s4, s2
	s_addc_u32 s5, s5, s3
	s_lshl_b64 s[2:3], s[6:7], 2
	s_add_u32 s6, s4, s2
	v_cmp_eq_u32_e64 s2, 0, v0
	s_addc_u32 s7, s5, s3
	s_and_b32 vcc_lo, exec_lo, s12
	s_cbranch_vccnz .LBB34_6
; %bb.2:
	s_mov_b32 s3, 0
                                        ; implicit-def: $vgpr1
                                        ; implicit-def: $sgpr4_sgpr5
	s_and_saveexec_b32 s12, s2
	s_cbranch_execz .LBB34_7
; %bb.3:
	v_cmp_eq_f32_e64 s2, s8, 0
	v_mov_b32_e32 v1, 0
	s_mul_i32 s4, s14, s11
	s_delay_alu instid0(SALU_CYCLE_1) | instskip(NEXT) | instid1(VALU_DEP_2)
	s_ashr_i32 s5, s4, 31
	s_and_b32 vcc_lo, exec_lo, s2
	s_cbranch_vccnz .LBB34_5
; %bb.4:
	s_lshl_b64 s[16:17], s[4:5], 2
	s_delay_alu instid0(SALU_CYCLE_1)
	s_add_u32 s16, s6, s16
	s_addc_u32 s17, s7, s17
	s_load_b32 s2, s[16:17], 0x0
	s_waitcnt lgkmcnt(0)
	v_mul_f32_e64 v1, s2, s8
.LBB34_5:
	s_mov_b32 s9, exec_lo
	s_or_b32 exec_lo, exec_lo, s12
	s_delay_alu instid0(SALU_CYCLE_1)
	s_and_b32 vcc_lo, exec_lo, s3
	s_cbranch_vccnz .LBB34_8
	s_branch .LBB34_27
.LBB34_6:
                                        ; implicit-def: $vgpr1
                                        ; implicit-def: $sgpr4_sgpr5
	s_cbranch_execnz .LBB34_8
	s_branch .LBB34_27
.LBB34_7:
	s_or_b32 exec_lo, exec_lo, s12
	s_delay_alu instid0(SALU_CYCLE_1)
	s_and_b32 vcc_lo, exec_lo, s3
	s_cbranch_vccz .LBB34_27
.LBB34_8:
	s_clause 0x6
	s_load_b64 s[4:5], s[0:1], 0x50
	s_load_b128 s[16:19], s[0:1], 0x30
	s_load_b64 s[12:13], s[0:1], 0x40
	s_load_b32 s3, s[0:1], 0x0
	s_load_b128 s[20:23], s[0:1], 0x18
	s_load_b32 s2, s[0:1], 0x28
	s_load_b32 s1, s[0:1], 0x48
	v_mov_b32_e32 v7, 0
	s_waitcnt lgkmcnt(0)
	s_mul_i32 s0, s15, s5
	s_mul_hi_u32 s5, s15, s4
	s_mul_i32 s4, s15, s4
	s_add_i32 s5, s5, s0
	s_mul_i32 s0, s15, s17
	s_lshl_b64 s[4:5], s[4:5], 2
	s_mul_hi_u32 s17, s15, s16
	s_add_u32 s18, s18, s4
	s_addc_u32 s19, s19, s5
	s_lshl_b64 s[4:5], s[12:13], 2
	v_cmp_gt_i32_e32 vcc_lo, s3, v0
	s_add_u32 s4, s18, s4
	s_mul_i32 s12, s15, s16
	s_addc_u32 s5, s19, s5
	s_add_i32 s13, s17, s0
	v_cndmask_b32_e32 v1, 0, v0, vcc_lo
	s_lshl_b64 s[12:13], s[12:13], 2
	s_mul_i32 s16, s14, s2
	s_add_u32 s0, s20, s12
	s_addc_u32 s15, s21, s13
	s_lshl_b64 s[12:13], s[22:23], 2
	v_lshlrev_b32_e32 v1, 2, v1
	s_add_u32 s0, s0, s12
	s_addc_u32 s2, s15, s13
	s_ashr_i32 s17, s16, 31
	s_delay_alu instid0(SALU_CYCLE_1) | instskip(NEXT) | instid1(SALU_CYCLE_1)
	s_lshl_b64 s[12:13], s[16:17], 2
	s_add_u32 s0, s12, s0
	s_addc_u32 s12, s13, s2
	s_ashr_i32 s2, s3, 31
	v_add_co_u32 v1, s0, s0, v1
	s_lshr_b32 s2, s2, 22
	v_add_co_ci_u32_e64 v2, null, s12, 0, s0
	s_add_i32 s2, s3, s2
	s_mov_b32 s13, 0
	s_and_b32 s2, s2, 0xfffffc00
	s_mov_b32 s12, exec_lo
	v_cmpx_gt_i32_e64 s2, v0
	s_cbranch_execz .LBB34_12
; %bb.9:
	v_mul_lo_u32 v3, v0, s1
	v_dual_mov_b32 v7, 0 :: v_dual_mov_b32 v6, v2
	v_dual_mov_b32 v5, v1 :: v_dual_mov_b32 v8, v0
	s_lshl_b32 s15, s1, 10
	.p2align	6
.LBB34_10:                              ; =>This Inner Loop Header: Depth=1
	s_delay_alu instid0(VALU_DEP_3) | instskip(NEXT) | instid1(VALU_DEP_1)
	v_ashrrev_i32_e32 v4, 31, v3
	v_lshlrev_b64 v[9:10], 2, v[3:4]
	v_add_nc_u32_e32 v3, s15, v3
	s_delay_alu instid0(VALU_DEP_2) | instskip(NEXT) | instid1(VALU_DEP_3)
	v_add_co_u32 v9, vcc_lo, s4, v9
	v_add_co_ci_u32_e32 v10, vcc_lo, s5, v10, vcc_lo
	global_load_b32 v4, v[5:6], off
	global_load_b32 v9, v[9:10], off
	v_add_nc_u32_e32 v8, 0x400, v8
	v_add_co_u32 v5, vcc_lo, 0x1000, v5
	v_add_co_ci_u32_e32 v6, vcc_lo, 0, v6, vcc_lo
	s_waitcnt vmcnt(0)
	v_fmac_f32_e32 v7, v4, v9
	v_cmp_le_i32_e64 s0, s2, v8
	s_delay_alu instid0(VALU_DEP_1) | instskip(NEXT) | instid1(SALU_CYCLE_1)
	s_or_b32 s13, s0, s13
	s_and_not1_b32 exec_lo, exec_lo, s13
	s_cbranch_execnz .LBB34_10
; %bb.11:
	s_or_b32 exec_lo, exec_lo, s13
.LBB34_12:
	s_delay_alu instid0(SALU_CYCLE_1) | instskip(SKIP_2) | instid1(VALU_DEP_1)
	s_or_b32 exec_lo, exec_lo, s12
	v_or_b32_e32 v3, s2, v0
	s_mov_b32 s0, exec_lo
	v_cmpx_gt_i32_e64 s3, v3
	s_cbranch_execz .LBB34_14
; %bb.13:
	v_mul_lo_u32 v3, v3, s1
	s_ashr_i32 s3, s2, 31
	s_delay_alu instid0(SALU_CYCLE_1) | instskip(NEXT) | instid1(SALU_CYCLE_1)
	s_lshl_b64 s[2:3], s[2:3], 2
	v_add_co_u32 v1, vcc_lo, v1, s2
	v_add_co_ci_u32_e32 v2, vcc_lo, s3, v2, vcc_lo
	s_delay_alu instid0(VALU_DEP_3) | instskip(NEXT) | instid1(VALU_DEP_1)
	v_ashrrev_i32_e32 v4, 31, v3
	v_lshlrev_b64 v[3:4], 2, v[3:4]
	s_delay_alu instid0(VALU_DEP_1) | instskip(NEXT) | instid1(VALU_DEP_2)
	v_add_co_u32 v3, vcc_lo, s4, v3
	v_add_co_ci_u32_e32 v4, vcc_lo, s5, v4, vcc_lo
	global_load_b32 v1, v[1:2], off
	global_load_b32 v2, v[3:4], off
	s_waitcnt vmcnt(0)
	v_fmac_f32_e32 v7, v1, v2
.LBB34_14:
	s_or_b32 exec_lo, exec_lo, s0
	v_and_b32_e32 v6, 31, v0
	v_cmp_gt_u32_e32 vcc_lo, 32, v0
	s_delay_alu instid0(VALU_DEP_2)
	v_lshlrev_b32_e32 v1, 2, v6
	s_and_saveexec_b32 s0, vcc_lo
	s_cbranch_execz .LBB34_16
; %bb.15:
	v_mov_b32_e32 v2, 0
	ds_store_b32 v1, v2
.LBB34_16:
	s_or_b32 exec_lo, exec_lo, s0
	v_mbcnt_lo_u32_b32 v8, -1, 0
	s_mov_b32 s1, exec_lo
	s_waitcnt lgkmcnt(0)
	s_barrier
	buffer_gl0_inv
	v_cmp_gt_u32_e64 s0, 16, v8
	s_delay_alu instid0(VALU_DEP_1) | instskip(SKIP_1) | instid1(VALU_DEP_2)
	v_cndmask_b32_e64 v2, 0, 1, s0
	v_cmp_gt_u32_e64 s0, 24, v8
	v_lshlrev_b32_e32 v2, 4, v2
	s_delay_alu instid0(VALU_DEP_2) | instskip(SKIP_1) | instid1(VALU_DEP_3)
	v_cndmask_b32_e64 v3, 0, 1, s0
	v_cmp_gt_u32_e64 s0, 28, v8
	v_add_lshl_u32 v2, v2, v8, 2
	s_delay_alu instid0(VALU_DEP_3)
	v_lshlrev_b32_e32 v3, 3, v3
	ds_bpermute_b32 v4, v2, v7
	v_add_lshl_u32 v3, v3, v8, 2
	s_waitcnt lgkmcnt(0)
	v_add_f32_e32 v5, v7, v4
	v_cndmask_b32_e64 v4, 0, 1, s0
	v_cmp_gt_u32_e64 s0, 30, v8
	ds_bpermute_b32 v7, v3, v5
	s_waitcnt lgkmcnt(0)
	v_dual_add_f32 v7, v5, v7 :: v_dual_lshlrev_b32 v4, 2, v4
	s_delay_alu instid0(VALU_DEP_1)
	v_add_lshl_u32 v4, v4, v8, 2
	v_cndmask_b32_e64 v5, 0, 1, s0
	v_cmp_ne_u32_e64 s0, 31, v8
	ds_bpermute_b32 v9, v4, v7
	v_lshlrev_b32_e32 v5, 1, v5
	v_add_co_ci_u32_e64 v10, s0, 0, v8, s0
	s_delay_alu instid0(VALU_DEP_2)
	v_add_lshl_u32 v5, v5, v8, 2
	s_waitcnt lgkmcnt(0)
	v_add_f32_e32 v7, v7, v9
	ds_bpermute_b32 v9, v5, v7
	s_waitcnt lgkmcnt(0)
	v_dual_add_f32 v8, v7, v9 :: v_dual_lshlrev_b32 v7, 2, v10
	ds_bpermute_b32 v9, v7, v8
	v_cmpx_eq_u32_e32 0, v6
	s_cbranch_execz .LBB34_18
; %bb.17:
	v_lshrrev_b32_e32 v6, 3, v0
	s_waitcnt lgkmcnt(0)
	v_add_f32_e32 v8, v8, v9
	s_delay_alu instid0(VALU_DEP_2)
	v_and_b32_e32 v6, 0x7c, v6
	ds_store_b32 v6, v8
.LBB34_18:
	s_or_b32 exec_lo, exec_lo, s1
	v_mov_b32_e32 v6, 0
	s_waitcnt lgkmcnt(0)
	s_barrier
	buffer_gl0_inv
	s_and_saveexec_b32 s0, vcc_lo
	s_cbranch_execz .LBB34_20
; %bb.19:
	ds_load_b32 v6, v1
.LBB34_20:
	s_or_b32 exec_lo, exec_lo, s0
	s_and_saveexec_b32 s0, vcc_lo
	s_cbranch_execz .LBB34_22
; %bb.21:
	s_waitcnt lgkmcnt(0)
	ds_bpermute_b32 v1, v2, v6
	s_waitcnt lgkmcnt(0)
	v_add_f32_e32 v1, v6, v1
	ds_bpermute_b32 v2, v3, v1
	s_waitcnt lgkmcnt(0)
	v_add_f32_e32 v1, v1, v2
	;; [unrolled: 3-line block ×5, first 2 shown]
.LBB34_22:
	s_or_b32 exec_lo, exec_lo, s0
	s_delay_alu instid0(SALU_CYCLE_1)
	s_mov_b32 s0, exec_lo
                                        ; implicit-def: $vgpr1
                                        ; implicit-def: $sgpr4_sgpr5
	v_cmpx_eq_u32_e32 0, v0
	s_cbranch_execz .LBB34_26
; %bb.23:
	v_cmp_eq_f32_e64 s1, s8, 0
	s_waitcnt lgkmcnt(0)
	v_mul_f32_e32 v1, s10, v6
	s_mul_i32 s4, s14, s11
	s_delay_alu instid0(SALU_CYCLE_1)
	s_ashr_i32 s5, s4, 31
	s_and_b32 vcc_lo, exec_lo, s1
	s_cbranch_vccnz .LBB34_25
; %bb.24:
	s_lshl_b64 s[2:3], s[4:5], 2
	s_delay_alu instid0(SALU_CYCLE_1)
	s_add_u32 s2, s6, s2
	s_addc_u32 s3, s7, s3
	s_load_b32 s1, s[2:3], 0x0
	s_waitcnt lgkmcnt(0)
	v_fmac_f32_e64 v1, s1, s8
.LBB34_25:
	s_or_b32 s9, s9, exec_lo
.LBB34_26:
	s_or_b32 exec_lo, exec_lo, s0
.LBB34_27:
	s_and_saveexec_b32 s0, s9
	s_cbranch_execz .LBB34_29
; %bb.28:
	s_lshl_b64 s[0:1], s[4:5], 2
	v_mov_b32_e32 v0, 0
	s_add_u32 s0, s6, s0
	s_addc_u32 s1, s7, s1
	global_store_b32 v0, v1, s[0:1]
.LBB34_29:
	s_nop 0
	s_sendmsg sendmsg(MSG_DEALLOC_VGPRS)
	s_endpgm
	.section	.rodata,"a",@progbits
	.p2align	6, 0x0
	.amdhsa_kernel _ZL32rocblas_gemvt_warp_reduce_kernelILb0ELi1024EifffEviiT3_lPKT2_lT1_lS3_lS4_lS0_lPT4_lS4_li
		.amdhsa_group_segment_fixed_size 128
		.amdhsa_private_segment_fixed_size 0
		.amdhsa_kernarg_size 140
		.amdhsa_user_sgpr_count 14
		.amdhsa_user_sgpr_dispatch_ptr 0
		.amdhsa_user_sgpr_queue_ptr 0
		.amdhsa_user_sgpr_kernarg_segment_ptr 1
		.amdhsa_user_sgpr_dispatch_id 0
		.amdhsa_user_sgpr_private_segment_size 0
		.amdhsa_wavefront_size32 1
		.amdhsa_uses_dynamic_stack 0
		.amdhsa_enable_private_segment 0
		.amdhsa_system_sgpr_workgroup_id_x 1
		.amdhsa_system_sgpr_workgroup_id_y 0
		.amdhsa_system_sgpr_workgroup_id_z 1
		.amdhsa_system_sgpr_workgroup_info 0
		.amdhsa_system_vgpr_workitem_id 0
		.amdhsa_next_free_vgpr 11
		.amdhsa_next_free_sgpr 24
		.amdhsa_reserve_vcc 1
		.amdhsa_float_round_mode_32 0
		.amdhsa_float_round_mode_16_64 0
		.amdhsa_float_denorm_mode_32 3
		.amdhsa_float_denorm_mode_16_64 3
		.amdhsa_dx10_clamp 1
		.amdhsa_ieee_mode 1
		.amdhsa_fp16_overflow 0
		.amdhsa_workgroup_processor_mode 1
		.amdhsa_memory_ordered 1
		.amdhsa_forward_progress 0
		.amdhsa_shared_vgpr_count 0
		.amdhsa_exception_fp_ieee_invalid_op 0
		.amdhsa_exception_fp_denorm_src 0
		.amdhsa_exception_fp_ieee_div_zero 0
		.amdhsa_exception_fp_ieee_overflow 0
		.amdhsa_exception_fp_ieee_underflow 0
		.amdhsa_exception_fp_ieee_inexact 0
		.amdhsa_exception_int_div_zero 0
	.end_amdhsa_kernel
	.section	.text._ZL32rocblas_gemvt_warp_reduce_kernelILb0ELi1024EifffEviiT3_lPKT2_lT1_lS3_lS4_lS0_lPT4_lS4_li,"axG",@progbits,_ZL32rocblas_gemvt_warp_reduce_kernelILb0ELi1024EifffEviiT3_lPKT2_lT1_lS3_lS4_lS0_lPT4_lS4_li,comdat
.Lfunc_end34:
	.size	_ZL32rocblas_gemvt_warp_reduce_kernelILb0ELi1024EifffEviiT3_lPKT2_lT1_lS3_lS4_lS0_lPT4_lS4_li, .Lfunc_end34-_ZL32rocblas_gemvt_warp_reduce_kernelILb0ELi1024EifffEviiT3_lPKT2_lT1_lS3_lS4_lS0_lPT4_lS4_li
                                        ; -- End function
	.section	.AMDGPU.csdata,"",@progbits
; Kernel info:
; codeLenInByte = 1400
; NumSgprs: 26
; NumVgprs: 11
; ScratchSize: 0
; MemoryBound: 0
; FloatMode: 240
; IeeeMode: 1
; LDSByteSize: 128 bytes/workgroup (compile time only)
; SGPRBlocks: 3
; VGPRBlocks: 1
; NumSGPRsForWavesPerEU: 26
; NumVGPRsForWavesPerEU: 11
; Occupancy: 16
; WaveLimiterHint : 1
; COMPUTE_PGM_RSRC2:SCRATCH_EN: 0
; COMPUTE_PGM_RSRC2:USER_SGPR: 14
; COMPUTE_PGM_RSRC2:TRAP_HANDLER: 0
; COMPUTE_PGM_RSRC2:TGID_X_EN: 1
; COMPUTE_PGM_RSRC2:TGID_Y_EN: 0
; COMPUTE_PGM_RSRC2:TGID_Z_EN: 1
; COMPUTE_PGM_RSRC2:TIDIG_COMP_CNT: 0
	.section	.text._ZL32rocblas_gemvt_warp_reduce_kernelILb0ELi1024ElfffEviiT3_lPKT2_lT1_lS3_lS4_lS0_lPT4_lS4_li,"axG",@progbits,_ZL32rocblas_gemvt_warp_reduce_kernelILb0ELi1024ElfffEviiT3_lPKT2_lT1_lS3_lS4_lS0_lPT4_lS4_li,comdat
	.globl	_ZL32rocblas_gemvt_warp_reduce_kernelILb0ELi1024ElfffEviiT3_lPKT2_lT1_lS3_lS4_lS0_lPT4_lS4_li ; -- Begin function _ZL32rocblas_gemvt_warp_reduce_kernelILb0ELi1024ElfffEviiT3_lPKT2_lT1_lS3_lS4_lS0_lPT4_lS4_li
	.p2align	8
	.type	_ZL32rocblas_gemvt_warp_reduce_kernelILb0ELi1024ElfffEviiT3_lPKT2_lT1_lS3_lS4_lS0_lPT4_lS4_li,@function
_ZL32rocblas_gemvt_warp_reduce_kernelILb0ELi1024ElfffEviiT3_lPKT2_lT1_lS3_lS4_lS0_lPT4_lS4_li: ; @_ZL32rocblas_gemvt_warp_reduce_kernelILb0ELi1024ElfffEviiT3_lPKT2_lT1_lS3_lS4_lS0_lPT4_lS4_li
; %bb.0:
	s_clause 0x1
	s_load_b32 s33, s[0:1], 0x8
	s_load_b32 s12, s[0:1], 0x58
	s_mov_b32 s13, 0
	s_waitcnt lgkmcnt(0)
	v_cmp_eq_f32_e64 s2, s33, 0
	v_cmp_eq_f32_e64 s3, s12, 1.0
	s_delay_alu instid0(VALU_DEP_1) | instskip(NEXT) | instid1(SALU_CYCLE_1)
	s_and_b32 s2, s2, s3
	s_and_b32 vcc_lo, exec_lo, s2
	s_cbranch_vccnz .LBB35_29
; %bb.1:
	s_load_b256 s[4:11], s[0:1], 0x68
	v_cmp_neq_f32_e64 s16, s33, 0
	s_waitcnt lgkmcnt(0)
	s_mul_i32 s3, s15, s11
	s_mul_hi_u32 s11, s15, s10
	s_mul_i32 s2, s15, s10
	s_add_i32 s3, s11, s3
	s_delay_alu instid0(SALU_CYCLE_1) | instskip(NEXT) | instid1(SALU_CYCLE_1)
	s_lshl_b64 s[2:3], s[2:3], 2
	s_add_u32 s4, s4, s2
	s_addc_u32 s5, s5, s3
	s_lshl_b64 s[2:3], s[6:7], 2
	s_delay_alu instid0(SALU_CYCLE_1)
	s_add_u32 s10, s4, s2
	v_cmp_eq_u32_e64 s2, 0, v0
	s_addc_u32 s11, s5, s3
	s_and_b32 vcc_lo, exec_lo, s16
	s_cbranch_vccnz .LBB35_6
; %bb.2:
	s_mov_b32 s3, 0
                                        ; implicit-def: $vgpr1
                                        ; implicit-def: $sgpr4_sgpr5
	s_and_saveexec_b32 s6, s2
	s_cbranch_execz .LBB35_7
; %bb.3:
	v_cmp_eq_f32_e64 s2, s12, 0
	s_mul_i32 s4, s14, s9
	s_mul_hi_u32 s5, s14, s8
	s_ashr_i32 s7, s14, 31
	v_mov_b32_e32 v1, 0
	s_add_i32 s4, s5, s4
	s_mul_i32 s7, s7, s8
	s_and_b32 vcc_lo, exec_lo, s2
	s_add_i32 s5, s4, s7
	s_mul_i32 s4, s14, s8
	s_cbranch_vccnz .LBB35_5
; %bb.4:
	s_lshl_b64 s[16:17], s[4:5], 2
	s_delay_alu instid0(SALU_CYCLE_1)
	s_add_u32 s16, s10, s16
	s_addc_u32 s17, s11, s17
	s_load_b32 s2, s[16:17], 0x0
	s_waitcnt lgkmcnt(0)
	v_mul_f32_e64 v1, s2, s12
.LBB35_5:
	s_mov_b32 s13, exec_lo
	s_or_b32 exec_lo, exec_lo, s6
	s_delay_alu instid0(SALU_CYCLE_1)
	s_and_b32 vcc_lo, exec_lo, s3
	s_cbranch_vccnz .LBB35_8
	s_branch .LBB35_27
.LBB35_6:
                                        ; implicit-def: $vgpr1
                                        ; implicit-def: $sgpr4_sgpr5
	s_cbranch_execnz .LBB35_8
	s_branch .LBB35_27
.LBB35_7:
	s_or_b32 exec_lo, exec_lo, s6
	s_delay_alu instid0(SALU_CYCLE_1)
	s_and_b32 vcc_lo, exec_lo, s3
	s_cbranch_vccz .LBB35_27
.LBB35_8:
	s_clause 0x1
	s_load_b512 s[16:31], s[0:1], 0x18
	s_load_b32 s5, s[0:1], 0x0
	v_mov_b32_e32 v7, 0
	s_waitcnt lgkmcnt(0)
	s_mul_i32 s1, s15, s23
	s_mul_hi_u32 s4, s15, s22
	s_mul_i32 s0, s15, s22
	s_add_i32 s1, s4, s1
	s_mul_i32 s2, s15, s31
	s_mul_hi_u32 s3, s15, s30
	s_lshl_b64 s[0:1], s[0:1], 2
	s_add_i32 s3, s3, s2
	v_cmp_gt_i32_e32 vcc_lo, s5, v0
	s_add_u32 s2, s16, s0
	s_addc_u32 s6, s17, s1
	s_lshl_b64 s[0:1], s[18:19], 2
	s_mul_i32 s4, s14, s21
	s_add_u32 s0, s2, s0
	s_mul_hi_u32 s7, s14, s20
	s_addc_u32 s2, s6, s1
	s_ashr_i32 s1, s14, 31
	v_cndmask_b32_e32 v1, 0, v0, vcc_lo
	s_add_i32 s4, s7, s4
	s_mul_i32 s7, s1, s20
	s_mul_i32 s6, s14, s20
	s_add_i32 s7, s4, s7
	v_lshlrev_b32_e32 v1, 2, v1
	s_lshl_b64 s[6:7], s[6:7], 2
	s_mov_b32 s16, 0
	s_add_u32 s0, s6, s0
	s_addc_u32 s2, s7, s2
	s_ashr_i32 s4, s5, 31
	v_add_co_u32 v1, s0, s0, v1
	s_lshr_b32 s4, s4, 22
	v_add_co_ci_u32_e64 v2, null, s2, 0, s0
	s_add_i32 s4, s5, s4
	s_mul_i32 s2, s15, s30
	s_and_b32 s4, s4, 0xfffffc00
	s_mov_b32 s15, exec_lo
	v_cmpx_gt_i32_e64 s4, v0
	s_cbranch_execz .LBB35_12
; %bb.9:
	v_mad_u64_u32 v[5:6], null, s28, v0, 0
	s_lshl_b64 s[18:19], s[26:27], 2
	s_lshl_b64 s[6:7], s[2:3], 2
	s_add_u32 s0, s24, s18
	s_addc_u32 s17, s25, s19
	s_add_u32 s0, s0, s6
	s_addc_u32 s6, s17, s7
	s_delay_alu instid0(VALU_DEP_1) | instskip(NEXT) | instid1(VALU_DEP_1)
	v_dual_mov_b32 v3, v6 :: v_dual_mov_b32 v8, v0
	v_mad_u64_u32 v[6:7], null, s29, v0, v[3:4]
	v_dual_mov_b32 v7, 0 :: v_dual_mov_b32 v4, v2
	v_mov_b32_e32 v3, v1
	s_delay_alu instid0(VALU_DEP_3) | instskip(NEXT) | instid1(VALU_DEP_1)
	v_lshlrev_b64 v[5:6], 2, v[5:6]
	v_add_co_u32 v5, vcc_lo, s0, v5
	s_delay_alu instid0(VALU_DEP_2)
	v_add_co_ci_u32_e32 v6, vcc_lo, s6, v6, vcc_lo
	s_lshl_b64 s[6:7], s[28:29], 12
	.p2align	6
.LBB35_10:                              ; =>This Inner Loop Header: Depth=1
	global_load_b32 v9, v[3:4], off
	global_load_b32 v10, v[5:6], off
	v_add_nc_u32_e32 v8, 0x400, v8
	v_add_co_u32 v3, vcc_lo, 0x1000, v3
	v_add_co_ci_u32_e32 v4, vcc_lo, 0, v4, vcc_lo
	v_add_co_u32 v5, vcc_lo, v5, s6
	v_add_co_ci_u32_e32 v6, vcc_lo, s7, v6, vcc_lo
	s_waitcnt vmcnt(0)
	v_fmac_f32_e32 v7, v9, v10
	v_cmp_le_i32_e64 s0, s4, v8
	s_delay_alu instid0(VALU_DEP_1) | instskip(NEXT) | instid1(SALU_CYCLE_1)
	s_or_b32 s16, s0, s16
	s_and_not1_b32 exec_lo, exec_lo, s16
	s_cbranch_execnz .LBB35_10
; %bb.11:
	s_or_b32 exec_lo, exec_lo, s16
.LBB35_12:
	s_delay_alu instid0(SALU_CYCLE_1) | instskip(SKIP_2) | instid1(VALU_DEP_1)
	s_or_b32 exec_lo, exec_lo, s15
	v_or_b32_e32 v3, s4, v0
	s_mov_b32 s0, exec_lo
	v_cmpx_gt_i32_e64 s5, v3
	s_cbranch_execz .LBB35_14
; %bb.13:
	v_ashrrev_i32_e32 v6, 31, v3
	v_mul_lo_u32 v8, v3, s29
	v_mad_u64_u32 v[4:5], null, v3, s28, 0
	s_lshl_b64 s[2:3], s[2:3], 2
	s_delay_alu instid0(VALU_DEP_3) | instskip(SKIP_3) | instid1(SALU_CYCLE_1)
	v_mul_lo_u32 v3, v6, s28
	s_add_u32 s5, s24, s2
	s_addc_u32 s6, s25, s3
	s_lshl_b64 s[2:3], s[26:27], 2
	s_add_u32 s7, s5, s2
	s_addc_u32 s6, s6, s3
	s_ashr_i32 s5, s4, 31
	s_delay_alu instid0(VALU_DEP_1) | instskip(SKIP_1) | instid1(SALU_CYCLE_1)
	v_add3_u32 v5, v5, v8, v3
	s_lshl_b64 s[2:3], s[4:5], 2
	v_add_co_u32 v1, vcc_lo, v1, s2
	s_delay_alu instid0(VALU_DEP_2) | instskip(SKIP_1) | instid1(VALU_DEP_2)
	v_lshlrev_b64 v[3:4], 2, v[4:5]
	v_add_co_ci_u32_e32 v2, vcc_lo, s3, v2, vcc_lo
	v_add_co_u32 v3, vcc_lo, s7, v3
	s_delay_alu instid0(VALU_DEP_3)
	v_add_co_ci_u32_e32 v4, vcc_lo, s6, v4, vcc_lo
	global_load_b32 v1, v[1:2], off
	global_load_b32 v2, v[3:4], off
	s_waitcnt vmcnt(0)
	v_fmac_f32_e32 v7, v1, v2
.LBB35_14:
	s_or_b32 exec_lo, exec_lo, s0
	v_and_b32_e32 v6, 31, v0
	v_cmp_gt_u32_e32 vcc_lo, 32, v0
	s_delay_alu instid0(VALU_DEP_2)
	v_lshlrev_b32_e32 v1, 2, v6
	s_and_saveexec_b32 s0, vcc_lo
	s_cbranch_execz .LBB35_16
; %bb.15:
	v_mov_b32_e32 v2, 0
	ds_store_b32 v1, v2
.LBB35_16:
	s_or_b32 exec_lo, exec_lo, s0
	v_mbcnt_lo_u32_b32 v8, -1, 0
	s_mov_b32 s2, exec_lo
	s_waitcnt lgkmcnt(0)
	s_barrier
	buffer_gl0_inv
	v_cmp_gt_u32_e64 s0, 16, v8
	s_delay_alu instid0(VALU_DEP_1) | instskip(SKIP_1) | instid1(VALU_DEP_2)
	v_cndmask_b32_e64 v2, 0, 1, s0
	v_cmp_gt_u32_e64 s0, 24, v8
	v_lshlrev_b32_e32 v2, 4, v2
	s_delay_alu instid0(VALU_DEP_2) | instskip(SKIP_1) | instid1(VALU_DEP_3)
	v_cndmask_b32_e64 v3, 0, 1, s0
	v_cmp_gt_u32_e64 s0, 28, v8
	v_add_lshl_u32 v2, v2, v8, 2
	s_delay_alu instid0(VALU_DEP_3)
	v_lshlrev_b32_e32 v3, 3, v3
	ds_bpermute_b32 v4, v2, v7
	v_add_lshl_u32 v3, v3, v8, 2
	s_waitcnt lgkmcnt(0)
	v_add_f32_e32 v5, v7, v4
	v_cndmask_b32_e64 v4, 0, 1, s0
	v_cmp_gt_u32_e64 s0, 30, v8
	ds_bpermute_b32 v7, v3, v5
	s_waitcnt lgkmcnt(0)
	v_dual_add_f32 v7, v5, v7 :: v_dual_lshlrev_b32 v4, 2, v4
	s_delay_alu instid0(VALU_DEP_1)
	v_add_lshl_u32 v4, v4, v8, 2
	v_cndmask_b32_e64 v5, 0, 1, s0
	v_cmp_ne_u32_e64 s0, 31, v8
	ds_bpermute_b32 v9, v4, v7
	v_lshlrev_b32_e32 v5, 1, v5
	v_add_co_ci_u32_e64 v10, s0, 0, v8, s0
	s_delay_alu instid0(VALU_DEP_2)
	v_add_lshl_u32 v5, v5, v8, 2
	s_waitcnt lgkmcnt(0)
	v_add_f32_e32 v7, v7, v9
	ds_bpermute_b32 v9, v5, v7
	s_waitcnt lgkmcnt(0)
	v_dual_add_f32 v8, v7, v9 :: v_dual_lshlrev_b32 v7, 2, v10
	ds_bpermute_b32 v9, v7, v8
	v_cmpx_eq_u32_e32 0, v6
	s_cbranch_execz .LBB35_18
; %bb.17:
	v_lshrrev_b32_e32 v6, 3, v0
	s_waitcnt lgkmcnt(0)
	v_add_f32_e32 v8, v8, v9
	s_delay_alu instid0(VALU_DEP_2)
	v_and_b32_e32 v6, 0x7c, v6
	ds_store_b32 v6, v8
.LBB35_18:
	s_or_b32 exec_lo, exec_lo, s2
	v_mov_b32_e32 v6, 0
	s_waitcnt lgkmcnt(0)
	s_barrier
	buffer_gl0_inv
	s_and_saveexec_b32 s0, vcc_lo
	s_cbranch_execz .LBB35_20
; %bb.19:
	ds_load_b32 v6, v1
.LBB35_20:
	s_or_b32 exec_lo, exec_lo, s0
	s_and_saveexec_b32 s0, vcc_lo
	s_cbranch_execz .LBB35_22
; %bb.21:
	s_waitcnt lgkmcnt(0)
	ds_bpermute_b32 v1, v2, v6
	s_waitcnt lgkmcnt(0)
	v_add_f32_e32 v1, v6, v1
	ds_bpermute_b32 v2, v3, v1
	s_waitcnt lgkmcnt(0)
	v_add_f32_e32 v1, v1, v2
	;; [unrolled: 3-line block ×5, first 2 shown]
.LBB35_22:
	s_or_b32 exec_lo, exec_lo, s0
	s_delay_alu instid0(SALU_CYCLE_1)
	s_mov_b32 s0, exec_lo
                                        ; implicit-def: $vgpr1
                                        ; implicit-def: $sgpr4_sgpr5
	v_cmpx_eq_u32_e32 0, v0
	s_cbranch_execz .LBB35_26
; %bb.23:
	v_cmp_eq_f32_e64 s4, s12, 0
	s_mul_i32 s2, s14, s9
	s_mul_hi_u32 s3, s14, s8
	s_waitcnt lgkmcnt(0)
	v_mul_f32_e32 v1, s33, v6
	s_add_i32 s2, s3, s2
	s_mul_i32 s1, s1, s8
	s_and_b32 vcc_lo, exec_lo, s4
	s_add_i32 s5, s2, s1
	s_mul_i32 s4, s14, s8
	s_cbranch_vccnz .LBB35_25
; %bb.24:
	s_lshl_b64 s[2:3], s[4:5], 2
	s_delay_alu instid0(SALU_CYCLE_1)
	s_add_u32 s2, s10, s2
	s_addc_u32 s3, s11, s3
	s_load_b32 s1, s[2:3], 0x0
	s_waitcnt lgkmcnt(0)
	v_fmac_f32_e64 v1, s1, s12
.LBB35_25:
	s_or_b32 s13, s13, exec_lo
.LBB35_26:
	s_or_b32 exec_lo, exec_lo, s0
.LBB35_27:
	s_and_saveexec_b32 s0, s13
	s_cbranch_execz .LBB35_29
; %bb.28:
	s_lshl_b64 s[0:1], s[4:5], 2
	v_mov_b32_e32 v0, 0
	s_add_u32 s0, s10, s0
	s_addc_u32 s1, s11, s1
	global_store_b32 v0, v1, s[0:1]
.LBB35_29:
	s_nop 0
	s_sendmsg sendmsg(MSG_DEALLOC_VGPRS)
	s_endpgm
	.section	.rodata,"a",@progbits
	.p2align	6, 0x0
	.amdhsa_kernel _ZL32rocblas_gemvt_warp_reduce_kernelILb0ELi1024ElfffEviiT3_lPKT2_lT1_lS3_lS4_lS0_lPT4_lS4_li
		.amdhsa_group_segment_fixed_size 128
		.amdhsa_private_segment_fixed_size 0
		.amdhsa_kernarg_size 140
		.amdhsa_user_sgpr_count 14
		.amdhsa_user_sgpr_dispatch_ptr 0
		.amdhsa_user_sgpr_queue_ptr 0
		.amdhsa_user_sgpr_kernarg_segment_ptr 1
		.amdhsa_user_sgpr_dispatch_id 0
		.amdhsa_user_sgpr_private_segment_size 0
		.amdhsa_wavefront_size32 1
		.amdhsa_uses_dynamic_stack 0
		.amdhsa_enable_private_segment 0
		.amdhsa_system_sgpr_workgroup_id_x 1
		.amdhsa_system_sgpr_workgroup_id_y 0
		.amdhsa_system_sgpr_workgroup_id_z 1
		.amdhsa_system_sgpr_workgroup_info 0
		.amdhsa_system_vgpr_workitem_id 0
		.amdhsa_next_free_vgpr 11
		.amdhsa_next_free_sgpr 34
		.amdhsa_reserve_vcc 1
		.amdhsa_float_round_mode_32 0
		.amdhsa_float_round_mode_16_64 0
		.amdhsa_float_denorm_mode_32 3
		.amdhsa_float_denorm_mode_16_64 3
		.amdhsa_dx10_clamp 1
		.amdhsa_ieee_mode 1
		.amdhsa_fp16_overflow 0
		.amdhsa_workgroup_processor_mode 1
		.amdhsa_memory_ordered 1
		.amdhsa_forward_progress 0
		.amdhsa_shared_vgpr_count 0
		.amdhsa_exception_fp_ieee_invalid_op 0
		.amdhsa_exception_fp_denorm_src 0
		.amdhsa_exception_fp_ieee_div_zero 0
		.amdhsa_exception_fp_ieee_overflow 0
		.amdhsa_exception_fp_ieee_underflow 0
		.amdhsa_exception_fp_ieee_inexact 0
		.amdhsa_exception_int_div_zero 0
	.end_amdhsa_kernel
	.section	.text._ZL32rocblas_gemvt_warp_reduce_kernelILb0ELi1024ElfffEviiT3_lPKT2_lT1_lS3_lS4_lS0_lPT4_lS4_li,"axG",@progbits,_ZL32rocblas_gemvt_warp_reduce_kernelILb0ELi1024ElfffEviiT3_lPKT2_lT1_lS3_lS4_lS0_lPT4_lS4_li,comdat
.Lfunc_end35:
	.size	_ZL32rocblas_gemvt_warp_reduce_kernelILb0ELi1024ElfffEviiT3_lPKT2_lT1_lS3_lS4_lS0_lPT4_lS4_li, .Lfunc_end35-_ZL32rocblas_gemvt_warp_reduce_kernelILb0ELi1024ElfffEviiT3_lPKT2_lT1_lS3_lS4_lS0_lPT4_lS4_li
                                        ; -- End function
	.section	.AMDGPU.csdata,"",@progbits
; Kernel info:
; codeLenInByte = 1460
; NumSgprs: 36
; NumVgprs: 11
; ScratchSize: 0
; MemoryBound: 0
; FloatMode: 240
; IeeeMode: 1
; LDSByteSize: 128 bytes/workgroup (compile time only)
; SGPRBlocks: 4
; VGPRBlocks: 1
; NumSGPRsForWavesPerEU: 36
; NumVGPRsForWavesPerEU: 11
; Occupancy: 16
; WaveLimiterHint : 1
; COMPUTE_PGM_RSRC2:SCRATCH_EN: 0
; COMPUTE_PGM_RSRC2:USER_SGPR: 14
; COMPUTE_PGM_RSRC2:TRAP_HANDLER: 0
; COMPUTE_PGM_RSRC2:TGID_X_EN: 1
; COMPUTE_PGM_RSRC2:TGID_Y_EN: 0
; COMPUTE_PGM_RSRC2:TGID_Z_EN: 1
; COMPUTE_PGM_RSRC2:TIDIG_COMP_CNT: 0
	.section	.text._ZL22rocblas_gemvtsm_kernelILb1ELi256EfPKffEviiT2_lPKT1_lilS5_lilS2_lPT3_lil,"axG",@progbits,_ZL22rocblas_gemvtsm_kernelILb1ELi256EfPKffEviiT2_lPKT1_lilS5_lilS2_lPT3_lil,comdat
	.globl	_ZL22rocblas_gemvtsm_kernelILb1ELi256EfPKffEviiT2_lPKT1_lilS5_lilS2_lPT3_lil ; -- Begin function _ZL22rocblas_gemvtsm_kernelILb1ELi256EfPKffEviiT2_lPKT1_lilS5_lilS2_lPT3_lil
	.p2align	8
	.type	_ZL22rocblas_gemvtsm_kernelILb1ELi256EfPKffEviiT2_lPKT1_lilS5_lilS2_lPT3_lil,@function
_ZL22rocblas_gemvtsm_kernelILb1ELi256EfPKffEviiT2_lPKT1_lilS5_lilS2_lPT3_lil: ; @_ZL22rocblas_gemvtsm_kernelILb1ELi256EfPKffEviiT2_lPKT1_lilS5_lilS2_lPT3_lil
; %bb.0:
	s_clause 0x1
	s_load_b256 s[4:11], s[0:1], 0x8
	s_load_b256 s[16:23], s[0:1], 0x50
	s_waitcnt lgkmcnt(0)
	s_mul_i32 s3, s15, s7
	s_mul_hi_u32 s7, s15, s6
	s_mul_i32 s2, s15, s6
	s_add_i32 s3, s7, s3
	s_mul_i32 s6, s15, s21
	s_lshl_b64 s[2:3], s[2:3], 2
	s_mul_hi_u32 s7, s15, s20
	s_add_u32 s2, s4, s2
	s_addc_u32 s3, s5, s3
	s_add_i32 s5, s7, s6
	s_mul_i32 s4, s15, s20
	s_delay_alu instid0(SALU_CYCLE_1) | instskip(NEXT) | instid1(SALU_CYCLE_1)
	s_lshl_b64 s[4:5], s[4:5], 2
	s_add_u32 s4, s18, s4
	s_addc_u32 s5, s19, s5
	s_load_b32 s26, s[2:3], 0x0
	s_load_b32 s14, s[4:5], 0x0
	s_waitcnt lgkmcnt(0)
	v_cmp_eq_f32_e64 s2, s26, 0
	v_cmp_eq_f32_e64 s3, s14, 1.0
	s_delay_alu instid0(VALU_DEP_1) | instskip(NEXT) | instid1(SALU_CYCLE_1)
	s_and_b32 s2, s2, s3
	s_and_b32 vcc_lo, exec_lo, s2
	s_cbranch_vccnz .LBB36_34
; %bb.1:
	s_clause 0x3
	s_load_b64 s[2:3], s[0:1], 0x80
	s_load_b32 s12, s[0:1], 0x78
	s_load_b64 s[20:21], s[0:1], 0x70
	s_load_b64 s[18:19], s[0:1], 0x0
	v_cmp_neq_f32_e64 s4, s26, 0
	s_delay_alu instid0(VALU_DEP_1)
	s_and_b32 vcc_lo, exec_lo, s4
	s_waitcnt lgkmcnt(0)
	s_mul_i32 s3, s15, s3
	s_mul_hi_u32 s4, s15, s2
	s_mul_i32 s24, s15, s2
	s_add_i32 s25, s4, s3
	s_cbranch_vccnz .LBB36_9
; %bb.2:
	s_cmp_gt_i32 s19, 0
	v_cmp_neq_f32_e64 s2, s14, 0
	s_cselect_b32 s4, -1, 0
	s_delay_alu instid0(SALU_CYCLE_1) | instskip(NEXT) | instid1(VALU_DEP_2)
	v_cndmask_b32_e64 v1, 0, 1, s4
	s_and_b32 vcc_lo, exec_lo, s2
	s_delay_alu instid0(VALU_DEP_1)
	v_cmp_ne_u32_e64 s2, 1, v1
	s_cbranch_vccnz .LBB36_10
; %bb.3:
	s_delay_alu instid0(VALU_DEP_1)
	s_and_b32 vcc_lo, exec_lo, s2
	s_cbranch_vccnz .LBB36_8
; %bb.4:
	v_mad_i64_i32 v[1:2], null, s12, v0, 0
	s_lshl_b64 s[6:7], s[20:21], 2
	s_ashr_i32 s13, s12, 31
	s_lshl_b64 s[2:3], s[24:25], 2
	s_add_u32 s5, s22, s6
	s_addc_u32 s6, s23, s7
	s_add_u32 s2, s5, s2
	s_delay_alu instid0(VALU_DEP_1) | instskip(SKIP_3) | instid1(VALU_DEP_2)
	v_lshlrev_b64 v[1:2], 2, v[1:2]
	s_addc_u32 s3, s6, s3
	v_mov_b32_e32 v3, 0
	s_mov_b32 s5, 0
	v_add_co_u32 v1, vcc_lo, s2, v1
	s_delay_alu instid0(VALU_DEP_3)
	v_add_co_ci_u32_e32 v2, vcc_lo, s3, v2, vcc_lo
	s_lshl_b64 s[2:3], s[12:13], 10
	s_branch .LBB36_6
.LBB36_5:                               ;   in Loop: Header=BB36_6 Depth=1
	s_or_b32 exec_lo, exec_lo, s6
	v_add_co_u32 v1, vcc_lo, v1, s2
	v_add_co_ci_u32_e32 v2, vcc_lo, s3, v2, vcc_lo
	s_addk_i32 s5, 0x100
	s_delay_alu instid0(SALU_CYCLE_1)
	s_cmp_ge_i32 s5, s19
	s_cbranch_scc1 .LBB36_8
.LBB36_6:                               ; =>This Inner Loop Header: Depth=1
	v_add_nc_u32_e32 v4, s5, v0
	s_mov_b32 s6, exec_lo
	s_delay_alu instid0(VALU_DEP_1)
	v_cmpx_gt_i32_e64 s19, v4
	s_cbranch_execz .LBB36_5
; %bb.7:                                ;   in Loop: Header=BB36_6 Depth=1
	global_store_b32 v[1:2], v3, off
	s_branch .LBB36_5
.LBB36_8:
	s_cbranch_execz .LBB36_11
	s_branch .LBB36_16
.LBB36_9:
	s_branch .LBB36_17
.LBB36_10:
.LBB36_11:
	s_and_not1_b32 vcc_lo, exec_lo, s4
	s_cbranch_vccnz .LBB36_16
; %bb.12:
	v_mad_i64_i32 v[1:2], null, s12, v0, 0
	s_lshl_b64 s[4:5], s[20:21], 2
	s_ashr_i32 s13, s12, 31
	s_lshl_b64 s[2:3], s[24:25], 2
	s_add_u32 s4, s22, s4
	s_addc_u32 s5, s23, s5
	s_add_u32 s2, s4, s2
	s_delay_alu instid0(VALU_DEP_1) | instskip(SKIP_2) | instid1(VALU_DEP_1)
	v_lshlrev_b64 v[1:2], 2, v[1:2]
	s_addc_u32 s3, s5, s3
	s_mov_b32 s4, 0
	v_add_co_u32 v1, vcc_lo, s2, v1
	s_delay_alu instid0(VALU_DEP_2)
	v_add_co_ci_u32_e32 v2, vcc_lo, s3, v2, vcc_lo
	s_lshl_b64 s[2:3], s[12:13], 10
	s_branch .LBB36_14
	.p2align	6
.LBB36_13:                              ;   in Loop: Header=BB36_14 Depth=1
	s_or_b32 exec_lo, exec_lo, s5
	v_add_co_u32 v1, vcc_lo, v1, s2
	v_add_co_ci_u32_e32 v2, vcc_lo, s3, v2, vcc_lo
	s_addk_i32 s4, 0x100
	s_delay_alu instid0(SALU_CYCLE_1)
	s_cmp_ge_i32 s4, s19
	s_cbranch_scc1 .LBB36_16
.LBB36_14:                              ; =>This Inner Loop Header: Depth=1
	v_add_nc_u32_e32 v3, s4, v0
	s_mov_b32 s5, exec_lo
	s_delay_alu instid0(VALU_DEP_1)
	v_cmpx_gt_i32_e64 s19, v3
	s_cbranch_execz .LBB36_13
; %bb.15:                               ;   in Loop: Header=BB36_14 Depth=1
	global_load_b32 v3, v[1:2], off
	s_waitcnt vmcnt(0)
	v_mul_f32_e32 v3, s14, v3
	global_store_b32 v[1:2], v3, off
	s_branch .LBB36_13
.LBB36_16:
	s_cbranch_execnz .LBB36_34
.LBB36_17:
	s_clause 0x1
	s_load_b128 s[4:7], s[0:1], 0x30
	s_load_b64 s[2:3], s[0:1], 0x40
	s_mov_b32 s13, exec_lo
	v_cmpx_gt_i32_e64 s18, v0
	s_cbranch_execz .LBB36_19
; %bb.18:
	s_load_b32 s27, s[0:1], 0x48
	s_mul_i32 s17, s15, s17
	s_mul_hi_u32 s28, s15, s16
	s_mul_i32 s16, s15, s16
	s_add_i32 s17, s28, s17
	s_delay_alu instid0(SALU_CYCLE_1) | instskip(SKIP_4) | instid1(SALU_CYCLE_1)
	s_lshl_b64 s[16:17], s[16:17], 2
	s_waitcnt lgkmcnt(0)
	s_add_u32 s6, s6, s16
	s_addc_u32 s7, s7, s17
	s_lshl_b64 s[2:3], s[2:3], 2
	s_add_u32 s2, s6, s2
	s_addc_u32 s3, s7, s3
	v_mad_i64_i32 v[1:2], null, s27, v0, 0
	s_delay_alu instid0(VALU_DEP_1) | instskip(NEXT) | instid1(VALU_DEP_1)
	v_lshlrev_b64 v[1:2], 2, v[1:2]
	v_add_co_u32 v1, vcc_lo, s2, v1
	s_delay_alu instid0(VALU_DEP_2)
	v_add_co_ci_u32_e32 v2, vcc_lo, s3, v2, vcc_lo
	global_load_b32 v1, v[1:2], off
	s_waitcnt vmcnt(0)
	v_dual_mul_f32 v1, s26, v1 :: v_dual_lshlrev_b32 v2, 2, v0
	ds_store_b32 v2, v1
.LBB36_19:
	s_or_b32 exec_lo, exec_lo, s13
	s_cmp_lt_i32 s19, 1
	s_waitcnt lgkmcnt(0)
	s_waitcnt_vscnt null, 0x0
	s_barrier
	buffer_gl0_inv
	s_cbranch_scc1 .LBB36_34
; %bb.20:
	s_load_b32 s2, s[0:1], 0x28
	s_lshl_b64 s[0:1], s[24:25], 2
	s_mul_i32 s25, s5, s15
	s_add_u32 s3, s22, s0
	s_addc_u32 s6, s23, s1
	s_lshl_b64 s[0:1], s[20:21], 2
	s_mul_hi_u32 s26, s4, s15
	s_add_u32 s5, s3, s0
	s_addc_u32 s6, s6, s1
	s_ashr_i32 s7, s12, 31
	s_mul_i32 s24, s4, s15
	v_cmp_neq_f32_e64 s4, s14, 0
	s_waitcnt lgkmcnt(0)
	s_ashr_i32 s3, s2, 31
	s_cmp_gt_i32 s18, 0
	v_mad_i64_i32 v[1:2], null, s2, v0, 0
	s_cselect_b32 s13, -1, 0
	s_and_b32 s15, s18, 7
	s_cmp_gt_u32 s18, 7
	s_cselect_b32 s16, -1, 0
	s_and_b32 s17, s18, 0x7ffffff8
	s_cmp_lg_u32 s15, 0
	s_delay_alu instid0(VALU_DEP_1)
	v_lshlrev_b64 v[1:2], 2, v[1:2]
	s_cselect_b32 s18, -1, 0
	s_add_i32 s25, s26, s25
	s_lshl_b64 s[0:1], s[10:11], 2
	s_lshl_b64 s[10:11], s[24:25], 2
	s_add_u32 s0, s8, s0
	s_addc_u32 s1, s9, s1
	s_add_u32 s0, s0, s10
	s_addc_u32 s1, s1, s11
	v_add_co_u32 v7, vcc_lo, s0, v1
	v_add_co_ci_u32_e32 v8, vcc_lo, s1, v2, vcc_lo
	s_mov_b32 s1, 0
	s_delay_alu instid0(VALU_DEP_2) | instskip(NEXT) | instid1(VALU_DEP_2)
	v_add_co_u32 v1, vcc_lo, v7, 28
	v_add_co_ci_u32_e32 v2, vcc_lo, 0, v8, vcc_lo
	s_lshl_b64 s[2:3], s[2:3], 10
	s_mov_b32 s8, 0
	s_branch .LBB36_23
.LBB36_21:                              ;   in Loop: Header=BB36_23 Depth=1
	s_delay_alu instid0(VALU_DEP_2)
	v_add_co_u32 v3, vcc_lo, s5, v3
	v_add_co_ci_u32_e32 v4, vcc_lo, s6, v4, vcc_lo
	global_store_b32 v[3:4], v9, off
.LBB36_22:                              ;   in Loop: Header=BB36_23 Depth=1
	s_or_b32 exec_lo, exec_lo, s9
	v_add_co_u32 v1, vcc_lo, v1, s2
	v_add_co_ci_u32_e32 v2, vcc_lo, s3, v2, vcc_lo
	v_add_co_u32 v7, vcc_lo, v7, s2
	v_add_co_ci_u32_e32 v8, vcc_lo, s3, v8, vcc_lo
	s_addk_i32 s8, 0x100
	s_delay_alu instid0(SALU_CYCLE_1)
	s_cmp_ge_i32 s8, s19
	s_cbranch_scc1 .LBB36_34
.LBB36_23:                              ; =>This Loop Header: Depth=1
                                        ;     Child Loop BB36_29 Depth 2
                                        ;     Child Loop BB36_33 Depth 2
	v_add_nc_u32_e32 v3, s8, v0
	s_mov_b32 s9, exec_lo
	s_delay_alu instid0(VALU_DEP_1)
	v_cmpx_gt_i32_e64 s19, v3
	s_cbranch_execz .LBB36_22
; %bb.24:                               ;   in Loop: Header=BB36_23 Depth=1
	v_mad_u64_u32 v[4:5], null, v3, s12, 0
	s_and_not1_b32 vcc_lo, exec_lo, s4
	s_delay_alu instid0(VALU_DEP_1) | instskip(NEXT) | instid1(VALU_DEP_1)
	v_mad_u64_u32 v[9:10], null, v3, s7, v[5:6]
	v_mov_b32_e32 v5, v9
	s_delay_alu instid0(VALU_DEP_1)
	v_lshlrev_b64 v[3:4], 2, v[4:5]
	s_cbranch_vccnz .LBB36_26
; %bb.25:                               ;   in Loop: Header=BB36_23 Depth=1
	s_delay_alu instid0(VALU_DEP_1) | instskip(NEXT) | instid1(VALU_DEP_2)
	v_add_co_u32 v5, vcc_lo, s5, v3
	v_add_co_ci_u32_e32 v6, vcc_lo, s6, v4, vcc_lo
	global_load_b32 v5, v[5:6], off
	s_waitcnt vmcnt(0)
	v_mul_f32_e32 v9, s14, v5
	s_and_not1_b32 vcc_lo, exec_lo, s13
	s_cbranch_vccz .LBB36_27
	s_branch .LBB36_21
.LBB36_26:                              ;   in Loop: Header=BB36_23 Depth=1
	v_mov_b32_e32 v9, 0
	s_and_not1_b32 vcc_lo, exec_lo, s13
	s_cbranch_vccnz .LBB36_21
.LBB36_27:                              ;   in Loop: Header=BB36_23 Depth=1
	s_and_not1_b32 vcc_lo, exec_lo, s16
	s_cbranch_vccnz .LBB36_31
; %bb.28:                               ;   in Loop: Header=BB36_23 Depth=1
	v_dual_mov_b32 v6, v2 :: v_dual_mov_b32 v5, v1
	s_mov_b32 s0, 0
	s_mov_b32 s10, 0
	.p2align	6
.LBB36_29:                              ;   Parent Loop BB36_23 Depth=1
                                        ; =>  This Inner Loop Header: Depth=2
	s_clause 0x1
	global_load_b128 v[10:13], v[5:6], off offset:-28
	global_load_b128 v[14:17], v[5:6], off offset:-12
	v_mov_b32_e32 v22, s0
	v_add_co_u32 v5, vcc_lo, v5, 32
	v_add_co_ci_u32_e32 v6, vcc_lo, 0, v6, vcc_lo
	ds_load_b128 v[18:21], v22
	ds_load_b128 v[22:25], v22 offset:16
	s_add_i32 s10, s10, 8
	s_add_i32 s0, s0, 32
	s_cmp_eq_u32 s17, s10
	s_waitcnt vmcnt(1) lgkmcnt(1)
	v_fmac_f32_e32 v9, v18, v10
	s_delay_alu instid0(VALU_DEP_1) | instskip(NEXT) | instid1(VALU_DEP_1)
	v_fmac_f32_e32 v9, v19, v11
	v_fmac_f32_e32 v9, v20, v12
	s_delay_alu instid0(VALU_DEP_1) | instskip(SKIP_1) | instid1(VALU_DEP_1)
	v_fmac_f32_e32 v9, v21, v13
	s_waitcnt vmcnt(0) lgkmcnt(0)
	v_fmac_f32_e32 v9, v22, v14
	s_delay_alu instid0(VALU_DEP_1) | instskip(NEXT) | instid1(VALU_DEP_1)
	v_fmac_f32_e32 v9, v23, v15
	v_fmac_f32_e32 v9, v24, v16
	s_delay_alu instid0(VALU_DEP_1)
	v_fmac_f32_e32 v9, v25, v17
	s_cbranch_scc0 .LBB36_29
; %bb.30:                               ;   in Loop: Header=BB36_23 Depth=1
	s_mov_b32 s0, s17
	s_and_not1_b32 vcc_lo, exec_lo, s18
	s_cbranch_vccz .LBB36_32
	s_branch .LBB36_21
.LBB36_31:                              ;   in Loop: Header=BB36_23 Depth=1
	s_mov_b32 s0, 0
	s_and_not1_b32 vcc_lo, exec_lo, s18
	s_cbranch_vccnz .LBB36_21
.LBB36_32:                              ;   in Loop: Header=BB36_23 Depth=1
	s_lshl_b64 s[10:11], s[0:1], 2
	s_lshl_b32 s0, s0, 2
	v_add_co_u32 v5, vcc_lo, v7, s10
	v_add_co_ci_u32_e32 v6, vcc_lo, s11, v8, vcc_lo
	s_mov_b32 s10, s15
.LBB36_33:                              ;   Parent Loop BB36_23 Depth=1
                                        ; =>  This Inner Loop Header: Depth=2
	global_load_b32 v10, v[5:6], off
	v_mov_b32_e32 v11, s0
	v_add_co_u32 v5, vcc_lo, v5, 4
	v_add_co_ci_u32_e32 v6, vcc_lo, 0, v6, vcc_lo
	ds_load_b32 v11, v11
	s_add_i32 s10, s10, -1
	s_add_i32 s0, s0, 4
	s_cmp_lg_u32 s10, 0
	s_waitcnt vmcnt(0) lgkmcnt(0)
	v_fmac_f32_e32 v9, v11, v10
	s_cbranch_scc1 .LBB36_33
	s_branch .LBB36_21
.LBB36_34:
	s_nop 0
	s_sendmsg sendmsg(MSG_DEALLOC_VGPRS)
	s_endpgm
	.section	.rodata,"a",@progbits
	.p2align	6, 0x0
	.amdhsa_kernel _ZL22rocblas_gemvtsm_kernelILb1ELi256EfPKffEviiT2_lPKT1_lilS5_lilS2_lPT3_lil
		.amdhsa_group_segment_fixed_size 256
		.amdhsa_private_segment_fixed_size 0
		.amdhsa_kernarg_size 136
		.amdhsa_user_sgpr_count 15
		.amdhsa_user_sgpr_dispatch_ptr 0
		.amdhsa_user_sgpr_queue_ptr 0
		.amdhsa_user_sgpr_kernarg_segment_ptr 1
		.amdhsa_user_sgpr_dispatch_id 0
		.amdhsa_user_sgpr_private_segment_size 0
		.amdhsa_wavefront_size32 1
		.amdhsa_uses_dynamic_stack 0
		.amdhsa_enable_private_segment 0
		.amdhsa_system_sgpr_workgroup_id_x 1
		.amdhsa_system_sgpr_workgroup_id_y 0
		.amdhsa_system_sgpr_workgroup_id_z 0
		.amdhsa_system_sgpr_workgroup_info 0
		.amdhsa_system_vgpr_workitem_id 0
		.amdhsa_next_free_vgpr 26
		.amdhsa_next_free_sgpr 29
		.amdhsa_reserve_vcc 1
		.amdhsa_float_round_mode_32 0
		.amdhsa_float_round_mode_16_64 0
		.amdhsa_float_denorm_mode_32 3
		.amdhsa_float_denorm_mode_16_64 3
		.amdhsa_dx10_clamp 1
		.amdhsa_ieee_mode 1
		.amdhsa_fp16_overflow 0
		.amdhsa_workgroup_processor_mode 1
		.amdhsa_memory_ordered 1
		.amdhsa_forward_progress 0
		.amdhsa_shared_vgpr_count 0
		.amdhsa_exception_fp_ieee_invalid_op 0
		.amdhsa_exception_fp_denorm_src 0
		.amdhsa_exception_fp_ieee_div_zero 0
		.amdhsa_exception_fp_ieee_overflow 0
		.amdhsa_exception_fp_ieee_underflow 0
		.amdhsa_exception_fp_ieee_inexact 0
		.amdhsa_exception_int_div_zero 0
	.end_amdhsa_kernel
	.section	.text._ZL22rocblas_gemvtsm_kernelILb1ELi256EfPKffEviiT2_lPKT1_lilS5_lilS2_lPT3_lil,"axG",@progbits,_ZL22rocblas_gemvtsm_kernelILb1ELi256EfPKffEviiT2_lPKT1_lilS5_lilS2_lPT3_lil,comdat
.Lfunc_end36:
	.size	_ZL22rocblas_gemvtsm_kernelILb1ELi256EfPKffEviiT2_lPKT1_lilS5_lilS2_lPT3_lil, .Lfunc_end36-_ZL22rocblas_gemvtsm_kernelILb1ELi256EfPKffEviiT2_lPKT1_lilS5_lilS2_lPT3_lil
                                        ; -- End function
	.section	.AMDGPU.csdata,"",@progbits
; Kernel info:
; codeLenInByte = 1448
; NumSgprs: 31
; NumVgprs: 26
; ScratchSize: 0
; MemoryBound: 0
; FloatMode: 240
; IeeeMode: 1
; LDSByteSize: 256 bytes/workgroup (compile time only)
; SGPRBlocks: 3
; VGPRBlocks: 3
; NumSGPRsForWavesPerEU: 31
; NumVGPRsForWavesPerEU: 26
; Occupancy: 16
; WaveLimiterHint : 1
; COMPUTE_PGM_RSRC2:SCRATCH_EN: 0
; COMPUTE_PGM_RSRC2:USER_SGPR: 15
; COMPUTE_PGM_RSRC2:TRAP_HANDLER: 0
; COMPUTE_PGM_RSRC2:TGID_X_EN: 1
; COMPUTE_PGM_RSRC2:TGID_Y_EN: 0
; COMPUTE_PGM_RSRC2:TGID_Z_EN: 0
; COMPUTE_PGM_RSRC2:TIDIG_COMP_CNT: 0
	.section	.text._ZL22rocblas_gemvtsm_kernelILb1ELi256EfffEviiT2_lPKT1_lilS3_lilS0_lPT3_lil,"axG",@progbits,_ZL22rocblas_gemvtsm_kernelILb1ELi256EfffEviiT2_lPKT1_lilS3_lilS0_lPT3_lil,comdat
	.globl	_ZL22rocblas_gemvtsm_kernelILb1ELi256EfffEviiT2_lPKT1_lilS3_lilS0_lPT3_lil ; -- Begin function _ZL22rocblas_gemvtsm_kernelILb1ELi256EfffEviiT2_lPKT1_lilS3_lilS0_lPT3_lil
	.p2align	8
	.type	_ZL22rocblas_gemvtsm_kernelILb1ELi256EfffEviiT2_lPKT1_lilS3_lilS0_lPT3_lil,@function
_ZL22rocblas_gemvtsm_kernelILb1ELi256EfffEviiT2_lPKT1_lilS3_lilS0_lPT3_lil: ; @_ZL22rocblas_gemvtsm_kernelILb1ELi256EfffEviiT2_lPKT1_lilS3_lilS0_lPT3_lil
; %bb.0:
	s_load_b128 s[4:7], s[0:1], 0x0
	s_waitcnt lgkmcnt(0)
	s_load_b32 s7, s[0:1], 0x58
	v_cmp_eq_f32_e64 s2, s6, 0
	s_waitcnt lgkmcnt(0)
	v_cmp_eq_f32_e64 s3, s7, 1.0
	s_delay_alu instid0(VALU_DEP_1) | instskip(NEXT) | instid1(SALU_CYCLE_1)
	s_and_b32 s2, s2, s3
	s_and_b32 vcc_lo, exec_lo, s2
	s_cbranch_vccnz .LBB37_34
; %bb.1:
	s_clause 0x2
	s_load_b64 s[2:3], s[0:1], 0x80
	s_load_b128 s[8:11], s[0:1], 0x68
	s_load_b32 s12, s[0:1], 0x78
	v_cmp_neq_f32_e64 s13, s6, 0
	s_delay_alu instid0(VALU_DEP_1)
	s_and_b32 vcc_lo, exec_lo, s13
	s_waitcnt lgkmcnt(0)
	s_mul_i32 s3, s15, s3
	s_mul_hi_u32 s13, s15, s2
	s_mul_i32 s20, s15, s2
	s_add_i32 s21, s13, s3
	s_cbranch_vccnz .LBB37_9
; %bb.2:
	s_cmp_gt_i32 s5, 0
	v_cmp_neq_f32_e64 s2, s7, 0
	s_cselect_b32 s14, -1, 0
	s_delay_alu instid0(SALU_CYCLE_1) | instskip(NEXT) | instid1(VALU_DEP_2)
	v_cndmask_b32_e64 v1, 0, 1, s14
	s_and_b32 vcc_lo, exec_lo, s2
	s_delay_alu instid0(VALU_DEP_1)
	v_cmp_ne_u32_e64 s2, 1, v1
	s_cbranch_vccnz .LBB37_10
; %bb.3:
	s_delay_alu instid0(VALU_DEP_1)
	s_and_b32 vcc_lo, exec_lo, s2
	s_cbranch_vccnz .LBB37_8
; %bb.4:
	v_mad_i64_i32 v[1:2], null, s12, v0, 0
	s_lshl_b64 s[16:17], s[10:11], 2
	s_ashr_i32 s13, s12, 31
	s_lshl_b64 s[2:3], s[20:21], 2
	s_add_u32 s16, s8, s16
	s_addc_u32 s17, s9, s17
	s_add_u32 s2, s16, s2
	s_delay_alu instid0(VALU_DEP_1) | instskip(SKIP_2) | instid1(VALU_DEP_2)
	v_lshlrev_b64 v[1:2], 2, v[1:2]
	s_addc_u32 s3, s17, s3
	v_mov_b32_e32 v3, 0
	v_add_co_u32 v1, vcc_lo, s2, v1
	s_delay_alu instid0(VALU_DEP_3)
	v_add_co_ci_u32_e32 v2, vcc_lo, s3, v2, vcc_lo
	s_lshl_b64 s[2:3], s[12:13], 10
	s_mov_b32 s13, 0
	s_branch .LBB37_6
.LBB37_5:                               ;   in Loop: Header=BB37_6 Depth=1
	s_or_b32 exec_lo, exec_lo, s16
	v_add_co_u32 v1, vcc_lo, v1, s2
	v_add_co_ci_u32_e32 v2, vcc_lo, s3, v2, vcc_lo
	s_addk_i32 s13, 0x100
	s_delay_alu instid0(SALU_CYCLE_1)
	s_cmp_ge_i32 s13, s5
	s_cbranch_scc1 .LBB37_8
.LBB37_6:                               ; =>This Inner Loop Header: Depth=1
	v_add_nc_u32_e32 v4, s13, v0
	s_mov_b32 s16, exec_lo
	s_delay_alu instid0(VALU_DEP_1)
	v_cmpx_gt_i32_e64 s5, v4
	s_cbranch_execz .LBB37_5
; %bb.7:                                ;   in Loop: Header=BB37_6 Depth=1
	global_store_b32 v[1:2], v3, off
	s_branch .LBB37_5
.LBB37_8:
	s_cbranch_execz .LBB37_11
	s_branch .LBB37_16
.LBB37_9:
	s_branch .LBB37_17
.LBB37_10:
.LBB37_11:
	s_and_not1_b32 vcc_lo, exec_lo, s14
	s_cbranch_vccnz .LBB37_16
; %bb.12:
	v_mad_i64_i32 v[1:2], null, s12, v0, 0
	s_lshl_b64 s[16:17], s[10:11], 2
	s_ashr_i32 s13, s12, 31
	s_lshl_b64 s[2:3], s[20:21], 2
	s_add_u32 s14, s8, s16
	s_addc_u32 s16, s9, s17
	s_add_u32 s2, s14, s2
	s_delay_alu instid0(VALU_DEP_1) | instskip(SKIP_1) | instid1(VALU_DEP_1)
	v_lshlrev_b64 v[1:2], 2, v[1:2]
	s_addc_u32 s3, s16, s3
	v_add_co_u32 v1, vcc_lo, s2, v1
	s_delay_alu instid0(VALU_DEP_2)
	v_add_co_ci_u32_e32 v2, vcc_lo, s3, v2, vcc_lo
	s_lshl_b64 s[2:3], s[12:13], 10
	s_mov_b32 s13, 0
	s_branch .LBB37_14
	.p2align	6
.LBB37_13:                              ;   in Loop: Header=BB37_14 Depth=1
	s_or_b32 exec_lo, exec_lo, s14
	v_add_co_u32 v1, vcc_lo, v1, s2
	v_add_co_ci_u32_e32 v2, vcc_lo, s3, v2, vcc_lo
	s_addk_i32 s13, 0x100
	s_delay_alu instid0(SALU_CYCLE_1)
	s_cmp_ge_i32 s13, s5
	s_cbranch_scc1 .LBB37_16
.LBB37_14:                              ; =>This Inner Loop Header: Depth=1
	v_add_nc_u32_e32 v3, s13, v0
	s_mov_b32 s14, exec_lo
	s_delay_alu instid0(VALU_DEP_1)
	v_cmpx_gt_i32_e64 s5, v3
	s_cbranch_execz .LBB37_13
; %bb.15:                               ;   in Loop: Header=BB37_14 Depth=1
	global_load_b32 v3, v[1:2], off
	s_waitcnt vmcnt(0)
	v_mul_f32_e32 v3, s7, v3
	global_store_b32 v[1:2], v3, off
	s_branch .LBB37_13
.LBB37_16:
	s_cbranch_execnz .LBB37_34
.LBB37_17:
	s_clause 0x1
	s_load_b128 s[16:19], s[0:1], 0x30
	s_load_b64 s[2:3], s[0:1], 0x40
	s_mov_b32 s13, exec_lo
	v_cmpx_gt_i32_e64 s4, v0
	s_cbranch_execz .LBB37_19
; %bb.18:
	s_clause 0x1
	s_load_b64 s[22:23], s[0:1], 0x50
	s_load_b32 s14, s[0:1], 0x48
	s_waitcnt lgkmcnt(0)
	s_mul_i32 s23, s15, s23
	v_mad_i64_i32 v[1:2], null, s14, v0, 0
	s_mul_hi_u32 s24, s15, s22
	s_mul_i32 s22, s15, s22
	s_add_i32 s23, s24, s23
	s_delay_alu instid0(SALU_CYCLE_1) | instskip(NEXT) | instid1(SALU_CYCLE_1)
	s_lshl_b64 s[22:23], s[22:23], 2
	s_add_u32 s14, s18, s22
	s_delay_alu instid0(VALU_DEP_1) | instskip(SKIP_2) | instid1(SALU_CYCLE_1)
	v_lshlrev_b64 v[1:2], 2, v[1:2]
	s_addc_u32 s18, s19, s23
	s_lshl_b64 s[2:3], s[2:3], 2
	s_add_u32 s2, s14, s2
	s_addc_u32 s3, s18, s3
	s_delay_alu instid0(VALU_DEP_1)
	v_add_co_u32 v1, vcc_lo, s2, v1
	v_add_co_ci_u32_e32 v2, vcc_lo, s3, v2, vcc_lo
	global_load_b32 v1, v[1:2], off
	s_waitcnt vmcnt(0)
	v_dual_mul_f32 v1, s6, v1 :: v_dual_lshlrev_b32 v2, 2, v0
	ds_store_b32 v2, v1
.LBB37_19:
	s_or_b32 exec_lo, exec_lo, s13
	s_cmp_lt_i32 s5, 1
	s_waitcnt lgkmcnt(0)
	s_waitcnt_vscnt null, 0x0
	s_barrier
	buffer_gl0_inv
	s_cbranch_scc1 .LBB37_34
; %bb.20:
	s_clause 0x1
	s_load_b32 s18, s[0:1], 0x28
	s_load_b128 s[0:3], s[0:1], 0x18
	s_lshl_b64 s[20:21], s[20:21], 2
	s_mul_i32 s17, s17, s15
	s_add_u32 s13, s8, s20
	s_addc_u32 s14, s9, s21
	s_lshl_b64 s[8:9], s[10:11], 2
	s_mul_hi_u32 s22, s16, s15
	s_add_u32 s8, s13, s8
	s_addc_u32 s9, s14, s9
	s_ashr_i32 s10, s12, 31
	s_mul_i32 s16, s16, s15
	v_cmp_neq_f32_e64 s6, s7, 0
	s_waitcnt lgkmcnt(0)
	s_ashr_i32 s19, s18, 31
	s_cmp_gt_i32 s4, 0
	v_mad_i64_i32 v[1:2], null, s18, v0, 0
	s_cselect_b32 s11, -1, 0
	s_and_b32 s13, s4, 7
	s_cmp_gt_u32 s4, 7
	s_cselect_b32 s14, -1, 0
	s_and_b32 s4, s4, 0x7ffffff8
	s_cmp_lg_u32 s13, 0
	s_delay_alu instid0(VALU_DEP_1)
	v_lshlrev_b64 v[1:2], 2, v[1:2]
	s_cselect_b32 s15, -1, 0
	s_add_i32 s17, s22, s17
	s_lshl_b64 s[2:3], s[2:3], 2
	s_lshl_b64 s[16:17], s[16:17], 2
	s_add_u32 s0, s0, s2
	s_addc_u32 s1, s1, s3
	s_add_u32 s0, s0, s16
	s_addc_u32 s1, s1, s17
	v_add_co_u32 v7, vcc_lo, s0, v1
	v_add_co_ci_u32_e32 v8, vcc_lo, s1, v2, vcc_lo
	s_mov_b32 s1, 0
	s_delay_alu instid0(VALU_DEP_2) | instskip(NEXT) | instid1(VALU_DEP_2)
	v_add_co_u32 v1, vcc_lo, v7, 28
	v_add_co_ci_u32_e32 v2, vcc_lo, 0, v8, vcc_lo
	s_lshl_b64 s[2:3], s[18:19], 10
	s_mov_b32 s16, 0
	s_branch .LBB37_23
.LBB37_21:                              ;   in Loop: Header=BB37_23 Depth=1
	s_delay_alu instid0(VALU_DEP_2)
	v_add_co_u32 v3, vcc_lo, s8, v3
	v_add_co_ci_u32_e32 v4, vcc_lo, s9, v4, vcc_lo
	global_store_b32 v[3:4], v9, off
.LBB37_22:                              ;   in Loop: Header=BB37_23 Depth=1
	s_or_b32 exec_lo, exec_lo, s17
	v_add_co_u32 v1, vcc_lo, v1, s2
	v_add_co_ci_u32_e32 v2, vcc_lo, s3, v2, vcc_lo
	v_add_co_u32 v7, vcc_lo, v7, s2
	v_add_co_ci_u32_e32 v8, vcc_lo, s3, v8, vcc_lo
	s_addk_i32 s16, 0x100
	s_delay_alu instid0(SALU_CYCLE_1)
	s_cmp_ge_i32 s16, s5
	s_cbranch_scc1 .LBB37_34
.LBB37_23:                              ; =>This Loop Header: Depth=1
                                        ;     Child Loop BB37_29 Depth 2
                                        ;     Child Loop BB37_33 Depth 2
	v_add_nc_u32_e32 v3, s16, v0
	s_mov_b32 s17, exec_lo
	s_delay_alu instid0(VALU_DEP_1)
	v_cmpx_gt_i32_e64 s5, v3
	s_cbranch_execz .LBB37_22
; %bb.24:                               ;   in Loop: Header=BB37_23 Depth=1
	v_mad_u64_u32 v[4:5], null, v3, s12, 0
	s_and_not1_b32 vcc_lo, exec_lo, s6
	s_delay_alu instid0(VALU_DEP_1) | instskip(NEXT) | instid1(VALU_DEP_1)
	v_mad_u64_u32 v[9:10], null, v3, s10, v[5:6]
	v_mov_b32_e32 v5, v9
	s_delay_alu instid0(VALU_DEP_1)
	v_lshlrev_b64 v[3:4], 2, v[4:5]
	s_cbranch_vccnz .LBB37_26
; %bb.25:                               ;   in Loop: Header=BB37_23 Depth=1
	s_delay_alu instid0(VALU_DEP_1) | instskip(NEXT) | instid1(VALU_DEP_2)
	v_add_co_u32 v5, vcc_lo, s8, v3
	v_add_co_ci_u32_e32 v6, vcc_lo, s9, v4, vcc_lo
	global_load_b32 v5, v[5:6], off
	s_waitcnt vmcnt(0)
	v_mul_f32_e32 v9, s7, v5
	s_and_not1_b32 vcc_lo, exec_lo, s11
	s_cbranch_vccz .LBB37_27
	s_branch .LBB37_21
.LBB37_26:                              ;   in Loop: Header=BB37_23 Depth=1
	v_mov_b32_e32 v9, 0
	s_and_not1_b32 vcc_lo, exec_lo, s11
	s_cbranch_vccnz .LBB37_21
.LBB37_27:                              ;   in Loop: Header=BB37_23 Depth=1
	s_and_not1_b32 vcc_lo, exec_lo, s14
	s_cbranch_vccnz .LBB37_31
; %bb.28:                               ;   in Loop: Header=BB37_23 Depth=1
	v_dual_mov_b32 v6, v2 :: v_dual_mov_b32 v5, v1
	s_mov_b32 s0, 0
	s_mov_b32 s18, 0
	.p2align	6
.LBB37_29:                              ;   Parent Loop BB37_23 Depth=1
                                        ; =>  This Inner Loop Header: Depth=2
	s_clause 0x1
	global_load_b128 v[10:13], v[5:6], off offset:-28
	global_load_b128 v[14:17], v[5:6], off offset:-12
	v_mov_b32_e32 v22, s0
	v_add_co_u32 v5, vcc_lo, v5, 32
	v_add_co_ci_u32_e32 v6, vcc_lo, 0, v6, vcc_lo
	ds_load_b128 v[18:21], v22
	ds_load_b128 v[22:25], v22 offset:16
	s_add_i32 s18, s18, 8
	s_add_i32 s0, s0, 32
	s_cmp_eq_u32 s4, s18
	s_waitcnt vmcnt(1) lgkmcnt(1)
	v_fmac_f32_e32 v9, v18, v10
	s_delay_alu instid0(VALU_DEP_1) | instskip(NEXT) | instid1(VALU_DEP_1)
	v_fmac_f32_e32 v9, v19, v11
	v_fmac_f32_e32 v9, v20, v12
	s_delay_alu instid0(VALU_DEP_1) | instskip(SKIP_1) | instid1(VALU_DEP_1)
	v_fmac_f32_e32 v9, v21, v13
	s_waitcnt vmcnt(0) lgkmcnt(0)
	v_fmac_f32_e32 v9, v22, v14
	s_delay_alu instid0(VALU_DEP_1) | instskip(NEXT) | instid1(VALU_DEP_1)
	v_fmac_f32_e32 v9, v23, v15
	v_fmac_f32_e32 v9, v24, v16
	s_delay_alu instid0(VALU_DEP_1)
	v_fmac_f32_e32 v9, v25, v17
	s_cbranch_scc0 .LBB37_29
; %bb.30:                               ;   in Loop: Header=BB37_23 Depth=1
	s_mov_b32 s0, s4
	s_and_not1_b32 vcc_lo, exec_lo, s15
	s_cbranch_vccz .LBB37_32
	s_branch .LBB37_21
.LBB37_31:                              ;   in Loop: Header=BB37_23 Depth=1
	s_mov_b32 s0, 0
	s_and_not1_b32 vcc_lo, exec_lo, s15
	s_cbranch_vccnz .LBB37_21
.LBB37_32:                              ;   in Loop: Header=BB37_23 Depth=1
	s_lshl_b64 s[18:19], s[0:1], 2
	s_lshl_b32 s0, s0, 2
	v_add_co_u32 v5, vcc_lo, v7, s18
	v_add_co_ci_u32_e32 v6, vcc_lo, s19, v8, vcc_lo
	s_mov_b32 s18, s13
.LBB37_33:                              ;   Parent Loop BB37_23 Depth=1
                                        ; =>  This Inner Loop Header: Depth=2
	global_load_b32 v10, v[5:6], off
	v_mov_b32_e32 v11, s0
	v_add_co_u32 v5, vcc_lo, v5, 4
	v_add_co_ci_u32_e32 v6, vcc_lo, 0, v6, vcc_lo
	ds_load_b32 v11, v11
	s_add_i32 s18, s18, -1
	s_add_i32 s0, s0, 4
	s_cmp_lg_u32 s18, 0
	s_waitcnt vmcnt(0) lgkmcnt(0)
	v_fmac_f32_e32 v9, v11, v10
	s_cbranch_scc1 .LBB37_33
	s_branch .LBB37_21
.LBB37_34:
	s_nop 0
	s_sendmsg sendmsg(MSG_DEALLOC_VGPRS)
	s_endpgm
	.section	.rodata,"a",@progbits
	.p2align	6, 0x0
	.amdhsa_kernel _ZL22rocblas_gemvtsm_kernelILb1ELi256EfffEviiT2_lPKT1_lilS3_lilS0_lPT3_lil
		.amdhsa_group_segment_fixed_size 256
		.amdhsa_private_segment_fixed_size 0
		.amdhsa_kernarg_size 136
		.amdhsa_user_sgpr_count 15
		.amdhsa_user_sgpr_dispatch_ptr 0
		.amdhsa_user_sgpr_queue_ptr 0
		.amdhsa_user_sgpr_kernarg_segment_ptr 1
		.amdhsa_user_sgpr_dispatch_id 0
		.amdhsa_user_sgpr_private_segment_size 0
		.amdhsa_wavefront_size32 1
		.amdhsa_uses_dynamic_stack 0
		.amdhsa_enable_private_segment 0
		.amdhsa_system_sgpr_workgroup_id_x 1
		.amdhsa_system_sgpr_workgroup_id_y 0
		.amdhsa_system_sgpr_workgroup_id_z 0
		.amdhsa_system_sgpr_workgroup_info 0
		.amdhsa_system_vgpr_workitem_id 0
		.amdhsa_next_free_vgpr 26
		.amdhsa_next_free_sgpr 25
		.amdhsa_reserve_vcc 1
		.amdhsa_float_round_mode_32 0
		.amdhsa_float_round_mode_16_64 0
		.amdhsa_float_denorm_mode_32 3
		.amdhsa_float_denorm_mode_16_64 3
		.amdhsa_dx10_clamp 1
		.amdhsa_ieee_mode 1
		.amdhsa_fp16_overflow 0
		.amdhsa_workgroup_processor_mode 1
		.amdhsa_memory_ordered 1
		.amdhsa_forward_progress 0
		.amdhsa_shared_vgpr_count 0
		.amdhsa_exception_fp_ieee_invalid_op 0
		.amdhsa_exception_fp_denorm_src 0
		.amdhsa_exception_fp_ieee_div_zero 0
		.amdhsa_exception_fp_ieee_overflow 0
		.amdhsa_exception_fp_ieee_underflow 0
		.amdhsa_exception_fp_ieee_inexact 0
		.amdhsa_exception_int_div_zero 0
	.end_amdhsa_kernel
	.section	.text._ZL22rocblas_gemvtsm_kernelILb1ELi256EfffEviiT2_lPKT1_lilS3_lilS0_lPT3_lil,"axG",@progbits,_ZL22rocblas_gemvtsm_kernelILb1ELi256EfffEviiT2_lPKT1_lilS3_lilS0_lPT3_lil,comdat
.Lfunc_end37:
	.size	_ZL22rocblas_gemvtsm_kernelILb1ELi256EfffEviiT2_lPKT1_lilS3_lilS0_lPT3_lil, .Lfunc_end37-_ZL22rocblas_gemvtsm_kernelILb1ELi256EfffEviiT2_lPKT1_lilS3_lilS0_lPT3_lil
                                        ; -- End function
	.section	.AMDGPU.csdata,"",@progbits
; Kernel info:
; codeLenInByte = 1384
; NumSgprs: 27
; NumVgprs: 26
; ScratchSize: 0
; MemoryBound: 0
; FloatMode: 240
; IeeeMode: 1
; LDSByteSize: 256 bytes/workgroup (compile time only)
; SGPRBlocks: 3
; VGPRBlocks: 3
; NumSGPRsForWavesPerEU: 27
; NumVGPRsForWavesPerEU: 26
; Occupancy: 16
; WaveLimiterHint : 1
; COMPUTE_PGM_RSRC2:SCRATCH_EN: 0
; COMPUTE_PGM_RSRC2:USER_SGPR: 15
; COMPUTE_PGM_RSRC2:TRAP_HANDLER: 0
; COMPUTE_PGM_RSRC2:TGID_X_EN: 1
; COMPUTE_PGM_RSRC2:TGID_Y_EN: 0
; COMPUTE_PGM_RSRC2:TGID_Z_EN: 0
; COMPUTE_PGM_RSRC2:TIDIG_COMP_CNT: 0
	.section	.text._ZL23rocblas_gemvt_sn_kernelILb1ELi256ELi4EifPKffEviiT4_lPKT3_lilS5_lilPT5_i,"axG",@progbits,_ZL23rocblas_gemvt_sn_kernelILb1ELi256ELi4EifPKffEviiT4_lPKT3_lilS5_lilPT5_i,comdat
	.globl	_ZL23rocblas_gemvt_sn_kernelILb1ELi256ELi4EifPKffEviiT4_lPKT3_lilS5_lilPT5_i ; -- Begin function _ZL23rocblas_gemvt_sn_kernelILb1ELi256ELi4EifPKffEviiT4_lPKT3_lilS5_lilPT5_i
	.p2align	8
	.type	_ZL23rocblas_gemvt_sn_kernelILb1ELi256ELi4EifPKffEviiT4_lPKT3_lilS5_lilPT5_i,@function
_ZL23rocblas_gemvt_sn_kernelILb1ELi256ELi4EifPKffEviiT4_lPKT3_lilS5_lilPT5_i: ; @_ZL23rocblas_gemvt_sn_kernelILb1ELi256ELi4EifPKffEviiT4_lPKT3_lilS5_lilPT5_i
; %bb.0:
	s_clause 0x2
	s_load_b256 s[16:23], s[0:1], 0x8
	s_load_b64 s[10:11], s[0:1], 0x0
	s_load_b32 s12, s[0:1], 0x68
	s_waitcnt lgkmcnt(0)
	s_mul_i32 s3, s15, s19
	s_mul_hi_u32 s4, s15, s18
	s_mul_i32 s2, s15, s18
	s_add_i32 s3, s4, s3
	s_mul_i32 s9, s11, s15
	s_lshl_b64 s[2:3], s[2:3], 2
	s_delay_alu instid0(SALU_CYCLE_1)
	s_add_u32 s2, s16, s2
	s_addc_u32 s3, s17, s3
	s_load_b32 s33, s[2:3], 0x0
	s_load_b128 s[4:7], s[0:1], 0x50
	s_ashr_i32 s8, s11, 31
	s_mul_hi_u32 s2, s11, s15
	s_mul_i32 s3, s8, s15
	s_delay_alu instid0(SALU_CYCLE_1)
	s_add_i32 s2, s2, s3
	s_mul_hi_u32 s3, s9, s12
	s_mul_i32 s13, s2, s12
	s_mul_i32 s2, s9, s12
	s_add_i32 s3, s3, s13
	s_mov_b32 s13, 0
	s_lshl_b64 s[2:3], s[2:3], 2
	s_waitcnt lgkmcnt(0)
	v_cmp_neq_f32_e64 s9, s33, 0
	s_add_u32 s38, s6, s2
	v_cmp_eq_u32_e64 s2, 0, v0
	s_addc_u32 s37, s7, s3
	s_delay_alu instid0(VALU_DEP_2)
	s_and_b32 vcc_lo, exec_lo, s9
	s_cbranch_vccnz .LBB38_5
; %bb.1:
	s_cmp_gt_i32 s11, 0
	s_cselect_b32 s3, -1, 0
	s_delay_alu instid0(SALU_CYCLE_1) | instskip(NEXT) | instid1(SALU_CYCLE_1)
	s_and_b32 s2, s2, s3
	s_and_saveexec_b32 s9, s2
	s_cbranch_execz .LBB38_4
; %bb.2:
	s_mov_b32 s2, s15
	s_mov_b32 s15, 0
	v_mov_b32_e32 v1, 0
	s_lshl_b64 s[6:7], s[14:15], 2
	s_mov_b32 s15, s2
	s_add_u32 s2, s38, s6
	s_addc_u32 s3, s37, s7
	s_lshl_b64 s[6:7], s[12:13], 2
	s_mov_b32 s13, s11
.LBB38_3:                               ; =>This Inner Loop Header: Depth=1
	s_delay_alu instid0(SALU_CYCLE_1)
	s_add_i32 s13, s13, -1
	global_store_b32 v1, v1, s[2:3]
	s_add_u32 s2, s2, s6
	s_addc_u32 s3, s3, s7
	s_cmp_eq_u32 s13, 0
	s_cbranch_scc0 .LBB38_3
.LBB38_4:
	s_or_b32 exec_lo, exec_lo, s9
	s_cbranch_execz .LBB38_6
	s_branch .LBB38_79
.LBB38_5:
.LBB38_6:
	s_clause 0x1
	s_load_b128 s[16:19], s[0:1], 0x30
	s_load_b64 s[2:3], s[0:1], 0x40
	s_mul_i32 s5, s15, s5
	s_mul_hi_u32 s6, s15, s4
	s_mul_i32 s4, s15, s4
	s_add_i32 s5, s6, s5
	s_load_b32 s13, s[0:1], 0x48
	s_lshl_b64 s[4:5], s[4:5], 2
	v_and_b32_e32 v6, 31, v0
	v_mbcnt_lo_u32_b32 v22, -1, 0
	v_lshrrev_b32_e32 v23, 3, v0
	s_waitcnt lgkmcnt(0)
	s_add_u32 s6, s18, s4
	s_addc_u32 s5, s19, s5
	s_lshl_b64 s[2:3], s[2:3], 2
	s_mul_i32 s7, s15, s17
	s_mul_hi_u32 s9, s15, s16
	s_add_u32 s34, s6, s2
	s_mul_i32 s4, s15, s16
	s_load_b32 s16, s[0:1], 0x28
	s_addc_u32 s35, s5, s3
	s_add_i32 s5, s9, s7
	v_cmp_gt_u32_e64 s0, 32, v0
	s_lshl_b64 s[18:19], s[4:5], 2
	s_delay_alu instid0(SALU_CYCLE_1) | instskip(SKIP_2) | instid1(SALU_CYCLE_1)
	s_add_u32 s1, s20, s18
	s_addc_u32 s2, s21, s19
	s_lshl_b64 s[22:23], s[22:23], 2
	s_add_u32 s3, s1, s22
	s_addc_u32 s2, s2, s23
	s_lshl_b32 s1, s14, 10
	s_ashr_i32 s4, s10, 31
	v_lshl_or_b32 v1, v0, 2, s1
	s_lshr_b32 s4, s4, 30
	s_lshr_b32 s5, s8, 30
	s_add_i32 s4, s10, s4
	s_add_i32 s5, s11, s5
	v_ashrrev_i32_e32 v2, 31, v1
	s_and_b32 s4, s4, -4
	v_mul_lo_u32 v5, v1, s13
	s_sub_i32 s36, s10, s4
	v_cmp_gt_u32_e64 s1, 8, v0
	v_lshlrev_b64 v[7:8], 2, v[1:2]
	v_add_nc_u32_e32 v24, 4, v1
	v_add_nc_u32_e32 v25, s36, v1
	s_and_b32 s15, s5, -4
	s_delay_alu instid0(SALU_CYCLE_1) | instskip(NEXT) | instid1(VALU_DEP_3)
	s_cmp_lt_i32 s15, 1
	v_add_co_u32 v20, vcc_lo, s3, v7
	v_add_co_ci_u32_e32 v21, vcc_lo, s2, v8, vcc_lo
	s_cbranch_scc1 .LBB38_54
; %bb.7:
	v_cmp_gt_u32_e32 vcc_lo, 16, v22
	v_mul_lo_u32 v9, v1, s13
	s_cmp_gt_i32 s36, 0
	s_mov_b32 s9, 0
	s_cselect_b32 s39, -1, 0
	v_cndmask_b32_e64 v2, 0, 1, vcc_lo
	v_cmp_gt_u32_e32 vcc_lo, 24, v22
	s_waitcnt lgkmcnt(0)
	s_lshl_b32 s40, s16, 2
	s_lshl_b32 s8, s16, 1
	s_add_u32 s6, s18, s22
	v_dual_mov_b32 v35, 0 :: v_dual_lshlrev_b32 v2, 4, v2
	v_cndmask_b32_e64 v3, 0, 1, vcc_lo
	v_cmp_gt_u32_e32 vcc_lo, 28, v22
	s_addc_u32 s7, s19, s23
	s_delay_alu instid0(VALU_DEP_3)
	v_add_lshl_u32 v26, v2, v22, 2
	s_add_u32 s6, s20, s6
	v_lshlrev_b32_e32 v2, 3, v3
	v_cndmask_b32_e64 v4, 0, 1, vcc_lo
	v_cmp_gt_u32_e32 vcc_lo, 30, v22
	s_addc_u32 s7, s21, s7
	v_cmp_ge_i32_e64 s2, s10, v24
	v_add_lshl_u32 v27, v2, v22, 2
	v_lshlrev_b32_e32 v3, 2, v4
	v_cndmask_b32_e64 v10, 0, 1, vcc_lo
	v_cmp_ne_u32_e32 vcc_lo, 31, v22
	v_cmp_ge_i32_e64 s3, s10, v25
	v_cmp_eq_u32_e64 s4, 0, v6
	v_add_lshl_u32 v28, v3, v22, 2
	v_lshlrev_b32_e32 v1, 1, v10
	v_ashrrev_i32_e32 v10, 31, v9
	v_add_co_ci_u32_e32 v4, vcc_lo, 0, v22, vcc_lo
	v_lshlrev_b32_e32 v31, 2, v6
	s_delay_alu instid0(VALU_DEP_4)
	v_add_lshl_u32 v29, v1, v22, 2
	v_add_nc_u32_e32 v1, s13, v9
	v_lshlrev_b64 v[10:11], 2, v[9:10]
	v_lshlrev_b32_e32 v30, 2, v4
	v_and_b32_e32 v32, 28, v23
	v_cmp_eq_u32_e64 s5, 0, v0
	v_add_nc_u32_e32 v3, s13, v1
	v_ashrrev_i32_e32 v2, 31, v1
	v_add_co_u32 v10, vcc_lo, s34, v10
	v_add_co_ci_u32_e32 v11, vcc_lo, s35, v11, vcc_lo
	s_delay_alu instid0(VALU_DEP_4) | instskip(NEXT) | instid1(VALU_DEP_4)
	v_add_nc_u32_e32 v14, s13, v3
	v_lshlrev_b64 v[1:2], 2, v[1:2]
	v_ashrrev_i32_e32 v4, 31, v3
	s_mov_b32 s17, s9
	s_mul_i32 s41, s16, 3
	v_ashrrev_i32_e32 v15, 31, v14
	s_mov_b32 s42, s9
	v_lshlrev_b64 v[3:4], 2, v[3:4]
	v_add_co_u32 v12, vcc_lo, s34, v1
	v_add_co_ci_u32_e32 v13, vcc_lo, s35, v2, vcc_lo
	v_lshlrev_b64 v[1:2], 2, v[14:15]
	s_delay_alu instid0(VALU_DEP_4) | instskip(SKIP_2) | instid1(VALU_DEP_3)
	v_add_co_u32 v14, vcc_lo, s34, v3
	v_add_co_ci_u32_e32 v15, vcc_lo, s35, v4, vcc_lo
	s_mov_b32 s24, s9
	v_add_co_u32 v16, vcc_lo, s34, v1
	s_delay_alu instid0(VALU_DEP_4)
	v_add_co_ci_u32_e32 v17, vcc_lo, s35, v2, vcc_lo
	v_add_co_u32 v33, vcc_lo, s6, v7
	v_add_co_ci_u32_e32 v34, vcc_lo, s7, v8, vcc_lo
	s_mov_b64 s[26:27], s[8:9]
	s_mov_b64 s[28:29], s[16:17]
	s_mov_b32 s17, 0
                                        ; implicit-def: $vgpr1_vgpr2_vgpr3_vgpr4
	s_branch .LBB38_9
.LBB38_8:                               ;   in Loop: Header=BB38_9 Depth=1
	s_or_b32 exec_lo, exec_lo, s6
	s_add_i32 s17, s17, 4
	s_add_u32 s28, s28, s40
	s_addc_u32 s29, s29, 0
	s_add_u32 s26, s26, s40
	s_addc_u32 s27, s27, 0
	;; [unrolled: 2-line block ×3, first 2 shown]
	s_add_i32 s24, s24, s40
	s_cmp_ge_i32 s17, s15
	s_cbranch_scc1 .LBB38_55
.LBB38_9:                               ; =>This Loop Header: Depth=1
                                        ;     Child Loop BB38_40 Depth 2
                                        ;     Child Loop BB38_43 Depth 2
                                        ; implicit-def: $vgpr36
                                        ; implicit-def: $vgpr37
                                        ; implicit-def: $vgpr38
                                        ; implicit-def: $vgpr39
	s_and_saveexec_b32 s6, s2
	s_delay_alu instid0(SALU_CYCLE_1)
	s_xor_b32 s6, exec_lo, s6
	s_cbranch_execnz .LBB38_36
; %bb.10:                               ;   in Loop: Header=BB38_9 Depth=1
	s_and_not1_saveexec_b32 s43, s6
	s_cbranch_execnz .LBB38_37
.LBB38_11:                              ;   in Loop: Header=BB38_9 Depth=1
	s_or_b32 exec_lo, exec_lo, s43
	s_and_saveexec_b32 s6, s0
	s_cbranch_execz .LBB38_13
.LBB38_12:                              ;   in Loop: Header=BB38_9 Depth=1
	ds_store_b32 v31, v35
.LBB38_13:                              ;   in Loop: Header=BB38_9 Depth=1
	s_or_b32 exec_lo, exec_lo, s6
	ds_bpermute_b32 v18, v26, v39
	s_waitcnt lgkmcnt(0)
	s_waitcnt_vscnt null, 0x0
	s_barrier
	buffer_gl0_inv
	v_add_f32_e32 v18, v39, v18
	ds_bpermute_b32 v19, v27, v18
	s_waitcnt lgkmcnt(0)
	v_add_f32_e32 v18, v18, v19
	ds_bpermute_b32 v19, v28, v18
	s_waitcnt lgkmcnt(0)
	;; [unrolled: 3-line block ×3, first 2 shown]
	v_add_f32_e32 v18, v18, v19
	ds_bpermute_b32 v19, v30, v18
	s_and_saveexec_b32 s6, s4
	s_cbranch_execz .LBB38_15
; %bb.14:                               ;   in Loop: Header=BB38_9 Depth=1
	s_waitcnt lgkmcnt(0)
	v_add_f32_e32 v18, v18, v19
	ds_store_b32 v32, v18
.LBB38_15:                              ;   in Loop: Header=BB38_9 Depth=1
	s_or_b32 exec_lo, exec_lo, s6
	v_mov_b32_e32 v18, 0
	s_waitcnt lgkmcnt(0)
	s_barrier
	buffer_gl0_inv
	s_and_saveexec_b32 s6, s1
	s_cbranch_execnz .LBB38_45
; %bb.16:                               ;   in Loop: Header=BB38_9 Depth=1
	s_or_b32 exec_lo, exec_lo, s6
	s_and_saveexec_b32 s6, s0
	s_cbranch_execnz .LBB38_46
.LBB38_17:                              ;   in Loop: Header=BB38_9 Depth=1
	s_or_b32 exec_lo, exec_lo, s6
	s_and_saveexec_b32 s6, s0
	s_cbranch_execz .LBB38_19
.LBB38_18:                              ;   in Loop: Header=BB38_9 Depth=1
	ds_store_b32 v31, v35
.LBB38_19:                              ;   in Loop: Header=BB38_9 Depth=1
	s_or_b32 exec_lo, exec_lo, s6
	ds_bpermute_b32 v19, v26, v38
	s_waitcnt lgkmcnt(0)
	s_barrier
	buffer_gl0_inv
	v_add_f32_e32 v19, v38, v19
	ds_bpermute_b32 v38, v27, v19
	s_waitcnt lgkmcnt(0)
	v_add_f32_e32 v19, v19, v38
	ds_bpermute_b32 v38, v28, v19
	s_waitcnt lgkmcnt(0)
	;; [unrolled: 3-line block ×3, first 2 shown]
	v_add_f32_e32 v19, v19, v38
	ds_bpermute_b32 v38, v30, v19
	s_and_saveexec_b32 s6, s4
	s_cbranch_execz .LBB38_21
; %bb.20:                               ;   in Loop: Header=BB38_9 Depth=1
	s_waitcnt lgkmcnt(0)
	v_add_f32_e32 v19, v19, v38
	ds_store_b32 v32, v19
.LBB38_21:                              ;   in Loop: Header=BB38_9 Depth=1
	s_or_b32 exec_lo, exec_lo, s6
	v_mov_b32_e32 v19, 0
	s_waitcnt lgkmcnt(0)
	s_barrier
	buffer_gl0_inv
	s_and_saveexec_b32 s6, s1
	s_cbranch_execnz .LBB38_47
; %bb.22:                               ;   in Loop: Header=BB38_9 Depth=1
	s_or_b32 exec_lo, exec_lo, s6
	s_and_saveexec_b32 s6, s0
	s_cbranch_execnz .LBB38_48
.LBB38_23:                              ;   in Loop: Header=BB38_9 Depth=1
	s_or_b32 exec_lo, exec_lo, s6
	s_and_saveexec_b32 s6, s0
	s_cbranch_execz .LBB38_25
.LBB38_24:                              ;   in Loop: Header=BB38_9 Depth=1
	ds_store_b32 v31, v35
.LBB38_25:                              ;   in Loop: Header=BB38_9 Depth=1
	s_or_b32 exec_lo, exec_lo, s6
	ds_bpermute_b32 v38, v26, v37
	s_waitcnt lgkmcnt(0)
	s_barrier
	buffer_gl0_inv
	v_add_f32_e32 v37, v37, v38
	ds_bpermute_b32 v38, v27, v37
	s_waitcnt lgkmcnt(0)
	v_add_f32_e32 v37, v37, v38
	ds_bpermute_b32 v38, v28, v37
	s_waitcnt lgkmcnt(0)
	;; [unrolled: 3-line block ×3, first 2 shown]
	v_add_f32_e32 v37, v37, v38
	ds_bpermute_b32 v38, v30, v37
	s_and_saveexec_b32 s6, s4
	s_cbranch_execz .LBB38_27
; %bb.26:                               ;   in Loop: Header=BB38_9 Depth=1
	s_waitcnt lgkmcnt(0)
	v_add_f32_e32 v37, v37, v38
	ds_store_b32 v32, v37
.LBB38_27:                              ;   in Loop: Header=BB38_9 Depth=1
	s_or_b32 exec_lo, exec_lo, s6
	v_mov_b32_e32 v37, 0
	s_waitcnt lgkmcnt(0)
	s_barrier
	buffer_gl0_inv
	s_and_saveexec_b32 s6, s1
	s_cbranch_execnz .LBB38_49
; %bb.28:                               ;   in Loop: Header=BB38_9 Depth=1
	s_or_b32 exec_lo, exec_lo, s6
	s_and_saveexec_b32 s6, s0
	s_cbranch_execnz .LBB38_50
.LBB38_29:                              ;   in Loop: Header=BB38_9 Depth=1
	s_or_b32 exec_lo, exec_lo, s6
	s_and_saveexec_b32 s6, s0
	s_cbranch_execz .LBB38_31
.LBB38_30:                              ;   in Loop: Header=BB38_9 Depth=1
	ds_store_b32 v31, v35
.LBB38_31:                              ;   in Loop: Header=BB38_9 Depth=1
	s_or_b32 exec_lo, exec_lo, s6
	ds_bpermute_b32 v38, v26, v36
	s_waitcnt lgkmcnt(0)
	s_barrier
	buffer_gl0_inv
	v_add_f32_e32 v36, v36, v38
	ds_bpermute_b32 v38, v27, v36
	s_waitcnt lgkmcnt(0)
	v_add_f32_e32 v36, v36, v38
	ds_bpermute_b32 v38, v28, v36
	s_waitcnt lgkmcnt(0)
	;; [unrolled: 3-line block ×3, first 2 shown]
	v_add_f32_e32 v36, v36, v38
	ds_bpermute_b32 v38, v30, v36
	s_and_saveexec_b32 s6, s4
	s_cbranch_execz .LBB38_33
; %bb.32:                               ;   in Loop: Header=BB38_9 Depth=1
	s_waitcnt lgkmcnt(0)
	v_add_f32_e32 v36, v36, v38
	ds_store_b32 v32, v36
.LBB38_33:                              ;   in Loop: Header=BB38_9 Depth=1
	s_or_b32 exec_lo, exec_lo, s6
	v_mov_b32_e32 v36, 0
	s_waitcnt lgkmcnt(0)
	s_barrier
	buffer_gl0_inv
	s_and_saveexec_b32 s6, s1
	s_cbranch_execnz .LBB38_51
; %bb.34:                               ;   in Loop: Header=BB38_9 Depth=1
	s_or_b32 exec_lo, exec_lo, s6
	s_and_saveexec_b32 s6, s0
	s_cbranch_execnz .LBB38_52
.LBB38_35:                              ;   in Loop: Header=BB38_9 Depth=1
	s_or_b32 exec_lo, exec_lo, s6
	s_and_saveexec_b32 s6, s5
	s_cbranch_execz .LBB38_8
	s_branch .LBB38_53
.LBB38_36:                              ;   in Loop: Header=BB38_9 Depth=1
	s_mul_i32 s30, s17, s16
	s_delay_alu instid0(SALU_CYCLE_1)
	s_ashr_i32 s31, s30, 31
	s_add_i32 s44, s30, s16
	s_lshl_b64 s[30:31], s[30:31], 2
	s_ashr_i32 s45, s44, 31
	v_add_co_u32 v2, vcc_lo, v20, s30
	v_add_co_ci_u32_e32 v3, vcc_lo, s31, v21, vcc_lo
	s_lshl_b64 s[30:31], s[44:45], 2
	s_add_i32 s44, s44, s16
	v_add_co_u32 v18, vcc_lo, v20, s30
	s_ashr_i32 s45, s44, 31
	s_add_i32 s30, s44, s16
	s_lshl_b64 s[44:45], s[44:45], 2
	v_add_co_ci_u32_e32 v19, vcc_lo, s31, v21, vcc_lo
	s_ashr_i32 s31, s30, 31
	s_waitcnt lgkmcnt(0)
	v_add_co_u32 v36, vcc_lo, v20, s44
	s_lshl_b64 s[30:31], s[30:31], 2
	v_add_co_ci_u32_e32 v37, vcc_lo, s45, v21, vcc_lo
	v_add_co_u32 v51, vcc_lo, v20, s30
	v_add_co_ci_u32_e32 v52, vcc_lo, s31, v21, vcc_lo
	global_load_b32 v1, v[10:11], off
	s_clause 0x3
	global_load_b128 v[39:42], v[2:3], off
	global_load_b128 v[43:46], v[18:19], off
	;; [unrolled: 1-line block ×4, first 2 shown]
	s_clause 0x2
	global_load_b32 v2, v[12:13], off
	global_load_b32 v3, v[14:15], off
	;; [unrolled: 1-line block ×3, first 2 shown]
	s_waitcnt vmcnt(6)
	v_fma_f32 v39, v1, v39, 0
	s_waitcnt vmcnt(5)
	v_fma_f32 v38, v1, v43, 0
	;; [unrolled: 2-line block ×4, first 2 shown]
	s_waitcnt vmcnt(2)
	v_fmac_f32_e32 v38, v2, v44
	v_fmac_f32_e32 v39, v2, v40
	s_delay_alu instid0(VALU_DEP_3) | instskip(SKIP_1) | instid1(VALU_DEP_3)
	v_fmac_f32_e32 v36, v2, v52
	s_waitcnt vmcnt(1)
	v_dual_fmac_f32 v37, v2, v48 :: v_dual_fmac_f32 v38, v3, v45
	s_delay_alu instid0(VALU_DEP_3) | instskip(NEXT) | instid1(VALU_DEP_3)
	v_fmac_f32_e32 v39, v3, v41
	v_fmac_f32_e32 v36, v3, v53
	s_waitcnt vmcnt(0)
	s_delay_alu instid0(VALU_DEP_3) | instskip(NEXT) | instid1(VALU_DEP_3)
	v_dual_fmac_f32 v37, v3, v49 :: v_dual_fmac_f32 v38, v4, v46
	v_fmac_f32_e32 v39, v4, v42
	s_delay_alu instid0(VALU_DEP_3) | instskip(NEXT) | instid1(VALU_DEP_3)
	v_fmac_f32_e32 v36, v4, v54
	v_fmac_f32_e32 v37, v4, v50
	s_and_not1_saveexec_b32 s43, s6
	s_cbranch_execz .LBB38_11
.LBB38_37:                              ;   in Loop: Header=BB38_9 Depth=1
	s_waitcnt lgkmcnt(0)
	v_dual_mov_b32 v36, 0 :: v_dual_mov_b32 v37, 0
	v_dual_mov_b32 v38, 0 :: v_dual_mov_b32 v39, 0
	s_and_saveexec_b32 s44, s3
	s_cbranch_execz .LBB38_44
; %bb.38:                               ;   in Loop: Header=BB38_9 Depth=1
	s_and_not1_b32 vcc_lo, exec_lo, s39
	s_cbranch_vccnz .LBB38_41
; %bb.39:                               ;   in Loop: Header=BB38_9 Depth=1
	v_mov_b32_e32 v18, v9
	s_mov_b64 s[30:31], 0
	.p2align	6
.LBB38_40:                              ;   Parent Loop BB38_9 Depth=1
                                        ; =>  This Inner Loop Header: Depth=2
	s_delay_alu instid0(VALU_DEP_1) | instskip(SKIP_1) | instid1(VALU_DEP_1)
	v_ashrrev_i32_e32 v19, 31, v18
	s_cmp_eq_u32 s30, 3
	v_lshlrev_b64 v[36:37], 2, v[18:19]
	v_add_nc_u32_e32 v18, s13, v18
	s_delay_alu instid0(VALU_DEP_2) | instskip(NEXT) | instid1(VALU_DEP_3)
	v_add_co_u32 v36, vcc_lo, s34, v36
	v_add_co_ci_u32_e32 v37, vcc_lo, s35, v37, vcc_lo
	s_cselect_b32 vcc_lo, -1, 0
	s_cmp_eq_u32 s30, 2
	s_cselect_b32 s6, -1, 0
	global_load_b32 v19, v[36:37], off
	s_cmp_eq_u32 s30, 1
	s_cselect_b32 s7, -1, 0
	s_cmp_eq_u32 s30, 0
	s_cselect_b32 s8, -1, 0
	s_add_u32 s30, s30, 1
	s_addc_u32 s31, s31, 0
	s_cmp_eq_u32 s36, s30
	s_waitcnt vmcnt(0)
	v_cndmask_b32_e32 v4, v4, v19, vcc_lo
	v_cndmask_b32_e64 v3, v3, v19, s6
	v_cndmask_b32_e64 v2, v2, v19, s7
	;; [unrolled: 1-line block ×3, first 2 shown]
	s_cbranch_scc0 .LBB38_40
.LBB38_41:                              ;   in Loop: Header=BB38_9 Depth=1
	v_dual_mov_b32 v36, 0 :: v_dual_mov_b32 v37, 0
	v_dual_mov_b32 v38, 0 :: v_dual_mov_b32 v39, 0
	s_and_not1_b32 vcc_lo, exec_lo, s39
	s_cbranch_vccnz .LBB38_44
; %bb.42:                               ;   in Loop: Header=BB38_9 Depth=1
	s_ashr_i32 s25, s24, 31
	v_dual_mov_b32 v39, 0 :: v_dual_mov_b32 v38, 0
	s_lshl_b64 s[6:7], s[24:25], 2
	v_dual_mov_b32 v37, 0 :: v_dual_mov_b32 v36, 0
	v_add_co_u32 v18, vcc_lo, v33, s6
	v_add_co_ci_u32_e32 v19, vcc_lo, s7, v34, vcc_lo
	s_mov_b64 s[30:31], 0
.LBB38_43:                              ;   Parent Loop BB38_9 Depth=1
                                        ; =>  This Inner Loop Header: Depth=2
	s_delay_alu instid0(SALU_CYCLE_1)
	s_cmp_eq_u32 s30, 1
	s_cselect_b32 vcc_lo, -1, 0
	s_cmp_eq_u32 s30, 2
	v_cndmask_b32_e32 v40, v1, v2, vcc_lo
	s_cselect_b32 vcc_lo, -1, 0
	s_cmp_eq_u32 s30, 3
	s_delay_alu instid0(VALU_DEP_1)
	v_cndmask_b32_e32 v46, v40, v3, vcc_lo
	s_cselect_b32 vcc_lo, -1, 0
	s_add_i32 s6, s28, s30
	s_add_i32 s46, s26, s30
	s_ashr_i32 s7, s6, 31
	s_ashr_i32 s47, s46, 31
	s_lshl_b64 s[6:7], s[6:7], 2
	s_add_i32 s48, s41, s30
	v_add_co_u32 v40, s6, v20, s6
	s_lshl_b64 s[46:47], s[46:47], 2
	s_ashr_i32 s49, s48, 31
	v_add_co_ci_u32_e64 v41, s6, s7, v21, s6
	v_add_co_u32 v42, s6, v20, s46
	s_lshl_b64 s[48:49], s[48:49], 2
	v_add_co_ci_u32_e64 v43, s6, s47, v21, s6
	v_add_co_u32 v44, s6, v20, s48
	s_delay_alu instid0(VALU_DEP_1)
	v_add_co_ci_u32_e64 v45, s6, s49, v21, s6
	global_load_b32 v47, v[18:19], off
	s_clause 0x2
	global_load_b32 v40, v[40:41], off
	global_load_b32 v41, v[42:43], off
	;; [unrolled: 1-line block ×3, first 2 shown]
	v_cndmask_b32_e32 v43, v46, v4, vcc_lo
	v_add_co_u32 v18, s6, v18, 4
	s_delay_alu instid0(VALU_DEP_1)
	v_add_co_ci_u32_e64 v19, s6, 0, v19, s6
	s_add_u32 s30, s30, 1
	s_addc_u32 s31, s31, 0
	s_cmp_lg_u32 s36, s30
	s_waitcnt vmcnt(3)
	v_fmac_f32_e32 v39, v43, v47
	s_waitcnt vmcnt(2)
	v_fmac_f32_e32 v38, v43, v40
	;; [unrolled: 2-line block ×4, first 2 shown]
	s_cbranch_scc1 .LBB38_43
.LBB38_44:                              ;   in Loop: Header=BB38_9 Depth=1
	s_or_b32 exec_lo, exec_lo, s44
	s_delay_alu instid0(SALU_CYCLE_1)
	s_or_b32 exec_lo, exec_lo, s43
	s_and_saveexec_b32 s6, s0
	s_cbranch_execnz .LBB38_12
	s_branch .LBB38_13
.LBB38_45:                              ;   in Loop: Header=BB38_9 Depth=1
	ds_load_b32 v18, v31
	s_or_b32 exec_lo, exec_lo, s6
	s_and_saveexec_b32 s6, s0
	s_cbranch_execz .LBB38_17
.LBB38_46:                              ;   in Loop: Header=BB38_9 Depth=1
	s_waitcnt lgkmcnt(0)
	ds_bpermute_b32 v19, v28, v18
	s_waitcnt lgkmcnt(0)
	v_add_f32_e32 v18, v18, v19
	ds_bpermute_b32 v19, v29, v18
	s_waitcnt lgkmcnt(0)
	v_add_f32_e32 v18, v18, v19
	;; [unrolled: 3-line block ×3, first 2 shown]
	s_or_b32 exec_lo, exec_lo, s6
	s_and_saveexec_b32 s6, s0
	s_cbranch_execnz .LBB38_18
	s_branch .LBB38_19
.LBB38_47:                              ;   in Loop: Header=BB38_9 Depth=1
	ds_load_b32 v19, v31
	s_or_b32 exec_lo, exec_lo, s6
	s_and_saveexec_b32 s6, s0
	s_cbranch_execz .LBB38_23
.LBB38_48:                              ;   in Loop: Header=BB38_9 Depth=1
	s_waitcnt lgkmcnt(0)
	ds_bpermute_b32 v38, v28, v19
	s_waitcnt lgkmcnt(0)
	v_add_f32_e32 v19, v19, v38
	ds_bpermute_b32 v38, v29, v19
	s_waitcnt lgkmcnt(0)
	v_add_f32_e32 v19, v19, v38
	;; [unrolled: 3-line block ×3, first 2 shown]
	s_or_b32 exec_lo, exec_lo, s6
	s_and_saveexec_b32 s6, s0
	s_cbranch_execnz .LBB38_24
	s_branch .LBB38_25
.LBB38_49:                              ;   in Loop: Header=BB38_9 Depth=1
	ds_load_b32 v37, v31
	s_or_b32 exec_lo, exec_lo, s6
	s_and_saveexec_b32 s6, s0
	s_cbranch_execz .LBB38_29
.LBB38_50:                              ;   in Loop: Header=BB38_9 Depth=1
	s_waitcnt lgkmcnt(0)
	ds_bpermute_b32 v38, v28, v37
	s_waitcnt lgkmcnt(0)
	v_add_f32_e32 v37, v37, v38
	ds_bpermute_b32 v38, v29, v37
	s_waitcnt lgkmcnt(0)
	v_add_f32_e32 v37, v37, v38
	;; [unrolled: 3-line block ×3, first 2 shown]
	s_or_b32 exec_lo, exec_lo, s6
	s_and_saveexec_b32 s6, s0
	s_cbranch_execnz .LBB38_30
	s_branch .LBB38_31
.LBB38_51:                              ;   in Loop: Header=BB38_9 Depth=1
	ds_load_b32 v36, v31
	s_or_b32 exec_lo, exec_lo, s6
	s_and_saveexec_b32 s6, s0
	s_cbranch_execz .LBB38_35
.LBB38_52:                              ;   in Loop: Header=BB38_9 Depth=1
	s_waitcnt lgkmcnt(0)
	ds_bpermute_b32 v38, v28, v36
	s_waitcnt lgkmcnt(0)
	v_add_f32_e32 v36, v36, v38
	ds_bpermute_b32 v38, v29, v36
	s_waitcnt lgkmcnt(0)
	v_add_f32_e32 v36, v36, v38
	;; [unrolled: 3-line block ×3, first 2 shown]
	s_or_b32 exec_lo, exec_lo, s6
	s_and_saveexec_b32 s6, s5
	s_cbranch_execz .LBB38_8
.LBB38_53:                              ;   in Loop: Header=BB38_9 Depth=1
	s_mul_i32 s7, s17, s12
	v_dual_mul_f32 v18, s33, v18 :: v_dual_mul_f32 v19, s33, v19
	s_add_i32 s8, s7, s14
	v_mul_f32_e32 v37, s33, v37
	s_lshl_b64 s[30:31], s[8:9], 2
	s_delay_alu instid0(SALU_CYCLE_1)
	s_add_u32 s30, s38, s30
	s_addc_u32 s31, s37, s31
	s_add_i32 s8, s8, s12
	global_store_b32 v35, v18, s[30:31]
	s_waitcnt lgkmcnt(0)
	v_mul_f32_e32 v18, s33, v36
	s_lshl_b64 s[44:45], s[8:9], 2
	s_delay_alu instid0(SALU_CYCLE_1) | instskip(SKIP_4) | instid1(SALU_CYCLE_1)
	s_add_u32 s44, s38, s44
	s_addc_u32 s45, s37, s45
	s_add_i32 s8, s8, s12
	global_store_b32 v35, v19, s[44:45]
	s_lshl_b64 s[46:47], s[8:9], 2
	s_add_u32 s30, s38, s46
	s_addc_u32 s31, s37, s47
	s_add_i32 s8, s8, s12
	s_delay_alu instid0(SALU_CYCLE_1) | instskip(NEXT) | instid1(SALU_CYCLE_1)
	s_lshl_b64 s[46:47], s[8:9], 2
	s_add_u32 s44, s38, s46
	s_addc_u32 s45, s37, s47
	s_clause 0x1
	global_store_b32 v35, v37, s[30:31]
	global_store_b32 v35, v18, s[44:45]
	s_branch .LBB38_8
.LBB38_54:
	s_mov_b32 s17, 0
                                        ; implicit-def: $vgpr1_vgpr2_vgpr3_vgpr4
.LBB38_55:
	s_delay_alu instid0(SALU_CYCLE_1)
	s_cmp_ge_i32 s17, s11
	s_cbranch_scc1 .LBB38_79
; %bb.56:
	v_cmp_gt_u32_e32 vcc_lo, 16, v22
	v_lshlrev_b32_e32 v17, 2, v6
	v_cmp_eq_u32_e64 s3, 0, v6
	v_ashrrev_i32_e32 v6, 31, v5
	v_cmp_ge_i32_e64 s0, s10, v24
	v_cndmask_b32_e64 v9, 0, 1, vcc_lo
	v_cmp_gt_u32_e32 vcc_lo, 24, v22
	v_cmp_ge_i32_e64 s1, s10, v25
	s_cmp_gt_i32 s36, 0
	s_mov_b32 s15, 0
	v_lshlrev_b32_e32 v9, 4, v9
	v_cndmask_b32_e64 v10, 0, 1, vcc_lo
	v_cmp_gt_u32_e32 vcc_lo, 28, v22
	s_cselect_b32 s9, -1, 0
	s_lshl_b64 s[6:7], s[14:15], 2
	v_add_lshl_u32 v18, v9, v22, 2
	v_add_nc_u32_e32 v9, s13, v5
	v_cndmask_b32_e64 v11, 0, 1, vcc_lo
	v_cmp_gt_u32_e32 vcc_lo, 30, v22
	v_lshlrev_b32_e32 v10, 3, v10
	s_add_u32 s10, s38, s6
	s_addc_u32 s14, s37, s7
	v_lshlrev_b32_e32 v11, 2, v11
	v_cndmask_b32_e64 v12, 0, 1, vcc_lo
	v_cmp_ne_u32_e32 vcc_lo, 31, v22
	v_add_lshl_u32 v19, v10, v22, 2
	v_ashrrev_i32_e32 v10, 31, v9
	v_add_lshl_u32 v24, v11, v22, 2
	v_add_nc_u32_e32 v11, s13, v9
	v_add_co_ci_u32_e32 v13, vcc_lo, 0, v22, vcc_lo
	v_lshlrev_b32_e32 v12, 1, v12
	v_lshlrev_b64 v[15:16], 2, v[9:10]
	s_delay_alu instid0(VALU_DEP_4) | instskip(NEXT) | instid1(VALU_DEP_4)
	v_add_nc_u32_e32 v26, s13, v11
	v_lshlrev_b32_e32 v25, 2, v13
	v_lshlrev_b64 v[13:14], 2, v[5:6]
	v_add_lshl_u32 v22, v12, v22, 2
	v_ashrrev_i32_e32 v12, 31, v11
	v_ashrrev_i32_e32 v27, 31, v26
	s_add_u32 s6, s18, s22
	s_addc_u32 s7, s19, s23
	v_add_co_u32 v9, vcc_lo, s34, v13
	v_add_co_ci_u32_e32 v10, vcc_lo, s35, v14, vcc_lo
	v_lshlrev_b64 v[13:14], 2, v[11:12]
	v_add_co_u32 v11, vcc_lo, s34, v15
	v_add_co_ci_u32_e32 v12, vcc_lo, s35, v16, vcc_lo
	v_lshlrev_b64 v[15:16], 2, v[26:27]
	v_mov_b32_e32 v26, 0
	v_add_co_u32 v13, vcc_lo, s34, v13
	v_add_co_ci_u32_e32 v14, vcc_lo, s35, v14, vcc_lo
	s_delay_alu instid0(VALU_DEP_4)
	v_add_co_u32 v15, vcc_lo, s34, v15
	s_add_u32 s6, s20, s6
	v_add_co_ci_u32_e32 v16, vcc_lo, s35, v16, vcc_lo
	v_cmp_gt_u32_e64 s2, 32, v0
	v_cmp_gt_u32_e64 s4, 8, v0
	v_cmp_eq_u32_e64 s5, 0, v0
	s_addc_u32 s7, s21, s7
	v_add_co_u32 v0, vcc_lo, s6, v7
	v_and_b32_e32 v23, 28, v23
	v_add_co_ci_u32_e32 v8, vcc_lo, s7, v8, vcc_lo
	s_waitcnt lgkmcnt(0)
	s_mul_i32 s18, s17, s16
	s_branch .LBB38_58
.LBB38_57:                              ;   in Loop: Header=BB38_58 Depth=1
	s_or_b32 exec_lo, exec_lo, s6
	s_add_i32 s17, s17, 1
	s_add_i32 s18, s18, s16
	s_cmp_ge_i32 s17, s11
	s_cbranch_scc1 .LBB38_79
.LBB38_58:                              ; =>This Loop Header: Depth=1
                                        ;     Child Loop BB38_71 Depth 2
                                        ;     Child Loop BB38_74 Depth 2
	v_mov_b32_e32 v27, s15
	s_and_saveexec_b32 s6, s0
	s_delay_alu instid0(SALU_CYCLE_1)
	s_xor_b32 s6, exec_lo, s6
	s_cbranch_execnz .LBB38_67
; %bb.59:                               ;   in Loop: Header=BB38_58 Depth=1
	s_and_not1_saveexec_b32 s22, s6
	s_cbranch_execnz .LBB38_68
.LBB38_60:                              ;   in Loop: Header=BB38_58 Depth=1
	s_or_b32 exec_lo, exec_lo, s22
	s_and_saveexec_b32 s6, s2
	s_cbranch_execz .LBB38_62
.LBB38_61:                              ;   in Loop: Header=BB38_58 Depth=1
	ds_store_b32 v17, v26
.LBB38_62:                              ;   in Loop: Header=BB38_58 Depth=1
	s_or_b32 exec_lo, exec_lo, s6
	s_waitcnt lgkmcnt(0)
	ds_bpermute_b32 v6, v18, v27
	s_waitcnt lgkmcnt(0)
	s_waitcnt_vscnt null, 0x0
	s_barrier
	buffer_gl0_inv
	v_add_f32_e32 v6, v27, v6
	ds_bpermute_b32 v7, v19, v6
	s_waitcnt lgkmcnt(0)
	v_add_f32_e32 v6, v6, v7
	ds_bpermute_b32 v7, v24, v6
	s_waitcnt lgkmcnt(0)
	;; [unrolled: 3-line block ×3, first 2 shown]
	v_add_f32_e32 v6, v6, v7
	ds_bpermute_b32 v7, v25, v6
	s_and_saveexec_b32 s6, s3
	s_cbranch_execz .LBB38_64
; %bb.63:                               ;   in Loop: Header=BB38_58 Depth=1
	s_waitcnt lgkmcnt(0)
	v_add_f32_e32 v6, v6, v7
	ds_store_b32 v23, v6
.LBB38_64:                              ;   in Loop: Header=BB38_58 Depth=1
	s_or_b32 exec_lo, exec_lo, s6
	v_mov_b32_e32 v6, 0
	s_waitcnt lgkmcnt(0)
	s_barrier
	buffer_gl0_inv
	s_and_saveexec_b32 s6, s4
	s_cbranch_execnz .LBB38_76
; %bb.65:                               ;   in Loop: Header=BB38_58 Depth=1
	s_or_b32 exec_lo, exec_lo, s6
	s_and_saveexec_b32 s6, s2
	s_cbranch_execnz .LBB38_77
.LBB38_66:                              ;   in Loop: Header=BB38_58 Depth=1
	s_or_b32 exec_lo, exec_lo, s6
	s_and_saveexec_b32 s6, s5
	s_cbranch_execz .LBB38_57
	s_branch .LBB38_78
.LBB38_67:                              ;   in Loop: Header=BB38_58 Depth=1
	s_mul_i32 s20, s17, s16
	s_delay_alu instid0(SALU_CYCLE_1) | instskip(NEXT) | instid1(SALU_CYCLE_1)
	s_ashr_i32 s21, s20, 31
	s_lshl_b64 s[20:21], s[20:21], 2
	s_delay_alu instid0(SALU_CYCLE_1)
	v_add_co_u32 v1, vcc_lo, v20, s20
	v_add_co_ci_u32_e32 v2, vcc_lo, s21, v21, vcc_lo
	global_load_b128 v[27:30], v[1:2], off
	s_clause 0x3
	global_load_b32 v1, v[9:10], off
	global_load_b32 v2, v[11:12], off
	;; [unrolled: 1-line block ×4, first 2 shown]
	s_waitcnt vmcnt(3)
	v_fma_f32 v27, v1, v27, 0
	s_waitcnt vmcnt(2)
	s_delay_alu instid0(VALU_DEP_1) | instskip(SKIP_1) | instid1(VALU_DEP_1)
	v_fmac_f32_e32 v27, v2, v28
	s_waitcnt vmcnt(1)
	v_fmac_f32_e32 v27, v3, v29
	s_waitcnt vmcnt(0)
	s_delay_alu instid0(VALU_DEP_1)
	v_fmac_f32_e32 v27, v4, v30
	s_and_not1_saveexec_b32 s22, s6
	s_cbranch_execz .LBB38_60
.LBB38_68:                              ;   in Loop: Header=BB38_58 Depth=1
	s_and_saveexec_b32 s23, s1
	s_cbranch_execz .LBB38_75
; %bb.69:                               ;   in Loop: Header=BB38_58 Depth=1
	s_and_not1_b32 vcc_lo, exec_lo, s9
	s_cbranch_vccnz .LBB38_72
; %bb.70:                               ;   in Loop: Header=BB38_58 Depth=1
	s_waitcnt lgkmcnt(0)
	v_mov_b32_e32 v6, v5
	s_mov_b64 s[20:21], 0
	.p2align	6
.LBB38_71:                              ;   Parent Loop BB38_58 Depth=1
                                        ; =>  This Inner Loop Header: Depth=2
	s_delay_alu instid0(VALU_DEP_1) | instskip(SKIP_1) | instid1(VALU_DEP_1)
	v_ashrrev_i32_e32 v7, 31, v6
	s_cmp_eq_u32 s20, 3
	v_lshlrev_b64 v[28:29], 2, v[6:7]
	v_add_nc_u32_e32 v6, s13, v6
	s_delay_alu instid0(VALU_DEP_2) | instskip(NEXT) | instid1(VALU_DEP_3)
	v_add_co_u32 v28, vcc_lo, s34, v28
	v_add_co_ci_u32_e32 v29, vcc_lo, s35, v29, vcc_lo
	s_cselect_b32 vcc_lo, -1, 0
	s_cmp_eq_u32 s20, 2
	s_cselect_b32 s6, -1, 0
	global_load_b32 v7, v[28:29], off
	s_cmp_eq_u32 s20, 1
	s_cselect_b32 s7, -1, 0
	s_cmp_eq_u32 s20, 0
	s_cselect_b32 s8, -1, 0
	s_add_u32 s20, s20, 1
	s_addc_u32 s21, s21, 0
	s_cmp_eq_u32 s36, s20
	s_waitcnt vmcnt(0)
	v_cndmask_b32_e32 v4, v4, v7, vcc_lo
	v_cndmask_b32_e64 v3, v3, v7, s6
	v_cndmask_b32_e64 v2, v2, v7, s7
	;; [unrolled: 1-line block ×3, first 2 shown]
	s_cbranch_scc0 .LBB38_71
.LBB38_72:                              ;   in Loop: Header=BB38_58 Depth=1
	s_and_not1_b32 vcc_lo, exec_lo, s9
	s_cbranch_vccnz .LBB38_75
; %bb.73:                               ;   in Loop: Header=BB38_58 Depth=1
	s_ashr_i32 s19, s18, 31
	s_delay_alu instid0(SALU_CYCLE_1)
	s_lshl_b64 s[6:7], s[18:19], 2
	s_waitcnt lgkmcnt(0)
	v_add_co_u32 v6, vcc_lo, v0, s6
	v_add_co_ci_u32_e32 v7, vcc_lo, s7, v8, vcc_lo
	s_mov_b64 s[6:7], 0
	.p2align	6
.LBB38_74:                              ;   Parent Loop BB38_58 Depth=1
                                        ; =>  This Inner Loop Header: Depth=2
	global_load_b32 v28, v[6:7], off
	s_cmp_eq_u32 s6, 1
	s_cselect_b32 vcc_lo, -1, 0
	s_cmp_eq_u32 s6, 2
	v_cndmask_b32_e32 v29, v1, v2, vcc_lo
	s_cselect_b32 vcc_lo, -1, 0
	s_cmp_eq_u32 s6, 3
	s_delay_alu instid0(VALU_DEP_1)
	v_cndmask_b32_e32 v29, v29, v3, vcc_lo
	s_cselect_b32 vcc_lo, -1, 0
	s_add_u32 s6, s6, 1
	s_addc_u32 s7, s7, 0
	s_cmp_lg_u32 s36, s6
	v_cndmask_b32_e32 v29, v29, v4, vcc_lo
	v_add_co_u32 v6, vcc_lo, v6, 4
	v_add_co_ci_u32_e32 v7, vcc_lo, 0, v7, vcc_lo
	s_waitcnt vmcnt(0)
	s_delay_alu instid0(VALU_DEP_3)
	v_fmac_f32_e32 v27, v29, v28
	s_cbranch_scc1 .LBB38_74
.LBB38_75:                              ;   in Loop: Header=BB38_58 Depth=1
	s_or_b32 exec_lo, exec_lo, s23
	s_delay_alu instid0(SALU_CYCLE_1)
	s_or_b32 exec_lo, exec_lo, s22
	s_and_saveexec_b32 s6, s2
	s_cbranch_execnz .LBB38_61
	s_branch .LBB38_62
.LBB38_76:                              ;   in Loop: Header=BB38_58 Depth=1
	ds_load_b32 v6, v17
	s_or_b32 exec_lo, exec_lo, s6
	s_and_saveexec_b32 s6, s2
	s_cbranch_execz .LBB38_66
.LBB38_77:                              ;   in Loop: Header=BB38_58 Depth=1
	s_waitcnt lgkmcnt(0)
	ds_bpermute_b32 v7, v24, v6
	s_waitcnt lgkmcnt(0)
	v_add_f32_e32 v6, v6, v7
	ds_bpermute_b32 v7, v22, v6
	s_waitcnt lgkmcnt(0)
	v_add_f32_e32 v6, v6, v7
	;; [unrolled: 3-line block ×3, first 2 shown]
	s_or_b32 exec_lo, exec_lo, s6
	s_and_saveexec_b32 s6, s5
	s_cbranch_execz .LBB38_57
.LBB38_78:                              ;   in Loop: Header=BB38_58 Depth=1
	s_mul_hi_u32 s21, s17, s12
	s_mul_i32 s20, s17, s12
	s_waitcnt lgkmcnt(0)
	v_mul_f32_e32 v6, s33, v6
	s_lshl_b64 s[20:21], s[20:21], 2
	s_delay_alu instid0(SALU_CYCLE_1)
	s_add_u32 s20, s10, s20
	s_addc_u32 s21, s14, s21
	global_store_b32 v26, v6, s[20:21]
	s_branch .LBB38_57
.LBB38_79:
	s_nop 0
	s_sendmsg sendmsg(MSG_DEALLOC_VGPRS)
	s_endpgm
	.section	.rodata,"a",@progbits
	.p2align	6, 0x0
	.amdhsa_kernel _ZL23rocblas_gemvt_sn_kernelILb1ELi256ELi4EifPKffEviiT4_lPKT3_lilS5_lilPT5_i
		.amdhsa_group_segment_fixed_size 128
		.amdhsa_private_segment_fixed_size 0
		.amdhsa_kernarg_size 360
		.amdhsa_user_sgpr_count 14
		.amdhsa_user_sgpr_dispatch_ptr 0
		.amdhsa_user_sgpr_queue_ptr 0
		.amdhsa_user_sgpr_kernarg_segment_ptr 1
		.amdhsa_user_sgpr_dispatch_id 0
		.amdhsa_user_sgpr_private_segment_size 0
		.amdhsa_wavefront_size32 1
		.amdhsa_uses_dynamic_stack 0
		.amdhsa_enable_private_segment 0
		.amdhsa_system_sgpr_workgroup_id_x 1
		.amdhsa_system_sgpr_workgroup_id_y 0
		.amdhsa_system_sgpr_workgroup_id_z 1
		.amdhsa_system_sgpr_workgroup_info 0
		.amdhsa_system_vgpr_workitem_id 0
		.amdhsa_next_free_vgpr 55
		.amdhsa_next_free_sgpr 50
		.amdhsa_reserve_vcc 1
		.amdhsa_float_round_mode_32 0
		.amdhsa_float_round_mode_16_64 0
		.amdhsa_float_denorm_mode_32 3
		.amdhsa_float_denorm_mode_16_64 3
		.amdhsa_dx10_clamp 1
		.amdhsa_ieee_mode 1
		.amdhsa_fp16_overflow 0
		.amdhsa_workgroup_processor_mode 1
		.amdhsa_memory_ordered 1
		.amdhsa_forward_progress 0
		.amdhsa_shared_vgpr_count 0
		.amdhsa_exception_fp_ieee_invalid_op 0
		.amdhsa_exception_fp_denorm_src 0
		.amdhsa_exception_fp_ieee_div_zero 0
		.amdhsa_exception_fp_ieee_overflow 0
		.amdhsa_exception_fp_ieee_underflow 0
		.amdhsa_exception_fp_ieee_inexact 0
		.amdhsa_exception_int_div_zero 0
	.end_amdhsa_kernel
	.section	.text._ZL23rocblas_gemvt_sn_kernelILb1ELi256ELi4EifPKffEviiT4_lPKT3_lilS5_lilPT5_i,"axG",@progbits,_ZL23rocblas_gemvt_sn_kernelILb1ELi256ELi4EifPKffEviiT4_lPKT3_lilS5_lilPT5_i,comdat
.Lfunc_end38:
	.size	_ZL23rocblas_gemvt_sn_kernelILb1ELi256ELi4EifPKffEviiT4_lPKT3_lilS5_lilPT5_i, .Lfunc_end38-_ZL23rocblas_gemvt_sn_kernelILb1ELi256ELi4EifPKffEviiT4_lPKT3_lilS5_lilPT5_i
                                        ; -- End function
	.section	.AMDGPU.csdata,"",@progbits
; Kernel info:
; codeLenInByte = 4160
; NumSgprs: 52
; NumVgprs: 55
; ScratchSize: 0
; MemoryBound: 0
; FloatMode: 240
; IeeeMode: 1
; LDSByteSize: 128 bytes/workgroup (compile time only)
; SGPRBlocks: 6
; VGPRBlocks: 6
; NumSGPRsForWavesPerEU: 52
; NumVGPRsForWavesPerEU: 55
; Occupancy: 16
; WaveLimiterHint : 1
; COMPUTE_PGM_RSRC2:SCRATCH_EN: 0
; COMPUTE_PGM_RSRC2:USER_SGPR: 14
; COMPUTE_PGM_RSRC2:TRAP_HANDLER: 0
; COMPUTE_PGM_RSRC2:TGID_X_EN: 1
; COMPUTE_PGM_RSRC2:TGID_Y_EN: 0
; COMPUTE_PGM_RSRC2:TGID_Z_EN: 1
; COMPUTE_PGM_RSRC2:TIDIG_COMP_CNT: 0
	.section	.text._ZL23rocblas_gemvt_sn_kernelILb1ELi256ELi4ElfPKffEviiT4_lPKT3_lilS5_lilPT5_i,"axG",@progbits,_ZL23rocblas_gemvt_sn_kernelILb1ELi256ELi4ElfPKffEviiT4_lPKT3_lilS5_lilPT5_i,comdat
	.globl	_ZL23rocblas_gemvt_sn_kernelILb1ELi256ELi4ElfPKffEviiT4_lPKT3_lilS5_lilPT5_i ; -- Begin function _ZL23rocblas_gemvt_sn_kernelILb1ELi256ELi4ElfPKffEviiT4_lPKT3_lilS5_lilPT5_i
	.p2align	8
	.type	_ZL23rocblas_gemvt_sn_kernelILb1ELi256ELi4ElfPKffEviiT4_lPKT3_lilS5_lilPT5_i,@function
_ZL23rocblas_gemvt_sn_kernelILb1ELi256ELi4ElfPKffEviiT4_lPKT3_lilS5_lilPT5_i: ; @_ZL23rocblas_gemvt_sn_kernelILb1ELi256ELi4ElfPKffEviiT4_lPKT3_lilS5_lilPT5_i
; %bb.0:
	s_clause 0x1
	s_load_b256 s[16:23], s[0:1], 0x8
	s_load_b64 s[12:13], s[0:1], 0x0
	s_waitcnt lgkmcnt(0)
	s_mul_i32 s3, s15, s19
	s_mul_hi_u32 s4, s15, s18
	s_mul_i32 s2, s15, s18
	s_add_i32 s3, s4, s3
	s_load_b32 s18, s[0:1], 0x68
	s_lshl_b64 s[2:3], s[2:3], 2
	s_mul_i32 s8, s13, s15
	s_add_u32 s2, s16, s2
	s_addc_u32 s3, s17, s3
	s_load_b32 s33, s[2:3], 0x0
	s_load_b128 s[4:7], s[0:1], 0x50
	s_ashr_i32 s34, s13, 31
	s_mul_hi_u32 s2, s13, s15
	s_mul_i32 s3, s34, s15
	s_mov_b32 s19, 0
	s_add_i32 s2, s2, s3
	s_waitcnt lgkmcnt(0)
	s_mul_hi_u32 s3, s8, s18
	s_mul_i32 s9, s2, s18
	s_mul_i32 s2, s8, s18
	s_add_i32 s3, s3, s9
	v_cmp_neq_f32_e64 s8, s33, 0
	s_lshl_b64 s[2:3], s[2:3], 2
	s_delay_alu instid0(SALU_CYCLE_1)
	s_add_u32 s44, s6, s2
	v_cmp_eq_u32_e64 s2, 0, v0
	s_addc_u32 s45, s7, s3
	s_and_b32 vcc_lo, exec_lo, s8
	s_cbranch_vccnz .LBB39_5
; %bb.1:
	s_cmp_gt_i32 s13, 0
	s_cselect_b32 s3, -1, 0
	s_delay_alu instid0(SALU_CYCLE_1) | instskip(NEXT) | instid1(SALU_CYCLE_1)
	s_and_b32 s2, s2, s3
	s_and_saveexec_b32 s8, s2
	s_cbranch_execz .LBB39_4
; %bb.2:
	s_mov_b32 s2, s15
	s_mov_b32 s15, 0
	v_mov_b32_e32 v1, 0
	s_lshl_b64 s[6:7], s[14:15], 2
	s_mov_b32 s15, s2
	s_add_u32 s2, s44, s6
	s_addc_u32 s3, s45, s7
	s_lshl_b64 s[6:7], s[18:19], 2
	s_mov_b32 s9, s13
.LBB39_3:                               ; =>This Inner Loop Header: Depth=1
	s_delay_alu instid0(SALU_CYCLE_1)
	s_add_i32 s9, s9, -1
	global_store_b32 v1, v1, s[2:3]
	s_add_u32 s2, s2, s6
	s_addc_u32 s3, s3, s7
	s_cmp_eq_u32 s9, 0
	s_cbranch_scc0 .LBB39_3
.LBB39_4:
	s_or_b32 exec_lo, exec_lo, s8
	s_cbranch_execz .LBB39_6
	s_branch .LBB39_79
.LBB39_5:
.LBB39_6:
	s_clause 0x3
	s_load_b32 s16, s[0:1], 0x28
	s_load_b32 s24, s[0:1], 0x48
	s_load_b128 s[8:11], s[0:1], 0x30
	s_load_b64 s[0:1], s[0:1], 0x40
	s_mul_i32 s3, s15, s5
	s_mul_hi_u32 s5, s15, s4
	s_mul_i32 s2, s15, s4
	s_add_i32 s3, s5, s3
	v_and_b32_e32 v24, 31, v0
	s_lshl_b64 s[26:27], s[2:3], 2
	v_mbcnt_lo_u32_b32 v27, -1, 0
	v_lshrrev_b32_e32 v29, 3, v0
	s_waitcnt lgkmcnt(0)
	s_ashr_i32 s17, s16, 31
	s_ashr_i32 s25, s24, 31
	s_add_u32 s5, s10, s26
	s_addc_u32 s6, s11, s27
	s_lshl_b64 s[30:31], s[0:1], 2
	s_mul_i32 s3, s15, s9
	s_mul_hi_u32 s4, s15, s8
	s_add_u32 s46, s5, s30
	s_mul_i32 s2, s15, s8
	s_addc_u32 s47, s6, s31
	s_add_i32 s3, s4, s3
	v_cmp_gt_u32_e64 s0, 32, v0
	s_lshl_b64 s[28:29], s[2:3], 2
	v_cmp_gt_u32_e64 s1, 8, v0
	s_add_u32 s2, s20, s28
	s_addc_u32 s3, s21, s29
	s_lshl_b64 s[22:23], s[22:23], 2
	s_delay_alu instid0(SALU_CYCLE_1)
	s_add_u32 s2, s2, s22
	s_addc_u32 s3, s3, s23
	s_lshl_b32 s4, s14, 10
	s_ashr_i32 s5, s12, 31
	v_lshl_or_b32 v9, v0, 2, s4
	s_lshr_b32 s4, s34, 30
	s_lshr_b32 s5, s5, 30
	s_add_i32 s4, s13, s4
	s_add_i32 s5, s12, s5
	v_ashrrev_i32_e32 v10, 31, v9
	s_and_b32 s48, s4, -4
	s_and_b32 s4, s5, -4
	v_add_nc_u32_e32 v30, 4, v9
	s_sub_i32 s19, s12, s4
	v_lshlrev_b64 v[7:8], 2, v[9:10]
	v_or_b32_e32 v28, 1, v9
	v_or_b32_e32 v26, 2, v9
	v_add_nc_u32_e32 v31, s19, v9
	v_or_b32_e32 v25, 3, v9
	s_cmp_lt_i32 s48, 1
	v_add_co_u32 v5, vcc_lo, s2, v7
	v_add_co_ci_u32_e32 v6, vcc_lo, s3, v8, vcc_lo
	s_cbranch_scc1 .LBB39_54
; %bb.7:
	v_cmp_gt_u32_e32 vcc_lo, 16, v27
	v_mad_i64_i32 v[12:13], null, s24, v26, 0
	v_mad_i64_i32 v[14:15], null, s24, v25, 0
	v_cndmask_b32_e64 v1, 0, 1, vcc_lo
	v_cmp_gt_u32_e32 vcc_lo, 24, v27
	s_mov_b32 s15, 0
	s_cmp_gt_i32 s19, 0
	s_delay_alu instid0(VALU_DEP_4)
	v_lshlrev_b64 v[16:17], 2, v[12:13]
	v_lshlrev_b32_e32 v1, 4, v1
	v_cndmask_b32_e64 v2, 0, 1, vcc_lo
	v_cmp_gt_u32_e32 vcc_lo, 28, v27
	s_cselect_b32 s49, -1, 0
	s_lshl_b64 s[6:7], s[14:15], 2
	s_delay_alu instid0(VALU_DEP_2)
	v_dual_mov_b32 v39, 0 :: v_dual_lshlrev_b32 v2, 3, v2
	v_cndmask_b32_e64 v3, 0, 1, vcc_lo
	v_cmp_gt_u32_e32 vcc_lo, 30, v27
	s_add_u32 s50, s44, s6
	s_addc_u32 s51, s45, s7
	v_add_lshl_u32 v33, v2, v27, 2
	v_lshlrev_b32_e32 v3, 2, v3
	v_cndmask_b32_e64 v4, 0, 1, vcc_lo
	v_cmp_ne_u32_e32 vcc_lo, 31, v27
	v_dual_mov_b32 v21, v6 :: v_dual_mov_b32 v20, v5
	v_add_lshl_u32 v32, v1, v27, 2
	s_delay_alu instid0(VALU_DEP_4) | instskip(SKIP_3) | instid1(VALU_DEP_4)
	v_lshlrev_b32_e32 v4, 1, v4
	v_mad_i64_i32 v[1:2], null, s24, v9, 0
	v_add_lshl_u32 v34, v3, v27, 2
	v_add_co_ci_u32_e32 v10, vcc_lo, 0, v27, vcc_lo
	v_add_lshl_u32 v35, v4, v27, 2
	v_mad_i64_i32 v[3:4], null, s24, v28, 0
	v_lshlrev_b64 v[1:2], 2, v[1:2]
	s_delay_alu instid0(VALU_DEP_4) | instskip(SKIP_4) | instid1(VALU_DEP_3)
	v_lshlrev_b32_e32 v36, 2, v10
	s_add_u32 s6, s10, s30
	s_addc_u32 s7, s11, s31
	s_add_u32 s6, s6, s26
	s_addc_u32 s7, s7, s27
	v_lshlrev_b64 v[3:4], 2, v[3:4]
	v_add_co_u32 v10, vcc_lo, s46, v1
	v_add_co_ci_u32_e32 v11, vcc_lo, s47, v2, vcc_lo
	v_cmp_ge_i32_e64 s2, s12, v30
	s_delay_alu instid0(VALU_DEP_4)
	v_add_co_u32 v12, vcc_lo, s46, v3
	v_add_co_ci_u32_e32 v13, vcc_lo, s47, v4, vcc_lo
	v_lshlrev_b64 v[3:4], 2, v[14:15]
	v_add_co_u32 v14, vcc_lo, s46, v16
	v_add_co_ci_u32_e32 v15, vcc_lo, s47, v17, vcc_lo
	v_cmp_ge_i32_e64 s3, s12, v31
	s_delay_alu instid0(VALU_DEP_4)
	v_add_co_u32 v16, vcc_lo, s46, v3
	v_add_co_ci_u32_e32 v17, vcc_lo, s47, v4, vcc_lo
	v_add_co_u32 v18, vcc_lo, s6, v1
	v_cmp_eq_u32_e64 s4, 0, v24
	v_lshlrev_b32_e32 v37, 2, v24
	v_and_b32_e32 v38, 28, v29
	v_cmp_eq_u32_e64 s5, 0, v0
	v_add_co_ci_u32_e32 v19, vcc_lo, s7, v2, vcc_lo
	s_lshl_b64 s[34:35], s[24:25], 2
	s_lshl_b64 s[36:37], s[16:17], 4
	s_lshl_b64 s[38:39], s[16:17], 2
	s_lshl_b64 s[40:41], s[16:17], 3
	s_mul_hi_i32 s52, s16, 12
	s_mul_i32 s53, s16, 12
                                        ; implicit-def: $vgpr1_vgpr2_vgpr3_vgpr4
	s_branch .LBB39_9
.LBB39_8:                               ;   in Loop: Header=BB39_9 Depth=1
	s_or_b32 exec_lo, exec_lo, s6
	v_add_co_u32 v20, vcc_lo, v20, s36
	v_add_co_ci_u32_e32 v21, vcc_lo, s37, v21, vcc_lo
	s_add_i32 s15, s15, 4
	s_delay_alu instid0(SALU_CYCLE_1)
	s_cmp_ge_i32 s15, s48
	s_cbranch_scc1 .LBB39_55
.LBB39_9:                               ; =>This Loop Header: Depth=1
                                        ;     Child Loop BB39_40 Depth 2
                                        ;     Child Loop BB39_43 Depth 2
                                        ; implicit-def: $vgpr40
                                        ; implicit-def: $vgpr41
                                        ; implicit-def: $vgpr42
                                        ; implicit-def: $vgpr43
	s_and_saveexec_b32 s6, s2
	s_delay_alu instid0(SALU_CYCLE_1)
	s_xor_b32 s6, exec_lo, s6
	s_cbranch_execnz .LBB39_36
; %bb.10:                               ;   in Loop: Header=BB39_9 Depth=1
	s_and_not1_saveexec_b32 s54, s6
	s_cbranch_execnz .LBB39_37
.LBB39_11:                              ;   in Loop: Header=BB39_9 Depth=1
	s_or_b32 exec_lo, exec_lo, s54
	s_and_saveexec_b32 s6, s0
	s_cbranch_execz .LBB39_13
.LBB39_12:                              ;   in Loop: Header=BB39_9 Depth=1
	ds_store_b32 v37, v39
.LBB39_13:                              ;   in Loop: Header=BB39_9 Depth=1
	s_or_b32 exec_lo, exec_lo, s6
	ds_bpermute_b32 v22, v32, v43
	s_waitcnt lgkmcnt(0)
	s_waitcnt_vscnt null, 0x0
	s_barrier
	buffer_gl0_inv
	v_add_f32_e32 v22, v43, v22
	ds_bpermute_b32 v23, v33, v22
	s_waitcnt lgkmcnt(0)
	v_add_f32_e32 v22, v22, v23
	ds_bpermute_b32 v23, v34, v22
	s_waitcnt lgkmcnt(0)
	;; [unrolled: 3-line block ×3, first 2 shown]
	v_add_f32_e32 v22, v22, v23
	ds_bpermute_b32 v23, v36, v22
	s_and_saveexec_b32 s6, s4
	s_cbranch_execz .LBB39_15
; %bb.14:                               ;   in Loop: Header=BB39_9 Depth=1
	s_waitcnt lgkmcnt(0)
	v_add_f32_e32 v22, v22, v23
	ds_store_b32 v38, v22
.LBB39_15:                              ;   in Loop: Header=BB39_9 Depth=1
	s_or_b32 exec_lo, exec_lo, s6
	v_mov_b32_e32 v22, 0
	s_waitcnt lgkmcnt(0)
	s_barrier
	buffer_gl0_inv
	s_and_saveexec_b32 s6, s1
	s_cbranch_execnz .LBB39_45
; %bb.16:                               ;   in Loop: Header=BB39_9 Depth=1
	s_or_b32 exec_lo, exec_lo, s6
	s_and_saveexec_b32 s6, s0
	s_cbranch_execnz .LBB39_46
.LBB39_17:                              ;   in Loop: Header=BB39_9 Depth=1
	s_or_b32 exec_lo, exec_lo, s6
	s_and_saveexec_b32 s6, s0
	s_cbranch_execz .LBB39_19
.LBB39_18:                              ;   in Loop: Header=BB39_9 Depth=1
	ds_store_b32 v37, v39
.LBB39_19:                              ;   in Loop: Header=BB39_9 Depth=1
	s_or_b32 exec_lo, exec_lo, s6
	ds_bpermute_b32 v23, v32, v42
	s_waitcnt lgkmcnt(0)
	s_barrier
	buffer_gl0_inv
	v_add_f32_e32 v23, v42, v23
	ds_bpermute_b32 v42, v33, v23
	s_waitcnt lgkmcnt(0)
	v_add_f32_e32 v23, v23, v42
	ds_bpermute_b32 v42, v34, v23
	s_waitcnt lgkmcnt(0)
	;; [unrolled: 3-line block ×3, first 2 shown]
	v_add_f32_e32 v23, v23, v42
	ds_bpermute_b32 v42, v36, v23
	s_and_saveexec_b32 s6, s4
	s_cbranch_execz .LBB39_21
; %bb.20:                               ;   in Loop: Header=BB39_9 Depth=1
	s_waitcnt lgkmcnt(0)
	v_add_f32_e32 v23, v23, v42
	ds_store_b32 v38, v23
.LBB39_21:                              ;   in Loop: Header=BB39_9 Depth=1
	s_or_b32 exec_lo, exec_lo, s6
	v_mov_b32_e32 v23, 0
	s_waitcnt lgkmcnt(0)
	s_barrier
	buffer_gl0_inv
	s_and_saveexec_b32 s6, s1
	s_cbranch_execnz .LBB39_47
; %bb.22:                               ;   in Loop: Header=BB39_9 Depth=1
	s_or_b32 exec_lo, exec_lo, s6
	s_and_saveexec_b32 s6, s0
	s_cbranch_execnz .LBB39_48
.LBB39_23:                              ;   in Loop: Header=BB39_9 Depth=1
	s_or_b32 exec_lo, exec_lo, s6
	s_and_saveexec_b32 s6, s0
	s_cbranch_execz .LBB39_25
.LBB39_24:                              ;   in Loop: Header=BB39_9 Depth=1
	ds_store_b32 v37, v39
.LBB39_25:                              ;   in Loop: Header=BB39_9 Depth=1
	s_or_b32 exec_lo, exec_lo, s6
	ds_bpermute_b32 v42, v32, v41
	s_waitcnt lgkmcnt(0)
	s_barrier
	buffer_gl0_inv
	v_add_f32_e32 v41, v41, v42
	ds_bpermute_b32 v42, v33, v41
	s_waitcnt lgkmcnt(0)
	v_add_f32_e32 v41, v41, v42
	ds_bpermute_b32 v42, v34, v41
	s_waitcnt lgkmcnt(0)
	;; [unrolled: 3-line block ×3, first 2 shown]
	v_add_f32_e32 v41, v41, v42
	ds_bpermute_b32 v42, v36, v41
	s_and_saveexec_b32 s6, s4
	s_cbranch_execz .LBB39_27
; %bb.26:                               ;   in Loop: Header=BB39_9 Depth=1
	s_waitcnt lgkmcnt(0)
	v_add_f32_e32 v41, v41, v42
	ds_store_b32 v38, v41
.LBB39_27:                              ;   in Loop: Header=BB39_9 Depth=1
	s_or_b32 exec_lo, exec_lo, s6
	v_mov_b32_e32 v41, 0
	s_waitcnt lgkmcnt(0)
	s_barrier
	buffer_gl0_inv
	s_and_saveexec_b32 s6, s1
	s_cbranch_execnz .LBB39_49
; %bb.28:                               ;   in Loop: Header=BB39_9 Depth=1
	s_or_b32 exec_lo, exec_lo, s6
	s_and_saveexec_b32 s6, s0
	s_cbranch_execnz .LBB39_50
.LBB39_29:                              ;   in Loop: Header=BB39_9 Depth=1
	s_or_b32 exec_lo, exec_lo, s6
	s_and_saveexec_b32 s6, s0
	s_cbranch_execz .LBB39_31
.LBB39_30:                              ;   in Loop: Header=BB39_9 Depth=1
	ds_store_b32 v37, v39
.LBB39_31:                              ;   in Loop: Header=BB39_9 Depth=1
	s_or_b32 exec_lo, exec_lo, s6
	ds_bpermute_b32 v42, v32, v40
	s_waitcnt lgkmcnt(0)
	s_barrier
	buffer_gl0_inv
	v_add_f32_e32 v40, v40, v42
	ds_bpermute_b32 v42, v33, v40
	s_waitcnt lgkmcnt(0)
	v_add_f32_e32 v40, v40, v42
	ds_bpermute_b32 v42, v34, v40
	s_waitcnt lgkmcnt(0)
	;; [unrolled: 3-line block ×3, first 2 shown]
	v_add_f32_e32 v40, v40, v42
	ds_bpermute_b32 v42, v36, v40
	s_and_saveexec_b32 s6, s4
	s_cbranch_execz .LBB39_33
; %bb.32:                               ;   in Loop: Header=BB39_9 Depth=1
	s_waitcnt lgkmcnt(0)
	v_add_f32_e32 v40, v40, v42
	ds_store_b32 v38, v40
.LBB39_33:                              ;   in Loop: Header=BB39_9 Depth=1
	s_or_b32 exec_lo, exec_lo, s6
	v_mov_b32_e32 v40, 0
	s_waitcnt lgkmcnt(0)
	s_barrier
	buffer_gl0_inv
	s_and_saveexec_b32 s6, s1
	s_cbranch_execnz .LBB39_51
; %bb.34:                               ;   in Loop: Header=BB39_9 Depth=1
	s_or_b32 exec_lo, exec_lo, s6
	s_and_saveexec_b32 s6, s0
	s_cbranch_execnz .LBB39_52
.LBB39_35:                              ;   in Loop: Header=BB39_9 Depth=1
	s_or_b32 exec_lo, exec_lo, s6
	s_and_saveexec_b32 s6, s5
	s_cbranch_execz .LBB39_8
	s_branch .LBB39_53
.LBB39_36:                              ;   in Loop: Header=BB39_9 Depth=1
	s_mul_i32 s7, s15, s17
	s_mul_hi_u32 s8, s15, s16
	s_delay_alu instid0(SALU_CYCLE_1)
	s_add_i32 s9, s8, s7
	s_mul_i32 s8, s15, s16
	s_or_b32 s7, s15, 1
	s_lshl_b64 s[8:9], s[8:9], 2
	s_mul_i32 s42, s7, s17
	s_mul_hi_u32 s43, s7, s16
	v_add_co_u32 v2, vcc_lo, v5, s8
	v_add_co_ci_u32_e32 v3, vcc_lo, s9, v6, vcc_lo
	s_add_i32 s9, s43, s42
	s_mul_i32 s8, s7, s16
	s_or_b32 s7, s15, 2
	s_lshl_b64 s[8:9], s[8:9], 2
	s_mul_i32 s42, s7, s17
	s_mul_hi_u32 s43, s7, s16
	v_add_co_u32 v22, vcc_lo, v5, s8
	v_add_co_ci_u32_e32 v23, vcc_lo, s9, v6, vcc_lo
	s_add_i32 s9, s43, s42
	s_or_b32 s42, s15, 3
	s_mul_i32 s8, s7, s16
	s_mul_i32 s7, s42, s17
	s_mul_hi_u32 s43, s42, s16
	s_lshl_b64 s[8:9], s[8:9], 2
	s_add_i32 s43, s43, s7
	s_mul_i32 s42, s42, s16
	s_waitcnt lgkmcnt(0)
	v_add_co_u32 v40, vcc_lo, v5, s8
	v_add_co_ci_u32_e32 v41, vcc_lo, s9, v6, vcc_lo
	s_lshl_b64 s[8:9], s[42:43], 2
	s_delay_alu instid0(SALU_CYCLE_1)
	v_add_co_u32 v55, vcc_lo, v5, s8
	v_add_co_ci_u32_e32 v56, vcc_lo, s9, v6, vcc_lo
	global_load_b32 v1, v[10:11], off
	s_clause 0x3
	global_load_b128 v[43:46], v[2:3], off
	global_load_b128 v[47:50], v[22:23], off
	;; [unrolled: 1-line block ×4, first 2 shown]
	s_clause 0x2
	global_load_b32 v2, v[12:13], off
	global_load_b32 v3, v[14:15], off
	;; [unrolled: 1-line block ×3, first 2 shown]
	s_waitcnt vmcnt(6)
	v_fma_f32 v43, v1, v43, 0
	s_waitcnt vmcnt(5)
	v_fma_f32 v42, v1, v47, 0
	s_waitcnt vmcnt(4)
	v_fma_f32 v41, v1, v51, 0
	s_waitcnt vmcnt(3)
	v_fma_f32 v40, v1, v55, 0
	s_waitcnt vmcnt(2)
	v_fmac_f32_e32 v42, v2, v48
	v_fmac_f32_e32 v43, v2, v44
	s_delay_alu instid0(VALU_DEP_3) | instskip(SKIP_1) | instid1(VALU_DEP_3)
	v_fmac_f32_e32 v40, v2, v56
	s_waitcnt vmcnt(1)
	v_dual_fmac_f32 v41, v2, v52 :: v_dual_fmac_f32 v42, v3, v49
	s_delay_alu instid0(VALU_DEP_3) | instskip(NEXT) | instid1(VALU_DEP_3)
	v_fmac_f32_e32 v43, v3, v45
	v_fmac_f32_e32 v40, v3, v57
	s_waitcnt vmcnt(0)
	s_delay_alu instid0(VALU_DEP_3) | instskip(NEXT) | instid1(VALU_DEP_3)
	v_dual_fmac_f32 v41, v3, v53 :: v_dual_fmac_f32 v42, v4, v50
	v_fmac_f32_e32 v43, v4, v46
	s_delay_alu instid0(VALU_DEP_3) | instskip(NEXT) | instid1(VALU_DEP_3)
	v_fmac_f32_e32 v40, v4, v58
	v_fmac_f32_e32 v41, v4, v54
	s_and_not1_saveexec_b32 s54, s6
	s_cbranch_execz .LBB39_11
.LBB39_37:                              ;   in Loop: Header=BB39_9 Depth=1
	s_waitcnt lgkmcnt(0)
	v_dual_mov_b32 v40, 0 :: v_dual_mov_b32 v41, 0
	v_dual_mov_b32 v42, 0 :: v_dual_mov_b32 v43, 0
	s_and_saveexec_b32 s55, s3
	s_cbranch_execz .LBB39_44
; %bb.38:                               ;   in Loop: Header=BB39_9 Depth=1
	s_and_not1_b32 vcc_lo, exec_lo, s49
	s_cbranch_vccnz .LBB39_41
; %bb.39:                               ;   in Loop: Header=BB39_9 Depth=1
	v_dual_mov_b32 v23, v19 :: v_dual_mov_b32 v22, v18
	s_mov_b64 s[42:43], 0
	.p2align	6
.LBB39_40:                              ;   Parent Loop BB39_9 Depth=1
                                        ; =>  This Inner Loop Header: Depth=2
	global_load_b32 v40, v[22:23], off
	v_add_co_u32 v22, vcc_lo, v22, s34
	s_cmp_eq_u32 s42, 3
	v_add_co_ci_u32_e32 v23, vcc_lo, s35, v23, vcc_lo
	s_cselect_b32 vcc_lo, -1, 0
	s_cmp_eq_u32 s42, 2
	s_cselect_b32 s6, -1, 0
	s_cmp_eq_u32 s42, 1
	s_cselect_b32 s7, -1, 0
	;; [unrolled: 2-line block ×3, first 2 shown]
	s_add_u32 s42, s42, 1
	s_addc_u32 s43, s43, 0
	s_cmp_eq_u32 s19, s42
	s_waitcnt vmcnt(0)
	v_cndmask_b32_e32 v4, v4, v40, vcc_lo
	v_cndmask_b32_e64 v3, v3, v40, s6
	v_cndmask_b32_e64 v2, v2, v40, s7
	;; [unrolled: 1-line block ×3, first 2 shown]
	s_cbranch_scc0 .LBB39_40
.LBB39_41:                              ;   in Loop: Header=BB39_9 Depth=1
	v_dual_mov_b32 v40, 0 :: v_dual_mov_b32 v41, 0
	v_dual_mov_b32 v42, 0 :: v_dual_mov_b32 v43, 0
	s_and_not1_b32 vcc_lo, exec_lo, s49
	s_cbranch_vccnz .LBB39_44
; %bb.42:                               ;   in Loop: Header=BB39_9 Depth=1
	v_dual_mov_b32 v23, v21 :: v_dual_mov_b32 v42, 0
	v_dual_mov_b32 v43, 0 :: v_dual_mov_b32 v22, v20
	;; [unrolled: 1-line block ×3, first 2 shown]
	s_mov_b64 s[8:9], 0
	s_set_inst_prefetch_distance 0x1
	.p2align	6
.LBB39_43:                              ;   Parent Loop BB39_9 Depth=1
                                        ; =>  This Inner Loop Header: Depth=2
	s_delay_alu instid0(VALU_DEP_2)
	v_add_co_u32 v44, vcc_lo, v22, s38
	v_add_co_ci_u32_e32 v45, vcc_lo, s39, v23, vcc_lo
	v_add_co_u32 v46, vcc_lo, v22, s40
	v_add_co_ci_u32_e32 v47, vcc_lo, s41, v23, vcc_lo
	;; [unrolled: 2-line block ×3, first 2 shown]
	s_clause 0x3
	global_load_b32 v50, v[22:23], off
	global_load_b32 v44, v[44:45], off
	;; [unrolled: 1-line block ×4, first 2 shown]
	s_cmp_eq_u32 s8, 1
	v_add_co_u32 v22, s6, v22, 4
	s_cselect_b32 vcc_lo, -1, 0
	s_cmp_eq_u32 s8, 2
	v_cndmask_b32_e32 v47, v1, v2, vcc_lo
	s_cselect_b32 vcc_lo, -1, 0
	s_cmp_eq_u32 s8, 3
	v_add_co_ci_u32_e64 v23, s6, 0, v23, s6
	s_delay_alu instid0(VALU_DEP_2)
	v_cndmask_b32_e32 v47, v47, v3, vcc_lo
	s_cselect_b32 vcc_lo, -1, 0
	s_add_u32 s8, s8, 1
	s_addc_u32 s9, s9, 0
	s_cmp_lg_u32 s19, s8
	v_cndmask_b32_e32 v47, v47, v4, vcc_lo
	s_waitcnt vmcnt(3)
	s_delay_alu instid0(VALU_DEP_1)
	v_fmac_f32_e32 v43, v47, v50
	s_waitcnt vmcnt(2)
	v_fmac_f32_e32 v42, v47, v44
	s_waitcnt vmcnt(1)
	;; [unrolled: 2-line block ×3, first 2 shown]
	v_fmac_f32_e32 v40, v47, v46
	s_cbranch_scc1 .LBB39_43
.LBB39_44:                              ;   in Loop: Header=BB39_9 Depth=1
	s_set_inst_prefetch_distance 0x2
	s_or_b32 exec_lo, exec_lo, s55
	s_delay_alu instid0(SALU_CYCLE_1)
	s_or_b32 exec_lo, exec_lo, s54
	s_and_saveexec_b32 s6, s0
	s_cbranch_execnz .LBB39_12
	s_branch .LBB39_13
.LBB39_45:                              ;   in Loop: Header=BB39_9 Depth=1
	ds_load_b32 v22, v37
	s_or_b32 exec_lo, exec_lo, s6
	s_and_saveexec_b32 s6, s0
	s_cbranch_execz .LBB39_17
.LBB39_46:                              ;   in Loop: Header=BB39_9 Depth=1
	s_waitcnt lgkmcnt(0)
	ds_bpermute_b32 v23, v34, v22
	s_waitcnt lgkmcnt(0)
	v_add_f32_e32 v22, v22, v23
	ds_bpermute_b32 v23, v35, v22
	s_waitcnt lgkmcnt(0)
	v_add_f32_e32 v22, v22, v23
	;; [unrolled: 3-line block ×3, first 2 shown]
	s_or_b32 exec_lo, exec_lo, s6
	s_and_saveexec_b32 s6, s0
	s_cbranch_execnz .LBB39_18
	s_branch .LBB39_19
.LBB39_47:                              ;   in Loop: Header=BB39_9 Depth=1
	ds_load_b32 v23, v37
	s_or_b32 exec_lo, exec_lo, s6
	s_and_saveexec_b32 s6, s0
	s_cbranch_execz .LBB39_23
.LBB39_48:                              ;   in Loop: Header=BB39_9 Depth=1
	s_waitcnt lgkmcnt(0)
	ds_bpermute_b32 v42, v34, v23
	s_waitcnt lgkmcnt(0)
	v_add_f32_e32 v23, v23, v42
	ds_bpermute_b32 v42, v35, v23
	s_waitcnt lgkmcnt(0)
	v_add_f32_e32 v23, v23, v42
	;; [unrolled: 3-line block ×3, first 2 shown]
	s_or_b32 exec_lo, exec_lo, s6
	s_and_saveexec_b32 s6, s0
	s_cbranch_execnz .LBB39_24
	s_branch .LBB39_25
.LBB39_49:                              ;   in Loop: Header=BB39_9 Depth=1
	ds_load_b32 v41, v37
	s_or_b32 exec_lo, exec_lo, s6
	s_and_saveexec_b32 s6, s0
	s_cbranch_execz .LBB39_29
.LBB39_50:                              ;   in Loop: Header=BB39_9 Depth=1
	s_waitcnt lgkmcnt(0)
	ds_bpermute_b32 v42, v34, v41
	s_waitcnt lgkmcnt(0)
	v_add_f32_e32 v41, v41, v42
	ds_bpermute_b32 v42, v35, v41
	s_waitcnt lgkmcnt(0)
	v_add_f32_e32 v41, v41, v42
	;; [unrolled: 3-line block ×3, first 2 shown]
	s_or_b32 exec_lo, exec_lo, s6
	s_and_saveexec_b32 s6, s0
	s_cbranch_execnz .LBB39_30
	s_branch .LBB39_31
.LBB39_51:                              ;   in Loop: Header=BB39_9 Depth=1
	ds_load_b32 v40, v37
	s_or_b32 exec_lo, exec_lo, s6
	s_and_saveexec_b32 s6, s0
	s_cbranch_execz .LBB39_35
.LBB39_52:                              ;   in Loop: Header=BB39_9 Depth=1
	s_waitcnt lgkmcnt(0)
	ds_bpermute_b32 v42, v34, v40
	s_waitcnt lgkmcnt(0)
	v_add_f32_e32 v40, v40, v42
	ds_bpermute_b32 v42, v35, v40
	s_waitcnt lgkmcnt(0)
	v_add_f32_e32 v40, v40, v42
	;; [unrolled: 3-line block ×3, first 2 shown]
	s_or_b32 exec_lo, exec_lo, s6
	s_and_saveexec_b32 s6, s5
	s_cbranch_execz .LBB39_8
.LBB39_53:                              ;   in Loop: Header=BB39_9 Depth=1
	s_mul_hi_u32 s9, s15, s18
	s_mul_i32 s8, s15, s18
	v_dual_mul_f32 v22, s33, v22 :: v_dual_mul_f32 v23, s33, v23
	s_lshl_b64 s[8:9], s[8:9], 2
	s_waitcnt lgkmcnt(0)
	v_mul_f32_e32 v40, s33, v40
	s_add_u32 s8, s50, s8
	s_addc_u32 s9, s51, s9
	s_or_b32 s7, s15, 1
	global_store_b32 v39, v22, s[8:9]
	s_mul_hi_u32 s43, s7, s18
	s_mul_i32 s42, s7, s18
	v_mul_f32_e32 v22, s33, v41
	s_lshl_b64 s[42:43], s[42:43], 2
	s_delay_alu instid0(SALU_CYCLE_1)
	s_add_u32 s42, s50, s42
	s_addc_u32 s43, s51, s43
	s_or_b32 s7, s15, 2
	global_store_b32 v39, v23, s[42:43]
	s_mul_hi_u32 s55, s7, s18
	s_mul_i32 s54, s7, s18
	s_delay_alu instid0(SALU_CYCLE_1) | instskip(NEXT) | instid1(SALU_CYCLE_1)
	s_lshl_b64 s[54:55], s[54:55], 2
	s_add_u32 s8, s50, s54
	s_addc_u32 s9, s51, s55
	s_or_b32 s7, s15, 3
	s_delay_alu instid0(SALU_CYCLE_1) | instskip(SKIP_1) | instid1(SALU_CYCLE_1)
	s_mul_hi_u32 s55, s7, s18
	s_mul_i32 s54, s7, s18
	s_lshl_b64 s[54:55], s[54:55], 2
	s_delay_alu instid0(SALU_CYCLE_1)
	s_add_u32 s42, s50, s54
	s_addc_u32 s43, s51, s55
	s_clause 0x1
	global_store_b32 v39, v22, s[8:9]
	global_store_b32 v39, v40, s[42:43]
	s_branch .LBB39_8
.LBB39_54:
	s_mov_b32 s15, 0
                                        ; implicit-def: $vgpr1_vgpr2_vgpr3_vgpr4
.LBB39_55:
	s_delay_alu instid0(SALU_CYCLE_1)
	s_cmp_ge_i32 s15, s13
	s_cbranch_scc1 .LBB39_79
; %bb.56:
	v_cmp_gt_u32_e32 vcc_lo, 16, v27
	v_cmp_ge_i32_e64 s0, s12, v30
	v_cmp_ge_i32_e64 s1, s12, v31
	v_mad_i64_i32 v[19:20], null, s24, v25, 0
	v_cndmask_b32_e64 v10, 0, 1, vcc_lo
	v_cmp_gt_u32_e32 vcc_lo, 24, v27
	s_cmp_gt_i32 s19, 0
	s_mov_b32 s9, 0
	s_mov_b32 s8, s14
	v_lshlrev_b32_e32 v10, 4, v10
	v_cndmask_b32_e64 v11, 0, 1, vcc_lo
	v_cmp_gt_u32_e32 vcc_lo, 28, v27
	s_cselect_b32 s12, -1, 0
	s_lshl_b64 s[6:7], s[8:9], 2
	v_add_lshl_u32 v22, v10, v27, 2
	v_lshlrev_b32_e32 v11, 3, v11
	v_cndmask_b32_e64 v12, 0, 1, vcc_lo
	v_cmp_gt_u32_e32 vcc_lo, 30, v27
	s_add_u32 s14, s44, s6
	s_addc_u32 s34, s45, s7
	v_add_lshl_u32 v23, v11, v27, 2
	v_lshlrev_b32_e32 v12, 2, v12
	v_cndmask_b32_e64 v13, 0, 1, vcc_lo
	v_cmp_ne_u32_e32 vcc_lo, 31, v27
	v_mad_i64_i32 v[10:11], null, s24, v9, 0
	s_delay_alu instid0(VALU_DEP_4) | instskip(NEXT) | instid1(VALU_DEP_4)
	v_add_lshl_u32 v30, v12, v27, 2
	v_lshlrev_b32_e32 v13, 1, v13
	v_add_co_ci_u32_e32 v14, vcc_lo, 0, v27, vcc_lo
	s_add_u32 s6, s10, s30
	s_addc_u32 s7, s11, s31
	s_delay_alu instid0(VALU_DEP_2)
	v_add_lshl_u32 v27, v13, v27, 2
	v_mad_i64_i32 v[12:13], null, s24, v28, 0
	v_lshlrev_b32_e32 v31, 2, v14
	v_mad_i64_i32 v[14:15], null, s24, v26, 0
	v_lshlrev_b64 v[17:18], 2, v[10:11]
	s_add_u32 s8, s6, s26
	s_mul_i32 s6, s17, s15
	s_delay_alu instid0(VALU_DEP_4)
	v_lshlrev_b64 v[11:12], 2, v[12:13]
	s_mul_hi_u32 s10, s16, s15
	s_addc_u32 s11, s7, s27
	v_add_co_u32 v9, vcc_lo, s46, v17
	v_lshlrev_b64 v[13:14], 2, v[14:15]
	v_add_co_ci_u32_e32 v10, vcc_lo, s47, v18, vcc_lo
	v_add_co_u32 v11, vcc_lo, s46, v11
	v_lshlrev_b64 v[15:16], 2, v[19:20]
	v_add_co_ci_u32_e32 v12, vcc_lo, s47, v12, vcc_lo
	v_add_co_u32 v13, vcc_lo, s46, v13
	v_add_co_ci_u32_e32 v14, vcc_lo, s47, v14, vcc_lo
	s_delay_alu instid0(VALU_DEP_4)
	v_add_co_u32 v15, vcc_lo, s46, v15
	v_add_co_ci_u32_e32 v16, vcc_lo, s47, v16, vcc_lo
	s_add_i32 s7, s10, s6
	s_mul_i32 s6, s16, s15
	v_add_co_u32 v17, vcc_lo, s8, v17
	s_lshl_b64 s[6:7], s[6:7], 2
	v_add_co_ci_u32_e32 v18, vcc_lo, s11, v18, vcc_lo
	s_lshl_b64 s[10:11], s[24:25], 2
	s_add_u32 s6, s28, s6
	s_addc_u32 s7, s29, s7
	s_add_u32 s6, s6, s22
	s_addc_u32 s7, s7, s23
	;; [unrolled: 2-line block ×3, first 2 shown]
	v_add_co_u32 v7, vcc_lo, s6, v7
	v_cmp_gt_u32_e64 s2, 32, v0
	v_lshlrev_b32_e32 v21, 2, v24
	v_cmp_eq_u32_e64 s3, 0, v24
	v_and_b32_e32 v24, 28, v29
	v_cmp_gt_u32_e64 s4, 8, v0
	v_cmp_eq_u32_e64 s5, 0, v0
	v_mov_b32_e32 v0, 0
	v_add_co_ci_u32_e32 v8, vcc_lo, s7, v8, vcc_lo
	s_lshl_b64 s[20:21], s[16:17], 2
	s_branch .LBB39_58
.LBB39_57:                              ;   in Loop: Header=BB39_58 Depth=1
	s_or_b32 exec_lo, exec_lo, s6
	v_add_co_u32 v7, vcc_lo, v7, s20
	v_add_co_ci_u32_e32 v8, vcc_lo, s21, v8, vcc_lo
	s_add_i32 s15, s15, 1
	s_delay_alu instid0(SALU_CYCLE_1)
	s_cmp_ge_i32 s15, s13
	s_cbranch_scc1 .LBB39_79
.LBB39_58:                              ; =>This Loop Header: Depth=1
                                        ;     Child Loop BB39_71 Depth 2
                                        ;     Child Loop BB39_74 Depth 2
	v_mov_b32_e32 v25, s9
	s_and_saveexec_b32 s6, s0
	s_delay_alu instid0(SALU_CYCLE_1)
	s_xor_b32 s6, exec_lo, s6
	s_cbranch_execnz .LBB39_67
; %bb.59:                               ;   in Loop: Header=BB39_58 Depth=1
	s_and_not1_saveexec_b32 s24, s6
	s_cbranch_execnz .LBB39_68
.LBB39_60:                              ;   in Loop: Header=BB39_58 Depth=1
	s_or_b32 exec_lo, exec_lo, s24
	s_and_saveexec_b32 s6, s2
	s_cbranch_execz .LBB39_62
.LBB39_61:                              ;   in Loop: Header=BB39_58 Depth=1
	ds_store_b32 v21, v0
.LBB39_62:                              ;   in Loop: Header=BB39_58 Depth=1
	s_or_b32 exec_lo, exec_lo, s6
	s_waitcnt lgkmcnt(0)
	ds_bpermute_b32 v19, v22, v25
	s_waitcnt lgkmcnt(0)
	s_waitcnt_vscnt null, 0x0
	s_barrier
	buffer_gl0_inv
	v_add_f32_e32 v19, v25, v19
	ds_bpermute_b32 v20, v23, v19
	s_waitcnt lgkmcnt(0)
	v_add_f32_e32 v19, v19, v20
	ds_bpermute_b32 v20, v30, v19
	s_waitcnt lgkmcnt(0)
	;; [unrolled: 3-line block ×3, first 2 shown]
	v_add_f32_e32 v19, v19, v20
	ds_bpermute_b32 v20, v31, v19
	s_and_saveexec_b32 s6, s3
	s_cbranch_execz .LBB39_64
; %bb.63:                               ;   in Loop: Header=BB39_58 Depth=1
	s_waitcnt lgkmcnt(0)
	v_add_f32_e32 v19, v19, v20
	ds_store_b32 v24, v19
.LBB39_64:                              ;   in Loop: Header=BB39_58 Depth=1
	s_or_b32 exec_lo, exec_lo, s6
	v_mov_b32_e32 v19, 0
	s_waitcnt lgkmcnt(0)
	s_barrier
	buffer_gl0_inv
	s_and_saveexec_b32 s6, s4
	s_cbranch_execnz .LBB39_76
; %bb.65:                               ;   in Loop: Header=BB39_58 Depth=1
	s_or_b32 exec_lo, exec_lo, s6
	s_and_saveexec_b32 s6, s2
	s_cbranch_execnz .LBB39_77
.LBB39_66:                              ;   in Loop: Header=BB39_58 Depth=1
	s_or_b32 exec_lo, exec_lo, s6
	s_and_saveexec_b32 s6, s5
	s_cbranch_execz .LBB39_57
	s_branch .LBB39_78
.LBB39_67:                              ;   in Loop: Header=BB39_58 Depth=1
	s_mul_i32 s7, s15, s17
	s_mul_hi_u32 s8, s15, s16
	s_mul_i32 s22, s15, s16
	s_add_i32 s23, s8, s7
	s_delay_alu instid0(SALU_CYCLE_1) | instskip(NEXT) | instid1(SALU_CYCLE_1)
	s_lshl_b64 s[22:23], s[22:23], 2
	v_add_co_u32 v1, vcc_lo, v5, s22
	v_add_co_ci_u32_e32 v2, vcc_lo, s23, v6, vcc_lo
	global_load_b128 v[32:35], v[1:2], off
	s_clause 0x3
	global_load_b32 v1, v[9:10], off
	global_load_b32 v2, v[11:12], off
	;; [unrolled: 1-line block ×4, first 2 shown]
	s_waitcnt vmcnt(3)
	v_fma_f32 v25, v1, v32, 0
	s_waitcnt vmcnt(2)
	s_delay_alu instid0(VALU_DEP_1) | instskip(SKIP_1) | instid1(VALU_DEP_1)
	v_fmac_f32_e32 v25, v2, v33
	s_waitcnt vmcnt(1)
	v_fmac_f32_e32 v25, v3, v34
	s_waitcnt vmcnt(0)
	s_delay_alu instid0(VALU_DEP_1)
	v_fmac_f32_e32 v25, v4, v35
	s_and_not1_saveexec_b32 s24, s6
	s_cbranch_execz .LBB39_60
.LBB39_68:                              ;   in Loop: Header=BB39_58 Depth=1
	s_and_saveexec_b32 s25, s1
	s_cbranch_execz .LBB39_75
; %bb.69:                               ;   in Loop: Header=BB39_58 Depth=1
	s_and_not1_b32 vcc_lo, exec_lo, s12
	s_cbranch_vccnz .LBB39_72
; %bb.70:                               ;   in Loop: Header=BB39_58 Depth=1
	s_waitcnt lgkmcnt(0)
	v_dual_mov_b32 v20, v18 :: v_dual_mov_b32 v19, v17
	s_mov_b64 s[22:23], 0
	.p2align	6
.LBB39_71:                              ;   Parent Loop BB39_58 Depth=1
                                        ; =>  This Inner Loop Header: Depth=2
	global_load_b32 v26, v[19:20], off
	v_add_co_u32 v19, vcc_lo, v19, s10
	s_cmp_eq_u32 s22, 3
	v_add_co_ci_u32_e32 v20, vcc_lo, s11, v20, vcc_lo
	s_cselect_b32 vcc_lo, -1, 0
	s_cmp_eq_u32 s22, 2
	s_cselect_b32 s6, -1, 0
	s_cmp_eq_u32 s22, 1
	s_cselect_b32 s7, -1, 0
	;; [unrolled: 2-line block ×3, first 2 shown]
	s_add_u32 s22, s22, 1
	s_addc_u32 s23, s23, 0
	s_cmp_eq_u32 s19, s22
	s_waitcnt vmcnt(0)
	v_cndmask_b32_e32 v4, v4, v26, vcc_lo
	v_cndmask_b32_e64 v3, v3, v26, s6
	v_cndmask_b32_e64 v2, v2, v26, s7
	;; [unrolled: 1-line block ×3, first 2 shown]
	s_cbranch_scc0 .LBB39_71
.LBB39_72:                              ;   in Loop: Header=BB39_58 Depth=1
	s_and_not1_b32 vcc_lo, exec_lo, s12
	s_cbranch_vccnz .LBB39_75
; %bb.73:                               ;   in Loop: Header=BB39_58 Depth=1
	s_waitcnt lgkmcnt(0)
	v_dual_mov_b32 v20, v8 :: v_dual_mov_b32 v19, v7
	s_mov_b64 s[6:7], 0
	.p2align	6
.LBB39_74:                              ;   Parent Loop BB39_58 Depth=1
                                        ; =>  This Inner Loop Header: Depth=2
	global_load_b32 v26, v[19:20], off
	s_cmp_eq_u32 s6, 1
	s_cselect_b32 vcc_lo, -1, 0
	s_cmp_eq_u32 s6, 2
	v_cndmask_b32_e32 v28, v1, v2, vcc_lo
	s_cselect_b32 vcc_lo, -1, 0
	s_cmp_eq_u32 s6, 3
	s_delay_alu instid0(VALU_DEP_1)
	v_cndmask_b32_e32 v28, v28, v3, vcc_lo
	s_cselect_b32 vcc_lo, -1, 0
	s_add_u32 s6, s6, 1
	s_addc_u32 s7, s7, 0
	s_cmp_lg_u32 s19, s6
	v_cndmask_b32_e32 v28, v28, v4, vcc_lo
	v_add_co_u32 v19, vcc_lo, v19, 4
	v_add_co_ci_u32_e32 v20, vcc_lo, 0, v20, vcc_lo
	s_waitcnt vmcnt(0)
	s_delay_alu instid0(VALU_DEP_3)
	v_fmac_f32_e32 v25, v28, v26
	s_cbranch_scc1 .LBB39_74
.LBB39_75:                              ;   in Loop: Header=BB39_58 Depth=1
	s_or_b32 exec_lo, exec_lo, s25
	s_delay_alu instid0(SALU_CYCLE_1)
	s_or_b32 exec_lo, exec_lo, s24
	s_and_saveexec_b32 s6, s2
	s_cbranch_execnz .LBB39_61
	s_branch .LBB39_62
.LBB39_76:                              ;   in Loop: Header=BB39_58 Depth=1
	ds_load_b32 v19, v21
	s_or_b32 exec_lo, exec_lo, s6
	s_and_saveexec_b32 s6, s2
	s_cbranch_execz .LBB39_66
.LBB39_77:                              ;   in Loop: Header=BB39_58 Depth=1
	s_waitcnt lgkmcnt(0)
	ds_bpermute_b32 v20, v30, v19
	s_waitcnt lgkmcnt(0)
	v_add_f32_e32 v19, v19, v20
	ds_bpermute_b32 v20, v27, v19
	s_waitcnt lgkmcnt(0)
	v_add_f32_e32 v19, v19, v20
	;; [unrolled: 3-line block ×3, first 2 shown]
	s_or_b32 exec_lo, exec_lo, s6
	s_and_saveexec_b32 s6, s5
	s_cbranch_execz .LBB39_57
.LBB39_78:                              ;   in Loop: Header=BB39_58 Depth=1
	s_mul_hi_u32 s23, s15, s18
	s_mul_i32 s22, s15, s18
	s_waitcnt lgkmcnt(0)
	v_mul_f32_e32 v19, s33, v19
	s_lshl_b64 s[22:23], s[22:23], 2
	s_delay_alu instid0(SALU_CYCLE_1)
	s_add_u32 s22, s14, s22
	s_addc_u32 s23, s34, s23
	global_store_b32 v0, v19, s[22:23]
	s_branch .LBB39_57
.LBB39_79:
	s_nop 0
	s_sendmsg sendmsg(MSG_DEALLOC_VGPRS)
	s_endpgm
	.section	.rodata,"a",@progbits
	.p2align	6, 0x0
	.amdhsa_kernel _ZL23rocblas_gemvt_sn_kernelILb1ELi256ELi4ElfPKffEviiT4_lPKT3_lilS5_lilPT5_i
		.amdhsa_group_segment_fixed_size 128
		.amdhsa_private_segment_fixed_size 0
		.amdhsa_kernarg_size 360
		.amdhsa_user_sgpr_count 14
		.amdhsa_user_sgpr_dispatch_ptr 0
		.amdhsa_user_sgpr_queue_ptr 0
		.amdhsa_user_sgpr_kernarg_segment_ptr 1
		.amdhsa_user_sgpr_dispatch_id 0
		.amdhsa_user_sgpr_private_segment_size 0
		.amdhsa_wavefront_size32 1
		.amdhsa_uses_dynamic_stack 0
		.amdhsa_enable_private_segment 0
		.amdhsa_system_sgpr_workgroup_id_x 1
		.amdhsa_system_sgpr_workgroup_id_y 0
		.amdhsa_system_sgpr_workgroup_id_z 1
		.amdhsa_system_sgpr_workgroup_info 0
		.amdhsa_system_vgpr_workitem_id 0
		.amdhsa_next_free_vgpr 59
		.amdhsa_next_free_sgpr 56
		.amdhsa_reserve_vcc 1
		.amdhsa_float_round_mode_32 0
		.amdhsa_float_round_mode_16_64 0
		.amdhsa_float_denorm_mode_32 3
		.amdhsa_float_denorm_mode_16_64 3
		.amdhsa_dx10_clamp 1
		.amdhsa_ieee_mode 1
		.amdhsa_fp16_overflow 0
		.amdhsa_workgroup_processor_mode 1
		.amdhsa_memory_ordered 1
		.amdhsa_forward_progress 0
		.amdhsa_shared_vgpr_count 0
		.amdhsa_exception_fp_ieee_invalid_op 0
		.amdhsa_exception_fp_denorm_src 0
		.amdhsa_exception_fp_ieee_div_zero 0
		.amdhsa_exception_fp_ieee_overflow 0
		.amdhsa_exception_fp_ieee_underflow 0
		.amdhsa_exception_fp_ieee_inexact 0
		.amdhsa_exception_int_div_zero 0
	.end_amdhsa_kernel
	.section	.text._ZL23rocblas_gemvt_sn_kernelILb1ELi256ELi4ElfPKffEviiT4_lPKT3_lilS5_lilPT5_i,"axG",@progbits,_ZL23rocblas_gemvt_sn_kernelILb1ELi256ELi4ElfPKffEviiT4_lPKT3_lilS5_lilPT5_i,comdat
.Lfunc_end39:
	.size	_ZL23rocblas_gemvt_sn_kernelILb1ELi256ELi4ElfPKffEviiT4_lPKT3_lilS5_lilPT5_i, .Lfunc_end39-_ZL23rocblas_gemvt_sn_kernelILb1ELi256ELi4ElfPKffEviiT4_lPKT3_lilS5_lilPT5_i
                                        ; -- End function
	.section	.AMDGPU.csdata,"",@progbits
; Kernel info:
; codeLenInByte = 4204
; NumSgprs: 58
; NumVgprs: 59
; ScratchSize: 0
; MemoryBound: 0
; FloatMode: 240
; IeeeMode: 1
; LDSByteSize: 128 bytes/workgroup (compile time only)
; SGPRBlocks: 7
; VGPRBlocks: 7
; NumSGPRsForWavesPerEU: 58
; NumVGPRsForWavesPerEU: 59
; Occupancy: 16
; WaveLimiterHint : 1
; COMPUTE_PGM_RSRC2:SCRATCH_EN: 0
; COMPUTE_PGM_RSRC2:USER_SGPR: 14
; COMPUTE_PGM_RSRC2:TRAP_HANDLER: 0
; COMPUTE_PGM_RSRC2:TGID_X_EN: 1
; COMPUTE_PGM_RSRC2:TGID_Y_EN: 0
; COMPUTE_PGM_RSRC2:TGID_Z_EN: 1
; COMPUTE_PGM_RSRC2:TIDIG_COMP_CNT: 0
	.section	.text._ZL23rocblas_gemvt_sn_kernelILb1ELi256ELi4EifffEviiT4_lPKT3_lilS3_lilPT5_i,"axG",@progbits,_ZL23rocblas_gemvt_sn_kernelILb1ELi256ELi4EifffEviiT4_lPKT3_lilS3_lilPT5_i,comdat
	.globl	_ZL23rocblas_gemvt_sn_kernelILb1ELi256ELi4EifffEviiT4_lPKT3_lilS3_lilPT5_i ; -- Begin function _ZL23rocblas_gemvt_sn_kernelILb1ELi256ELi4EifffEviiT4_lPKT3_lilS3_lilPT5_i
	.p2align	8
	.type	_ZL23rocblas_gemvt_sn_kernelILb1ELi256ELi4EifffEviiT4_lPKT3_lilS3_lilPT5_i,@function
_ZL23rocblas_gemvt_sn_kernelILb1ELi256ELi4EifffEviiT4_lPKT3_lilS3_lilPT5_i: ; @_ZL23rocblas_gemvt_sn_kernelILb1ELi256ELi4EifffEviiT4_lPKT3_lilS3_lilPT5_i
; %bb.0:
	s_clause 0x2
	s_load_b128 s[16:19], s[0:1], 0x0
	s_load_b32 s10, s[0:1], 0x68
	s_load_b128 s[4:7], s[0:1], 0x50
	s_waitcnt lgkmcnt(0)
	s_ashr_i32 s8, s17, 31
	s_mul_hi_u32 s2, s17, s15
	s_mul_i32 s3, s8, s15
	s_mul_i32 s9, s17, s15
	s_add_i32 s2, s2, s3
	s_mul_hi_u32 s3, s9, s10
	s_mul_i32 s11, s2, s10
	s_mul_i32 s2, s9, s10
	s_add_i32 s3, s3, s11
	v_cmp_neq_f32_e64 s9, s18, 0
	s_lshl_b64 s[2:3], s[2:3], 2
	s_mov_b32 s11, 0
	s_add_u32 s38, s6, s2
	v_cmp_eq_u32_e64 s2, 0, v0
	s_addc_u32 s37, s7, s3
	s_and_b32 vcc_lo, exec_lo, s9
	s_cbranch_vccnz .LBB40_5
; %bb.1:
	s_cmp_gt_i32 s17, 0
	s_cselect_b32 s3, -1, 0
	s_delay_alu instid0(SALU_CYCLE_1) | instskip(NEXT) | instid1(SALU_CYCLE_1)
	s_and_b32 s2, s2, s3
	s_and_saveexec_b32 s9, s2
	s_cbranch_execz .LBB40_4
; %bb.2:
	s_mov_b32 s2, s15
	s_mov_b32 s15, 0
	v_mov_b32_e32 v1, 0
	s_lshl_b64 s[6:7], s[14:15], 2
	s_mov_b32 s15, s2
	s_add_u32 s2, s38, s6
	s_addc_u32 s3, s37, s7
	s_lshl_b64 s[6:7], s[10:11], 2
	s_mov_b32 s11, s17
.LBB40_3:                               ; =>This Inner Loop Header: Depth=1
	s_delay_alu instid0(SALU_CYCLE_1)
	s_add_i32 s11, s11, -1
	global_store_b32 v1, v1, s[2:3]
	s_add_u32 s2, s2, s6
	s_addc_u32 s3, s3, s7
	s_cmp_eq_u32 s11, 0
	s_cbranch_scc0 .LBB40_3
.LBB40_4:
	s_or_b32 exec_lo, exec_lo, s9
	s_cbranch_execz .LBB40_6
	s_branch .LBB40_79
.LBB40_5:
.LBB40_6:
	s_clause 0x2
	s_load_b128 s[24:27], s[0:1], 0x30
	s_load_b64 s[2:3], s[0:1], 0x40
	s_load_b128 s[20:23], s[0:1], 0x18
	s_mul_i32 s5, s15, s5
	s_mul_hi_u32 s6, s15, s4
	s_mul_i32 s4, s15, s4
	s_add_i32 s5, s6, s5
	s_clause 0x1
	s_load_b32 s12, s[0:1], 0x28
	s_load_b32 s33, s[0:1], 0x48
	s_lshl_b64 s[4:5], s[4:5], 2
	v_and_b32_e32 v6, 31, v0
	v_cmp_gt_u32_e64 s0, 32, v0
	v_mbcnt_lo_u32_b32 v22, -1, 0
	v_lshrrev_b32_e32 v23, 3, v0
	s_waitcnt lgkmcnt(0)
	s_add_u32 s6, s26, s4
	s_addc_u32 s5, s27, s5
	s_lshl_b64 s[2:3], s[2:3], 2
	s_mul_i32 s7, s15, s25
	s_mul_hi_u32 s9, s15, s24
	s_add_u32 s11, s6, s2
	s_mul_i32 s4, s15, s24
	s_addc_u32 s19, s5, s3
	s_add_i32 s5, s9, s7
	s_delay_alu instid0(SALU_CYCLE_1) | instskip(NEXT) | instid1(SALU_CYCLE_1)
	s_lshl_b64 s[24:25], s[4:5], 2
	s_add_u32 s1, s20, s24
	s_addc_u32 s2, s21, s25
	s_lshl_b64 s[22:23], s[22:23], 2
	s_delay_alu instid0(SALU_CYCLE_1)
	s_add_u32 s3, s1, s22
	s_addc_u32 s2, s2, s23
	s_lshl_b32 s1, s14, 10
	s_ashr_i32 s4, s16, 31
	v_lshl_or_b32 v1, v0, 2, s1
	s_lshr_b32 s4, s4, 30
	s_lshr_b32 s5, s8, 30
	s_add_i32 s4, s16, s4
	s_add_i32 s5, s17, s5
	v_ashrrev_i32_e32 v2, 31, v1
	s_and_b32 s4, s4, -4
	v_mul_lo_u32 v5, v1, s33
	s_sub_i32 s36, s16, s4
	v_cmp_gt_u32_e64 s1, 8, v0
	v_lshlrev_b64 v[7:8], 2, v[1:2]
	v_add_nc_u32_e32 v24, 4, v1
	v_add_nc_u32_e32 v25, s36, v1
	s_and_b32 s15, s5, -4
	s_delay_alu instid0(SALU_CYCLE_1) | instskip(NEXT) | instid1(VALU_DEP_3)
	s_cmp_lt_i32 s15, 1
	v_add_co_u32 v20, vcc_lo, s3, v7
	v_add_co_ci_u32_e32 v21, vcc_lo, s2, v8, vcc_lo
	s_cbranch_scc1 .LBB40_54
; %bb.7:
	v_cmp_gt_u32_e32 vcc_lo, 16, v22
	v_mul_lo_u32 v9, v1, s33
	s_cmp_gt_i32 s36, 0
	s_mov_b32 s9, 0
	s_cselect_b32 s39, -1, 0
	v_cndmask_b32_e64 v2, 0, 1, vcc_lo
	v_cmp_gt_u32_e32 vcc_lo, 24, v22
	s_lshl_b32 s40, s12, 2
	s_lshl_b32 s8, s12, 1
	s_add_u32 s6, s24, s22
	v_dual_mov_b32 v35, 0 :: v_dual_lshlrev_b32 v2, 4, v2
	v_cndmask_b32_e64 v3, 0, 1, vcc_lo
	v_cmp_gt_u32_e32 vcc_lo, 28, v22
	s_addc_u32 s7, s25, s23
	s_delay_alu instid0(VALU_DEP_3)
	v_add_lshl_u32 v26, v2, v22, 2
	s_add_u32 s6, s20, s6
	v_lshlrev_b32_e32 v2, 3, v3
	v_cndmask_b32_e64 v4, 0, 1, vcc_lo
	v_cmp_gt_u32_e32 vcc_lo, 30, v22
	s_addc_u32 s7, s21, s7
	v_cmp_ge_i32_e64 s2, s16, v24
	v_add_lshl_u32 v27, v2, v22, 2
	v_lshlrev_b32_e32 v3, 2, v4
	v_cndmask_b32_e64 v10, 0, 1, vcc_lo
	v_cmp_ne_u32_e32 vcc_lo, 31, v22
	v_cmp_ge_i32_e64 s3, s16, v25
	v_cmp_eq_u32_e64 s4, 0, v6
	v_add_lshl_u32 v28, v3, v22, 2
	v_lshlrev_b32_e32 v1, 1, v10
	v_ashrrev_i32_e32 v10, 31, v9
	v_add_co_ci_u32_e32 v4, vcc_lo, 0, v22, vcc_lo
	v_lshlrev_b32_e32 v31, 2, v6
	s_delay_alu instid0(VALU_DEP_4)
	v_add_lshl_u32 v29, v1, v22, 2
	v_add_nc_u32_e32 v1, s33, v9
	v_lshlrev_b64 v[10:11], 2, v[9:10]
	v_lshlrev_b32_e32 v30, 2, v4
	v_and_b32_e32 v32, 28, v23
	v_cmp_eq_u32_e64 s5, 0, v0
	v_add_nc_u32_e32 v3, s33, v1
	v_ashrrev_i32_e32 v2, 31, v1
	v_add_co_u32 v10, vcc_lo, s11, v10
	v_add_co_ci_u32_e32 v11, vcc_lo, s19, v11, vcc_lo
	s_delay_alu instid0(VALU_DEP_4) | instskip(NEXT) | instid1(VALU_DEP_4)
	v_add_nc_u32_e32 v14, s33, v3
	v_lshlrev_b64 v[1:2], 2, v[1:2]
	v_ashrrev_i32_e32 v4, 31, v3
	s_mov_b32 s13, s9
	s_mul_i32 s41, s12, 3
	v_ashrrev_i32_e32 v15, 31, v14
	s_mov_b32 s42, s9
	v_lshlrev_b64 v[3:4], 2, v[3:4]
	v_add_co_u32 v12, vcc_lo, s11, v1
	v_add_co_ci_u32_e32 v13, vcc_lo, s19, v2, vcc_lo
	v_lshlrev_b64 v[1:2], 2, v[14:15]
	s_delay_alu instid0(VALU_DEP_4) | instskip(SKIP_2) | instid1(VALU_DEP_3)
	v_add_co_u32 v14, vcc_lo, s11, v3
	v_add_co_ci_u32_e32 v15, vcc_lo, s19, v4, vcc_lo
	s_mov_b32 s26, s9
	v_add_co_u32 v16, vcc_lo, s11, v1
	s_delay_alu instid0(VALU_DEP_4)
	v_add_co_ci_u32_e32 v17, vcc_lo, s19, v2, vcc_lo
	v_add_co_u32 v33, vcc_lo, s6, v7
	v_add_co_ci_u32_e32 v34, vcc_lo, s7, v8, vcc_lo
	s_mov_b64 s[28:29], s[8:9]
	s_mov_b64 s[30:31], s[12:13]
	s_mov_b32 s13, 0
                                        ; implicit-def: $vgpr1_vgpr2_vgpr3_vgpr4
	s_branch .LBB40_9
.LBB40_8:                               ;   in Loop: Header=BB40_9 Depth=1
	s_or_b32 exec_lo, exec_lo, s6
	s_add_i32 s13, s13, 4
	s_add_u32 s30, s30, s40
	s_addc_u32 s31, s31, 0
	s_add_u32 s28, s28, s40
	s_addc_u32 s29, s29, 0
	;; [unrolled: 2-line block ×3, first 2 shown]
	s_add_i32 s26, s26, s40
	s_cmp_ge_i32 s13, s15
	s_cbranch_scc1 .LBB40_55
.LBB40_9:                               ; =>This Loop Header: Depth=1
                                        ;     Child Loop BB40_40 Depth 2
                                        ;     Child Loop BB40_43 Depth 2
                                        ; implicit-def: $vgpr36
                                        ; implicit-def: $vgpr37
                                        ; implicit-def: $vgpr38
                                        ; implicit-def: $vgpr39
	s_and_saveexec_b32 s6, s2
	s_delay_alu instid0(SALU_CYCLE_1)
	s_xor_b32 s6, exec_lo, s6
	s_cbranch_execnz .LBB40_36
; %bb.10:                               ;   in Loop: Header=BB40_9 Depth=1
	s_and_not1_saveexec_b32 s43, s6
	s_cbranch_execnz .LBB40_37
.LBB40_11:                              ;   in Loop: Header=BB40_9 Depth=1
	s_or_b32 exec_lo, exec_lo, s43
	s_and_saveexec_b32 s6, s0
	s_cbranch_execz .LBB40_13
.LBB40_12:                              ;   in Loop: Header=BB40_9 Depth=1
	ds_store_b32 v31, v35
.LBB40_13:                              ;   in Loop: Header=BB40_9 Depth=1
	s_or_b32 exec_lo, exec_lo, s6
	ds_bpermute_b32 v18, v26, v39
	s_waitcnt lgkmcnt(0)
	s_waitcnt_vscnt null, 0x0
	s_barrier
	buffer_gl0_inv
	v_add_f32_e32 v18, v39, v18
	ds_bpermute_b32 v19, v27, v18
	s_waitcnt lgkmcnt(0)
	v_add_f32_e32 v18, v18, v19
	ds_bpermute_b32 v19, v28, v18
	s_waitcnt lgkmcnt(0)
	;; [unrolled: 3-line block ×3, first 2 shown]
	v_add_f32_e32 v18, v18, v19
	ds_bpermute_b32 v19, v30, v18
	s_and_saveexec_b32 s6, s4
	s_cbranch_execz .LBB40_15
; %bb.14:                               ;   in Loop: Header=BB40_9 Depth=1
	s_waitcnt lgkmcnt(0)
	v_add_f32_e32 v18, v18, v19
	ds_store_b32 v32, v18
.LBB40_15:                              ;   in Loop: Header=BB40_9 Depth=1
	s_or_b32 exec_lo, exec_lo, s6
	v_mov_b32_e32 v18, 0
	s_waitcnt lgkmcnt(0)
	s_barrier
	buffer_gl0_inv
	s_and_saveexec_b32 s6, s1
	s_cbranch_execnz .LBB40_45
; %bb.16:                               ;   in Loop: Header=BB40_9 Depth=1
	s_or_b32 exec_lo, exec_lo, s6
	s_and_saveexec_b32 s6, s0
	s_cbranch_execnz .LBB40_46
.LBB40_17:                              ;   in Loop: Header=BB40_9 Depth=1
	s_or_b32 exec_lo, exec_lo, s6
	s_and_saveexec_b32 s6, s0
	s_cbranch_execz .LBB40_19
.LBB40_18:                              ;   in Loop: Header=BB40_9 Depth=1
	ds_store_b32 v31, v35
.LBB40_19:                              ;   in Loop: Header=BB40_9 Depth=1
	s_or_b32 exec_lo, exec_lo, s6
	ds_bpermute_b32 v19, v26, v38
	s_waitcnt lgkmcnt(0)
	s_barrier
	buffer_gl0_inv
	v_add_f32_e32 v19, v38, v19
	ds_bpermute_b32 v38, v27, v19
	s_waitcnt lgkmcnt(0)
	v_add_f32_e32 v19, v19, v38
	ds_bpermute_b32 v38, v28, v19
	s_waitcnt lgkmcnt(0)
	;; [unrolled: 3-line block ×3, first 2 shown]
	v_add_f32_e32 v19, v19, v38
	ds_bpermute_b32 v38, v30, v19
	s_and_saveexec_b32 s6, s4
	s_cbranch_execz .LBB40_21
; %bb.20:                               ;   in Loop: Header=BB40_9 Depth=1
	s_waitcnt lgkmcnt(0)
	v_add_f32_e32 v19, v19, v38
	ds_store_b32 v32, v19
.LBB40_21:                              ;   in Loop: Header=BB40_9 Depth=1
	s_or_b32 exec_lo, exec_lo, s6
	v_mov_b32_e32 v19, 0
	s_waitcnt lgkmcnt(0)
	s_barrier
	buffer_gl0_inv
	s_and_saveexec_b32 s6, s1
	s_cbranch_execnz .LBB40_47
; %bb.22:                               ;   in Loop: Header=BB40_9 Depth=1
	s_or_b32 exec_lo, exec_lo, s6
	s_and_saveexec_b32 s6, s0
	s_cbranch_execnz .LBB40_48
.LBB40_23:                              ;   in Loop: Header=BB40_9 Depth=1
	s_or_b32 exec_lo, exec_lo, s6
	s_and_saveexec_b32 s6, s0
	s_cbranch_execz .LBB40_25
.LBB40_24:                              ;   in Loop: Header=BB40_9 Depth=1
	ds_store_b32 v31, v35
.LBB40_25:                              ;   in Loop: Header=BB40_9 Depth=1
	s_or_b32 exec_lo, exec_lo, s6
	ds_bpermute_b32 v38, v26, v37
	s_waitcnt lgkmcnt(0)
	s_barrier
	buffer_gl0_inv
	v_add_f32_e32 v37, v37, v38
	ds_bpermute_b32 v38, v27, v37
	s_waitcnt lgkmcnt(0)
	v_add_f32_e32 v37, v37, v38
	ds_bpermute_b32 v38, v28, v37
	s_waitcnt lgkmcnt(0)
	;; [unrolled: 3-line block ×3, first 2 shown]
	v_add_f32_e32 v37, v37, v38
	ds_bpermute_b32 v38, v30, v37
	s_and_saveexec_b32 s6, s4
	s_cbranch_execz .LBB40_27
; %bb.26:                               ;   in Loop: Header=BB40_9 Depth=1
	s_waitcnt lgkmcnt(0)
	v_add_f32_e32 v37, v37, v38
	ds_store_b32 v32, v37
.LBB40_27:                              ;   in Loop: Header=BB40_9 Depth=1
	s_or_b32 exec_lo, exec_lo, s6
	v_mov_b32_e32 v37, 0
	s_waitcnt lgkmcnt(0)
	s_barrier
	buffer_gl0_inv
	s_and_saveexec_b32 s6, s1
	s_cbranch_execnz .LBB40_49
; %bb.28:                               ;   in Loop: Header=BB40_9 Depth=1
	s_or_b32 exec_lo, exec_lo, s6
	s_and_saveexec_b32 s6, s0
	s_cbranch_execnz .LBB40_50
.LBB40_29:                              ;   in Loop: Header=BB40_9 Depth=1
	s_or_b32 exec_lo, exec_lo, s6
	s_and_saveexec_b32 s6, s0
	s_cbranch_execz .LBB40_31
.LBB40_30:                              ;   in Loop: Header=BB40_9 Depth=1
	ds_store_b32 v31, v35
.LBB40_31:                              ;   in Loop: Header=BB40_9 Depth=1
	s_or_b32 exec_lo, exec_lo, s6
	ds_bpermute_b32 v38, v26, v36
	s_waitcnt lgkmcnt(0)
	s_barrier
	buffer_gl0_inv
	v_add_f32_e32 v36, v36, v38
	ds_bpermute_b32 v38, v27, v36
	s_waitcnt lgkmcnt(0)
	v_add_f32_e32 v36, v36, v38
	ds_bpermute_b32 v38, v28, v36
	s_waitcnt lgkmcnt(0)
	;; [unrolled: 3-line block ×3, first 2 shown]
	v_add_f32_e32 v36, v36, v38
	ds_bpermute_b32 v38, v30, v36
	s_and_saveexec_b32 s6, s4
	s_cbranch_execz .LBB40_33
; %bb.32:                               ;   in Loop: Header=BB40_9 Depth=1
	s_waitcnt lgkmcnt(0)
	v_add_f32_e32 v36, v36, v38
	ds_store_b32 v32, v36
.LBB40_33:                              ;   in Loop: Header=BB40_9 Depth=1
	s_or_b32 exec_lo, exec_lo, s6
	v_mov_b32_e32 v36, 0
	s_waitcnt lgkmcnt(0)
	s_barrier
	buffer_gl0_inv
	s_and_saveexec_b32 s6, s1
	s_cbranch_execnz .LBB40_51
; %bb.34:                               ;   in Loop: Header=BB40_9 Depth=1
	s_or_b32 exec_lo, exec_lo, s6
	s_and_saveexec_b32 s6, s0
	s_cbranch_execnz .LBB40_52
.LBB40_35:                              ;   in Loop: Header=BB40_9 Depth=1
	s_or_b32 exec_lo, exec_lo, s6
	s_and_saveexec_b32 s6, s5
	s_cbranch_execz .LBB40_8
	s_branch .LBB40_53
.LBB40_36:                              ;   in Loop: Header=BB40_9 Depth=1
	s_mul_i32 s34, s13, s12
	s_delay_alu instid0(SALU_CYCLE_1)
	s_ashr_i32 s35, s34, 31
	s_add_i32 s44, s34, s12
	s_lshl_b64 s[34:35], s[34:35], 2
	s_ashr_i32 s45, s44, 31
	v_add_co_u32 v2, vcc_lo, v20, s34
	v_add_co_ci_u32_e32 v3, vcc_lo, s35, v21, vcc_lo
	s_lshl_b64 s[34:35], s[44:45], 2
	s_add_i32 s44, s44, s12
	v_add_co_u32 v18, vcc_lo, v20, s34
	s_ashr_i32 s45, s44, 31
	s_add_i32 s34, s44, s12
	s_lshl_b64 s[44:45], s[44:45], 2
	v_add_co_ci_u32_e32 v19, vcc_lo, s35, v21, vcc_lo
	s_ashr_i32 s35, s34, 31
	s_waitcnt lgkmcnt(0)
	v_add_co_u32 v36, vcc_lo, v20, s44
	s_lshl_b64 s[34:35], s[34:35], 2
	v_add_co_ci_u32_e32 v37, vcc_lo, s45, v21, vcc_lo
	v_add_co_u32 v51, vcc_lo, v20, s34
	v_add_co_ci_u32_e32 v52, vcc_lo, s35, v21, vcc_lo
	global_load_b32 v1, v[10:11], off
	s_clause 0x3
	global_load_b128 v[39:42], v[2:3], off
	global_load_b128 v[43:46], v[18:19], off
	;; [unrolled: 1-line block ×4, first 2 shown]
	s_clause 0x2
	global_load_b32 v2, v[12:13], off
	global_load_b32 v3, v[14:15], off
	;; [unrolled: 1-line block ×3, first 2 shown]
	s_waitcnt vmcnt(6)
	v_fma_f32 v39, v1, v39, 0
	s_waitcnt vmcnt(5)
	v_fma_f32 v38, v1, v43, 0
	;; [unrolled: 2-line block ×4, first 2 shown]
	s_waitcnt vmcnt(2)
	v_fmac_f32_e32 v38, v2, v44
	v_fmac_f32_e32 v39, v2, v40
	s_delay_alu instid0(VALU_DEP_3) | instskip(SKIP_1) | instid1(VALU_DEP_3)
	v_fmac_f32_e32 v36, v2, v52
	s_waitcnt vmcnt(1)
	v_dual_fmac_f32 v37, v2, v48 :: v_dual_fmac_f32 v38, v3, v45
	s_delay_alu instid0(VALU_DEP_3) | instskip(NEXT) | instid1(VALU_DEP_3)
	v_fmac_f32_e32 v39, v3, v41
	v_fmac_f32_e32 v36, v3, v53
	s_waitcnt vmcnt(0)
	s_delay_alu instid0(VALU_DEP_3) | instskip(NEXT) | instid1(VALU_DEP_3)
	v_dual_fmac_f32 v37, v3, v49 :: v_dual_fmac_f32 v38, v4, v46
	v_fmac_f32_e32 v39, v4, v42
	s_delay_alu instid0(VALU_DEP_3) | instskip(NEXT) | instid1(VALU_DEP_3)
	v_fmac_f32_e32 v36, v4, v54
	v_fmac_f32_e32 v37, v4, v50
	s_and_not1_saveexec_b32 s43, s6
	s_cbranch_execz .LBB40_11
.LBB40_37:                              ;   in Loop: Header=BB40_9 Depth=1
	s_waitcnt lgkmcnt(0)
	v_dual_mov_b32 v36, 0 :: v_dual_mov_b32 v37, 0
	v_dual_mov_b32 v38, 0 :: v_dual_mov_b32 v39, 0
	s_and_saveexec_b32 s44, s3
	s_cbranch_execz .LBB40_44
; %bb.38:                               ;   in Loop: Header=BB40_9 Depth=1
	s_and_not1_b32 vcc_lo, exec_lo, s39
	s_cbranch_vccnz .LBB40_41
; %bb.39:                               ;   in Loop: Header=BB40_9 Depth=1
	v_mov_b32_e32 v18, v9
	s_mov_b64 s[34:35], 0
	.p2align	6
.LBB40_40:                              ;   Parent Loop BB40_9 Depth=1
                                        ; =>  This Inner Loop Header: Depth=2
	s_delay_alu instid0(VALU_DEP_1) | instskip(SKIP_1) | instid1(VALU_DEP_1)
	v_ashrrev_i32_e32 v19, 31, v18
	s_cmp_eq_u32 s34, 3
	v_lshlrev_b64 v[36:37], 2, v[18:19]
	v_add_nc_u32_e32 v18, s33, v18
	s_delay_alu instid0(VALU_DEP_2) | instskip(NEXT) | instid1(VALU_DEP_3)
	v_add_co_u32 v36, vcc_lo, s11, v36
	v_add_co_ci_u32_e32 v37, vcc_lo, s19, v37, vcc_lo
	s_cselect_b32 vcc_lo, -1, 0
	s_cmp_eq_u32 s34, 2
	s_cselect_b32 s6, -1, 0
	global_load_b32 v19, v[36:37], off
	s_cmp_eq_u32 s34, 1
	s_cselect_b32 s7, -1, 0
	s_cmp_eq_u32 s34, 0
	s_cselect_b32 s8, -1, 0
	s_add_u32 s34, s34, 1
	s_addc_u32 s35, s35, 0
	s_cmp_eq_u32 s36, s34
	s_waitcnt vmcnt(0)
	v_cndmask_b32_e32 v4, v4, v19, vcc_lo
	v_cndmask_b32_e64 v3, v3, v19, s6
	v_cndmask_b32_e64 v2, v2, v19, s7
	;; [unrolled: 1-line block ×3, first 2 shown]
	s_cbranch_scc0 .LBB40_40
.LBB40_41:                              ;   in Loop: Header=BB40_9 Depth=1
	v_dual_mov_b32 v36, 0 :: v_dual_mov_b32 v37, 0
	v_dual_mov_b32 v38, 0 :: v_dual_mov_b32 v39, 0
	s_and_not1_b32 vcc_lo, exec_lo, s39
	s_cbranch_vccnz .LBB40_44
; %bb.42:                               ;   in Loop: Header=BB40_9 Depth=1
	s_ashr_i32 s27, s26, 31
	v_dual_mov_b32 v39, 0 :: v_dual_mov_b32 v38, 0
	s_lshl_b64 s[6:7], s[26:27], 2
	v_dual_mov_b32 v37, 0 :: v_dual_mov_b32 v36, 0
	v_add_co_u32 v18, vcc_lo, v33, s6
	v_add_co_ci_u32_e32 v19, vcc_lo, s7, v34, vcc_lo
	s_mov_b64 s[34:35], 0
.LBB40_43:                              ;   Parent Loop BB40_9 Depth=1
                                        ; =>  This Inner Loop Header: Depth=2
	s_delay_alu instid0(SALU_CYCLE_1)
	s_cmp_eq_u32 s34, 1
	s_cselect_b32 vcc_lo, -1, 0
	s_cmp_eq_u32 s34, 2
	v_cndmask_b32_e32 v40, v1, v2, vcc_lo
	s_cselect_b32 vcc_lo, -1, 0
	s_cmp_eq_u32 s34, 3
	s_delay_alu instid0(VALU_DEP_1)
	v_cndmask_b32_e32 v46, v40, v3, vcc_lo
	s_cselect_b32 vcc_lo, -1, 0
	s_add_i32 s6, s30, s34
	s_add_i32 s46, s28, s34
	s_ashr_i32 s7, s6, 31
	s_ashr_i32 s47, s46, 31
	s_lshl_b64 s[6:7], s[6:7], 2
	s_add_i32 s48, s41, s34
	v_add_co_u32 v40, s6, v20, s6
	s_lshl_b64 s[46:47], s[46:47], 2
	s_ashr_i32 s49, s48, 31
	v_add_co_ci_u32_e64 v41, s6, s7, v21, s6
	v_add_co_u32 v42, s6, v20, s46
	s_lshl_b64 s[48:49], s[48:49], 2
	v_add_co_ci_u32_e64 v43, s6, s47, v21, s6
	v_add_co_u32 v44, s6, v20, s48
	s_delay_alu instid0(VALU_DEP_1)
	v_add_co_ci_u32_e64 v45, s6, s49, v21, s6
	global_load_b32 v47, v[18:19], off
	s_clause 0x2
	global_load_b32 v40, v[40:41], off
	global_load_b32 v41, v[42:43], off
	;; [unrolled: 1-line block ×3, first 2 shown]
	v_cndmask_b32_e32 v43, v46, v4, vcc_lo
	v_add_co_u32 v18, s6, v18, 4
	s_delay_alu instid0(VALU_DEP_1)
	v_add_co_ci_u32_e64 v19, s6, 0, v19, s6
	s_add_u32 s34, s34, 1
	s_addc_u32 s35, s35, 0
	s_cmp_lg_u32 s36, s34
	s_waitcnt vmcnt(3)
	v_fmac_f32_e32 v39, v43, v47
	s_waitcnt vmcnt(2)
	v_fmac_f32_e32 v38, v43, v40
	;; [unrolled: 2-line block ×4, first 2 shown]
	s_cbranch_scc1 .LBB40_43
.LBB40_44:                              ;   in Loop: Header=BB40_9 Depth=1
	s_or_b32 exec_lo, exec_lo, s44
	s_delay_alu instid0(SALU_CYCLE_1)
	s_or_b32 exec_lo, exec_lo, s43
	s_and_saveexec_b32 s6, s0
	s_cbranch_execnz .LBB40_12
	s_branch .LBB40_13
.LBB40_45:                              ;   in Loop: Header=BB40_9 Depth=1
	ds_load_b32 v18, v31
	s_or_b32 exec_lo, exec_lo, s6
	s_and_saveexec_b32 s6, s0
	s_cbranch_execz .LBB40_17
.LBB40_46:                              ;   in Loop: Header=BB40_9 Depth=1
	s_waitcnt lgkmcnt(0)
	ds_bpermute_b32 v19, v28, v18
	s_waitcnt lgkmcnt(0)
	v_add_f32_e32 v18, v18, v19
	ds_bpermute_b32 v19, v29, v18
	s_waitcnt lgkmcnt(0)
	v_add_f32_e32 v18, v18, v19
	;; [unrolled: 3-line block ×3, first 2 shown]
	s_or_b32 exec_lo, exec_lo, s6
	s_and_saveexec_b32 s6, s0
	s_cbranch_execnz .LBB40_18
	s_branch .LBB40_19
.LBB40_47:                              ;   in Loop: Header=BB40_9 Depth=1
	ds_load_b32 v19, v31
	s_or_b32 exec_lo, exec_lo, s6
	s_and_saveexec_b32 s6, s0
	s_cbranch_execz .LBB40_23
.LBB40_48:                              ;   in Loop: Header=BB40_9 Depth=1
	s_waitcnt lgkmcnt(0)
	ds_bpermute_b32 v38, v28, v19
	s_waitcnt lgkmcnt(0)
	v_add_f32_e32 v19, v19, v38
	ds_bpermute_b32 v38, v29, v19
	s_waitcnt lgkmcnt(0)
	v_add_f32_e32 v19, v19, v38
	;; [unrolled: 3-line block ×3, first 2 shown]
	s_or_b32 exec_lo, exec_lo, s6
	s_and_saveexec_b32 s6, s0
	s_cbranch_execnz .LBB40_24
	s_branch .LBB40_25
.LBB40_49:                              ;   in Loop: Header=BB40_9 Depth=1
	ds_load_b32 v37, v31
	s_or_b32 exec_lo, exec_lo, s6
	s_and_saveexec_b32 s6, s0
	s_cbranch_execz .LBB40_29
.LBB40_50:                              ;   in Loop: Header=BB40_9 Depth=1
	s_waitcnt lgkmcnt(0)
	ds_bpermute_b32 v38, v28, v37
	s_waitcnt lgkmcnt(0)
	v_add_f32_e32 v37, v37, v38
	ds_bpermute_b32 v38, v29, v37
	s_waitcnt lgkmcnt(0)
	v_add_f32_e32 v37, v37, v38
	;; [unrolled: 3-line block ×3, first 2 shown]
	s_or_b32 exec_lo, exec_lo, s6
	s_and_saveexec_b32 s6, s0
	s_cbranch_execnz .LBB40_30
	s_branch .LBB40_31
.LBB40_51:                              ;   in Loop: Header=BB40_9 Depth=1
	ds_load_b32 v36, v31
	s_or_b32 exec_lo, exec_lo, s6
	s_and_saveexec_b32 s6, s0
	s_cbranch_execz .LBB40_35
.LBB40_52:                              ;   in Loop: Header=BB40_9 Depth=1
	s_waitcnt lgkmcnt(0)
	ds_bpermute_b32 v38, v28, v36
	s_waitcnt lgkmcnt(0)
	v_add_f32_e32 v36, v36, v38
	ds_bpermute_b32 v38, v29, v36
	s_waitcnt lgkmcnt(0)
	v_add_f32_e32 v36, v36, v38
	ds_bpermute_b32 v38, v30, v36
	s_waitcnt lgkmcnt(0)
	v_add_f32_e32 v36, v36, v38
	s_or_b32 exec_lo, exec_lo, s6
	s_and_saveexec_b32 s6, s5
	s_cbranch_execz .LBB40_8
.LBB40_53:                              ;   in Loop: Header=BB40_9 Depth=1
	s_mul_i32 s7, s13, s10
	v_dual_mul_f32 v18, s18, v18 :: v_dual_mul_f32 v19, s18, v19
	s_add_i32 s8, s7, s14
	v_mul_f32_e32 v37, s18, v37
	s_lshl_b64 s[34:35], s[8:9], 2
	s_delay_alu instid0(SALU_CYCLE_1)
	s_add_u32 s34, s38, s34
	s_addc_u32 s35, s37, s35
	s_add_i32 s8, s8, s10
	global_store_b32 v35, v18, s[34:35]
	s_waitcnt lgkmcnt(0)
	v_mul_f32_e32 v18, s18, v36
	s_lshl_b64 s[44:45], s[8:9], 2
	s_delay_alu instid0(SALU_CYCLE_1) | instskip(SKIP_4) | instid1(SALU_CYCLE_1)
	s_add_u32 s44, s38, s44
	s_addc_u32 s45, s37, s45
	s_add_i32 s8, s8, s10
	global_store_b32 v35, v19, s[44:45]
	s_lshl_b64 s[46:47], s[8:9], 2
	s_add_u32 s34, s38, s46
	s_addc_u32 s35, s37, s47
	s_add_i32 s8, s8, s10
	s_delay_alu instid0(SALU_CYCLE_1) | instskip(NEXT) | instid1(SALU_CYCLE_1)
	s_lshl_b64 s[46:47], s[8:9], 2
	s_add_u32 s44, s38, s46
	s_addc_u32 s45, s37, s47
	s_clause 0x1
	global_store_b32 v35, v37, s[34:35]
	global_store_b32 v35, v18, s[44:45]
	s_branch .LBB40_8
.LBB40_54:
	s_mov_b32 s13, 0
                                        ; implicit-def: $vgpr1_vgpr2_vgpr3_vgpr4
.LBB40_55:
	s_delay_alu instid0(SALU_CYCLE_1)
	s_cmp_ge_i32 s13, s17
	s_cbranch_scc1 .LBB40_79
; %bb.56:
	v_cmp_gt_u32_e32 vcc_lo, 16, v22
	v_lshlrev_b32_e32 v17, 2, v6
	v_cmp_eq_u32_e64 s3, 0, v6
	v_ashrrev_i32_e32 v6, 31, v5
	v_cmp_ge_i32_e64 s0, s16, v24
	v_cndmask_b32_e64 v9, 0, 1, vcc_lo
	v_cmp_gt_u32_e32 vcc_lo, 24, v22
	v_cmp_ge_i32_e64 s1, s16, v25
	s_cmp_gt_i32 s36, 0
	s_mov_b32 s15, 0
	v_lshlrev_b32_e32 v9, 4, v9
	v_cndmask_b32_e64 v10, 0, 1, vcc_lo
	v_cmp_gt_u32_e32 vcc_lo, 28, v22
	s_cselect_b32 s9, -1, 0
	s_lshl_b64 s[6:7], s[14:15], 2
	v_add_lshl_u32 v18, v9, v22, 2
	v_add_nc_u32_e32 v9, s33, v5
	v_cndmask_b32_e64 v11, 0, 1, vcc_lo
	v_cmp_gt_u32_e32 vcc_lo, 30, v22
	v_lshlrev_b32_e32 v10, 3, v10
	s_add_u32 s14, s38, s6
	s_addc_u32 s16, s37, s7
	v_lshlrev_b32_e32 v11, 2, v11
	v_cndmask_b32_e64 v12, 0, 1, vcc_lo
	v_cmp_ne_u32_e32 vcc_lo, 31, v22
	v_add_lshl_u32 v19, v10, v22, 2
	v_ashrrev_i32_e32 v10, 31, v9
	v_add_lshl_u32 v24, v11, v22, 2
	v_add_nc_u32_e32 v11, s33, v9
	v_add_co_ci_u32_e32 v13, vcc_lo, 0, v22, vcc_lo
	v_lshlrev_b32_e32 v12, 1, v12
	v_lshlrev_b64 v[15:16], 2, v[9:10]
	s_delay_alu instid0(VALU_DEP_4) | instskip(NEXT) | instid1(VALU_DEP_4)
	v_add_nc_u32_e32 v26, s33, v11
	v_lshlrev_b32_e32 v25, 2, v13
	v_lshlrev_b64 v[13:14], 2, v[5:6]
	v_add_lshl_u32 v22, v12, v22, 2
	v_ashrrev_i32_e32 v12, 31, v11
	v_ashrrev_i32_e32 v27, 31, v26
	s_add_u32 s6, s24, s22
	s_addc_u32 s7, s25, s23
	v_add_co_u32 v9, vcc_lo, s11, v13
	v_add_co_ci_u32_e32 v10, vcc_lo, s19, v14, vcc_lo
	v_lshlrev_b64 v[13:14], 2, v[11:12]
	v_add_co_u32 v11, vcc_lo, s11, v15
	v_add_co_ci_u32_e32 v12, vcc_lo, s19, v16, vcc_lo
	v_lshlrev_b64 v[15:16], 2, v[26:27]
	v_mov_b32_e32 v26, 0
	v_add_co_u32 v13, vcc_lo, s11, v13
	v_add_co_ci_u32_e32 v14, vcc_lo, s19, v14, vcc_lo
	s_delay_alu instid0(VALU_DEP_4)
	v_add_co_u32 v15, vcc_lo, s11, v15
	s_add_u32 s6, s20, s6
	v_add_co_ci_u32_e32 v16, vcc_lo, s19, v16, vcc_lo
	v_cmp_gt_u32_e64 s2, 32, v0
	v_cmp_gt_u32_e64 s4, 8, v0
	v_cmp_eq_u32_e64 s5, 0, v0
	s_addc_u32 s7, s21, s7
	v_add_co_u32 v0, vcc_lo, s6, v7
	v_and_b32_e32 v23, 28, v23
	v_add_co_ci_u32_e32 v8, vcc_lo, s7, v8, vcc_lo
	s_mul_i32 s20, s13, s12
	s_branch .LBB40_58
.LBB40_57:                              ;   in Loop: Header=BB40_58 Depth=1
	s_or_b32 exec_lo, exec_lo, s6
	s_add_i32 s13, s13, 1
	s_add_i32 s20, s20, s12
	s_cmp_ge_i32 s13, s17
	s_cbranch_scc1 .LBB40_79
.LBB40_58:                              ; =>This Loop Header: Depth=1
                                        ;     Child Loop BB40_71 Depth 2
                                        ;     Child Loop BB40_74 Depth 2
	v_mov_b32_e32 v27, s15
	s_and_saveexec_b32 s6, s0
	s_delay_alu instid0(SALU_CYCLE_1)
	s_xor_b32 s6, exec_lo, s6
	s_cbranch_execnz .LBB40_67
; %bb.59:                               ;   in Loop: Header=BB40_58 Depth=1
	s_and_not1_saveexec_b32 s24, s6
	s_cbranch_execnz .LBB40_68
.LBB40_60:                              ;   in Loop: Header=BB40_58 Depth=1
	s_or_b32 exec_lo, exec_lo, s24
	s_and_saveexec_b32 s6, s2
	s_cbranch_execz .LBB40_62
.LBB40_61:                              ;   in Loop: Header=BB40_58 Depth=1
	ds_store_b32 v17, v26
.LBB40_62:                              ;   in Loop: Header=BB40_58 Depth=1
	s_or_b32 exec_lo, exec_lo, s6
	s_waitcnt lgkmcnt(0)
	ds_bpermute_b32 v6, v18, v27
	s_waitcnt lgkmcnt(0)
	s_waitcnt_vscnt null, 0x0
	s_barrier
	buffer_gl0_inv
	v_add_f32_e32 v6, v27, v6
	ds_bpermute_b32 v7, v19, v6
	s_waitcnt lgkmcnt(0)
	v_add_f32_e32 v6, v6, v7
	ds_bpermute_b32 v7, v24, v6
	s_waitcnt lgkmcnt(0)
	;; [unrolled: 3-line block ×3, first 2 shown]
	v_add_f32_e32 v6, v6, v7
	ds_bpermute_b32 v7, v25, v6
	s_and_saveexec_b32 s6, s3
	s_cbranch_execz .LBB40_64
; %bb.63:                               ;   in Loop: Header=BB40_58 Depth=1
	s_waitcnt lgkmcnt(0)
	v_add_f32_e32 v6, v6, v7
	ds_store_b32 v23, v6
.LBB40_64:                              ;   in Loop: Header=BB40_58 Depth=1
	s_or_b32 exec_lo, exec_lo, s6
	v_mov_b32_e32 v6, 0
	s_waitcnt lgkmcnt(0)
	s_barrier
	buffer_gl0_inv
	s_and_saveexec_b32 s6, s4
	s_cbranch_execnz .LBB40_76
; %bb.65:                               ;   in Loop: Header=BB40_58 Depth=1
	s_or_b32 exec_lo, exec_lo, s6
	s_and_saveexec_b32 s6, s2
	s_cbranch_execnz .LBB40_77
.LBB40_66:                              ;   in Loop: Header=BB40_58 Depth=1
	s_or_b32 exec_lo, exec_lo, s6
	s_and_saveexec_b32 s6, s5
	s_cbranch_execz .LBB40_57
	s_branch .LBB40_78
.LBB40_67:                              ;   in Loop: Header=BB40_58 Depth=1
	s_mul_i32 s22, s13, s12
	s_delay_alu instid0(SALU_CYCLE_1) | instskip(NEXT) | instid1(SALU_CYCLE_1)
	s_ashr_i32 s23, s22, 31
	s_lshl_b64 s[22:23], s[22:23], 2
	s_delay_alu instid0(SALU_CYCLE_1)
	v_add_co_u32 v1, vcc_lo, v20, s22
	v_add_co_ci_u32_e32 v2, vcc_lo, s23, v21, vcc_lo
	global_load_b128 v[27:30], v[1:2], off
	s_clause 0x3
	global_load_b32 v1, v[9:10], off
	global_load_b32 v2, v[11:12], off
	;; [unrolled: 1-line block ×4, first 2 shown]
	s_waitcnt vmcnt(3)
	v_fma_f32 v27, v1, v27, 0
	s_waitcnt vmcnt(2)
	s_delay_alu instid0(VALU_DEP_1) | instskip(SKIP_1) | instid1(VALU_DEP_1)
	v_fmac_f32_e32 v27, v2, v28
	s_waitcnt vmcnt(1)
	v_fmac_f32_e32 v27, v3, v29
	s_waitcnt vmcnt(0)
	s_delay_alu instid0(VALU_DEP_1)
	v_fmac_f32_e32 v27, v4, v30
	s_and_not1_saveexec_b32 s24, s6
	s_cbranch_execz .LBB40_60
.LBB40_68:                              ;   in Loop: Header=BB40_58 Depth=1
	s_and_saveexec_b32 s25, s1
	s_cbranch_execz .LBB40_75
; %bb.69:                               ;   in Loop: Header=BB40_58 Depth=1
	s_and_not1_b32 vcc_lo, exec_lo, s9
	s_cbranch_vccnz .LBB40_72
; %bb.70:                               ;   in Loop: Header=BB40_58 Depth=1
	s_waitcnt lgkmcnt(0)
	v_mov_b32_e32 v6, v5
	s_mov_b64 s[22:23], 0
	.p2align	6
.LBB40_71:                              ;   Parent Loop BB40_58 Depth=1
                                        ; =>  This Inner Loop Header: Depth=2
	s_delay_alu instid0(VALU_DEP_1) | instskip(SKIP_1) | instid1(VALU_DEP_1)
	v_ashrrev_i32_e32 v7, 31, v6
	s_cmp_eq_u32 s22, 3
	v_lshlrev_b64 v[28:29], 2, v[6:7]
	v_add_nc_u32_e32 v6, s33, v6
	s_delay_alu instid0(VALU_DEP_2) | instskip(NEXT) | instid1(VALU_DEP_3)
	v_add_co_u32 v28, vcc_lo, s11, v28
	v_add_co_ci_u32_e32 v29, vcc_lo, s19, v29, vcc_lo
	s_cselect_b32 vcc_lo, -1, 0
	s_cmp_eq_u32 s22, 2
	s_cselect_b32 s6, -1, 0
	global_load_b32 v7, v[28:29], off
	s_cmp_eq_u32 s22, 1
	s_cselect_b32 s7, -1, 0
	s_cmp_eq_u32 s22, 0
	s_cselect_b32 s8, -1, 0
	s_add_u32 s22, s22, 1
	s_addc_u32 s23, s23, 0
	s_cmp_eq_u32 s36, s22
	s_waitcnt vmcnt(0)
	v_cndmask_b32_e32 v4, v4, v7, vcc_lo
	v_cndmask_b32_e64 v3, v3, v7, s6
	v_cndmask_b32_e64 v2, v2, v7, s7
	;; [unrolled: 1-line block ×3, first 2 shown]
	s_cbranch_scc0 .LBB40_71
.LBB40_72:                              ;   in Loop: Header=BB40_58 Depth=1
	s_and_not1_b32 vcc_lo, exec_lo, s9
	s_cbranch_vccnz .LBB40_75
; %bb.73:                               ;   in Loop: Header=BB40_58 Depth=1
	s_ashr_i32 s21, s20, 31
	s_delay_alu instid0(SALU_CYCLE_1)
	s_lshl_b64 s[6:7], s[20:21], 2
	s_waitcnt lgkmcnt(0)
	v_add_co_u32 v6, vcc_lo, v0, s6
	v_add_co_ci_u32_e32 v7, vcc_lo, s7, v8, vcc_lo
	s_mov_b64 s[6:7], 0
	.p2align	6
.LBB40_74:                              ;   Parent Loop BB40_58 Depth=1
                                        ; =>  This Inner Loop Header: Depth=2
	global_load_b32 v28, v[6:7], off
	s_cmp_eq_u32 s6, 1
	s_cselect_b32 vcc_lo, -1, 0
	s_cmp_eq_u32 s6, 2
	v_cndmask_b32_e32 v29, v1, v2, vcc_lo
	s_cselect_b32 vcc_lo, -1, 0
	s_cmp_eq_u32 s6, 3
	s_delay_alu instid0(VALU_DEP_1)
	v_cndmask_b32_e32 v29, v29, v3, vcc_lo
	s_cselect_b32 vcc_lo, -1, 0
	s_add_u32 s6, s6, 1
	s_addc_u32 s7, s7, 0
	s_cmp_lg_u32 s36, s6
	v_cndmask_b32_e32 v29, v29, v4, vcc_lo
	v_add_co_u32 v6, vcc_lo, v6, 4
	v_add_co_ci_u32_e32 v7, vcc_lo, 0, v7, vcc_lo
	s_waitcnt vmcnt(0)
	s_delay_alu instid0(VALU_DEP_3)
	v_fmac_f32_e32 v27, v29, v28
	s_cbranch_scc1 .LBB40_74
.LBB40_75:                              ;   in Loop: Header=BB40_58 Depth=1
	s_or_b32 exec_lo, exec_lo, s25
	s_delay_alu instid0(SALU_CYCLE_1)
	s_or_b32 exec_lo, exec_lo, s24
	s_and_saveexec_b32 s6, s2
	s_cbranch_execnz .LBB40_61
	s_branch .LBB40_62
.LBB40_76:                              ;   in Loop: Header=BB40_58 Depth=1
	ds_load_b32 v6, v17
	s_or_b32 exec_lo, exec_lo, s6
	s_and_saveexec_b32 s6, s2
	s_cbranch_execz .LBB40_66
.LBB40_77:                              ;   in Loop: Header=BB40_58 Depth=1
	s_waitcnt lgkmcnt(0)
	ds_bpermute_b32 v7, v24, v6
	s_waitcnt lgkmcnt(0)
	v_add_f32_e32 v6, v6, v7
	ds_bpermute_b32 v7, v22, v6
	s_waitcnt lgkmcnt(0)
	v_add_f32_e32 v6, v6, v7
	;; [unrolled: 3-line block ×3, first 2 shown]
	s_or_b32 exec_lo, exec_lo, s6
	s_and_saveexec_b32 s6, s5
	s_cbranch_execz .LBB40_57
.LBB40_78:                              ;   in Loop: Header=BB40_58 Depth=1
	s_mul_hi_u32 s23, s13, s10
	s_mul_i32 s22, s13, s10
	s_waitcnt lgkmcnt(0)
	v_mul_f32_e32 v6, s18, v6
	s_lshl_b64 s[22:23], s[22:23], 2
	s_delay_alu instid0(SALU_CYCLE_1)
	s_add_u32 s22, s14, s22
	s_addc_u32 s23, s16, s23
	global_store_b32 v26, v6, s[22:23]
	s_branch .LBB40_57
.LBB40_79:
	s_nop 0
	s_sendmsg sendmsg(MSG_DEALLOC_VGPRS)
	s_endpgm
	.section	.rodata,"a",@progbits
	.p2align	6, 0x0
	.amdhsa_kernel _ZL23rocblas_gemvt_sn_kernelILb1ELi256ELi4EifffEviiT4_lPKT3_lilS3_lilPT5_i
		.amdhsa_group_segment_fixed_size 128
		.amdhsa_private_segment_fixed_size 0
		.amdhsa_kernarg_size 360
		.amdhsa_user_sgpr_count 14
		.amdhsa_user_sgpr_dispatch_ptr 0
		.amdhsa_user_sgpr_queue_ptr 0
		.amdhsa_user_sgpr_kernarg_segment_ptr 1
		.amdhsa_user_sgpr_dispatch_id 0
		.amdhsa_user_sgpr_private_segment_size 0
		.amdhsa_wavefront_size32 1
		.amdhsa_uses_dynamic_stack 0
		.amdhsa_enable_private_segment 0
		.amdhsa_system_sgpr_workgroup_id_x 1
		.amdhsa_system_sgpr_workgroup_id_y 0
		.amdhsa_system_sgpr_workgroup_id_z 1
		.amdhsa_system_sgpr_workgroup_info 0
		.amdhsa_system_vgpr_workitem_id 0
		.amdhsa_next_free_vgpr 55
		.amdhsa_next_free_sgpr 50
		.amdhsa_reserve_vcc 1
		.amdhsa_float_round_mode_32 0
		.amdhsa_float_round_mode_16_64 0
		.amdhsa_float_denorm_mode_32 3
		.amdhsa_float_denorm_mode_16_64 3
		.amdhsa_dx10_clamp 1
		.amdhsa_ieee_mode 1
		.amdhsa_fp16_overflow 0
		.amdhsa_workgroup_processor_mode 1
		.amdhsa_memory_ordered 1
		.amdhsa_forward_progress 0
		.amdhsa_shared_vgpr_count 0
		.amdhsa_exception_fp_ieee_invalid_op 0
		.amdhsa_exception_fp_denorm_src 0
		.amdhsa_exception_fp_ieee_div_zero 0
		.amdhsa_exception_fp_ieee_overflow 0
		.amdhsa_exception_fp_ieee_underflow 0
		.amdhsa_exception_fp_ieee_inexact 0
		.amdhsa_exception_int_div_zero 0
	.end_amdhsa_kernel
	.section	.text._ZL23rocblas_gemvt_sn_kernelILb1ELi256ELi4EifffEviiT4_lPKT3_lilS3_lilPT5_i,"axG",@progbits,_ZL23rocblas_gemvt_sn_kernelILb1ELi256ELi4EifffEviiT4_lPKT3_lilS3_lilPT5_i,comdat
.Lfunc_end40:
	.size	_ZL23rocblas_gemvt_sn_kernelILb1ELi256ELi4EifffEviiT4_lPKT3_lilS3_lilPT5_i, .Lfunc_end40-_ZL23rocblas_gemvt_sn_kernelILb1ELi256ELi4EifffEviiT4_lPKT3_lilS3_lilPT5_i
                                        ; -- End function
	.section	.AMDGPU.csdata,"",@progbits
; Kernel info:
; codeLenInByte = 4108
; NumSgprs: 52
; NumVgprs: 55
; ScratchSize: 0
; MemoryBound: 0
; FloatMode: 240
; IeeeMode: 1
; LDSByteSize: 128 bytes/workgroup (compile time only)
; SGPRBlocks: 6
; VGPRBlocks: 6
; NumSGPRsForWavesPerEU: 52
; NumVGPRsForWavesPerEU: 55
; Occupancy: 16
; WaveLimiterHint : 1
; COMPUTE_PGM_RSRC2:SCRATCH_EN: 0
; COMPUTE_PGM_RSRC2:USER_SGPR: 14
; COMPUTE_PGM_RSRC2:TRAP_HANDLER: 0
; COMPUTE_PGM_RSRC2:TGID_X_EN: 1
; COMPUTE_PGM_RSRC2:TGID_Y_EN: 0
; COMPUTE_PGM_RSRC2:TGID_Z_EN: 1
; COMPUTE_PGM_RSRC2:TIDIG_COMP_CNT: 0
	.section	.text._ZL23rocblas_gemvt_sn_kernelILb1ELi256ELi4ElfffEviiT4_lPKT3_lilS3_lilPT5_i,"axG",@progbits,_ZL23rocblas_gemvt_sn_kernelILb1ELi256ELi4ElfffEviiT4_lPKT3_lilS3_lilPT5_i,comdat
	.globl	_ZL23rocblas_gemvt_sn_kernelILb1ELi256ELi4ElfffEviiT4_lPKT3_lilS3_lilPT5_i ; -- Begin function _ZL23rocblas_gemvt_sn_kernelILb1ELi256ELi4ElfffEviiT4_lPKT3_lilS3_lilPT5_i
	.p2align	8
	.type	_ZL23rocblas_gemvt_sn_kernelILb1ELi256ELi4ElfffEviiT4_lPKT3_lilS3_lilPT5_i,@function
_ZL23rocblas_gemvt_sn_kernelILb1ELi256ELi4ElfffEviiT4_lPKT3_lilS3_lilPT5_i: ; @_ZL23rocblas_gemvt_sn_kernelILb1ELi256ELi4ElfffEviiT4_lPKT3_lilS3_lilPT5_i
; %bb.0:
	s_clause 0x2
	s_load_b128 s[16:19], s[0:1], 0x0
	s_load_b32 s12, s[0:1], 0x68
	s_load_b128 s[4:7], s[0:1], 0x50
	s_mov_b32 s13, 0
	s_waitcnt lgkmcnt(0)
	s_ashr_i32 s36, s17, 31
	s_mul_hi_u32 s2, s17, s15
	s_mul_i32 s3, s36, s15
	s_mul_i32 s8, s17, s15
	s_add_i32 s2, s2, s3
	s_mul_hi_u32 s3, s8, s12
	s_mul_i32 s9, s2, s12
	s_mul_i32 s2, s8, s12
	s_add_i32 s3, s3, s9
	v_cmp_neq_f32_e64 s8, s18, 0
	s_lshl_b64 s[2:3], s[2:3], 2
	s_delay_alu instid0(SALU_CYCLE_1)
	s_add_u32 s19, s6, s2
	v_cmp_eq_u32_e64 s2, 0, v0
	s_addc_u32 s33, s7, s3
	s_and_b32 vcc_lo, exec_lo, s8
	s_cbranch_vccnz .LBB41_5
; %bb.1:
	s_cmp_gt_i32 s17, 0
	s_cselect_b32 s3, -1, 0
	s_delay_alu instid0(SALU_CYCLE_1) | instskip(NEXT) | instid1(SALU_CYCLE_1)
	s_and_b32 s2, s2, s3
	s_and_saveexec_b32 s8, s2
	s_cbranch_execz .LBB41_4
; %bb.2:
	s_mov_b32 s2, s15
	s_mov_b32 s15, 0
	v_mov_b32_e32 v1, 0
	s_lshl_b64 s[6:7], s[14:15], 2
	s_mov_b32 s15, s2
	s_add_u32 s2, s19, s6
	s_addc_u32 s3, s33, s7
	s_lshl_b64 s[6:7], s[12:13], 2
	s_mov_b32 s9, s17
.LBB41_3:                               ; =>This Inner Loop Header: Depth=1
	s_delay_alu instid0(SALU_CYCLE_1)
	s_add_i32 s9, s9, -1
	global_store_b32 v1, v1, s[2:3]
	s_add_u32 s2, s2, s6
	s_addc_u32 s3, s3, s7
	s_cmp_eq_u32 s9, 0
	s_cbranch_scc0 .LBB41_3
.LBB41_4:
	s_or_b32 exec_lo, exec_lo, s8
	s_cbranch_execz .LBB41_6
	s_branch .LBB41_79
.LBB41_5:
.LBB41_6:
	s_clause 0x4
	s_load_b32 s24, s[0:1], 0x28
	s_load_b32 s26, s[0:1], 0x48
	s_load_b128 s[8:11], s[0:1], 0x30
	s_load_b64 s[2:3], s[0:1], 0x40
	s_load_b128 s[20:23], s[0:1], 0x18
	s_mul_i32 s1, s15, s5
	s_mul_hi_u32 s5, s15, s4
	s_mul_i32 s0, s15, s4
	s_add_i32 s1, s5, s1
	v_and_b32_e32 v24, 31, v0
	s_lshl_b64 s[28:29], s[0:1], 2
	v_mbcnt_lo_u32_b32 v27, -1, 0
	v_lshrrev_b32_e32 v29, 3, v0
	s_waitcnt lgkmcnt(0)
	s_ashr_i32 s25, s24, 31
	s_ashr_i32 s27, s26, 31
	s_add_u32 s4, s10, s28
	s_addc_u32 s5, s11, s29
	s_lshl_b64 s[34:35], s[2:3], 2
	s_mul_i32 s0, s15, s9
	s_mul_hi_u32 s1, s15, s8
	s_add_u32 s46, s4, s34
	s_mul_i32 s2, s15, s8
	s_addc_u32 s47, s5, s35
	s_add_i32 s3, s1, s0
	v_cmp_gt_u32_e64 s0, 32, v0
	s_lshl_b64 s[30:31], s[2:3], 2
	v_cmp_gt_u32_e64 s1, 8, v0
	s_add_u32 s2, s20, s30
	s_addc_u32 s3, s21, s31
	s_lshl_b64 s[22:23], s[22:23], 2
	s_delay_alu instid0(SALU_CYCLE_1)
	s_add_u32 s2, s2, s22
	s_addc_u32 s3, s3, s23
	s_lshl_b32 s4, s14, 10
	s_ashr_i32 s5, s16, 31
	v_lshl_or_b32 v9, v0, 2, s4
	s_lshr_b32 s4, s36, 30
	s_lshr_b32 s5, s5, 30
	s_add_i32 s4, s17, s4
	s_add_i32 s5, s16, s5
	v_ashrrev_i32_e32 v10, 31, v9
	s_and_b32 s48, s4, -4
	s_and_b32 s4, s5, -4
	v_add_nc_u32_e32 v30, 4, v9
	s_sub_i32 s13, s16, s4
	v_lshlrev_b64 v[7:8], 2, v[9:10]
	v_or_b32_e32 v28, 1, v9
	v_or_b32_e32 v26, 2, v9
	v_add_nc_u32_e32 v31, s13, v9
	v_or_b32_e32 v25, 3, v9
	s_cmp_lt_i32 s48, 1
	v_add_co_u32 v5, vcc_lo, s2, v7
	v_add_co_ci_u32_e32 v6, vcc_lo, s3, v8, vcc_lo
	s_cbranch_scc1 .LBB41_54
; %bb.7:
	v_cmp_gt_u32_e32 vcc_lo, 16, v27
	v_mad_i64_i32 v[12:13], null, s26, v26, 0
	v_mad_i64_i32 v[14:15], null, s26, v25, 0
	v_cndmask_b32_e64 v1, 0, 1, vcc_lo
	v_cmp_gt_u32_e32 vcc_lo, 24, v27
	s_mov_b32 s15, 0
	s_cmp_gt_i32 s13, 0
	s_delay_alu instid0(VALU_DEP_4)
	v_lshlrev_b64 v[16:17], 2, v[12:13]
	v_lshlrev_b32_e32 v1, 4, v1
	v_cndmask_b32_e64 v2, 0, 1, vcc_lo
	v_cmp_gt_u32_e32 vcc_lo, 28, v27
	s_cselect_b32 s49, -1, 0
	s_lshl_b64 s[6:7], s[14:15], 2
	s_delay_alu instid0(VALU_DEP_2)
	v_dual_mov_b32 v39, 0 :: v_dual_lshlrev_b32 v2, 3, v2
	v_cndmask_b32_e64 v3, 0, 1, vcc_lo
	v_cmp_gt_u32_e32 vcc_lo, 30, v27
	s_add_u32 s50, s19, s6
	s_addc_u32 s51, s33, s7
	v_add_lshl_u32 v33, v2, v27, 2
	v_lshlrev_b32_e32 v3, 2, v3
	v_cndmask_b32_e64 v4, 0, 1, vcc_lo
	v_cmp_ne_u32_e32 vcc_lo, 31, v27
	v_dual_mov_b32 v21, v6 :: v_dual_mov_b32 v20, v5
	v_add_lshl_u32 v32, v1, v27, 2
	s_delay_alu instid0(VALU_DEP_4) | instskip(SKIP_3) | instid1(VALU_DEP_4)
	v_lshlrev_b32_e32 v4, 1, v4
	v_mad_i64_i32 v[1:2], null, s26, v9, 0
	v_add_lshl_u32 v34, v3, v27, 2
	v_add_co_ci_u32_e32 v10, vcc_lo, 0, v27, vcc_lo
	v_add_lshl_u32 v35, v4, v27, 2
	v_mad_i64_i32 v[3:4], null, s26, v28, 0
	v_lshlrev_b64 v[1:2], 2, v[1:2]
	s_delay_alu instid0(VALU_DEP_4) | instskip(SKIP_4) | instid1(VALU_DEP_3)
	v_lshlrev_b32_e32 v36, 2, v10
	s_add_u32 s6, s10, s34
	s_addc_u32 s7, s11, s35
	s_add_u32 s6, s6, s28
	s_addc_u32 s7, s7, s29
	v_lshlrev_b64 v[3:4], 2, v[3:4]
	v_add_co_u32 v10, vcc_lo, s46, v1
	v_add_co_ci_u32_e32 v11, vcc_lo, s47, v2, vcc_lo
	v_cmp_ge_i32_e64 s2, s16, v30
	s_delay_alu instid0(VALU_DEP_4)
	v_add_co_u32 v12, vcc_lo, s46, v3
	v_add_co_ci_u32_e32 v13, vcc_lo, s47, v4, vcc_lo
	v_lshlrev_b64 v[3:4], 2, v[14:15]
	v_add_co_u32 v14, vcc_lo, s46, v16
	v_add_co_ci_u32_e32 v15, vcc_lo, s47, v17, vcc_lo
	v_cmp_ge_i32_e64 s3, s16, v31
	s_delay_alu instid0(VALU_DEP_4)
	v_add_co_u32 v16, vcc_lo, s46, v3
	v_add_co_ci_u32_e32 v17, vcc_lo, s47, v4, vcc_lo
	v_add_co_u32 v18, vcc_lo, s6, v1
	v_cmp_eq_u32_e64 s4, 0, v24
	v_lshlrev_b32_e32 v37, 2, v24
	v_and_b32_e32 v38, 28, v29
	v_cmp_eq_u32_e64 s5, 0, v0
	v_add_co_ci_u32_e32 v19, vcc_lo, s7, v2, vcc_lo
	s_lshl_b64 s[36:37], s[26:27], 2
	s_lshl_b64 s[38:39], s[24:25], 4
	;; [unrolled: 1-line block ×4, first 2 shown]
	s_mul_hi_i32 s52, s24, 12
	s_mul_i32 s53, s24, 12
                                        ; implicit-def: $vgpr1_vgpr2_vgpr3_vgpr4
	s_branch .LBB41_9
.LBB41_8:                               ;   in Loop: Header=BB41_9 Depth=1
	s_or_b32 exec_lo, exec_lo, s6
	v_add_co_u32 v20, vcc_lo, v20, s38
	v_add_co_ci_u32_e32 v21, vcc_lo, s39, v21, vcc_lo
	s_add_i32 s15, s15, 4
	s_delay_alu instid0(SALU_CYCLE_1)
	s_cmp_ge_i32 s15, s48
	s_cbranch_scc1 .LBB41_55
.LBB41_9:                               ; =>This Loop Header: Depth=1
                                        ;     Child Loop BB41_40 Depth 2
                                        ;     Child Loop BB41_43 Depth 2
                                        ; implicit-def: $vgpr40
                                        ; implicit-def: $vgpr41
                                        ; implicit-def: $vgpr42
                                        ; implicit-def: $vgpr43
	s_and_saveexec_b32 s6, s2
	s_delay_alu instid0(SALU_CYCLE_1)
	s_xor_b32 s6, exec_lo, s6
	s_cbranch_execnz .LBB41_36
; %bb.10:                               ;   in Loop: Header=BB41_9 Depth=1
	s_and_not1_saveexec_b32 s54, s6
	s_cbranch_execnz .LBB41_37
.LBB41_11:                              ;   in Loop: Header=BB41_9 Depth=1
	s_or_b32 exec_lo, exec_lo, s54
	s_and_saveexec_b32 s6, s0
	s_cbranch_execz .LBB41_13
.LBB41_12:                              ;   in Loop: Header=BB41_9 Depth=1
	ds_store_b32 v37, v39
.LBB41_13:                              ;   in Loop: Header=BB41_9 Depth=1
	s_or_b32 exec_lo, exec_lo, s6
	ds_bpermute_b32 v22, v32, v43
	s_waitcnt lgkmcnt(0)
	s_waitcnt_vscnt null, 0x0
	s_barrier
	buffer_gl0_inv
	v_add_f32_e32 v22, v43, v22
	ds_bpermute_b32 v23, v33, v22
	s_waitcnt lgkmcnt(0)
	v_add_f32_e32 v22, v22, v23
	ds_bpermute_b32 v23, v34, v22
	s_waitcnt lgkmcnt(0)
	;; [unrolled: 3-line block ×3, first 2 shown]
	v_add_f32_e32 v22, v22, v23
	ds_bpermute_b32 v23, v36, v22
	s_and_saveexec_b32 s6, s4
	s_cbranch_execz .LBB41_15
; %bb.14:                               ;   in Loop: Header=BB41_9 Depth=1
	s_waitcnt lgkmcnt(0)
	v_add_f32_e32 v22, v22, v23
	ds_store_b32 v38, v22
.LBB41_15:                              ;   in Loop: Header=BB41_9 Depth=1
	s_or_b32 exec_lo, exec_lo, s6
	v_mov_b32_e32 v22, 0
	s_waitcnt lgkmcnt(0)
	s_barrier
	buffer_gl0_inv
	s_and_saveexec_b32 s6, s1
	s_cbranch_execnz .LBB41_45
; %bb.16:                               ;   in Loop: Header=BB41_9 Depth=1
	s_or_b32 exec_lo, exec_lo, s6
	s_and_saveexec_b32 s6, s0
	s_cbranch_execnz .LBB41_46
.LBB41_17:                              ;   in Loop: Header=BB41_9 Depth=1
	s_or_b32 exec_lo, exec_lo, s6
	s_and_saveexec_b32 s6, s0
	s_cbranch_execz .LBB41_19
.LBB41_18:                              ;   in Loop: Header=BB41_9 Depth=1
	ds_store_b32 v37, v39
.LBB41_19:                              ;   in Loop: Header=BB41_9 Depth=1
	s_or_b32 exec_lo, exec_lo, s6
	ds_bpermute_b32 v23, v32, v42
	s_waitcnt lgkmcnt(0)
	s_barrier
	buffer_gl0_inv
	v_add_f32_e32 v23, v42, v23
	ds_bpermute_b32 v42, v33, v23
	s_waitcnt lgkmcnt(0)
	v_add_f32_e32 v23, v23, v42
	ds_bpermute_b32 v42, v34, v23
	s_waitcnt lgkmcnt(0)
	;; [unrolled: 3-line block ×3, first 2 shown]
	v_add_f32_e32 v23, v23, v42
	ds_bpermute_b32 v42, v36, v23
	s_and_saveexec_b32 s6, s4
	s_cbranch_execz .LBB41_21
; %bb.20:                               ;   in Loop: Header=BB41_9 Depth=1
	s_waitcnt lgkmcnt(0)
	v_add_f32_e32 v23, v23, v42
	ds_store_b32 v38, v23
.LBB41_21:                              ;   in Loop: Header=BB41_9 Depth=1
	s_or_b32 exec_lo, exec_lo, s6
	v_mov_b32_e32 v23, 0
	s_waitcnt lgkmcnt(0)
	s_barrier
	buffer_gl0_inv
	s_and_saveexec_b32 s6, s1
	s_cbranch_execnz .LBB41_47
; %bb.22:                               ;   in Loop: Header=BB41_9 Depth=1
	s_or_b32 exec_lo, exec_lo, s6
	s_and_saveexec_b32 s6, s0
	s_cbranch_execnz .LBB41_48
.LBB41_23:                              ;   in Loop: Header=BB41_9 Depth=1
	s_or_b32 exec_lo, exec_lo, s6
	s_and_saveexec_b32 s6, s0
	s_cbranch_execz .LBB41_25
.LBB41_24:                              ;   in Loop: Header=BB41_9 Depth=1
	ds_store_b32 v37, v39
.LBB41_25:                              ;   in Loop: Header=BB41_9 Depth=1
	s_or_b32 exec_lo, exec_lo, s6
	ds_bpermute_b32 v42, v32, v41
	s_waitcnt lgkmcnt(0)
	s_barrier
	buffer_gl0_inv
	v_add_f32_e32 v41, v41, v42
	ds_bpermute_b32 v42, v33, v41
	s_waitcnt lgkmcnt(0)
	v_add_f32_e32 v41, v41, v42
	ds_bpermute_b32 v42, v34, v41
	s_waitcnt lgkmcnt(0)
	;; [unrolled: 3-line block ×3, first 2 shown]
	v_add_f32_e32 v41, v41, v42
	ds_bpermute_b32 v42, v36, v41
	s_and_saveexec_b32 s6, s4
	s_cbranch_execz .LBB41_27
; %bb.26:                               ;   in Loop: Header=BB41_9 Depth=1
	s_waitcnt lgkmcnt(0)
	v_add_f32_e32 v41, v41, v42
	ds_store_b32 v38, v41
.LBB41_27:                              ;   in Loop: Header=BB41_9 Depth=1
	s_or_b32 exec_lo, exec_lo, s6
	v_mov_b32_e32 v41, 0
	s_waitcnt lgkmcnt(0)
	s_barrier
	buffer_gl0_inv
	s_and_saveexec_b32 s6, s1
	s_cbranch_execnz .LBB41_49
; %bb.28:                               ;   in Loop: Header=BB41_9 Depth=1
	s_or_b32 exec_lo, exec_lo, s6
	s_and_saveexec_b32 s6, s0
	s_cbranch_execnz .LBB41_50
.LBB41_29:                              ;   in Loop: Header=BB41_9 Depth=1
	s_or_b32 exec_lo, exec_lo, s6
	s_and_saveexec_b32 s6, s0
	s_cbranch_execz .LBB41_31
.LBB41_30:                              ;   in Loop: Header=BB41_9 Depth=1
	ds_store_b32 v37, v39
.LBB41_31:                              ;   in Loop: Header=BB41_9 Depth=1
	s_or_b32 exec_lo, exec_lo, s6
	ds_bpermute_b32 v42, v32, v40
	s_waitcnt lgkmcnt(0)
	s_barrier
	buffer_gl0_inv
	v_add_f32_e32 v40, v40, v42
	ds_bpermute_b32 v42, v33, v40
	s_waitcnt lgkmcnt(0)
	v_add_f32_e32 v40, v40, v42
	ds_bpermute_b32 v42, v34, v40
	s_waitcnt lgkmcnt(0)
	;; [unrolled: 3-line block ×3, first 2 shown]
	v_add_f32_e32 v40, v40, v42
	ds_bpermute_b32 v42, v36, v40
	s_and_saveexec_b32 s6, s4
	s_cbranch_execz .LBB41_33
; %bb.32:                               ;   in Loop: Header=BB41_9 Depth=1
	s_waitcnt lgkmcnt(0)
	v_add_f32_e32 v40, v40, v42
	ds_store_b32 v38, v40
.LBB41_33:                              ;   in Loop: Header=BB41_9 Depth=1
	s_or_b32 exec_lo, exec_lo, s6
	v_mov_b32_e32 v40, 0
	s_waitcnt lgkmcnt(0)
	s_barrier
	buffer_gl0_inv
	s_and_saveexec_b32 s6, s1
	s_cbranch_execnz .LBB41_51
; %bb.34:                               ;   in Loop: Header=BB41_9 Depth=1
	s_or_b32 exec_lo, exec_lo, s6
	s_and_saveexec_b32 s6, s0
	s_cbranch_execnz .LBB41_52
.LBB41_35:                              ;   in Loop: Header=BB41_9 Depth=1
	s_or_b32 exec_lo, exec_lo, s6
	s_and_saveexec_b32 s6, s5
	s_cbranch_execz .LBB41_8
	s_branch .LBB41_53
.LBB41_36:                              ;   in Loop: Header=BB41_9 Depth=1
	s_mul_i32 s7, s15, s25
	s_mul_hi_u32 s8, s15, s24
	s_delay_alu instid0(SALU_CYCLE_1)
	s_add_i32 s9, s8, s7
	s_mul_i32 s8, s15, s24
	s_or_b32 s7, s15, 1
	s_lshl_b64 s[8:9], s[8:9], 2
	s_mul_i32 s44, s7, s25
	s_mul_hi_u32 s45, s7, s24
	v_add_co_u32 v2, vcc_lo, v5, s8
	v_add_co_ci_u32_e32 v3, vcc_lo, s9, v6, vcc_lo
	s_add_i32 s9, s45, s44
	s_mul_i32 s8, s7, s24
	s_or_b32 s7, s15, 2
	s_lshl_b64 s[8:9], s[8:9], 2
	s_mul_i32 s44, s7, s25
	s_mul_hi_u32 s45, s7, s24
	v_add_co_u32 v22, vcc_lo, v5, s8
	v_add_co_ci_u32_e32 v23, vcc_lo, s9, v6, vcc_lo
	s_add_i32 s9, s45, s44
	s_or_b32 s44, s15, 3
	s_mul_i32 s8, s7, s24
	s_mul_i32 s7, s44, s25
	s_mul_hi_u32 s45, s44, s24
	s_lshl_b64 s[8:9], s[8:9], 2
	s_add_i32 s45, s45, s7
	s_mul_i32 s44, s44, s24
	s_waitcnt lgkmcnt(0)
	v_add_co_u32 v40, vcc_lo, v5, s8
	v_add_co_ci_u32_e32 v41, vcc_lo, s9, v6, vcc_lo
	s_lshl_b64 s[8:9], s[44:45], 2
	s_delay_alu instid0(SALU_CYCLE_1)
	v_add_co_u32 v55, vcc_lo, v5, s8
	v_add_co_ci_u32_e32 v56, vcc_lo, s9, v6, vcc_lo
	global_load_b32 v1, v[10:11], off
	s_clause 0x3
	global_load_b128 v[43:46], v[2:3], off
	global_load_b128 v[47:50], v[22:23], off
	;; [unrolled: 1-line block ×4, first 2 shown]
	s_clause 0x2
	global_load_b32 v2, v[12:13], off
	global_load_b32 v3, v[14:15], off
	;; [unrolled: 1-line block ×3, first 2 shown]
	s_waitcnt vmcnt(6)
	v_fma_f32 v43, v1, v43, 0
	s_waitcnt vmcnt(5)
	v_fma_f32 v42, v1, v47, 0
	;; [unrolled: 2-line block ×4, first 2 shown]
	s_waitcnt vmcnt(2)
	v_fmac_f32_e32 v42, v2, v48
	v_fmac_f32_e32 v43, v2, v44
	s_delay_alu instid0(VALU_DEP_3) | instskip(SKIP_1) | instid1(VALU_DEP_3)
	v_fmac_f32_e32 v40, v2, v56
	s_waitcnt vmcnt(1)
	v_dual_fmac_f32 v41, v2, v52 :: v_dual_fmac_f32 v42, v3, v49
	s_delay_alu instid0(VALU_DEP_3) | instskip(NEXT) | instid1(VALU_DEP_3)
	v_fmac_f32_e32 v43, v3, v45
	v_fmac_f32_e32 v40, v3, v57
	s_waitcnt vmcnt(0)
	s_delay_alu instid0(VALU_DEP_3) | instskip(NEXT) | instid1(VALU_DEP_3)
	v_dual_fmac_f32 v41, v3, v53 :: v_dual_fmac_f32 v42, v4, v50
	v_fmac_f32_e32 v43, v4, v46
	s_delay_alu instid0(VALU_DEP_3) | instskip(NEXT) | instid1(VALU_DEP_3)
	v_fmac_f32_e32 v40, v4, v58
	v_fmac_f32_e32 v41, v4, v54
	s_and_not1_saveexec_b32 s54, s6
	s_cbranch_execz .LBB41_11
.LBB41_37:                              ;   in Loop: Header=BB41_9 Depth=1
	s_waitcnt lgkmcnt(0)
	v_dual_mov_b32 v40, 0 :: v_dual_mov_b32 v41, 0
	v_dual_mov_b32 v42, 0 :: v_dual_mov_b32 v43, 0
	s_and_saveexec_b32 s55, s3
	s_cbranch_execz .LBB41_44
; %bb.38:                               ;   in Loop: Header=BB41_9 Depth=1
	s_and_not1_b32 vcc_lo, exec_lo, s49
	s_cbranch_vccnz .LBB41_41
; %bb.39:                               ;   in Loop: Header=BB41_9 Depth=1
	v_dual_mov_b32 v23, v19 :: v_dual_mov_b32 v22, v18
	s_mov_b64 s[44:45], 0
	.p2align	6
.LBB41_40:                              ;   Parent Loop BB41_9 Depth=1
                                        ; =>  This Inner Loop Header: Depth=2
	global_load_b32 v40, v[22:23], off
	v_add_co_u32 v22, vcc_lo, v22, s36
	s_cmp_eq_u32 s44, 3
	v_add_co_ci_u32_e32 v23, vcc_lo, s37, v23, vcc_lo
	s_cselect_b32 vcc_lo, -1, 0
	s_cmp_eq_u32 s44, 2
	s_cselect_b32 s6, -1, 0
	s_cmp_eq_u32 s44, 1
	s_cselect_b32 s7, -1, 0
	;; [unrolled: 2-line block ×3, first 2 shown]
	s_add_u32 s44, s44, 1
	s_addc_u32 s45, s45, 0
	s_cmp_eq_u32 s13, s44
	s_waitcnt vmcnt(0)
	v_cndmask_b32_e32 v4, v4, v40, vcc_lo
	v_cndmask_b32_e64 v3, v3, v40, s6
	v_cndmask_b32_e64 v2, v2, v40, s7
	;; [unrolled: 1-line block ×3, first 2 shown]
	s_cbranch_scc0 .LBB41_40
.LBB41_41:                              ;   in Loop: Header=BB41_9 Depth=1
	v_dual_mov_b32 v40, 0 :: v_dual_mov_b32 v41, 0
	v_dual_mov_b32 v42, 0 :: v_dual_mov_b32 v43, 0
	s_and_not1_b32 vcc_lo, exec_lo, s49
	s_cbranch_vccnz .LBB41_44
; %bb.42:                               ;   in Loop: Header=BB41_9 Depth=1
	v_dual_mov_b32 v23, v21 :: v_dual_mov_b32 v42, 0
	v_dual_mov_b32 v43, 0 :: v_dual_mov_b32 v22, v20
	;; [unrolled: 1-line block ×3, first 2 shown]
	s_mov_b64 s[8:9], 0
	s_set_inst_prefetch_distance 0x1
	.p2align	6
.LBB41_43:                              ;   Parent Loop BB41_9 Depth=1
                                        ; =>  This Inner Loop Header: Depth=2
	s_delay_alu instid0(VALU_DEP_2)
	v_add_co_u32 v44, vcc_lo, v22, s40
	v_add_co_ci_u32_e32 v45, vcc_lo, s41, v23, vcc_lo
	v_add_co_u32 v46, vcc_lo, v22, s42
	v_add_co_ci_u32_e32 v47, vcc_lo, s43, v23, vcc_lo
	;; [unrolled: 2-line block ×3, first 2 shown]
	s_clause 0x3
	global_load_b32 v50, v[22:23], off
	global_load_b32 v44, v[44:45], off
	;; [unrolled: 1-line block ×4, first 2 shown]
	s_cmp_eq_u32 s8, 1
	v_add_co_u32 v22, s6, v22, 4
	s_cselect_b32 vcc_lo, -1, 0
	s_cmp_eq_u32 s8, 2
	v_cndmask_b32_e32 v47, v1, v2, vcc_lo
	s_cselect_b32 vcc_lo, -1, 0
	s_cmp_eq_u32 s8, 3
	v_add_co_ci_u32_e64 v23, s6, 0, v23, s6
	s_delay_alu instid0(VALU_DEP_2)
	v_cndmask_b32_e32 v47, v47, v3, vcc_lo
	s_cselect_b32 vcc_lo, -1, 0
	s_add_u32 s8, s8, 1
	s_addc_u32 s9, s9, 0
	s_cmp_lg_u32 s13, s8
	v_cndmask_b32_e32 v47, v47, v4, vcc_lo
	s_waitcnt vmcnt(3)
	s_delay_alu instid0(VALU_DEP_1)
	v_fmac_f32_e32 v43, v47, v50
	s_waitcnt vmcnt(2)
	v_fmac_f32_e32 v42, v47, v44
	s_waitcnt vmcnt(1)
	;; [unrolled: 2-line block ×3, first 2 shown]
	v_fmac_f32_e32 v40, v47, v46
	s_cbranch_scc1 .LBB41_43
.LBB41_44:                              ;   in Loop: Header=BB41_9 Depth=1
	s_set_inst_prefetch_distance 0x2
	s_or_b32 exec_lo, exec_lo, s55
	s_delay_alu instid0(SALU_CYCLE_1)
	s_or_b32 exec_lo, exec_lo, s54
	s_and_saveexec_b32 s6, s0
	s_cbranch_execnz .LBB41_12
	s_branch .LBB41_13
.LBB41_45:                              ;   in Loop: Header=BB41_9 Depth=1
	ds_load_b32 v22, v37
	s_or_b32 exec_lo, exec_lo, s6
	s_and_saveexec_b32 s6, s0
	s_cbranch_execz .LBB41_17
.LBB41_46:                              ;   in Loop: Header=BB41_9 Depth=1
	s_waitcnt lgkmcnt(0)
	ds_bpermute_b32 v23, v34, v22
	s_waitcnt lgkmcnt(0)
	v_add_f32_e32 v22, v22, v23
	ds_bpermute_b32 v23, v35, v22
	s_waitcnt lgkmcnt(0)
	v_add_f32_e32 v22, v22, v23
	;; [unrolled: 3-line block ×3, first 2 shown]
	s_or_b32 exec_lo, exec_lo, s6
	s_and_saveexec_b32 s6, s0
	s_cbranch_execnz .LBB41_18
	s_branch .LBB41_19
.LBB41_47:                              ;   in Loop: Header=BB41_9 Depth=1
	ds_load_b32 v23, v37
	s_or_b32 exec_lo, exec_lo, s6
	s_and_saveexec_b32 s6, s0
	s_cbranch_execz .LBB41_23
.LBB41_48:                              ;   in Loop: Header=BB41_9 Depth=1
	s_waitcnt lgkmcnt(0)
	ds_bpermute_b32 v42, v34, v23
	s_waitcnt lgkmcnt(0)
	v_add_f32_e32 v23, v23, v42
	ds_bpermute_b32 v42, v35, v23
	s_waitcnt lgkmcnt(0)
	v_add_f32_e32 v23, v23, v42
	;; [unrolled: 3-line block ×3, first 2 shown]
	s_or_b32 exec_lo, exec_lo, s6
	s_and_saveexec_b32 s6, s0
	s_cbranch_execnz .LBB41_24
	s_branch .LBB41_25
.LBB41_49:                              ;   in Loop: Header=BB41_9 Depth=1
	ds_load_b32 v41, v37
	s_or_b32 exec_lo, exec_lo, s6
	s_and_saveexec_b32 s6, s0
	s_cbranch_execz .LBB41_29
.LBB41_50:                              ;   in Loop: Header=BB41_9 Depth=1
	s_waitcnt lgkmcnt(0)
	ds_bpermute_b32 v42, v34, v41
	s_waitcnt lgkmcnt(0)
	v_add_f32_e32 v41, v41, v42
	ds_bpermute_b32 v42, v35, v41
	s_waitcnt lgkmcnt(0)
	v_add_f32_e32 v41, v41, v42
	;; [unrolled: 3-line block ×3, first 2 shown]
	s_or_b32 exec_lo, exec_lo, s6
	s_and_saveexec_b32 s6, s0
	s_cbranch_execnz .LBB41_30
	s_branch .LBB41_31
.LBB41_51:                              ;   in Loop: Header=BB41_9 Depth=1
	ds_load_b32 v40, v37
	s_or_b32 exec_lo, exec_lo, s6
	s_and_saveexec_b32 s6, s0
	s_cbranch_execz .LBB41_35
.LBB41_52:                              ;   in Loop: Header=BB41_9 Depth=1
	s_waitcnt lgkmcnt(0)
	ds_bpermute_b32 v42, v34, v40
	s_waitcnt lgkmcnt(0)
	v_add_f32_e32 v40, v40, v42
	ds_bpermute_b32 v42, v35, v40
	s_waitcnt lgkmcnt(0)
	v_add_f32_e32 v40, v40, v42
	;; [unrolled: 3-line block ×3, first 2 shown]
	s_or_b32 exec_lo, exec_lo, s6
	s_and_saveexec_b32 s6, s5
	s_cbranch_execz .LBB41_8
.LBB41_53:                              ;   in Loop: Header=BB41_9 Depth=1
	s_mul_hi_u32 s9, s15, s12
	s_mul_i32 s8, s15, s12
	v_dual_mul_f32 v22, s18, v22 :: v_dual_mul_f32 v23, s18, v23
	s_lshl_b64 s[8:9], s[8:9], 2
	s_waitcnt lgkmcnt(0)
	v_mul_f32_e32 v40, s18, v40
	s_add_u32 s8, s50, s8
	s_addc_u32 s9, s51, s9
	s_or_b32 s7, s15, 1
	global_store_b32 v39, v22, s[8:9]
	s_mul_hi_u32 s45, s7, s12
	s_mul_i32 s44, s7, s12
	v_mul_f32_e32 v22, s18, v41
	s_lshl_b64 s[44:45], s[44:45], 2
	s_delay_alu instid0(SALU_CYCLE_1)
	s_add_u32 s44, s50, s44
	s_addc_u32 s45, s51, s45
	s_or_b32 s7, s15, 2
	global_store_b32 v39, v23, s[44:45]
	s_mul_hi_u32 s55, s7, s12
	s_mul_i32 s54, s7, s12
	s_delay_alu instid0(SALU_CYCLE_1) | instskip(NEXT) | instid1(SALU_CYCLE_1)
	s_lshl_b64 s[54:55], s[54:55], 2
	s_add_u32 s8, s50, s54
	s_addc_u32 s9, s51, s55
	s_or_b32 s7, s15, 3
	s_delay_alu instid0(SALU_CYCLE_1) | instskip(SKIP_1) | instid1(SALU_CYCLE_1)
	s_mul_hi_u32 s55, s7, s12
	s_mul_i32 s54, s7, s12
	s_lshl_b64 s[54:55], s[54:55], 2
	s_delay_alu instid0(SALU_CYCLE_1)
	s_add_u32 s44, s50, s54
	s_addc_u32 s45, s51, s55
	s_clause 0x1
	global_store_b32 v39, v22, s[8:9]
	global_store_b32 v39, v40, s[44:45]
	s_branch .LBB41_8
.LBB41_54:
	s_mov_b32 s15, 0
                                        ; implicit-def: $vgpr1_vgpr2_vgpr3_vgpr4
.LBB41_55:
	s_delay_alu instid0(SALU_CYCLE_1)
	s_cmp_ge_i32 s15, s17
	s_cbranch_scc1 .LBB41_79
; %bb.56:
	v_cmp_gt_u32_e32 vcc_lo, 16, v27
	v_cmp_ge_i32_e64 s0, s16, v30
	v_cmp_ge_i32_e64 s1, s16, v31
	v_mad_i64_i32 v[19:20], null, s26, v25, 0
	v_cndmask_b32_e64 v10, 0, 1, vcc_lo
	v_cmp_gt_u32_e32 vcc_lo, 24, v27
	s_cmp_gt_i32 s13, 0
	s_mov_b32 s9, 0
	s_mov_b32 s8, s14
	v_lshlrev_b32_e32 v10, 4, v10
	v_cndmask_b32_e64 v11, 0, 1, vcc_lo
	v_cmp_gt_u32_e32 vcc_lo, 28, v27
	s_cselect_b32 s16, -1, 0
	s_lshl_b64 s[6:7], s[8:9], 2
	v_add_lshl_u32 v22, v10, v27, 2
	v_lshlrev_b32_e32 v11, 3, v11
	v_cndmask_b32_e64 v12, 0, 1, vcc_lo
	v_cmp_gt_u32_e32 vcc_lo, 30, v27
	s_add_u32 s14, s19, s6
	s_addc_u32 s19, s33, s7
	v_add_lshl_u32 v23, v11, v27, 2
	v_lshlrev_b32_e32 v12, 2, v12
	v_cndmask_b32_e64 v13, 0, 1, vcc_lo
	v_cmp_ne_u32_e32 vcc_lo, 31, v27
	v_mad_i64_i32 v[10:11], null, s26, v9, 0
	s_delay_alu instid0(VALU_DEP_4) | instskip(NEXT) | instid1(VALU_DEP_4)
	v_add_lshl_u32 v30, v12, v27, 2
	v_lshlrev_b32_e32 v13, 1, v13
	v_add_co_ci_u32_e32 v14, vcc_lo, 0, v27, vcc_lo
	s_add_u32 s6, s10, s34
	s_addc_u32 s7, s11, s35
	s_delay_alu instid0(VALU_DEP_2)
	v_add_lshl_u32 v27, v13, v27, 2
	v_mad_i64_i32 v[12:13], null, s26, v28, 0
	v_lshlrev_b32_e32 v31, 2, v14
	v_mad_i64_i32 v[14:15], null, s26, v26, 0
	v_lshlrev_b64 v[17:18], 2, v[10:11]
	s_add_u32 s8, s6, s28
	s_mul_i32 s6, s25, s15
	s_delay_alu instid0(VALU_DEP_4)
	v_lshlrev_b64 v[11:12], 2, v[12:13]
	s_mul_hi_u32 s10, s24, s15
	s_addc_u32 s11, s7, s29
	v_add_co_u32 v9, vcc_lo, s46, v17
	v_lshlrev_b64 v[13:14], 2, v[14:15]
	v_add_co_ci_u32_e32 v10, vcc_lo, s47, v18, vcc_lo
	v_add_co_u32 v11, vcc_lo, s46, v11
	v_lshlrev_b64 v[15:16], 2, v[19:20]
	v_add_co_ci_u32_e32 v12, vcc_lo, s47, v12, vcc_lo
	v_add_co_u32 v13, vcc_lo, s46, v13
	v_add_co_ci_u32_e32 v14, vcc_lo, s47, v14, vcc_lo
	s_delay_alu instid0(VALU_DEP_4)
	v_add_co_u32 v15, vcc_lo, s46, v15
	v_add_co_ci_u32_e32 v16, vcc_lo, s47, v16, vcc_lo
	s_add_i32 s7, s10, s6
	s_mul_i32 s6, s24, s15
	v_add_co_u32 v17, vcc_lo, s8, v17
	s_lshl_b64 s[6:7], s[6:7], 2
	v_add_co_ci_u32_e32 v18, vcc_lo, s11, v18, vcc_lo
	s_lshl_b64 s[10:11], s[26:27], 2
	s_add_u32 s6, s30, s6
	s_addc_u32 s7, s31, s7
	s_add_u32 s6, s6, s22
	s_addc_u32 s7, s7, s23
	;; [unrolled: 2-line block ×3, first 2 shown]
	v_add_co_u32 v7, vcc_lo, s6, v7
	v_cmp_gt_u32_e64 s2, 32, v0
	v_lshlrev_b32_e32 v21, 2, v24
	v_cmp_eq_u32_e64 s3, 0, v24
	v_and_b32_e32 v24, 28, v29
	v_cmp_gt_u32_e64 s4, 8, v0
	v_cmp_eq_u32_e64 s5, 0, v0
	v_mov_b32_e32 v0, 0
	v_add_co_ci_u32_e32 v8, vcc_lo, s7, v8, vcc_lo
	s_lshl_b64 s[20:21], s[24:25], 2
	s_branch .LBB41_58
.LBB41_57:                              ;   in Loop: Header=BB41_58 Depth=1
	s_or_b32 exec_lo, exec_lo, s6
	v_add_co_u32 v7, vcc_lo, v7, s20
	v_add_co_ci_u32_e32 v8, vcc_lo, s21, v8, vcc_lo
	s_add_i32 s15, s15, 1
	s_delay_alu instid0(SALU_CYCLE_1)
	s_cmp_ge_i32 s15, s17
	s_cbranch_scc1 .LBB41_79
.LBB41_58:                              ; =>This Loop Header: Depth=1
                                        ;     Child Loop BB41_71 Depth 2
                                        ;     Child Loop BB41_74 Depth 2
	v_mov_b32_e32 v25, s9
	s_and_saveexec_b32 s6, s0
	s_delay_alu instid0(SALU_CYCLE_1)
	s_xor_b32 s6, exec_lo, s6
	s_cbranch_execnz .LBB41_67
; %bb.59:                               ;   in Loop: Header=BB41_58 Depth=1
	s_and_not1_saveexec_b32 s26, s6
	s_cbranch_execnz .LBB41_68
.LBB41_60:                              ;   in Loop: Header=BB41_58 Depth=1
	s_or_b32 exec_lo, exec_lo, s26
	s_and_saveexec_b32 s6, s2
	s_cbranch_execz .LBB41_62
.LBB41_61:                              ;   in Loop: Header=BB41_58 Depth=1
	ds_store_b32 v21, v0
.LBB41_62:                              ;   in Loop: Header=BB41_58 Depth=1
	s_or_b32 exec_lo, exec_lo, s6
	s_waitcnt lgkmcnt(0)
	ds_bpermute_b32 v19, v22, v25
	s_waitcnt lgkmcnt(0)
	s_waitcnt_vscnt null, 0x0
	s_barrier
	buffer_gl0_inv
	v_add_f32_e32 v19, v25, v19
	ds_bpermute_b32 v20, v23, v19
	s_waitcnt lgkmcnt(0)
	v_add_f32_e32 v19, v19, v20
	ds_bpermute_b32 v20, v30, v19
	s_waitcnt lgkmcnt(0)
	;; [unrolled: 3-line block ×3, first 2 shown]
	v_add_f32_e32 v19, v19, v20
	ds_bpermute_b32 v20, v31, v19
	s_and_saveexec_b32 s6, s3
	s_cbranch_execz .LBB41_64
; %bb.63:                               ;   in Loop: Header=BB41_58 Depth=1
	s_waitcnt lgkmcnt(0)
	v_add_f32_e32 v19, v19, v20
	ds_store_b32 v24, v19
.LBB41_64:                              ;   in Loop: Header=BB41_58 Depth=1
	s_or_b32 exec_lo, exec_lo, s6
	v_mov_b32_e32 v19, 0
	s_waitcnt lgkmcnt(0)
	s_barrier
	buffer_gl0_inv
	s_and_saveexec_b32 s6, s4
	s_cbranch_execnz .LBB41_76
; %bb.65:                               ;   in Loop: Header=BB41_58 Depth=1
	s_or_b32 exec_lo, exec_lo, s6
	s_and_saveexec_b32 s6, s2
	s_cbranch_execnz .LBB41_77
.LBB41_66:                              ;   in Loop: Header=BB41_58 Depth=1
	s_or_b32 exec_lo, exec_lo, s6
	s_and_saveexec_b32 s6, s5
	s_cbranch_execz .LBB41_57
	s_branch .LBB41_78
.LBB41_67:                              ;   in Loop: Header=BB41_58 Depth=1
	s_mul_i32 s7, s15, s25
	s_mul_hi_u32 s8, s15, s24
	s_mul_i32 s22, s15, s24
	s_add_i32 s23, s8, s7
	s_delay_alu instid0(SALU_CYCLE_1) | instskip(NEXT) | instid1(SALU_CYCLE_1)
	s_lshl_b64 s[22:23], s[22:23], 2
	v_add_co_u32 v1, vcc_lo, v5, s22
	v_add_co_ci_u32_e32 v2, vcc_lo, s23, v6, vcc_lo
	global_load_b128 v[32:35], v[1:2], off
	s_clause 0x3
	global_load_b32 v1, v[9:10], off
	global_load_b32 v2, v[11:12], off
	;; [unrolled: 1-line block ×4, first 2 shown]
	s_waitcnt vmcnt(3)
	v_fma_f32 v25, v1, v32, 0
	s_waitcnt vmcnt(2)
	s_delay_alu instid0(VALU_DEP_1) | instskip(SKIP_1) | instid1(VALU_DEP_1)
	v_fmac_f32_e32 v25, v2, v33
	s_waitcnt vmcnt(1)
	v_fmac_f32_e32 v25, v3, v34
	s_waitcnt vmcnt(0)
	s_delay_alu instid0(VALU_DEP_1)
	v_fmac_f32_e32 v25, v4, v35
	s_and_not1_saveexec_b32 s26, s6
	s_cbranch_execz .LBB41_60
.LBB41_68:                              ;   in Loop: Header=BB41_58 Depth=1
	s_and_saveexec_b32 s27, s1
	s_cbranch_execz .LBB41_75
; %bb.69:                               ;   in Loop: Header=BB41_58 Depth=1
	s_and_not1_b32 vcc_lo, exec_lo, s16
	s_cbranch_vccnz .LBB41_72
; %bb.70:                               ;   in Loop: Header=BB41_58 Depth=1
	s_waitcnt lgkmcnt(0)
	v_dual_mov_b32 v20, v18 :: v_dual_mov_b32 v19, v17
	s_mov_b64 s[22:23], 0
	.p2align	6
.LBB41_71:                              ;   Parent Loop BB41_58 Depth=1
                                        ; =>  This Inner Loop Header: Depth=2
	global_load_b32 v26, v[19:20], off
	v_add_co_u32 v19, vcc_lo, v19, s10
	s_cmp_eq_u32 s22, 3
	v_add_co_ci_u32_e32 v20, vcc_lo, s11, v20, vcc_lo
	s_cselect_b32 vcc_lo, -1, 0
	s_cmp_eq_u32 s22, 2
	s_cselect_b32 s6, -1, 0
	s_cmp_eq_u32 s22, 1
	s_cselect_b32 s7, -1, 0
	;; [unrolled: 2-line block ×3, first 2 shown]
	s_add_u32 s22, s22, 1
	s_addc_u32 s23, s23, 0
	s_cmp_eq_u32 s13, s22
	s_waitcnt vmcnt(0)
	v_cndmask_b32_e32 v4, v4, v26, vcc_lo
	v_cndmask_b32_e64 v3, v3, v26, s6
	v_cndmask_b32_e64 v2, v2, v26, s7
	;; [unrolled: 1-line block ×3, first 2 shown]
	s_cbranch_scc0 .LBB41_71
.LBB41_72:                              ;   in Loop: Header=BB41_58 Depth=1
	s_and_not1_b32 vcc_lo, exec_lo, s16
	s_cbranch_vccnz .LBB41_75
; %bb.73:                               ;   in Loop: Header=BB41_58 Depth=1
	s_waitcnt lgkmcnt(0)
	v_dual_mov_b32 v20, v8 :: v_dual_mov_b32 v19, v7
	s_mov_b64 s[6:7], 0
	.p2align	6
.LBB41_74:                              ;   Parent Loop BB41_58 Depth=1
                                        ; =>  This Inner Loop Header: Depth=2
	global_load_b32 v26, v[19:20], off
	s_cmp_eq_u32 s6, 1
	s_cselect_b32 vcc_lo, -1, 0
	s_cmp_eq_u32 s6, 2
	v_cndmask_b32_e32 v28, v1, v2, vcc_lo
	s_cselect_b32 vcc_lo, -1, 0
	s_cmp_eq_u32 s6, 3
	s_delay_alu instid0(VALU_DEP_1)
	v_cndmask_b32_e32 v28, v28, v3, vcc_lo
	s_cselect_b32 vcc_lo, -1, 0
	s_add_u32 s6, s6, 1
	s_addc_u32 s7, s7, 0
	s_cmp_lg_u32 s13, s6
	v_cndmask_b32_e32 v28, v28, v4, vcc_lo
	v_add_co_u32 v19, vcc_lo, v19, 4
	v_add_co_ci_u32_e32 v20, vcc_lo, 0, v20, vcc_lo
	s_waitcnt vmcnt(0)
	s_delay_alu instid0(VALU_DEP_3)
	v_fmac_f32_e32 v25, v28, v26
	s_cbranch_scc1 .LBB41_74
.LBB41_75:                              ;   in Loop: Header=BB41_58 Depth=1
	s_or_b32 exec_lo, exec_lo, s27
	s_delay_alu instid0(SALU_CYCLE_1)
	s_or_b32 exec_lo, exec_lo, s26
	s_and_saveexec_b32 s6, s2
	s_cbranch_execnz .LBB41_61
	s_branch .LBB41_62
.LBB41_76:                              ;   in Loop: Header=BB41_58 Depth=1
	ds_load_b32 v19, v21
	s_or_b32 exec_lo, exec_lo, s6
	s_and_saveexec_b32 s6, s2
	s_cbranch_execz .LBB41_66
.LBB41_77:                              ;   in Loop: Header=BB41_58 Depth=1
	s_waitcnt lgkmcnt(0)
	ds_bpermute_b32 v20, v30, v19
	s_waitcnt lgkmcnt(0)
	v_add_f32_e32 v19, v19, v20
	ds_bpermute_b32 v20, v27, v19
	s_waitcnt lgkmcnt(0)
	v_add_f32_e32 v19, v19, v20
	;; [unrolled: 3-line block ×3, first 2 shown]
	s_or_b32 exec_lo, exec_lo, s6
	s_and_saveexec_b32 s6, s5
	s_cbranch_execz .LBB41_57
.LBB41_78:                              ;   in Loop: Header=BB41_58 Depth=1
	s_mul_hi_u32 s23, s15, s12
	s_mul_i32 s22, s15, s12
	s_waitcnt lgkmcnt(0)
	v_mul_f32_e32 v19, s18, v19
	s_lshl_b64 s[22:23], s[22:23], 2
	s_delay_alu instid0(SALU_CYCLE_1)
	s_add_u32 s22, s14, s22
	s_addc_u32 s23, s19, s23
	global_store_b32 v0, v19, s[22:23]
	s_branch .LBB41_57
.LBB41_79:
	s_nop 0
	s_sendmsg sendmsg(MSG_DEALLOC_VGPRS)
	s_endpgm
	.section	.rodata,"a",@progbits
	.p2align	6, 0x0
	.amdhsa_kernel _ZL23rocblas_gemvt_sn_kernelILb1ELi256ELi4ElfffEviiT4_lPKT3_lilS3_lilPT5_i
		.amdhsa_group_segment_fixed_size 128
		.amdhsa_private_segment_fixed_size 0
		.amdhsa_kernarg_size 360
		.amdhsa_user_sgpr_count 14
		.amdhsa_user_sgpr_dispatch_ptr 0
		.amdhsa_user_sgpr_queue_ptr 0
		.amdhsa_user_sgpr_kernarg_segment_ptr 1
		.amdhsa_user_sgpr_dispatch_id 0
		.amdhsa_user_sgpr_private_segment_size 0
		.amdhsa_wavefront_size32 1
		.amdhsa_uses_dynamic_stack 0
		.amdhsa_enable_private_segment 0
		.amdhsa_system_sgpr_workgroup_id_x 1
		.amdhsa_system_sgpr_workgroup_id_y 0
		.amdhsa_system_sgpr_workgroup_id_z 1
		.amdhsa_system_sgpr_workgroup_info 0
		.amdhsa_system_vgpr_workitem_id 0
		.amdhsa_next_free_vgpr 59
		.amdhsa_next_free_sgpr 56
		.amdhsa_reserve_vcc 1
		.amdhsa_float_round_mode_32 0
		.amdhsa_float_round_mode_16_64 0
		.amdhsa_float_denorm_mode_32 3
		.amdhsa_float_denorm_mode_16_64 3
		.amdhsa_dx10_clamp 1
		.amdhsa_ieee_mode 1
		.amdhsa_fp16_overflow 0
		.amdhsa_workgroup_processor_mode 1
		.amdhsa_memory_ordered 1
		.amdhsa_forward_progress 0
		.amdhsa_shared_vgpr_count 0
		.amdhsa_exception_fp_ieee_invalid_op 0
		.amdhsa_exception_fp_denorm_src 0
		.amdhsa_exception_fp_ieee_div_zero 0
		.amdhsa_exception_fp_ieee_overflow 0
		.amdhsa_exception_fp_ieee_underflow 0
		.amdhsa_exception_fp_ieee_inexact 0
		.amdhsa_exception_int_div_zero 0
	.end_amdhsa_kernel
	.section	.text._ZL23rocblas_gemvt_sn_kernelILb1ELi256ELi4ElfffEviiT4_lPKT3_lilS3_lilPT5_i,"axG",@progbits,_ZL23rocblas_gemvt_sn_kernelILb1ELi256ELi4ElfffEviiT4_lPKT3_lilS3_lilPT5_i,comdat
.Lfunc_end41:
	.size	_ZL23rocblas_gemvt_sn_kernelILb1ELi256ELi4ElfffEviiT4_lPKT3_lilS3_lilPT5_i, .Lfunc_end41-_ZL23rocblas_gemvt_sn_kernelILb1ELi256ELi4ElfffEviiT4_lPKT3_lilS3_lilPT5_i
                                        ; -- End function
	.section	.AMDGPU.csdata,"",@progbits
; Kernel info:
; codeLenInByte = 4164
; NumSgprs: 58
; NumVgprs: 59
; ScratchSize: 0
; MemoryBound: 0
; FloatMode: 240
; IeeeMode: 1
; LDSByteSize: 128 bytes/workgroup (compile time only)
; SGPRBlocks: 7
; VGPRBlocks: 7
; NumSGPRsForWavesPerEU: 58
; NumVGPRsForWavesPerEU: 59
; Occupancy: 16
; WaveLimiterHint : 1
; COMPUTE_PGM_RSRC2:SCRATCH_EN: 0
; COMPUTE_PGM_RSRC2:USER_SGPR: 14
; COMPUTE_PGM_RSRC2:TRAP_HANDLER: 0
; COMPUTE_PGM_RSRC2:TGID_X_EN: 1
; COMPUTE_PGM_RSRC2:TGID_Y_EN: 0
; COMPUTE_PGM_RSRC2:TGID_Z_EN: 1
; COMPUTE_PGM_RSRC2:TIDIG_COMP_CNT: 0
	.section	.text._ZL36rocblas_gemvt_double_buffered_kernelILb1ELi128ELi8ELi8EfPKffEviiT4_lPKT3_lilS5_lilPT5_lili,"axG",@progbits,_ZL36rocblas_gemvt_double_buffered_kernelILb1ELi128ELi8ELi8EfPKffEviiT4_lPKT3_lilS5_lilPT5_lili,comdat
	.globl	_ZL36rocblas_gemvt_double_buffered_kernelILb1ELi128ELi8ELi8EfPKffEviiT4_lPKT3_lilS5_lilPT5_lili ; -- Begin function _ZL36rocblas_gemvt_double_buffered_kernelILb1ELi128ELi8ELi8EfPKffEviiT4_lPKT3_lilS5_lilPT5_lili
	.p2align	8
	.type	_ZL36rocblas_gemvt_double_buffered_kernelILb1ELi128ELi8ELi8EfPKffEviiT4_lPKT3_lilS5_lilPT5_lili,@function
_ZL36rocblas_gemvt_double_buffered_kernelILb1ELi128ELi8ELi8EfPKffEviiT4_lPKT3_lilS5_lilPT5_lili: ; @_ZL36rocblas_gemvt_double_buffered_kernelILb1ELi128ELi8ELi8EfPKffEviiT4_lPKT3_lilS5_lilPT5_lili
; %bb.0:
	s_load_b256 s[4:11], s[0:1], 0x8
	s_waitcnt lgkmcnt(0)
	s_mul_i32 s2, s15, s7
	s_mul_hi_u32 s3, s15, s6
	s_delay_alu instid0(SALU_CYCLE_1) | instskip(SKIP_1) | instid1(SALU_CYCLE_1)
	s_add_i32 s3, s3, s2
	s_mul_i32 s2, s15, s6
	s_lshl_b64 s[2:3], s[2:3], 2
	s_delay_alu instid0(SALU_CYCLE_1) | instskip(SKIP_4) | instid1(VALU_DEP_1)
	s_add_u32 s2, s4, s2
	s_addc_u32 s3, s5, s3
	s_load_b32 s22, s[2:3], 0x0
	s_waitcnt lgkmcnt(0)
	v_cmp_eq_f32_e64 s2, s22, 0
	s_and_b32 vcc_lo, exec_lo, s2
	s_cbranch_vccnz .LBB42_11
; %bb.1:
	s_clause 0x1
	s_load_b32 s2, s[0:1], 0x84
	s_load_b32 s3, s[0:1], 0x0
	s_waitcnt lgkmcnt(0)
	v_cvt_f32_u32_e32 v1, s2
	s_ashr_i32 s5, s3, 31
	s_sub_i32 s6, 0, s2
	s_lshr_b32 s5, s5, 25
	s_delay_alu instid0(SALU_CYCLE_1) | instskip(SKIP_4) | instid1(VALU_DEP_1)
	s_add_i32 s3, s3, s5
	v_rcp_iflag_f32_e32 v1, v1
	s_ashr_i32 s3, s3, 7
	s_waitcnt_depctr 0xfff
	v_mul_f32_e32 v1, 0x4f7ffffe, v1
	v_cvt_u32_f32_e32 v1, v1
	s_delay_alu instid0(VALU_DEP_1) | instskip(NEXT) | instid1(VALU_DEP_1)
	v_readfirstlane_b32 s4, v1
	s_mul_i32 s6, s6, s4
	s_delay_alu instid0(SALU_CYCLE_1) | instskip(NEXT) | instid1(SALU_CYCLE_1)
	s_mul_hi_u32 s5, s4, s6
	s_add_i32 s4, s4, s5
	s_delay_alu instid0(SALU_CYCLE_1) | instskip(NEXT) | instid1(SALU_CYCLE_1)
	s_mul_hi_u32 s4, s3, s4
	s_mul_i32 s5, s4, s2
	s_add_i32 s6, s4, 1
	s_sub_i32 s5, s3, s5
	s_delay_alu instid0(SALU_CYCLE_1)
	s_sub_i32 s7, s5, s2
	s_cmp_ge_u32 s5, s2
	s_cselect_b32 s4, s6, s4
	s_cselect_b32 s5, s7, s5
	s_add_i32 s6, s4, 1
	s_cmp_ge_u32 s5, s2
	s_cselect_b32 s12, s6, s4
	s_delay_alu instid0(SALU_CYCLE_1) | instskip(NEXT) | instid1(SALU_CYCLE_1)
	s_mul_i32 s2, s12, s2
	s_sub_i32 s18, s3, s2
	s_delay_alu instid0(SALU_CYCLE_1) | instskip(SKIP_1) | instid1(SALU_CYCLE_1)
	s_cmp_lt_u32 s14, s18
	s_cselect_b32 s2, -1, 0
	s_cmp_lg_u32 s2, 0
	s_addc_u32 s23, s12, 0
	s_delay_alu instid0(SALU_CYCLE_1)
	s_cmp_eq_u32 s23, 0
	s_cbranch_scc1 .LBB42_11
; %bb.2:
	v_dual_mov_b32 v37, 0 :: v_dual_and_b32 v10, 0x3ff, v0
	v_bfe_u32 v11, v0, 10, 10
	s_clause 0x1
	s_load_b128 s[4:7], s[0:1], 0x50
	s_load_b64 s[16:17], s[0:1], 0x60
	s_lshl_b32 s2, s13, 7
	v_dual_mov_b32 v1, 0 :: v_dual_and_b32 v0, 63, v10
	v_lshl_add_u32 v2, v11, 7, v10
	v_dual_mov_b32 v32, 0 :: v_dual_mov_b32 v39, 0
	v_dual_mov_b32 v36, 0 :: v_dual_mov_b32 v41, 0
	s_delay_alu instid0(VALU_DEP_3)
	v_lshrrev_b32_e32 v13, 3, v2
	v_mov_b32_e32 v38, 0
	v_mov_b32_e32 v40, 0
	v_lshlrev_b32_e32 v12, 2, v0
	s_ashr_i32 s3, s2, 31
	v_and_b32_e32 v14, 0x7ff8, v13
	s_cmp_lt_i32 s23, 1
	s_cbranch_scc1 .LBB42_8
; %bb.3:
	v_cvt_f64_i32_e32 v[3:4], s14
	v_cvt_f64_u32_e32 v[5:6], s18
	s_mul_i32 s12, s12, s14
	s_clause 0x1
	s_load_b128 s[24:27], s[0:1], 0x30
	s_load_b32 s18, s[0:1], 0x28
	v_cvt_f64_u32_e32 v[7:8], s12
	s_clause 0x1
	s_load_b32 s12, s[0:1], 0x48
	s_load_b64 s[20:21], s[0:1], 0x40
	s_waitcnt lgkmcnt(0)
	s_mul_i32 s5, s15, s5
	s_mul_hi_u32 s14, s15, s4
	s_mul_i32 s4, s15, s4
	v_lshrrev_b32_e32 v2, 1, v2
	s_delay_alu instid0(VALU_DEP_1)
	v_dual_mov_b32 v1, 0 :: v_dual_and_b32 v2, 0x1ffe0, v2
	s_mul_i32 s13, s15, s25
	s_mul_hi_u32 s19, s15, s24
	s_mul_i32 s24, s15, s24
	s_add_i32 s25, s19, s13
	s_ashr_i32 s19, s18, 31
	s_lshl_b64 s[28:29], s[24:25], 2
	s_ashr_i32 s13, s12, 31
	s_add_u32 s24, s8, s28
	s_addc_u32 s25, s9, s29
	s_lshl_b64 s[30:31], s[10:11], 2
	s_mul_hi_i32 s11, s18, s2
	s_add_u32 s33, s24, s30
	s_addc_u32 s25, s25, s31
	s_add_i32 s5, s14, s5
	s_mul_i32 s10, s18, s2
	s_lshl_b64 s[4:5], s[4:5], 2
	s_delay_alu instid0(VALU_DEP_4) | instskip(SKIP_3) | instid1(SALU_CYCLE_1)
	v_min_f64 v[3:4], v[3:4], v[5:6]
	s_add_u32 s14, s26, s4
	s_addc_u32 s24, s27, s5
	s_lshl_b64 s[4:5], s[20:21], 2
	s_add_u32 s14, s14, s4
	s_addc_u32 s24, s24, s5
	s_lshl_b64 s[4:5], s[10:11], 2
	s_delay_alu instid0(SALU_CYCLE_1) | instskip(SKIP_1) | instid1(VALU_DEP_1)
	s_add_u32 s10, s33, s4
	s_addc_u32 s11, s25, s5
	v_add_f64 v[3:4], v[3:4], v[7:8]
	s_delay_alu instid0(VALU_DEP_1) | instskip(SKIP_1) | instid1(VALU_DEP_1)
	v_cvt_i32_f64_e32 v5, v[3:4]
	v_mad_i64_i32 v[3:4], null, s18, v14, v[0:1]
	v_lshlrev_b64 v[3:4], 2, v[3:4]
	s_delay_alu instid0(VALU_DEP_3) | instskip(NEXT) | instid1(VALU_DEP_1)
	v_readfirstlane_b32 s20, v5
	s_lshl_b32 s4, s20, 7
	s_delay_alu instid0(SALU_CYCLE_1) | instskip(NEXT) | instid1(SALU_CYCLE_1)
	s_ashr_i32 s5, s4, 31
	s_lshl_b64 s[20:21], s[4:5], 2
	s_delay_alu instid0(SALU_CYCLE_1)
	s_add_u32 s4, s10, s20
	s_addc_u32 s5, s11, s21
	v_add_co_u32 v3, vcc_lo, s4, v3
	v_add_co_ci_u32_e32 v4, vcc_lo, s5, v4, vcc_lo
	s_lshl_b64 s[4:5], s[18:19], 2
	s_lshl_b64 s[10:11], s[2:3], 2
	s_delay_alu instid0(VALU_DEP_2) | instskip(NEXT) | instid1(VALU_DEP_2)
	v_add_co_u32 v5, vcc_lo, v3, s4
	v_add_co_ci_u32_e32 v6, vcc_lo, s5, v4, vcc_lo
	s_clause 0x1
	global_load_b32 v21, v[3:4], off
	global_load_b32 v22, v[5:6], off
	v_add_co_u32 v7, vcc_lo, v5, s4
	v_add_co_ci_u32_e32 v8, vcc_lo, s5, v6, vcc_lo
	v_add_co_u32 v32, s3, v2, s10
	s_delay_alu instid0(VALU_DEP_3) | instskip(NEXT) | instid1(VALU_DEP_3)
	v_add_co_u32 v15, vcc_lo, v7, s4
	v_add_co_ci_u32_e32 v16, vcc_lo, s5, v8, vcc_lo
	global_load_b32 v23, v[7:8], off
	v_add_co_u32 v17, vcc_lo, v15, s4
	v_add_co_ci_u32_e32 v18, vcc_lo, s5, v16, vcc_lo
	v_add_co_ci_u32_e64 v36, null, 0, s11, s3
	s_delay_alu instid0(VALU_DEP_3) | instskip(NEXT) | instid1(VALU_DEP_3)
	v_add_co_u32 v19, vcc_lo, v17, s4
	v_add_co_ci_u32_e32 v20, vcc_lo, s5, v18, vcc_lo
	s_add_i32 s25, s23, -1
	s_delay_alu instid0(VALU_DEP_2) | instskip(NEXT) | instid1(VALU_DEP_2)
	v_add_co_u32 v3, vcc_lo, v19, s4
	v_add_co_ci_u32_e32 v4, vcc_lo, s5, v20, vcc_lo
	s_lshl_b64 s[10:11], s[12:13], 9
	s_delay_alu instid0(VALU_DEP_2) | instskip(NEXT) | instid1(VALU_DEP_2)
	v_add_co_u32 v5, vcc_lo, v3, s4
	v_add_co_ci_u32_e32 v6, vcc_lo, s5, v4, vcc_lo
	global_load_b32 v24, v[15:16], off
	global_load_b32 v25, v[17:18], off
	;; [unrolled: 1-line block ×5, first 2 shown]
	v_add_co_u32 v4, vcc_lo, v32, 4
	s_add_u32 s3, s8, s20
	s_addc_u32 s8, s9, s21
	v_add_co_ci_u32_e32 v5, vcc_lo, 0, v36, vcc_lo
	s_add_u32 s3, s3, s30
	s_addc_u32 s9, s8, s31
	s_add_u32 s8, s3, s28
	s_addc_u32 s9, s9, s29
	v_mul_lo_u32 v5, v5, s18
	v_mad_u64_u32 v[2:3], null, v4, s18, s[8:9]
	v_mul_lo_u32 v4, v4, s19
	v_add_co_u32 v6, vcc_lo, v32, 8
	v_or_b32_e32 v37, s20, v12
	s_mul_i32 s3, s21, s12
	v_mov_b32_e32 v41, v1
	s_delay_alu instid0(VALU_DEP_3)
	v_mul_lo_u32 v8, v6, s19
	v_mov_b32_e32 v40, v1
	v_add3_u32 v7, v5, v3, v4
	v_add_co_ci_u32_e32 v5, vcc_lo, 0, v36, vcc_lo
	v_add_co_u32 v9, vcc_lo, v32, 12
	v_mad_u64_u32 v[3:4], null, v6, s18, s[8:9]
	v_add_co_ci_u32_e32 v15, vcc_lo, 0, v36, vcc_lo
	s_delay_alu instid0(VALU_DEP_4) | instskip(NEXT) | instid1(VALU_DEP_4)
	v_mul_lo_u32 v17, v5, s18
	v_mad_u64_u32 v[5:6], null, v9, s18, s[8:9]
	s_delay_alu instid0(VALU_DEP_3)
	v_mul_lo_u32 v18, v15, s18
	v_add_co_u32 v15, vcc_lo, 0x200, v2
	v_mul_lo_u32 v9, v9, s19
	v_add_co_ci_u32_e32 v16, vcc_lo, 0, v7, vcc_lo
	v_add3_u32 v2, v17, v4, v8
	v_add_co_u32 v4, vcc_lo, v32, 16
	v_add_co_ci_u32_e32 v8, vcc_lo, 0, v36, vcc_lo
	v_add3_u32 v9, v18, v6, v9
	s_delay_alu instid0(VALU_DEP_3) | instskip(SKIP_1) | instid1(VALU_DEP_4)
	v_mad_u64_u32 v[6:7], null, v4, s18, s[8:9]
	v_mul_lo_u32 v4, v4, s19
	v_mul_lo_u32 v8, v8, s18
	v_add_co_u32 v17, vcc_lo, 0x200, v3
	v_add_co_ci_u32_e32 v18, vcc_lo, 0, v2, vcc_lo
	v_add_co_u32 v19, vcc_lo, 0x200, v5
	v_add_co_ci_u32_e32 v20, vcc_lo, 0, v9, vcc_lo
	v_add_co_u32 v5, vcc_lo, v32, 20
	v_add3_u32 v7, v8, v7, v4
	v_add_co_ci_u32_e32 v4, vcc_lo, 0, v36, vcc_lo
	v_add_co_u32 v9, vcc_lo, v32, 24
	v_add_co_ci_u32_e32 v29, vcc_lo, 0, v36, vcc_lo
	v_mad_u64_u32 v[2:3], null, v5, s18, s[8:9]
	v_mul_lo_u32 v8, v5, s19
	s_delay_alu instid0(VALU_DEP_3)
	v_mul_lo_u32 v33, v29, s18
	v_add_co_u32 v29, vcc_lo, 0x200, v6
	v_mul_lo_u32 v31, v4, s18
	v_mad_u64_u32 v[4:5], null, v9, s18, s[8:9]
	v_mul_lo_u32 v9, v9, s19
	v_add_co_ci_u32_e32 v30, vcc_lo, 0, v7, vcc_lo
	v_add_co_u32 v6, vcc_lo, v32, 28
	v_add_co_ci_u32_e32 v7, vcc_lo, 0, v36, vcc_lo
	v_add3_u32 v3, v31, v3, v8
	v_add3_u32 v5, v33, v5, v9
	s_delay_alu instid0(VALU_DEP_4)
	v_mad_u64_u32 v[8:9], null, v6, s18, s[8:9]
	v_mul_lo_u32 v6, v6, s19
	v_mul_lo_u32 v7, v7, s18
	v_add_co_u32 v31, vcc_lo, 0x200, v2
	v_or_b32_e32 v38, 0x100, v37
	v_add_co_ci_u32_e32 v33, vcc_lo, 0, v3, vcc_lo
	v_add_co_u32 v34, vcc_lo, 0x200, v4
	v_add_co_ci_u32_e32 v35, vcc_lo, 0, v5, vcc_lo
	v_add3_u32 v9, v7, v9, v6
	v_mad_u64_u32 v[2:3], null, v32, s18, s[8:9]
	v_mul_lo_u32 v32, v32, s19
	v_mul_lo_u32 v36, v36, s18
	;; [unrolled: 1-line block ×3, first 2 shown]
	v_mad_u64_u32 v[4:5], null, v37, s12, 0
	v_mul_lo_u32 v37, v38, s13
	v_mad_u64_u32 v[6:7], null, v38, s12, 0
	v_add_co_u32 v42, vcc_lo, 0x200, v8
	v_add_co_ci_u32_e32 v43, vcc_lo, 0, v9, vcc_lo
	v_add3_u32 v3, v36, v3, v32
	v_add3_u32 v5, v5, v39, s3
	v_add3_u32 v7, v7, v37, s3
	v_mov_b32_e32 v39, v1
	v_mov_b32_e32 v38, v1
	;; [unrolled: 1-line block ×5, first 2 shown]
	s_mov_b32 s3, 0
	s_waitcnt vmcnt(6)
	v_dual_mov_b32 v44, v21 :: v_dual_mov_b32 v45, v22
	s_waitcnt vmcnt(4)
	v_dual_mov_b32 v46, v23 :: v_dual_mov_b32 v47, v24
	;; [unrolled: 2-line block ×4, first 2 shown]
.LBB42_4:                               ; =>This Inner Loop Header: Depth=1
	v_add_co_u32 v8, vcc_lo, v2, v12
	v_add_co_ci_u32_e32 v9, vcc_lo, 0, v3, vcc_lo
	s_cmp_lg_u32 s25, s3
	s_delay_alu instid0(VALU_DEP_2) | instskip(NEXT) | instid1(VALU_DEP_2)
	v_add_co_u32 v52, vcc_lo, 0x100, v8
	v_add_co_ci_u32_e32 v54, vcc_lo, 0, v9, vcc_lo
	s_delay_alu instid0(VALU_DEP_2) | instskip(NEXT) | instid1(VALU_DEP_2)
	v_add_co_u32 v53, vcc_lo, v52, s4
	v_add_co_ci_u32_e32 v54, vcc_lo, s5, v54, vcc_lo
	;; [unrolled: 3-line block ×7, first 2 shown]
	v_add_co_u32 v65, vcc_lo, s14, v4
	v_add_co_ci_u32_e32 v66, vcc_lo, s24, v5, vcc_lo
	s_delay_alu instid0(VALU_DEP_4) | instskip(NEXT) | instid1(VALU_DEP_4)
	v_add_co_u32 v67, vcc_lo, v63, s4
	v_add_co_ci_u32_e32 v68, vcc_lo, s5, v64, vcc_lo
	s_clause 0x4
	global_load_b32 v52, v[8:9], off offset:256
	global_load_b32 v53, v[53:54], off
	global_load_b32 v54, v[55:56], off
	;; [unrolled: 1-line block ×8, first 2 shown]
	s_cbranch_scc0 .LBB42_6
; %bb.5:                                ;   in Loop: Header=BB42_4 Depth=1
	v_add_co_u32 v45, vcc_lo, v15, v12
	v_add_co_ci_u32_e32 v46, vcc_lo, 0, v16, vcc_lo
	v_add_co_u32 v47, vcc_lo, v17, v12
	v_add_co_ci_u32_e32 v48, vcc_lo, 0, v18, vcc_lo
	global_load_b32 v44, v[8:9], off offset:512
	global_load_b32 v45, v[45:46], off
	global_load_b32 v46, v[47:48], off
	v_add_co_u32 v8, vcc_lo, v19, v12
	v_add_co_ci_u32_e32 v9, vcc_lo, 0, v20, vcc_lo
	v_add_co_u32 v48, vcc_lo, v29, v12
	v_add_co_ci_u32_e32 v49, vcc_lo, 0, v30, vcc_lo
	;; [unrolled: 2-line block ×5, first 2 shown]
	global_load_b32 v47, v[8:9], off
	global_load_b32 v48, v[48:49], off
	;; [unrolled: 1-line block ×5, first 2 shown]
.LBB42_6:                               ;   in Loop: Header=BB42_4 Depth=1
	v_add_co_u32 v8, vcc_lo, s14, v6
	v_add_co_ci_u32_e32 v9, vcc_lo, s24, v7, vcc_lo
	v_add_co_u32 v15, vcc_lo, 0x200, v15
	v_add_co_ci_u32_e32 v16, vcc_lo, 0, v16, vcc_lo
	global_load_b32 v8, v[8:9], off
	v_add_co_u32 v17, vcc_lo, 0x200, v17
	v_add_co_ci_u32_e32 v18, vcc_lo, 0, v18, vcc_lo
	v_add_co_u32 v19, vcc_lo, 0x200, v19
	v_add_co_ci_u32_e32 v20, vcc_lo, 0, v20, vcc_lo
	;; [unrolled: 2-line block ×5, first 2 shown]
	s_waitcnt vmcnt(1)
	v_fmac_f32_e32 v1, v21, v60
	v_fmac_f32_e32 v41, v22, v60
	;; [unrolled: 1-line block ×8, first 2 shown]
	v_add_co_u32 v42, vcc_lo, 0x200, v42
	v_add_co_ci_u32_e32 v43, vcc_lo, 0, v43, vcc_lo
	v_add_co_u32 v2, vcc_lo, 0x200, v2
	s_add_i32 s3, s3, 1
	v_add_co_ci_u32_e32 v3, vcc_lo, 0, v3, vcc_lo
	s_add_u32 s14, s14, s10
	s_addc_u32 s24, s24, s11
	s_cmp_ge_i32 s3, s23
	s_waitcnt vmcnt(0)
	v_fmac_f32_e32 v1, v52, v8
	v_fmac_f32_e32 v41, v53, v8
	;; [unrolled: 1-line block ×8, first 2 shown]
	s_cbranch_scc1 .LBB42_8
; %bb.7:                                ;   in Loop: Header=BB42_4 Depth=1
	v_dual_mov_b32 v21, v44 :: v_dual_mov_b32 v22, v45
	v_dual_mov_b32 v23, v46 :: v_dual_mov_b32 v24, v47
	;; [unrolled: 1-line block ×4, first 2 shown]
	s_branch .LBB42_4
.LBB42_8:
	v_lshlrev_b32_e32 v2, 8, v13
	s_delay_alu instid0(VALU_DEP_2)
	v_lshl_or_b32 v3, v14, 8, v12
	s_mov_b32 s3, 0
	s_waitcnt lgkmcnt(0)
	s_mov_b32 s4, exec_lo
	v_or3_b32 v2, v2, v12, 0x700
	ds_store_2addr_stride64_b32 v3, v1, v41 offset1:1
	ds_store_2addr_stride64_b32 v3, v39, v40 offset0:2 offset1:3
	ds_store_2addr_stride64_b32 v3, v38, v37 offset0:4 offset1:5
	ds_store_b32 v3, v36 offset:1536
	ds_store_b32 v2, v32
	s_waitcnt lgkmcnt(0)
	s_barrier
	buffer_gl0_inv
	v_cmpx_eq_u32_e32 0, v11
	s_cbranch_execz .LBB42_11
; %bb.9:
	v_lshlrev_b32_e32 v2, 6, v10
	v_add_nc_u32_e32 v1, 1, v10
	s_clause 0x1
	s_load_b32 s4, s[0:1], 0x68
	s_load_b64 s[0:1], s[0:1], 0x70
	v_add_nc_u32_e32 v5, 4, v10
	v_add_nc_u32_e32 v7, 5, v10
	v_or_b32_e32 v4, v0, v2
	v_add_nc_u32_e32 v0, 2, v10
	v_and_or_b32 v1, v1, 63, v2
	v_add_nc_u32_e32 v8, 6, v10
	v_add_nc_u32_e32 v9, 7, v10
	v_lshlrev_b32_e32 v6, 2, v4
	v_and_or_b32 v0, v0, 63, v2
	v_add_nc_u32_e32 v11, 8, v10
	v_add_nc_u32_e32 v12, 9, v10
	;; [unrolled: 1-line block ×3, first 2 shown]
	ds_load_b32 v6, v6
	v_lshlrev_b32_e32 v1, 2, v1
	v_lshlrev_b32_e32 v0, 2, v0
	v_add_nc_u32_e32 v14, 11, v10
	v_add_nc_u32_e32 v15, 13, v10
	;; [unrolled: 1-line block ×3, first 2 shown]
	ds_load_b32 v1, v1
	ds_load_b32 v0, v0
	v_add_nc_u32_e32 v17, 15, v10
	s_waitcnt lgkmcnt(0)
	s_mul_i32 s1, s15, s1
	s_mul_hi_u32 s5, s15, s0
	s_mul_i32 s0, s15, s0
	s_add_i32 s1, s5, s1
	v_xor_b32_e32 v4, 32, v4
	s_lshl_b64 s[0:1], s[0:1], 2
	s_delay_alu instid0(SALU_CYCLE_1)
	s_add_u32 s6, s6, s0
	s_addc_u32 s5, s7, s1
	s_lshl_b64 s[0:1], s[16:17], 2
	s_mul_hi_i32 s7, s4, s2
	v_add_f32_e32 v6, 0, v6
	s_add_u32 s8, s6, s0
	s_mul_i32 s6, s4, s2
	s_addc_u32 s2, s5, s1
	s_lshl_b64 s[0:1], s[6:7], 2
	v_dual_add_f32 v1, v6, v1 :: v_dual_lshlrev_b32 v4, 2, v4
	v_add_nc_u32_e32 v3, 3, v10
	v_and_or_b32 v5, v5, 63, v2
	v_and_or_b32 v7, v7, 63, v2
	;; [unrolled: 1-line block ×3, first 2 shown]
	v_add_f32_e32 v0, v1, v0
	v_and_or_b32 v3, v3, 63, v2
	v_and_or_b32 v9, v9, 63, v2
	v_lshlrev_b32_e32 v5, 2, v5
	v_lshlrev_b32_e32 v7, 2, v7
	;; [unrolled: 1-line block ×5, first 2 shown]
	v_and_or_b32 v1, v11, 63, v2
	ds_load_b32 v3, v3
	ds_load_b32 v5, v5
	;; [unrolled: 1-line block ×5, first 2 shown]
	v_and_or_b32 v12, v12, 63, v2
	v_lshlrev_b32_e32 v1, 2, v1
	v_and_or_b32 v13, v13, 63, v2
	v_add_nc_u32_e32 v6, 12, v10
	v_add_nc_u32_e32 v11, 16, v10
	v_lshlrev_b32_e32 v12, 2, v12
	ds_load_b32 v1, v1
	v_lshlrev_b32_e32 v13, 2, v13
	v_and_or_b32 v6, v6, 63, v2
	v_and_or_b32 v11, v11, 63, v2
	s_add_u32 s0, s8, s0
	s_addc_u32 s1, s2, s1
	s_delay_alu instid0(VALU_DEP_2) | instskip(NEXT) | instid1(VALU_DEP_2)
	v_lshlrev_b32_e32 v6, 2, v6
	v_lshlrev_b32_e32 v11, 2, v11
	s_waitcnt lgkmcnt(5)
	v_add_f32_e32 v0, v0, v3
	v_and_or_b32 v3, v14, 63, v2
	v_and_or_b32 v14, v16, 63, v2
	v_add_nc_u32_e32 v16, 22, v10
	s_waitcnt lgkmcnt(4)
	v_add_f32_e32 v0, v0, v5
	v_and_or_b32 v5, v15, 63, v2
	v_lshlrev_b32_e32 v3, 2, v3
	s_waitcnt lgkmcnt(3)
	s_delay_alu instid0(VALU_DEP_3)
	v_dual_add_f32 v0, v0, v7 :: v_dual_add_nc_u32 v15, 20, v10
	ds_load_b32 v7, v12
	s_waitcnt lgkmcnt(3)
	v_dual_add_f32 v0, v0, v8 :: v_dual_lshlrev_b32 v5, 2, v5
	ds_load_b32 v8, v13
	v_and_or_b32 v12, v17, 63, v2
	v_lshlrev_b32_e32 v13, 2, v14
	v_add_nc_u32_e32 v14, 19, v10
	s_waitcnt lgkmcnt(3)
	v_dual_add_f32 v0, v0, v9 :: v_dual_add_nc_u32 v17, 23, v10
	v_lshlrev_b32_e32 v12, 2, v12
	ds_load_b32 v3, v3
	ds_load_b32 v6, v6
	;; [unrolled: 1-line block ×5, first 2 shown]
	s_waitcnt lgkmcnt(7)
	v_dual_add_f32 v0, v0, v1 :: v_dual_add_nc_u32 v13, 18, v10
	s_waitcnt lgkmcnt(6)
	s_delay_alu instid0(VALU_DEP_1) | instskip(NEXT) | instid1(VALU_DEP_1)
	v_dual_add_f32 v0, v0, v7 :: v_dual_add_nc_u32 v1, 17, v10
	v_and_or_b32 v1, v1, 63, v2
	s_waitcnt lgkmcnt(5)
	s_delay_alu instid0(VALU_DEP_2) | instskip(SKIP_1) | instid1(VALU_DEP_3)
	v_dual_add_f32 v0, v0, v8 :: v_dual_add_nc_u32 v7, 21, v10
	v_and_or_b32 v8, v13, 63, v2
	v_lshlrev_b32_e32 v1, 2, v1
	v_and_or_b32 v13, v14, 63, v2
	v_and_or_b32 v14, v15, 63, v2
	s_waitcnt lgkmcnt(4)
	v_add_f32_e32 v0, v0, v3
	v_and_or_b32 v3, v7, 63, v2
	v_and_or_b32 v7, v16, 63, v2
	;; [unrolled: 1-line block ×3, first 2 shown]
	s_waitcnt lgkmcnt(3)
	v_add_f32_e32 v0, v0, v6
	v_lshlrev_b32_e32 v6, 2, v8
	ds_load_b32 v8, v1
	v_lshlrev_b32_e32 v3, 2, v3
	s_waitcnt lgkmcnt(3)
	v_dual_add_f32 v0, v0, v5 :: v_dual_lshlrev_b32 v7, 2, v7
	ds_load_b32 v5, v11
	ds_load_b32 v6, v6
	v_lshlrev_b32_e32 v1, 2, v13
	s_waitcnt lgkmcnt(4)
	v_dual_add_f32 v0, v0, v9 :: v_dual_lshlrev_b32 v11, 2, v15
	v_lshlrev_b32_e32 v9, 2, v14
	v_add_nc_u32_e32 v14, 31, v10
	s_waitcnt lgkmcnt(3)
	s_delay_alu instid0(VALU_DEP_3)
	v_add_f32_e32 v0, v0, v12
	ds_load_b32 v12, v1
	ds_load_b32 v9, v9
	;; [unrolled: 1-line block ×5, first 2 shown]
	v_and_or_b32 v14, v14, 63, v2
	s_waitcnt lgkmcnt(6)
	s_delay_alu instid0(VALU_DEP_1) | instskip(SKIP_1) | instid1(VALU_DEP_2)
	v_dual_add_f32 v3, v0, v5 :: v_dual_lshlrev_b32 v14, 2, v14
	v_mad_i64_i32 v[0:1], null, s4, v10, 0
	v_dual_add_f32 v3, v3, v8 :: v_dual_add_nc_u32 v8, 25, v10
	s_delay_alu instid0(VALU_DEP_2) | instskip(SKIP_1) | instid1(VALU_DEP_2)
	v_lshlrev_b64 v[0:1], 2, v[0:1]
	s_waitcnt lgkmcnt(5)
	v_add_f32_e32 v3, v3, v6
	v_add_nc_u32_e32 v6, 24, v10
	s_delay_alu instid0(VALU_DEP_3) | instskip(SKIP_1) | instid1(VALU_DEP_3)
	v_add_co_u32 v0, vcc_lo, s0, v0
	s_waitcnt lgkmcnt(4)
	v_add_f32_e32 v3, v3, v12
	v_add_co_ci_u32_e32 v1, vcc_lo, s1, v1, vcc_lo
	v_and_or_b32 v6, v6, 63, v2
	s_waitcnt lgkmcnt(3)
	s_delay_alu instid0(VALU_DEP_3)
	v_dual_add_f32 v5, v3, v9 :: v_dual_add_nc_u32 v12, 27, v10
	global_load_b32 v3, v[0:1], off
	v_add_nc_u32_e32 v9, 26, v10
	s_waitcnt lgkmcnt(2)
	v_dual_add_f32 v5, v5, v13 :: v_dual_lshlrev_b32 v6, 2, v6
	v_add_nc_u32_e32 v13, 30, v10
	ds_load_b32 v6, v6
	s_waitcnt lgkmcnt(2)
	v_add_f32_e32 v5, v5, v7
	v_and_or_b32 v7, v8, 63, v2
	v_and_or_b32 v8, v9, 63, v2
	v_and_or_b32 v9, v12, 63, v2
	s_waitcnt lgkmcnt(1)
	v_dual_add_f32 v5, v5, v11 :: v_dual_add_nc_u32 v12, 29, v10
	v_lshlrev_b32_e32 v7, 2, v7
	v_lshlrev_b32_e32 v8, 2, v8
	v_add_nc_u32_e32 v11, 28, v10
	s_delay_alu instid0(VALU_DEP_4)
	v_and_or_b32 v12, v12, 63, v2
	v_and_or_b32 v13, v13, 63, v2
	ds_load_b32 v7, v7
	ds_load_b32 v8, v8
	v_and_or_b32 v11, v11, 63, v2
	v_lshlrev_b32_e32 v9, 2, v9
	v_lshlrev_b32_e32 v12, 2, v12
	;; [unrolled: 1-line block ×3, first 2 shown]
	s_delay_alu instid0(VALU_DEP_4)
	v_lshlrev_b32_e32 v11, 2, v11
	ds_load_b32 v9, v9
	ds_load_b32 v11, v11
	;; [unrolled: 1-line block ×5, first 2 shown]
	s_waitcnt lgkmcnt(7)
	v_add_f32_e32 v5, v5, v6
	v_add_nc_u32_e32 v6, 33, v10
	ds_load_b32 v4, v4
	v_and_or_b32 v6, v6, 63, v2
	s_waitcnt lgkmcnt(7)
	v_add_f32_e32 v5, v5, v7
	v_add_nc_u32_e32 v7, 34, v10
	s_waitcnt lgkmcnt(6)
	s_delay_alu instid0(VALU_DEP_2) | instskip(NEXT) | instid1(VALU_DEP_2)
	v_dual_add_f32 v5, v5, v8 :: v_dual_lshlrev_b32 v6, 2, v6
	v_and_or_b32 v7, v7, 63, v2
	v_add_nc_u32_e32 v8, 35, v10
	ds_load_b32 v6, v6
	s_waitcnt lgkmcnt(6)
	v_add_f32_e32 v5, v5, v9
	v_lshlrev_b32_e32 v7, 2, v7
	v_add_nc_u32_e32 v9, 36, v10
	v_and_or_b32 v8, v8, 63, v2
	s_waitcnt lgkmcnt(5)
	v_add_f32_e32 v5, v5, v11
	v_add_nc_u32_e32 v11, 37, v10
	v_and_or_b32 v9, v9, 63, v2
	ds_load_b32 v7, v7
	v_lshlrev_b32_e32 v8, 2, v8
	s_waitcnt lgkmcnt(5)
	v_dual_add_f32 v5, v5, v12 :: v_dual_add_nc_u32 v12, 38, v10
	v_and_or_b32 v11, v11, 63, v2
	v_lshlrev_b32_e32 v9, 2, v9
	s_waitcnt lgkmcnt(4)
	s_delay_alu instid0(VALU_DEP_3)
	v_add_f32_e32 v5, v5, v13
	v_add_nc_u32_e32 v13, 39, v10
	v_and_or_b32 v12, v12, 63, v2
	v_lshlrev_b32_e32 v11, 2, v11
	s_waitcnt lgkmcnt(3)
	v_add_f32_e32 v5, v5, v14
	v_and_or_b32 v13, v13, 63, v2
	v_lshlrev_b32_e32 v12, 2, v12
	s_waitcnt lgkmcnt(2)
	s_delay_alu instid0(VALU_DEP_2)
	v_dual_add_f32 v4, v5, v4 :: v_dual_lshlrev_b32 v13, 2, v13
	ds_load_b32 v8, v8
	ds_load_b32 v9, v9
	;; [unrolled: 1-line block ×5, first 2 shown]
	v_add_nc_u32_e32 v5, 40, v10
	s_waitcnt lgkmcnt(6)
	v_add_f32_e32 v4, v4, v6
	v_add_nc_u32_e32 v6, 41, v10
	s_delay_alu instid0(VALU_DEP_3) | instskip(SKIP_1) | instid1(VALU_DEP_3)
	v_and_or_b32 v5, v5, 63, v2
	s_waitcnt lgkmcnt(5)
	v_dual_add_f32 v4, v4, v7 :: v_dual_add_nc_u32 v7, 42, v10
	s_delay_alu instid0(VALU_DEP_3) | instskip(NEXT) | instid1(VALU_DEP_3)
	v_and_or_b32 v6, v6, 63, v2
	v_lshlrev_b32_e32 v5, 2, v5
	s_delay_alu instid0(VALU_DEP_3) | instskip(NEXT) | instid1(VALU_DEP_3)
	v_and_or_b32 v7, v7, 63, v2
	v_lshlrev_b32_e32 v6, 2, v6
	s_waitcnt lgkmcnt(4)
	v_add_f32_e32 v4, v4, v8
	ds_load_b32 v5, v5
	v_add_nc_u32_e32 v8, 43, v10
	v_lshlrev_b32_e32 v7, 2, v7
	ds_load_b32 v6, v6
	s_waitcnt lgkmcnt(5)
	v_dual_add_f32 v4, v4, v9 :: v_dual_add_nc_u32 v9, 44, v10
	v_and_or_b32 v8, v8, 63, v2
	ds_load_b32 v7, v7
	s_waitcnt lgkmcnt(5)
	v_dual_add_f32 v4, v4, v11 :: v_dual_add_nc_u32 v11, 45, v10
	v_and_or_b32 v9, v9, 63, v2
	v_lshlrev_b32_e32 v8, 2, v8
	s_waitcnt lgkmcnt(4)
	s_delay_alu instid0(VALU_DEP_3)
	v_add_f32_e32 v4, v4, v12
	v_add_nc_u32_e32 v12, 46, v10
	v_and_or_b32 v11, v11, 63, v2
	v_lshlrev_b32_e32 v9, 2, v9
	s_waitcnt lgkmcnt(3)
	v_dual_add_f32 v4, v4, v13 :: v_dual_add_nc_u32 v13, 47, v10
	v_and_or_b32 v12, v12, 63, v2
	s_waitcnt lgkmcnt(2)
	s_delay_alu instid0(VALU_DEP_2) | instskip(NEXT) | instid1(VALU_DEP_3)
	v_dual_add_f32 v4, v4, v5 :: v_dual_lshlrev_b32 v11, 2, v11
	v_and_or_b32 v13, v13, 63, v2
	s_delay_alu instid0(VALU_DEP_3) | instskip(SKIP_2) | instid1(VALU_DEP_3)
	v_lshlrev_b32_e32 v12, 2, v12
	v_add_nc_u32_e32 v5, 48, v10
	s_waitcnt lgkmcnt(1)
	v_dual_add_f32 v4, v4, v6 :: v_dual_lshlrev_b32 v13, 2, v13
	ds_load_b32 v8, v8
	ds_load_b32 v9, v9
	;; [unrolled: 1-line block ×5, first 2 shown]
	v_add_nc_u32_e32 v6, 49, v10
	v_and_or_b32 v5, v5, 63, v2
	s_waitcnt lgkmcnt(5)
	v_dual_add_f32 v4, v4, v7 :: v_dual_add_nc_u32 v7, 50, v10
	s_delay_alu instid0(VALU_DEP_3) | instskip(NEXT) | instid1(VALU_DEP_3)
	v_and_or_b32 v6, v6, 63, v2
	v_lshlrev_b32_e32 v5, 2, v5
	s_delay_alu instid0(VALU_DEP_3) | instskip(NEXT) | instid1(VALU_DEP_3)
	v_and_or_b32 v7, v7, 63, v2
	v_lshlrev_b32_e32 v6, 2, v6
	ds_load_b32 v5, v5
	v_lshlrev_b32_e32 v7, 2, v7
	ds_load_b32 v6, v6
	s_waitcnt lgkmcnt(6)
	v_add_f32_e32 v4, v4, v8
	v_add_nc_u32_e32 v8, 51, v10
	ds_load_b32 v7, v7
	s_waitcnt lgkmcnt(6)
	v_dual_add_f32 v4, v4, v9 :: v_dual_add_nc_u32 v9, 52, v10
	v_and_or_b32 v8, v8, 63, v2
	s_waitcnt lgkmcnt(5)
	s_delay_alu instid0(VALU_DEP_2) | instskip(NEXT) | instid1(VALU_DEP_3)
	v_dual_add_f32 v4, v4, v11 :: v_dual_add_nc_u32 v11, 53, v10
	v_and_or_b32 v9, v9, 63, v2
	s_delay_alu instid0(VALU_DEP_3) | instskip(SKIP_1) | instid1(VALU_DEP_3)
	v_lshlrev_b32_e32 v8, 2, v8
	s_waitcnt lgkmcnt(4)
	v_add_f32_e32 v4, v4, v12
	v_add_nc_u32_e32 v12, 54, v10
	v_and_or_b32 v11, v11, 63, v2
	v_lshlrev_b32_e32 v9, 2, v9
	s_waitcnt lgkmcnt(3)
	v_dual_add_f32 v4, v4, v13 :: v_dual_add_nc_u32 v13, 55, v10
	v_and_or_b32 v12, v12, 63, v2
	s_waitcnt lgkmcnt(2)
	s_delay_alu instid0(VALU_DEP_2) | instskip(NEXT) | instid1(VALU_DEP_3)
	v_dual_add_f32 v4, v4, v5 :: v_dual_lshlrev_b32 v11, 2, v11
	v_and_or_b32 v13, v13, 63, v2
	s_delay_alu instid0(VALU_DEP_3) | instskip(SKIP_2) | instid1(VALU_DEP_3)
	v_lshlrev_b32_e32 v12, 2, v12
	v_add_nc_u32_e32 v5, 56, v10
	s_waitcnt lgkmcnt(1)
	v_dual_add_f32 v4, v4, v6 :: v_dual_lshlrev_b32 v13, 2, v13
	ds_load_b32 v8, v8
	ds_load_b32 v9, v9
	;; [unrolled: 1-line block ×5, first 2 shown]
	v_add_nc_u32_e32 v6, 57, v10
	v_and_or_b32 v5, v5, 63, v2
	s_waitcnt lgkmcnt(5)
	v_dual_add_f32 v4, v4, v7 :: v_dual_add_nc_u32 v7, 58, v10
	s_delay_alu instid0(VALU_DEP_3) | instskip(NEXT) | instid1(VALU_DEP_3)
	v_and_or_b32 v6, v6, 63, v2
	v_lshlrev_b32_e32 v5, 2, v5
	s_delay_alu instid0(VALU_DEP_3) | instskip(NEXT) | instid1(VALU_DEP_3)
	v_and_or_b32 v7, v7, 63, v2
	v_lshlrev_b32_e32 v6, 2, v6
	ds_load_b32 v5, v5
	v_lshlrev_b32_e32 v7, 2, v7
	ds_load_b32 v6, v6
	s_waitcnt lgkmcnt(6)
	v_add_f32_e32 v4, v4, v8
	v_add_nc_u32_e32 v8, 59, v10
	ds_load_b32 v7, v7
	s_waitcnt lgkmcnt(6)
	v_dual_add_f32 v4, v4, v9 :: v_dual_add_nc_u32 v9, 60, v10
	v_and_or_b32 v8, v8, 63, v2
	s_waitcnt lgkmcnt(5)
	s_delay_alu instid0(VALU_DEP_2) | instskip(NEXT) | instid1(VALU_DEP_3)
	v_dual_add_f32 v4, v4, v11 :: v_dual_add_nc_u32 v11, 61, v10
	v_and_or_b32 v9, v9, 63, v2
	s_delay_alu instid0(VALU_DEP_3) | instskip(SKIP_1) | instid1(VALU_DEP_3)
	v_lshlrev_b32_e32 v8, 2, v8
	s_waitcnt lgkmcnt(4)
	v_add_f32_e32 v4, v4, v12
	v_add_nc_u32_e32 v12, 62, v10
	v_add_nc_u32_e32 v10, -1, v10
	v_and_or_b32 v11, v11, 63, v2
	v_lshlrev_b32_e32 v9, 2, v9
	s_waitcnt lgkmcnt(3)
	v_add_f32_e32 v4, v4, v13
	v_and_or_b32 v12, v12, 63, v2
	v_and_or_b32 v2, v10, 63, v2
	v_lshlrev_b32_e32 v10, 2, v11
	s_waitcnt lgkmcnt(2)
	s_delay_alu instid0(VALU_DEP_3) | instskip(NEXT) | instid1(VALU_DEP_3)
	v_dual_add_f32 v4, v4, v5 :: v_dual_lshlrev_b32 v11, 2, v12
	v_lshlrev_b32_e32 v2, 2, v2
	ds_load_b32 v8, v8
	ds_load_b32 v9, v9
	;; [unrolled: 1-line block ×5, first 2 shown]
	s_waitcnt lgkmcnt(6)
	v_add_f32_e32 v4, v4, v6
	s_waitcnt lgkmcnt(5)
	s_delay_alu instid0(VALU_DEP_1) | instskip(SKIP_1) | instid1(VALU_DEP_1)
	v_add_f32_e32 v4, v4, v7
	s_waitcnt lgkmcnt(4)
	v_add_f32_e32 v4, v4, v8
	s_waitcnt lgkmcnt(3)
	s_delay_alu instid0(VALU_DEP_1) | instskip(SKIP_1) | instid1(VALU_DEP_1)
	v_add_f32_e32 v4, v4, v9
	;; [unrolled: 5-line block ×3, first 2 shown]
	s_waitcnt lgkmcnt(0)
	v_add_f32_e32 v2, v4, v2
	s_delay_alu instid0(VALU_DEP_1)
	v_mul_f32_e32 v4, s22, v2
.LBB42_10:                              ; =>This Inner Loop Header: Depth=1
	s_waitcnt vmcnt(0)
	s_delay_alu instid0(VALU_DEP_1)
	v_add_f32_e32 v2, v3, v4
	global_atomic_cmpswap_b32 v2, v[0:1], v[2:3], off glc
	s_waitcnt vmcnt(0)
	v_cmp_eq_u32_e32 vcc_lo, v2, v3
	v_mov_b32_e32 v3, v2
	s_or_b32 s3, vcc_lo, s3
	s_delay_alu instid0(SALU_CYCLE_1)
	s_and_not1_b32 exec_lo, exec_lo, s3
	s_cbranch_execnz .LBB42_10
.LBB42_11:
	s_endpgm
	.section	.rodata,"a",@progbits
	.p2align	6, 0x0
	.amdhsa_kernel _ZL36rocblas_gemvt_double_buffered_kernelILb1ELi128ELi8ELi8EfPKffEviiT4_lPKT3_lilS5_lilPT5_lili
		.amdhsa_group_segment_fixed_size 32768
		.amdhsa_private_segment_fixed_size 0
		.amdhsa_kernarg_size 384
		.amdhsa_user_sgpr_count 13
		.amdhsa_user_sgpr_dispatch_ptr 0
		.amdhsa_user_sgpr_queue_ptr 0
		.amdhsa_user_sgpr_kernarg_segment_ptr 1
		.amdhsa_user_sgpr_dispatch_id 0
		.amdhsa_user_sgpr_private_segment_size 0
		.amdhsa_wavefront_size32 1
		.amdhsa_uses_dynamic_stack 0
		.amdhsa_enable_private_segment 0
		.amdhsa_system_sgpr_workgroup_id_x 1
		.amdhsa_system_sgpr_workgroup_id_y 1
		.amdhsa_system_sgpr_workgroup_id_z 1
		.amdhsa_system_sgpr_workgroup_info 0
		.amdhsa_system_vgpr_workitem_id 1
		.amdhsa_next_free_vgpr 69
		.amdhsa_next_free_sgpr 34
		.amdhsa_reserve_vcc 1
		.amdhsa_float_round_mode_32 0
		.amdhsa_float_round_mode_16_64 0
		.amdhsa_float_denorm_mode_32 3
		.amdhsa_float_denorm_mode_16_64 3
		.amdhsa_dx10_clamp 1
		.amdhsa_ieee_mode 1
		.amdhsa_fp16_overflow 0
		.amdhsa_workgroup_processor_mode 1
		.amdhsa_memory_ordered 1
		.amdhsa_forward_progress 0
		.amdhsa_shared_vgpr_count 0
		.amdhsa_exception_fp_ieee_invalid_op 0
		.amdhsa_exception_fp_denorm_src 0
		.amdhsa_exception_fp_ieee_div_zero 0
		.amdhsa_exception_fp_ieee_overflow 0
		.amdhsa_exception_fp_ieee_underflow 0
		.amdhsa_exception_fp_ieee_inexact 0
		.amdhsa_exception_int_div_zero 0
	.end_amdhsa_kernel
	.section	.text._ZL36rocblas_gemvt_double_buffered_kernelILb1ELi128ELi8ELi8EfPKffEviiT4_lPKT3_lilS5_lilPT5_lili,"axG",@progbits,_ZL36rocblas_gemvt_double_buffered_kernelILb1ELi128ELi8ELi8EfPKffEviiT4_lPKT3_lilS5_lilPT5_lili,comdat
.Lfunc_end42:
	.size	_ZL36rocblas_gemvt_double_buffered_kernelILb1ELi128ELi8ELi8EfPKffEviiT4_lPKT3_lilS5_lilPT5_lili, .Lfunc_end42-_ZL36rocblas_gemvt_double_buffered_kernelILb1ELi128ELi8ELi8EfPKffEviiT4_lPKT3_lilS5_lilPT5_lili
                                        ; -- End function
	.section	.AMDGPU.csdata,"",@progbits
; Kernel info:
; codeLenInByte = 4624
; NumSgprs: 36
; NumVgprs: 69
; ScratchSize: 0
; MemoryBound: 0
; FloatMode: 240
; IeeeMode: 1
; LDSByteSize: 32768 bytes/workgroup (compile time only)
; SGPRBlocks: 4
; VGPRBlocks: 8
; NumSGPRsForWavesPerEU: 36
; NumVGPRsForWavesPerEU: 69
; Occupancy: 16
; WaveLimiterHint : 0
; COMPUTE_PGM_RSRC2:SCRATCH_EN: 0
; COMPUTE_PGM_RSRC2:USER_SGPR: 13
; COMPUTE_PGM_RSRC2:TRAP_HANDLER: 0
; COMPUTE_PGM_RSRC2:TGID_X_EN: 1
; COMPUTE_PGM_RSRC2:TGID_Y_EN: 1
; COMPUTE_PGM_RSRC2:TGID_Z_EN: 1
; COMPUTE_PGM_RSRC2:TIDIG_COMP_CNT: 1
	.section	.text._ZL36rocblas_gemvt_double_buffered_kernelILb1ELi128ELi8ELi8EfffEviiT4_lPKT3_lilS3_lilPT5_lili,"axG",@progbits,_ZL36rocblas_gemvt_double_buffered_kernelILb1ELi128ELi8ELi8EfffEviiT4_lPKT3_lilS3_lilPT5_lili,comdat
	.globl	_ZL36rocblas_gemvt_double_buffered_kernelILb1ELi128ELi8ELi8EfffEviiT4_lPKT3_lilS3_lilPT5_lili ; -- Begin function _ZL36rocblas_gemvt_double_buffered_kernelILb1ELi128ELi8ELi8EfffEviiT4_lPKT3_lilS3_lilPT5_lili
	.p2align	8
	.type	_ZL36rocblas_gemvt_double_buffered_kernelILb1ELi128ELi8ELi8EfffEviiT4_lPKT3_lilS3_lilPT5_lili,@function
_ZL36rocblas_gemvt_double_buffered_kernelILb1ELi128ELi8ELi8EfffEviiT4_lPKT3_lilS3_lilPT5_lili: ; @_ZL36rocblas_gemvt_double_buffered_kernelILb1ELi128ELi8ELi8EfffEviiT4_lPKT3_lilS3_lilPT5_lili
; %bb.0:
	s_load_b32 s22, s[0:1], 0x8
	s_waitcnt lgkmcnt(0)
	v_cmp_eq_f32_e64 s2, s22, 0
	s_delay_alu instid0(VALU_DEP_1)
	s_and_b32 vcc_lo, exec_lo, s2
	s_cbranch_vccnz .LBB43_11
; %bb.1:
	s_clause 0x1
	s_load_b32 s2, s[0:1], 0x84
	s_load_b32 s3, s[0:1], 0x0
	s_waitcnt lgkmcnt(0)
	v_cvt_f32_u32_e32 v1, s2
	s_ashr_i32 s5, s3, 31
	s_sub_i32 s6, 0, s2
	s_lshr_b32 s5, s5, 25
	s_delay_alu instid0(SALU_CYCLE_1) | instskip(SKIP_4) | instid1(VALU_DEP_1)
	s_add_i32 s3, s3, s5
	v_rcp_iflag_f32_e32 v1, v1
	s_ashr_i32 s3, s3, 7
	s_waitcnt_depctr 0xfff
	v_mul_f32_e32 v1, 0x4f7ffffe, v1
	v_cvt_u32_f32_e32 v1, v1
	s_delay_alu instid0(VALU_DEP_1) | instskip(NEXT) | instid1(VALU_DEP_1)
	v_readfirstlane_b32 s4, v1
	s_mul_i32 s6, s6, s4
	s_delay_alu instid0(SALU_CYCLE_1) | instskip(NEXT) | instid1(SALU_CYCLE_1)
	s_mul_hi_u32 s5, s4, s6
	s_add_i32 s4, s4, s5
	s_delay_alu instid0(SALU_CYCLE_1) | instskip(NEXT) | instid1(SALU_CYCLE_1)
	s_mul_hi_u32 s4, s3, s4
	s_mul_i32 s5, s4, s2
	s_add_i32 s6, s4, 1
	s_sub_i32 s5, s3, s5
	s_delay_alu instid0(SALU_CYCLE_1)
	s_sub_i32 s7, s5, s2
	s_cmp_ge_u32 s5, s2
	s_cselect_b32 s4, s6, s4
	s_cselect_b32 s5, s7, s5
	s_add_i32 s6, s4, 1
	s_cmp_ge_u32 s5, s2
	s_cselect_b32 s8, s6, s4
	s_delay_alu instid0(SALU_CYCLE_1) | instskip(NEXT) | instid1(SALU_CYCLE_1)
	s_mul_i32 s2, s8, s2
	s_sub_i32 s9, s3, s2
	s_delay_alu instid0(SALU_CYCLE_1) | instskip(SKIP_1) | instid1(SALU_CYCLE_1)
	s_cmp_lt_u32 s14, s9
	s_cselect_b32 s2, -1, 0
	s_cmp_lg_u32 s2, 0
	s_addc_u32 s23, s8, 0
	s_delay_alu instid0(SALU_CYCLE_1)
	s_cmp_eq_u32 s23, 0
	s_cbranch_scc1 .LBB43_11
; %bb.2:
	v_dual_mov_b32 v31, 0 :: v_dual_and_b32 v10, 0x3ff, v0
	v_bfe_u32 v11, v0, 10, 10
	s_clause 0x1
	s_load_b128 s[4:7], s[0:1], 0x50
	s_load_b64 s[16:17], s[0:1], 0x60
	s_lshl_b32 s2, s13, 7
	v_dual_mov_b32 v1, 0 :: v_dual_and_b32 v0, 63, v10
	v_lshl_add_u32 v2, v11, 7, v10
	v_dual_mov_b32 v34, 0 :: v_dual_mov_b32 v39, 0
	v_dual_mov_b32 v36, 0 :: v_dual_mov_b32 v41, 0
	s_delay_alu instid0(VALU_DEP_3)
	v_lshrrev_b32_e32 v13, 3, v2
	v_mov_b32_e32 v38, 0
	v_mov_b32_e32 v40, 0
	v_lshlrev_b32_e32 v12, 2, v0
	s_ashr_i32 s3, s2, 31
	v_and_b32_e32 v14, 0x7ff8, v13
	s_cmp_lt_i32 s23, 1
	s_mov_b32 s24, 0
	s_cbranch_scc1 .LBB43_8
; %bb.3:
	v_cvt_f64_i32_e32 v[3:4], s14
	v_cvt_f64_u32_e32 v[5:6], s9
	s_mul_i32 s8, s8, s14
	s_clause 0x2
	s_load_b128 s[28:31], s[0:1], 0x30
	s_load_b32 s18, s[0:1], 0x28
	s_load_b32 s12, s[0:1], 0x48
	v_cvt_f64_u32_e32 v[7:8], s8
	s_clause 0x1
	s_load_b128 s[8:11], s[0:1], 0x18
	s_load_b64 s[20:21], s[0:1], 0x40
	s_waitcnt lgkmcnt(0)
	s_mul_i32 s5, s15, s5
	s_mul_hi_u32 s14, s15, s4
	s_mul_i32 s4, s15, s4
	v_lshrrev_b32_e32 v2, 1, v2
	s_delay_alu instid0(VALU_DEP_1)
	v_dual_mov_b32 v1, 0 :: v_dual_and_b32 v2, 0x1ffe0, v2
	s_mul_i32 s13, s15, s29
	s_mul_hi_u32 s19, s15, s28
	s_mul_i32 s26, s15, s28
	s_add_i32 s27, s19, s13
	s_ashr_i32 s19, s18, 31
	s_lshl_b64 s[28:29], s[26:27], 2
	s_ashr_i32 s13, s12, 31
	s_add_u32 s25, s8, s28
	s_addc_u32 s26, s9, s29
	s_lshl_b64 s[34:35], s[10:11], 2
	s_mul_hi_i32 s11, s18, s2
	s_add_u32 s27, s25, s34
	s_addc_u32 s26, s26, s35
	s_add_i32 s5, s14, s5
	s_mul_i32 s10, s18, s2
	s_lshl_b64 s[4:5], s[4:5], 2
	s_delay_alu instid0(SALU_CYCLE_1) | instskip(NEXT) | instid1(VALU_DEP_4)
	s_add_u32 s14, s30, s4
	v_min_f64 v[3:4], v[3:4], v[5:6]
	s_addc_u32 s25, s31, s5
	s_lshl_b64 s[4:5], s[20:21], 2
	s_delay_alu instid0(SALU_CYCLE_1) | instskip(SKIP_2) | instid1(SALU_CYCLE_1)
	s_add_u32 s14, s14, s4
	s_addc_u32 s25, s25, s5
	s_lshl_b64 s[4:5], s[10:11], 2
	s_add_u32 s10, s27, s4
	s_addc_u32 s11, s26, s5
	s_delay_alu instid0(VALU_DEP_1) | instskip(NEXT) | instid1(VALU_DEP_1)
	v_add_f64 v[3:4], v[3:4], v[7:8]
	v_cvt_i32_f64_e32 v5, v[3:4]
	v_mad_i64_i32 v[3:4], null, s18, v14, v[0:1]
	s_delay_alu instid0(VALU_DEP_1) | instskip(NEXT) | instid1(VALU_DEP_3)
	v_lshlrev_b64 v[3:4], 2, v[3:4]
	v_readfirstlane_b32 s20, v5
	s_delay_alu instid0(VALU_DEP_1) | instskip(NEXT) | instid1(SALU_CYCLE_1)
	s_lshl_b32 s4, s20, 7
	s_ashr_i32 s5, s4, 31
	s_delay_alu instid0(SALU_CYCLE_1) | instskip(NEXT) | instid1(SALU_CYCLE_1)
	s_lshl_b64 s[20:21], s[4:5], 2
	s_add_u32 s4, s10, s20
	s_addc_u32 s5, s11, s21
	v_add_co_u32 v3, vcc_lo, s4, v3
	v_add_co_ci_u32_e32 v4, vcc_lo, s5, v4, vcc_lo
	s_lshl_b64 s[4:5], s[18:19], 2
	s_lshl_b64 s[10:11], s[2:3], 2
	s_delay_alu instid0(VALU_DEP_2) | instskip(NEXT) | instid1(VALU_DEP_2)
	v_add_co_u32 v5, vcc_lo, v3, s4
	v_add_co_ci_u32_e32 v6, vcc_lo, s5, v4, vcc_lo
	s_clause 0x1
	global_load_b32 v21, v[3:4], off
	global_load_b32 v22, v[5:6], off
	v_add_co_u32 v7, vcc_lo, v5, s4
	v_add_co_ci_u32_e32 v8, vcc_lo, s5, v6, vcc_lo
	v_add_co_u32 v31, s3, v2, s10
	s_delay_alu instid0(VALU_DEP_3) | instskip(NEXT) | instid1(VALU_DEP_3)
	v_add_co_u32 v15, vcc_lo, v7, s4
	v_add_co_ci_u32_e32 v16, vcc_lo, s5, v8, vcc_lo
	global_load_b32 v23, v[7:8], off
	v_add_co_u32 v17, vcc_lo, v15, s4
	v_add_co_ci_u32_e32 v18, vcc_lo, s5, v16, vcc_lo
	v_add_co_ci_u32_e64 v34, null, 0, s11, s3
	s_delay_alu instid0(VALU_DEP_3) | instskip(NEXT) | instid1(VALU_DEP_3)
	v_add_co_u32 v19, vcc_lo, v17, s4
	v_add_co_ci_u32_e32 v20, vcc_lo, s5, v18, vcc_lo
	s_add_i32 s26, s23, -1
	s_delay_alu instid0(VALU_DEP_2) | instskip(NEXT) | instid1(VALU_DEP_2)
	v_add_co_u32 v3, vcc_lo, v19, s4
	v_add_co_ci_u32_e32 v4, vcc_lo, s5, v20, vcc_lo
	s_lshl_b64 s[10:11], s[12:13], 9
	s_delay_alu instid0(VALU_DEP_2) | instskip(NEXT) | instid1(VALU_DEP_2)
	v_add_co_u32 v5, vcc_lo, v3, s4
	v_add_co_ci_u32_e32 v6, vcc_lo, s5, v4, vcc_lo
	global_load_b32 v24, v[15:16], off
	global_load_b32 v25, v[17:18], off
	;; [unrolled: 1-line block ×5, first 2 shown]
	v_add_co_u32 v4, vcc_lo, v31, 4
	s_add_u32 s3, s8, s20
	s_addc_u32 s8, s9, s21
	v_add_co_ci_u32_e32 v5, vcc_lo, 0, v34, vcc_lo
	s_add_u32 s3, s3, s34
	s_addc_u32 s9, s8, s35
	s_add_u32 s8, s3, s28
	s_addc_u32 s9, s9, s29
	v_mul_lo_u32 v5, v5, s18
	v_mad_u64_u32 v[2:3], null, v4, s18, s[8:9]
	v_mul_lo_u32 v4, v4, s19
	v_add_co_u32 v6, vcc_lo, v31, 8
	v_or_b32_e32 v36, s20, v12
	s_mul_i32 s3, s21, s12
	v_mov_b32_e32 v41, v1
	s_delay_alu instid0(VALU_DEP_3)
	v_mul_lo_u32 v8, v6, s19
	v_mov_b32_e32 v40, v1
	v_add3_u32 v7, v5, v3, v4
	v_add_co_ci_u32_e32 v5, vcc_lo, 0, v34, vcc_lo
	v_add_co_u32 v9, vcc_lo, v31, 12
	v_mad_u64_u32 v[3:4], null, v6, s18, s[8:9]
	v_add_co_ci_u32_e32 v15, vcc_lo, 0, v34, vcc_lo
	s_delay_alu instid0(VALU_DEP_4) | instskip(NEXT) | instid1(VALU_DEP_4)
	v_mul_lo_u32 v17, v5, s18
	v_mad_u64_u32 v[5:6], null, v9, s18, s[8:9]
	s_delay_alu instid0(VALU_DEP_3)
	v_mul_lo_u32 v18, v15, s18
	v_add_co_u32 v15, vcc_lo, 0x200, v2
	v_mul_lo_u32 v9, v9, s19
	v_add_co_ci_u32_e32 v16, vcc_lo, 0, v7, vcc_lo
	v_add3_u32 v2, v17, v4, v8
	v_add_co_u32 v4, vcc_lo, v31, 16
	v_add_co_ci_u32_e32 v8, vcc_lo, 0, v34, vcc_lo
	v_add3_u32 v9, v18, v6, v9
	s_delay_alu instid0(VALU_DEP_3) | instskip(SKIP_1) | instid1(VALU_DEP_4)
	v_mad_u64_u32 v[6:7], null, v4, s18, s[8:9]
	v_mul_lo_u32 v4, v4, s19
	v_mul_lo_u32 v8, v8, s18
	v_add_co_u32 v17, vcc_lo, 0x200, v3
	v_add_co_ci_u32_e32 v18, vcc_lo, 0, v2, vcc_lo
	v_add_co_u32 v19, vcc_lo, 0x200, v5
	v_add_co_ci_u32_e32 v20, vcc_lo, 0, v9, vcc_lo
	v_add_co_u32 v5, vcc_lo, v31, 20
	v_add3_u32 v7, v8, v7, v4
	v_add_co_ci_u32_e32 v4, vcc_lo, 0, v34, vcc_lo
	v_add_co_u32 v9, vcc_lo, v31, 24
	v_add_co_ci_u32_e32 v29, vcc_lo, 0, v34, vcc_lo
	v_mad_u64_u32 v[2:3], null, v5, s18, s[8:9]
	v_mul_lo_u32 v8, v5, s19
	s_delay_alu instid0(VALU_DEP_3)
	v_mul_lo_u32 v33, v29, s18
	v_add_co_u32 v29, vcc_lo, 0x200, v6
	v_mul_lo_u32 v32, v4, s18
	v_mad_u64_u32 v[4:5], null, v9, s18, s[8:9]
	v_mul_lo_u32 v9, v9, s19
	v_add_co_ci_u32_e32 v30, vcc_lo, 0, v7, vcc_lo
	v_add_co_u32 v6, vcc_lo, v31, 28
	v_add_co_ci_u32_e32 v7, vcc_lo, 0, v34, vcc_lo
	v_add3_u32 v3, v32, v3, v8
	v_add3_u32 v5, v33, v5, v9
	s_delay_alu instid0(VALU_DEP_4)
	v_mad_u64_u32 v[8:9], null, v6, s18, s[8:9]
	v_mul_lo_u32 v6, v6, s19
	v_mul_lo_u32 v7, v7, s18
	v_add_co_u32 v32, vcc_lo, 0x200, v2
	v_or_b32_e32 v38, 0x100, v36
	v_add_co_ci_u32_e32 v33, vcc_lo, 0, v3, vcc_lo
	v_add_co_u32 v35, vcc_lo, 0x200, v4
	v_add_co_ci_u32_e32 v37, vcc_lo, 0, v5, vcc_lo
	v_add3_u32 v9, v7, v9, v6
	v_mad_u64_u32 v[2:3], null, v31, s18, s[8:9]
	v_mul_lo_u32 v31, v31, s19
	v_mul_lo_u32 v34, v34, s18
	;; [unrolled: 1-line block ×3, first 2 shown]
	v_mad_u64_u32 v[4:5], null, v36, s12, 0
	v_mul_lo_u32 v36, v38, s13
	v_mad_u64_u32 v[6:7], null, v38, s12, 0
	v_add_co_u32 v42, vcc_lo, 0x200, v8
	v_add_co_ci_u32_e32 v43, vcc_lo, 0, v9, vcc_lo
	v_add3_u32 v3, v34, v3, v31
	v_add3_u32 v5, v5, v39, s3
	;; [unrolled: 1-line block ×3, first 2 shown]
	v_mov_b32_e32 v39, v1
	v_mov_b32_e32 v38, v1
	;; [unrolled: 1-line block ×5, first 2 shown]
	s_waitcnt vmcnt(6)
	v_dual_mov_b32 v44, v21 :: v_dual_mov_b32 v45, v22
	s_waitcnt vmcnt(4)
	v_dual_mov_b32 v46, v23 :: v_dual_mov_b32 v47, v24
	;; [unrolled: 2-line block ×4, first 2 shown]
.LBB43_4:                               ; =>This Inner Loop Header: Depth=1
	v_add_co_u32 v8, vcc_lo, v2, v12
	v_add_co_ci_u32_e32 v9, vcc_lo, 0, v3, vcc_lo
	s_cmp_lg_u32 s26, s24
	s_delay_alu instid0(VALU_DEP_2) | instskip(NEXT) | instid1(VALU_DEP_2)
	v_add_co_u32 v52, vcc_lo, 0x100, v8
	v_add_co_ci_u32_e32 v54, vcc_lo, 0, v9, vcc_lo
	s_delay_alu instid0(VALU_DEP_2) | instskip(NEXT) | instid1(VALU_DEP_2)
	v_add_co_u32 v53, vcc_lo, v52, s4
	v_add_co_ci_u32_e32 v54, vcc_lo, s5, v54, vcc_lo
	;; [unrolled: 3-line block ×7, first 2 shown]
	v_add_co_u32 v65, vcc_lo, s14, v4
	v_add_co_ci_u32_e32 v66, vcc_lo, s25, v5, vcc_lo
	s_delay_alu instid0(VALU_DEP_4) | instskip(NEXT) | instid1(VALU_DEP_4)
	v_add_co_u32 v67, vcc_lo, v63, s4
	v_add_co_ci_u32_e32 v68, vcc_lo, s5, v64, vcc_lo
	s_clause 0x4
	global_load_b32 v52, v[8:9], off offset:256
	global_load_b32 v53, v[53:54], off
	global_load_b32 v54, v[55:56], off
	global_load_b32 v55, v[57:58], off
	global_load_b32 v56, v[59:60], off
	global_load_b32 v57, v[61:62], off
	global_load_b32 v58, v[63:64], off
	global_load_b32 v59, v[67:68], off
	global_load_b32 v60, v[65:66], off
	s_cbranch_scc0 .LBB43_6
; %bb.5:                                ;   in Loop: Header=BB43_4 Depth=1
	v_add_co_u32 v45, vcc_lo, v15, v12
	v_add_co_ci_u32_e32 v46, vcc_lo, 0, v16, vcc_lo
	v_add_co_u32 v47, vcc_lo, v17, v12
	v_add_co_ci_u32_e32 v48, vcc_lo, 0, v18, vcc_lo
	global_load_b32 v44, v[8:9], off offset:512
	global_load_b32 v45, v[45:46], off
	global_load_b32 v46, v[47:48], off
	v_add_co_u32 v8, vcc_lo, v19, v12
	v_add_co_ci_u32_e32 v9, vcc_lo, 0, v20, vcc_lo
	v_add_co_u32 v48, vcc_lo, v29, v12
	v_add_co_ci_u32_e32 v49, vcc_lo, 0, v30, vcc_lo
	;; [unrolled: 2-line block ×5, first 2 shown]
	global_load_b32 v47, v[8:9], off
	global_load_b32 v48, v[48:49], off
	;; [unrolled: 1-line block ×5, first 2 shown]
.LBB43_6:                               ;   in Loop: Header=BB43_4 Depth=1
	v_add_co_u32 v8, vcc_lo, s14, v6
	v_add_co_ci_u32_e32 v9, vcc_lo, s25, v7, vcc_lo
	v_add_co_u32 v15, vcc_lo, 0x200, v15
	v_add_co_ci_u32_e32 v16, vcc_lo, 0, v16, vcc_lo
	global_load_b32 v8, v[8:9], off
	v_add_co_u32 v17, vcc_lo, 0x200, v17
	v_add_co_ci_u32_e32 v18, vcc_lo, 0, v18, vcc_lo
	v_add_co_u32 v19, vcc_lo, 0x200, v19
	v_add_co_ci_u32_e32 v20, vcc_lo, 0, v20, vcc_lo
	;; [unrolled: 2-line block ×5, first 2 shown]
	s_waitcnt vmcnt(1)
	v_fmac_f32_e32 v1, v21, v60
	v_fmac_f32_e32 v41, v22, v60
	;; [unrolled: 1-line block ×8, first 2 shown]
	v_add_co_u32 v42, vcc_lo, 0x200, v42
	v_add_co_ci_u32_e32 v43, vcc_lo, 0, v43, vcc_lo
	v_add_co_u32 v2, vcc_lo, 0x200, v2
	s_add_i32 s24, s24, 1
	v_add_co_ci_u32_e32 v3, vcc_lo, 0, v3, vcc_lo
	s_add_u32 s14, s14, s10
	s_addc_u32 s25, s25, s11
	s_cmp_ge_i32 s24, s23
	s_waitcnt vmcnt(0)
	v_fmac_f32_e32 v1, v52, v8
	v_fmac_f32_e32 v41, v53, v8
	;; [unrolled: 1-line block ×8, first 2 shown]
	s_cbranch_scc1 .LBB43_8
; %bb.7:                                ;   in Loop: Header=BB43_4 Depth=1
	v_dual_mov_b32 v21, v44 :: v_dual_mov_b32 v22, v45
	v_dual_mov_b32 v23, v46 :: v_dual_mov_b32 v24, v47
	;; [unrolled: 1-line block ×4, first 2 shown]
	s_branch .LBB43_4
.LBB43_8:
	v_lshlrev_b32_e32 v2, 8, v13
	v_lshl_or_b32 v3, v14, 8, v12
	s_mov_b32 s3, 0
	s_waitcnt lgkmcnt(0)
	s_mov_b32 s4, exec_lo
	v_or3_b32 v2, v2, v12, 0x700
	ds_store_2addr_stride64_b32 v3, v1, v41 offset1:1
	ds_store_2addr_stride64_b32 v3, v39, v40 offset0:2 offset1:3
	ds_store_2addr_stride64_b32 v3, v38, v36 offset0:4 offset1:5
	ds_store_b32 v3, v34 offset:1536
	ds_store_b32 v2, v31
	s_waitcnt lgkmcnt(0)
	s_barrier
	buffer_gl0_inv
	v_cmpx_eq_u32_e32 0, v11
	s_cbranch_execz .LBB43_11
; %bb.9:
	v_lshlrev_b32_e32 v2, 6, v10
	v_add_nc_u32_e32 v1, 1, v10
	s_clause 0x1
	s_load_b32 s4, s[0:1], 0x68
	s_load_b64 s[0:1], s[0:1], 0x70
	v_add_nc_u32_e32 v5, 4, v10
	v_add_nc_u32_e32 v7, 5, v10
	v_or_b32_e32 v4, v0, v2
	v_add_nc_u32_e32 v0, 2, v10
	v_and_or_b32 v1, v1, 63, v2
	v_add_nc_u32_e32 v8, 6, v10
	v_add_nc_u32_e32 v9, 7, v10
	v_lshlrev_b32_e32 v6, 2, v4
	v_and_or_b32 v0, v0, 63, v2
	v_add_nc_u32_e32 v11, 8, v10
	v_add_nc_u32_e32 v12, 9, v10
	;; [unrolled: 1-line block ×3, first 2 shown]
	ds_load_b32 v6, v6
	v_lshlrev_b32_e32 v1, 2, v1
	v_lshlrev_b32_e32 v0, 2, v0
	v_add_nc_u32_e32 v14, 11, v10
	v_add_nc_u32_e32 v15, 13, v10
	;; [unrolled: 1-line block ×3, first 2 shown]
	ds_load_b32 v1, v1
	ds_load_b32 v0, v0
	v_add_nc_u32_e32 v17, 15, v10
	s_waitcnt lgkmcnt(0)
	s_mul_i32 s1, s15, s1
	s_mul_hi_u32 s5, s15, s0
	s_mul_i32 s0, s15, s0
	s_add_i32 s1, s5, s1
	v_xor_b32_e32 v4, 32, v4
	s_lshl_b64 s[0:1], s[0:1], 2
	s_delay_alu instid0(SALU_CYCLE_1)
	s_add_u32 s6, s6, s0
	s_addc_u32 s5, s7, s1
	s_lshl_b64 s[0:1], s[16:17], 2
	s_mul_hi_i32 s7, s4, s2
	v_add_f32_e32 v6, 0, v6
	s_add_u32 s8, s6, s0
	s_mul_i32 s6, s4, s2
	s_addc_u32 s2, s5, s1
	s_lshl_b64 s[0:1], s[6:7], 2
	v_dual_add_f32 v1, v6, v1 :: v_dual_lshlrev_b32 v4, 2, v4
	v_add_nc_u32_e32 v3, 3, v10
	v_and_or_b32 v5, v5, 63, v2
	v_and_or_b32 v7, v7, 63, v2
	;; [unrolled: 1-line block ×3, first 2 shown]
	v_add_f32_e32 v0, v1, v0
	v_and_or_b32 v3, v3, 63, v2
	v_and_or_b32 v9, v9, 63, v2
	v_lshlrev_b32_e32 v5, 2, v5
	v_lshlrev_b32_e32 v7, 2, v7
	;; [unrolled: 1-line block ×5, first 2 shown]
	v_and_or_b32 v1, v11, 63, v2
	ds_load_b32 v3, v3
	ds_load_b32 v5, v5
	ds_load_b32 v7, v7
	ds_load_b32 v8, v8
	ds_load_b32 v9, v9
	v_and_or_b32 v12, v12, 63, v2
	v_lshlrev_b32_e32 v1, 2, v1
	v_and_or_b32 v13, v13, 63, v2
	v_add_nc_u32_e32 v6, 12, v10
	v_add_nc_u32_e32 v11, 16, v10
	v_lshlrev_b32_e32 v12, 2, v12
	ds_load_b32 v1, v1
	v_lshlrev_b32_e32 v13, 2, v13
	v_and_or_b32 v6, v6, 63, v2
	v_and_or_b32 v11, v11, 63, v2
	s_add_u32 s0, s8, s0
	s_addc_u32 s1, s2, s1
	s_delay_alu instid0(VALU_DEP_2) | instskip(NEXT) | instid1(VALU_DEP_2)
	v_lshlrev_b32_e32 v6, 2, v6
	v_lshlrev_b32_e32 v11, 2, v11
	s_waitcnt lgkmcnt(5)
	v_add_f32_e32 v0, v0, v3
	v_and_or_b32 v3, v14, 63, v2
	v_and_or_b32 v14, v16, 63, v2
	v_add_nc_u32_e32 v16, 22, v10
	s_waitcnt lgkmcnt(4)
	v_add_f32_e32 v0, v0, v5
	v_and_or_b32 v5, v15, 63, v2
	v_lshlrev_b32_e32 v3, 2, v3
	s_waitcnt lgkmcnt(3)
	s_delay_alu instid0(VALU_DEP_3)
	v_dual_add_f32 v0, v0, v7 :: v_dual_add_nc_u32 v15, 20, v10
	ds_load_b32 v7, v12
	s_waitcnt lgkmcnt(3)
	v_dual_add_f32 v0, v0, v8 :: v_dual_lshlrev_b32 v5, 2, v5
	ds_load_b32 v8, v13
	v_and_or_b32 v12, v17, 63, v2
	v_lshlrev_b32_e32 v13, 2, v14
	v_add_nc_u32_e32 v14, 19, v10
	s_waitcnt lgkmcnt(3)
	v_dual_add_f32 v0, v0, v9 :: v_dual_add_nc_u32 v17, 23, v10
	v_lshlrev_b32_e32 v12, 2, v12
	ds_load_b32 v3, v3
	ds_load_b32 v6, v6
	;; [unrolled: 1-line block ×5, first 2 shown]
	s_waitcnt lgkmcnt(7)
	v_dual_add_f32 v0, v0, v1 :: v_dual_add_nc_u32 v13, 18, v10
	s_waitcnt lgkmcnt(6)
	s_delay_alu instid0(VALU_DEP_1) | instskip(NEXT) | instid1(VALU_DEP_1)
	v_dual_add_f32 v0, v0, v7 :: v_dual_add_nc_u32 v1, 17, v10
	v_and_or_b32 v1, v1, 63, v2
	s_waitcnt lgkmcnt(5)
	s_delay_alu instid0(VALU_DEP_2) | instskip(SKIP_1) | instid1(VALU_DEP_3)
	v_dual_add_f32 v0, v0, v8 :: v_dual_add_nc_u32 v7, 21, v10
	v_and_or_b32 v8, v13, 63, v2
	v_lshlrev_b32_e32 v1, 2, v1
	v_and_or_b32 v13, v14, 63, v2
	v_and_or_b32 v14, v15, 63, v2
	s_waitcnt lgkmcnt(4)
	v_add_f32_e32 v0, v0, v3
	v_and_or_b32 v3, v7, 63, v2
	v_and_or_b32 v7, v16, 63, v2
	;; [unrolled: 1-line block ×3, first 2 shown]
	s_waitcnt lgkmcnt(3)
	v_add_f32_e32 v0, v0, v6
	v_lshlrev_b32_e32 v6, 2, v8
	ds_load_b32 v8, v1
	v_lshlrev_b32_e32 v3, 2, v3
	s_waitcnt lgkmcnt(3)
	v_dual_add_f32 v0, v0, v5 :: v_dual_lshlrev_b32 v7, 2, v7
	ds_load_b32 v5, v11
	ds_load_b32 v6, v6
	v_lshlrev_b32_e32 v1, 2, v13
	s_waitcnt lgkmcnt(4)
	v_dual_add_f32 v0, v0, v9 :: v_dual_lshlrev_b32 v11, 2, v15
	v_lshlrev_b32_e32 v9, 2, v14
	v_add_nc_u32_e32 v14, 31, v10
	s_waitcnt lgkmcnt(3)
	s_delay_alu instid0(VALU_DEP_3)
	v_add_f32_e32 v0, v0, v12
	ds_load_b32 v12, v1
	ds_load_b32 v9, v9
	;; [unrolled: 1-line block ×5, first 2 shown]
	v_and_or_b32 v14, v14, 63, v2
	s_waitcnt lgkmcnt(6)
	s_delay_alu instid0(VALU_DEP_1) | instskip(SKIP_1) | instid1(VALU_DEP_2)
	v_dual_add_f32 v3, v0, v5 :: v_dual_lshlrev_b32 v14, 2, v14
	v_mad_i64_i32 v[0:1], null, s4, v10, 0
	v_dual_add_f32 v3, v3, v8 :: v_dual_add_nc_u32 v8, 25, v10
	s_delay_alu instid0(VALU_DEP_2) | instskip(SKIP_1) | instid1(VALU_DEP_2)
	v_lshlrev_b64 v[0:1], 2, v[0:1]
	s_waitcnt lgkmcnt(5)
	v_add_f32_e32 v3, v3, v6
	v_add_nc_u32_e32 v6, 24, v10
	s_delay_alu instid0(VALU_DEP_3) | instskip(SKIP_1) | instid1(VALU_DEP_3)
	v_add_co_u32 v0, vcc_lo, s0, v0
	s_waitcnt lgkmcnt(4)
	v_add_f32_e32 v3, v3, v12
	v_add_co_ci_u32_e32 v1, vcc_lo, s1, v1, vcc_lo
	v_and_or_b32 v6, v6, 63, v2
	s_waitcnt lgkmcnt(3)
	s_delay_alu instid0(VALU_DEP_3)
	v_dual_add_f32 v5, v3, v9 :: v_dual_add_nc_u32 v12, 27, v10
	global_load_b32 v3, v[0:1], off
	v_add_nc_u32_e32 v9, 26, v10
	s_waitcnt lgkmcnt(2)
	v_dual_add_f32 v5, v5, v13 :: v_dual_lshlrev_b32 v6, 2, v6
	v_add_nc_u32_e32 v13, 30, v10
	ds_load_b32 v6, v6
	s_waitcnt lgkmcnt(2)
	v_add_f32_e32 v5, v5, v7
	v_and_or_b32 v7, v8, 63, v2
	v_and_or_b32 v8, v9, 63, v2
	;; [unrolled: 1-line block ×3, first 2 shown]
	s_waitcnt lgkmcnt(1)
	v_dual_add_f32 v5, v5, v11 :: v_dual_add_nc_u32 v12, 29, v10
	v_lshlrev_b32_e32 v7, 2, v7
	v_lshlrev_b32_e32 v8, 2, v8
	v_add_nc_u32_e32 v11, 28, v10
	s_delay_alu instid0(VALU_DEP_4)
	v_and_or_b32 v12, v12, 63, v2
	v_and_or_b32 v13, v13, 63, v2
	ds_load_b32 v7, v7
	ds_load_b32 v8, v8
	v_and_or_b32 v11, v11, 63, v2
	v_lshlrev_b32_e32 v9, 2, v9
	v_lshlrev_b32_e32 v12, 2, v12
	v_lshlrev_b32_e32 v13, 2, v13
	s_delay_alu instid0(VALU_DEP_4)
	v_lshlrev_b32_e32 v11, 2, v11
	ds_load_b32 v9, v9
	ds_load_b32 v11, v11
	;; [unrolled: 1-line block ×5, first 2 shown]
	s_waitcnt lgkmcnt(7)
	v_add_f32_e32 v5, v5, v6
	v_add_nc_u32_e32 v6, 33, v10
	ds_load_b32 v4, v4
	v_and_or_b32 v6, v6, 63, v2
	s_waitcnt lgkmcnt(7)
	v_add_f32_e32 v5, v5, v7
	v_add_nc_u32_e32 v7, 34, v10
	s_waitcnt lgkmcnt(6)
	s_delay_alu instid0(VALU_DEP_2) | instskip(NEXT) | instid1(VALU_DEP_2)
	v_dual_add_f32 v5, v5, v8 :: v_dual_lshlrev_b32 v6, 2, v6
	v_and_or_b32 v7, v7, 63, v2
	v_add_nc_u32_e32 v8, 35, v10
	ds_load_b32 v6, v6
	s_waitcnt lgkmcnt(6)
	v_add_f32_e32 v5, v5, v9
	v_lshlrev_b32_e32 v7, 2, v7
	v_add_nc_u32_e32 v9, 36, v10
	v_and_or_b32 v8, v8, 63, v2
	s_waitcnt lgkmcnt(5)
	v_add_f32_e32 v5, v5, v11
	v_add_nc_u32_e32 v11, 37, v10
	v_and_or_b32 v9, v9, 63, v2
	ds_load_b32 v7, v7
	v_lshlrev_b32_e32 v8, 2, v8
	s_waitcnt lgkmcnt(5)
	v_dual_add_f32 v5, v5, v12 :: v_dual_add_nc_u32 v12, 38, v10
	v_and_or_b32 v11, v11, 63, v2
	v_lshlrev_b32_e32 v9, 2, v9
	s_waitcnt lgkmcnt(4)
	s_delay_alu instid0(VALU_DEP_3)
	v_add_f32_e32 v5, v5, v13
	v_add_nc_u32_e32 v13, 39, v10
	v_and_or_b32 v12, v12, 63, v2
	v_lshlrev_b32_e32 v11, 2, v11
	s_waitcnt lgkmcnt(3)
	v_add_f32_e32 v5, v5, v14
	v_and_or_b32 v13, v13, 63, v2
	v_lshlrev_b32_e32 v12, 2, v12
	s_waitcnt lgkmcnt(2)
	s_delay_alu instid0(VALU_DEP_2)
	v_dual_add_f32 v4, v5, v4 :: v_dual_lshlrev_b32 v13, 2, v13
	ds_load_b32 v8, v8
	ds_load_b32 v9, v9
	;; [unrolled: 1-line block ×5, first 2 shown]
	v_add_nc_u32_e32 v5, 40, v10
	s_waitcnt lgkmcnt(6)
	v_add_f32_e32 v4, v4, v6
	v_add_nc_u32_e32 v6, 41, v10
	s_delay_alu instid0(VALU_DEP_3) | instskip(SKIP_1) | instid1(VALU_DEP_3)
	v_and_or_b32 v5, v5, 63, v2
	s_waitcnt lgkmcnt(5)
	v_dual_add_f32 v4, v4, v7 :: v_dual_add_nc_u32 v7, 42, v10
	s_delay_alu instid0(VALU_DEP_3) | instskip(NEXT) | instid1(VALU_DEP_3)
	v_and_or_b32 v6, v6, 63, v2
	v_lshlrev_b32_e32 v5, 2, v5
	s_delay_alu instid0(VALU_DEP_3) | instskip(NEXT) | instid1(VALU_DEP_3)
	v_and_or_b32 v7, v7, 63, v2
	v_lshlrev_b32_e32 v6, 2, v6
	s_waitcnt lgkmcnt(4)
	v_add_f32_e32 v4, v4, v8
	ds_load_b32 v5, v5
	v_add_nc_u32_e32 v8, 43, v10
	v_lshlrev_b32_e32 v7, 2, v7
	ds_load_b32 v6, v6
	s_waitcnt lgkmcnt(5)
	v_dual_add_f32 v4, v4, v9 :: v_dual_add_nc_u32 v9, 44, v10
	v_and_or_b32 v8, v8, 63, v2
	ds_load_b32 v7, v7
	s_waitcnt lgkmcnt(5)
	v_dual_add_f32 v4, v4, v11 :: v_dual_add_nc_u32 v11, 45, v10
	v_and_or_b32 v9, v9, 63, v2
	v_lshlrev_b32_e32 v8, 2, v8
	s_waitcnt lgkmcnt(4)
	s_delay_alu instid0(VALU_DEP_3)
	v_add_f32_e32 v4, v4, v12
	v_add_nc_u32_e32 v12, 46, v10
	v_and_or_b32 v11, v11, 63, v2
	v_lshlrev_b32_e32 v9, 2, v9
	s_waitcnt lgkmcnt(3)
	v_dual_add_f32 v4, v4, v13 :: v_dual_add_nc_u32 v13, 47, v10
	v_and_or_b32 v12, v12, 63, v2
	s_waitcnt lgkmcnt(2)
	s_delay_alu instid0(VALU_DEP_2) | instskip(NEXT) | instid1(VALU_DEP_3)
	v_dual_add_f32 v4, v4, v5 :: v_dual_lshlrev_b32 v11, 2, v11
	v_and_or_b32 v13, v13, 63, v2
	s_delay_alu instid0(VALU_DEP_3) | instskip(SKIP_2) | instid1(VALU_DEP_3)
	v_lshlrev_b32_e32 v12, 2, v12
	v_add_nc_u32_e32 v5, 48, v10
	s_waitcnt lgkmcnt(1)
	v_dual_add_f32 v4, v4, v6 :: v_dual_lshlrev_b32 v13, 2, v13
	ds_load_b32 v8, v8
	ds_load_b32 v9, v9
	;; [unrolled: 1-line block ×5, first 2 shown]
	v_add_nc_u32_e32 v6, 49, v10
	v_and_or_b32 v5, v5, 63, v2
	s_waitcnt lgkmcnt(5)
	v_dual_add_f32 v4, v4, v7 :: v_dual_add_nc_u32 v7, 50, v10
	s_delay_alu instid0(VALU_DEP_3) | instskip(NEXT) | instid1(VALU_DEP_3)
	v_and_or_b32 v6, v6, 63, v2
	v_lshlrev_b32_e32 v5, 2, v5
	s_delay_alu instid0(VALU_DEP_3) | instskip(NEXT) | instid1(VALU_DEP_3)
	v_and_or_b32 v7, v7, 63, v2
	v_lshlrev_b32_e32 v6, 2, v6
	ds_load_b32 v5, v5
	v_lshlrev_b32_e32 v7, 2, v7
	ds_load_b32 v6, v6
	s_waitcnt lgkmcnt(6)
	v_add_f32_e32 v4, v4, v8
	v_add_nc_u32_e32 v8, 51, v10
	ds_load_b32 v7, v7
	s_waitcnt lgkmcnt(6)
	v_dual_add_f32 v4, v4, v9 :: v_dual_add_nc_u32 v9, 52, v10
	v_and_or_b32 v8, v8, 63, v2
	s_waitcnt lgkmcnt(5)
	s_delay_alu instid0(VALU_DEP_2) | instskip(NEXT) | instid1(VALU_DEP_3)
	v_dual_add_f32 v4, v4, v11 :: v_dual_add_nc_u32 v11, 53, v10
	v_and_or_b32 v9, v9, 63, v2
	s_delay_alu instid0(VALU_DEP_3) | instskip(SKIP_1) | instid1(VALU_DEP_3)
	v_lshlrev_b32_e32 v8, 2, v8
	s_waitcnt lgkmcnt(4)
	v_add_f32_e32 v4, v4, v12
	v_add_nc_u32_e32 v12, 54, v10
	v_and_or_b32 v11, v11, 63, v2
	v_lshlrev_b32_e32 v9, 2, v9
	s_waitcnt lgkmcnt(3)
	v_dual_add_f32 v4, v4, v13 :: v_dual_add_nc_u32 v13, 55, v10
	v_and_or_b32 v12, v12, 63, v2
	s_waitcnt lgkmcnt(2)
	s_delay_alu instid0(VALU_DEP_2) | instskip(NEXT) | instid1(VALU_DEP_3)
	v_dual_add_f32 v4, v4, v5 :: v_dual_lshlrev_b32 v11, 2, v11
	v_and_or_b32 v13, v13, 63, v2
	s_delay_alu instid0(VALU_DEP_3) | instskip(SKIP_2) | instid1(VALU_DEP_3)
	v_lshlrev_b32_e32 v12, 2, v12
	v_add_nc_u32_e32 v5, 56, v10
	s_waitcnt lgkmcnt(1)
	v_dual_add_f32 v4, v4, v6 :: v_dual_lshlrev_b32 v13, 2, v13
	ds_load_b32 v8, v8
	ds_load_b32 v9, v9
	;; [unrolled: 1-line block ×5, first 2 shown]
	v_add_nc_u32_e32 v6, 57, v10
	v_and_or_b32 v5, v5, 63, v2
	s_waitcnt lgkmcnt(5)
	v_dual_add_f32 v4, v4, v7 :: v_dual_add_nc_u32 v7, 58, v10
	s_delay_alu instid0(VALU_DEP_3) | instskip(NEXT) | instid1(VALU_DEP_3)
	v_and_or_b32 v6, v6, 63, v2
	v_lshlrev_b32_e32 v5, 2, v5
	s_delay_alu instid0(VALU_DEP_3) | instskip(NEXT) | instid1(VALU_DEP_3)
	v_and_or_b32 v7, v7, 63, v2
	v_lshlrev_b32_e32 v6, 2, v6
	ds_load_b32 v5, v5
	v_lshlrev_b32_e32 v7, 2, v7
	ds_load_b32 v6, v6
	s_waitcnt lgkmcnt(6)
	v_add_f32_e32 v4, v4, v8
	v_add_nc_u32_e32 v8, 59, v10
	ds_load_b32 v7, v7
	s_waitcnt lgkmcnt(6)
	v_dual_add_f32 v4, v4, v9 :: v_dual_add_nc_u32 v9, 60, v10
	v_and_or_b32 v8, v8, 63, v2
	s_waitcnt lgkmcnt(5)
	s_delay_alu instid0(VALU_DEP_2) | instskip(NEXT) | instid1(VALU_DEP_3)
	v_dual_add_f32 v4, v4, v11 :: v_dual_add_nc_u32 v11, 61, v10
	v_and_or_b32 v9, v9, 63, v2
	s_delay_alu instid0(VALU_DEP_3) | instskip(SKIP_1) | instid1(VALU_DEP_3)
	v_lshlrev_b32_e32 v8, 2, v8
	s_waitcnt lgkmcnt(4)
	v_add_f32_e32 v4, v4, v12
	v_add_nc_u32_e32 v12, 62, v10
	v_add_nc_u32_e32 v10, -1, v10
	v_and_or_b32 v11, v11, 63, v2
	v_lshlrev_b32_e32 v9, 2, v9
	s_waitcnt lgkmcnt(3)
	v_add_f32_e32 v4, v4, v13
	v_and_or_b32 v12, v12, 63, v2
	v_and_or_b32 v2, v10, 63, v2
	v_lshlrev_b32_e32 v10, 2, v11
	s_waitcnt lgkmcnt(2)
	s_delay_alu instid0(VALU_DEP_3) | instskip(NEXT) | instid1(VALU_DEP_3)
	v_dual_add_f32 v4, v4, v5 :: v_dual_lshlrev_b32 v11, 2, v12
	v_lshlrev_b32_e32 v2, 2, v2
	ds_load_b32 v8, v8
	ds_load_b32 v9, v9
	;; [unrolled: 1-line block ×5, first 2 shown]
	s_waitcnt lgkmcnt(6)
	v_add_f32_e32 v4, v4, v6
	s_waitcnt lgkmcnt(5)
	s_delay_alu instid0(VALU_DEP_1) | instskip(SKIP_1) | instid1(VALU_DEP_1)
	v_add_f32_e32 v4, v4, v7
	s_waitcnt lgkmcnt(4)
	v_add_f32_e32 v4, v4, v8
	s_waitcnt lgkmcnt(3)
	s_delay_alu instid0(VALU_DEP_1) | instskip(SKIP_1) | instid1(VALU_DEP_1)
	v_add_f32_e32 v4, v4, v9
	;; [unrolled: 5-line block ×3, first 2 shown]
	s_waitcnt lgkmcnt(0)
	v_add_f32_e32 v2, v4, v2
	s_delay_alu instid0(VALU_DEP_1)
	v_mul_f32_e32 v4, s22, v2
.LBB43_10:                              ; =>This Inner Loop Header: Depth=1
	s_waitcnt vmcnt(0)
	s_delay_alu instid0(VALU_DEP_1)
	v_add_f32_e32 v2, v3, v4
	global_atomic_cmpswap_b32 v2, v[0:1], v[2:3], off glc
	s_waitcnt vmcnt(0)
	v_cmp_eq_u32_e32 vcc_lo, v2, v3
	v_mov_b32_e32 v3, v2
	s_or_b32 s3, vcc_lo, s3
	s_delay_alu instid0(SALU_CYCLE_1)
	s_and_not1_b32 exec_lo, exec_lo, s3
	s_cbranch_execnz .LBB43_10
.LBB43_11:
	s_endpgm
	.section	.rodata,"a",@progbits
	.p2align	6, 0x0
	.amdhsa_kernel _ZL36rocblas_gemvt_double_buffered_kernelILb1ELi128ELi8ELi8EfffEviiT4_lPKT3_lilS3_lilPT5_lili
		.amdhsa_group_segment_fixed_size 32768
		.amdhsa_private_segment_fixed_size 0
		.amdhsa_kernarg_size 384
		.amdhsa_user_sgpr_count 13
		.amdhsa_user_sgpr_dispatch_ptr 0
		.amdhsa_user_sgpr_queue_ptr 0
		.amdhsa_user_sgpr_kernarg_segment_ptr 1
		.amdhsa_user_sgpr_dispatch_id 0
		.amdhsa_user_sgpr_private_segment_size 0
		.amdhsa_wavefront_size32 1
		.amdhsa_uses_dynamic_stack 0
		.amdhsa_enable_private_segment 0
		.amdhsa_system_sgpr_workgroup_id_x 1
		.amdhsa_system_sgpr_workgroup_id_y 1
		.amdhsa_system_sgpr_workgroup_id_z 1
		.amdhsa_system_sgpr_workgroup_info 0
		.amdhsa_system_vgpr_workitem_id 1
		.amdhsa_next_free_vgpr 69
		.amdhsa_next_free_sgpr 36
		.amdhsa_reserve_vcc 1
		.amdhsa_float_round_mode_32 0
		.amdhsa_float_round_mode_16_64 0
		.amdhsa_float_denorm_mode_32 3
		.amdhsa_float_denorm_mode_16_64 3
		.amdhsa_dx10_clamp 1
		.amdhsa_ieee_mode 1
		.amdhsa_fp16_overflow 0
		.amdhsa_workgroup_processor_mode 1
		.amdhsa_memory_ordered 1
		.amdhsa_forward_progress 0
		.amdhsa_shared_vgpr_count 0
		.amdhsa_exception_fp_ieee_invalid_op 0
		.amdhsa_exception_fp_denorm_src 0
		.amdhsa_exception_fp_ieee_div_zero 0
		.amdhsa_exception_fp_ieee_overflow 0
		.amdhsa_exception_fp_ieee_underflow 0
		.amdhsa_exception_fp_ieee_inexact 0
		.amdhsa_exception_int_div_zero 0
	.end_amdhsa_kernel
	.section	.text._ZL36rocblas_gemvt_double_buffered_kernelILb1ELi128ELi8ELi8EfffEviiT4_lPKT3_lilS3_lilPT5_lili,"axG",@progbits,_ZL36rocblas_gemvt_double_buffered_kernelILb1ELi128ELi8ELi8EfffEviiT4_lPKT3_lilS3_lilPT5_lili,comdat
.Lfunc_end43:
	.size	_ZL36rocblas_gemvt_double_buffered_kernelILb1ELi128ELi8ELi8EfffEviiT4_lPKT3_lilS3_lilPT5_lili, .Lfunc_end43-_ZL36rocblas_gemvt_double_buffered_kernelILb1ELi128ELi8ELi8EfffEviiT4_lPKT3_lilS3_lilPT5_lili
                                        ; -- End function
	.section	.AMDGPU.csdata,"",@progbits
; Kernel info:
; codeLenInByte = 4584
; NumSgprs: 38
; NumVgprs: 69
; ScratchSize: 0
; MemoryBound: 0
; FloatMode: 240
; IeeeMode: 1
; LDSByteSize: 32768 bytes/workgroup (compile time only)
; SGPRBlocks: 4
; VGPRBlocks: 8
; NumSGPRsForWavesPerEU: 38
; NumVGPRsForWavesPerEU: 69
; Occupancy: 16
; WaveLimiterHint : 0
; COMPUTE_PGM_RSRC2:SCRATCH_EN: 0
; COMPUTE_PGM_RSRC2:USER_SGPR: 13
; COMPUTE_PGM_RSRC2:TRAP_HANDLER: 0
; COMPUTE_PGM_RSRC2:TGID_X_EN: 1
; COMPUTE_PGM_RSRC2:TGID_Y_EN: 1
; COMPUTE_PGM_RSRC2:TGID_Z_EN: 1
; COMPUTE_PGM_RSRC2:TIDIG_COMP_CNT: 1
	.section	.text._ZL20rocblas_gemvt_kernelILb1ELi256EfPKffEviiT2_lPKT1_lilS5_lilS2_lPT3_lili,"axG",@progbits,_ZL20rocblas_gemvt_kernelILb1ELi256EfPKffEviiT2_lPKT1_lilS5_lilS2_lPT3_lili,comdat
	.globl	_ZL20rocblas_gemvt_kernelILb1ELi256EfPKffEviiT2_lPKT1_lilS5_lilS2_lPT3_lili ; -- Begin function _ZL20rocblas_gemvt_kernelILb1ELi256EfPKffEviiT2_lPKT1_lilS5_lilS2_lPT3_lili
	.p2align	8
	.type	_ZL20rocblas_gemvt_kernelILb1ELi256EfPKffEviiT2_lPKT1_lilS5_lilS2_lPT3_lili,@function
_ZL20rocblas_gemvt_kernelILb1ELi256EfPKffEviiT2_lPKT1_lilS5_lilS2_lPT3_lili: ; @_ZL20rocblas_gemvt_kernelILb1ELi256EfPKffEviiT2_lPKT1_lilS5_lilS2_lPT3_lili
; %bb.0:
	s_clause 0x1
	s_load_b256 s[16:23], s[0:1], 0x8
	s_load_b256 s[4:11], s[0:1], 0x50
	s_waitcnt lgkmcnt(0)
	s_mul_i32 s3, s15, s19
	s_mul_hi_u32 s12, s15, s18
	s_mul_i32 s2, s15, s18
	s_add_i32 s3, s12, s3
	s_mul_i32 s9, s15, s9
	s_lshl_b64 s[2:3], s[2:3], 2
	s_mul_hi_u32 s12, s15, s8
	s_add_u32 s2, s16, s2
	s_addc_u32 s3, s17, s3
	s_add_i32 s9, s12, s9
	s_mul_i32 s8, s15, s8
	s_mov_b32 s17, 0
	s_lshl_b64 s[8:9], s[8:9], 2
	s_delay_alu instid0(SALU_CYCLE_1)
	s_add_u32 s6, s6, s8
	s_addc_u32 s7, s7, s9
	s_load_b32 s18, s[2:3], 0x0
	s_load_b32 s16, s[6:7], 0x0
	s_waitcnt lgkmcnt(0)
	v_cmp_eq_f32_e64 s2, s18, 0
	v_cmp_eq_f32_e64 s3, s16, 1.0
	s_delay_alu instid0(VALU_DEP_1) | instskip(NEXT) | instid1(SALU_CYCLE_1)
	s_and_b32 s2, s2, s3
	s_and_b32 vcc_lo, exec_lo, s2
	s_cbranch_vccnz .LBB44_36
; %bb.1:
	s_clause 0x2
	s_load_b64 s[2:3], s[0:1], 0x80
	s_load_b64 s[6:7], s[0:1], 0x70
	s_load_b32 s19, s[0:1], 0x78
	s_waitcnt lgkmcnt(0)
	s_mul_i32 s3, s15, s3
	s_mul_hi_u32 s8, s15, s2
	s_mul_i32 s2, s15, s2
	s_add_i32 s3, s8, s3
	v_cmp_neq_f32_e64 s8, s18, 0
	s_lshl_b64 s[2:3], s[2:3], 2
	s_delay_alu instid0(SALU_CYCLE_1) | instskip(SKIP_2) | instid1(SALU_CYCLE_1)
	s_add_u32 s9, s10, s2
	s_addc_u32 s10, s11, s3
	s_lshl_b64 s[2:3], s[6:7], 2
	s_add_u32 s12, s9, s2
	v_cmp_eq_u32_e64 s2, 0, v0
	s_addc_u32 s13, s10, s3
	s_and_b32 vcc_lo, exec_lo, s8
	s_cbranch_vccnz .LBB44_6
; %bb.2:
	s_mov_b32 s3, 0
                                        ; implicit-def: $vgpr1
                                        ; implicit-def: $sgpr6_sgpr7
	s_and_saveexec_b32 s8, s2
	s_cbranch_execz .LBB44_7
; %bb.3:
	v_cmp_eq_f32_e64 s2, s16, 0
	v_mov_b32_e32 v1, 0
	s_mul_hi_i32 s7, s19, s14
	s_mul_i32 s6, s19, s14
	s_delay_alu instid0(VALU_DEP_2)
	s_and_b32 vcc_lo, exec_lo, s2
	s_cbranch_vccnz .LBB44_5
; %bb.4:
	s_lshl_b64 s[10:11], s[6:7], 2
	s_delay_alu instid0(SALU_CYCLE_1)
	s_add_u32 s10, s12, s10
	s_addc_u32 s11, s13, s11
	s_load_b32 s2, s[10:11], 0x0
	s_waitcnt lgkmcnt(0)
	v_mul_f32_e64 v1, s16, s2
.LBB44_5:
	s_mov_b32 s17, exec_lo
	s_or_b32 exec_lo, exec_lo, s8
	s_delay_alu instid0(SALU_CYCLE_1)
	s_and_b32 vcc_lo, exec_lo, s3
	s_cbranch_vccnz .LBB44_8
	s_branch .LBB44_34
.LBB44_6:
                                        ; implicit-def: $vgpr1
                                        ; implicit-def: $sgpr6_sgpr7
	s_cbranch_execnz .LBB44_8
	s_branch .LBB44_34
.LBB44_7:
	s_or_b32 exec_lo, exec_lo, s8
	s_delay_alu instid0(SALU_CYCLE_1)
	s_and_b32 vcc_lo, exec_lo, s3
	s_cbranch_vccz .LBB44_34
.LBB44_8:
	s_clause 0x4
	s_load_b128 s[8:11], s[0:1], 0x30
	s_load_b32 s7, s[0:1], 0x0
	s_load_b32 s6, s[0:1], 0x28
	s_load_b64 s[2:3], s[0:1], 0x40
	s_load_b32 s0, s[0:1], 0x48
	s_mul_i32 s5, s15, s5
	s_mul_hi_u32 s24, s15, s4
	v_mov_b32_e32 v7, 0
	s_add_i32 s5, s24, s5
	s_mul_i32 s4, s15, s4
	s_waitcnt lgkmcnt(0)
	s_mul_i32 s1, s15, s9
	s_mul_hi_u32 s9, s15, s8
	v_cmp_gt_i32_e32 vcc_lo, s7, v0
	s_mul_i32 s8, s15, s8
	s_add_i32 s9, s9, s1
	s_mul_hi_i32 s25, s6, s14
	s_lshl_b64 s[8:9], s[8:9], 2
	v_cndmask_b32_e32 v1, 0, v0, vcc_lo
	s_add_u32 s1, s20, s8
	s_addc_u32 s20, s21, s9
	s_lshl_b64 s[8:9], s[22:23], 2
	s_mul_i32 s24, s6, s14
	s_add_u32 s1, s1, s8
	s_addc_u32 s6, s20, s9
	s_lshl_b64 s[8:9], s[24:25], 2
	v_lshlrev_b32_e32 v1, 2, v1
	s_add_u32 s1, s8, s1
	s_addc_u32 s6, s9, s6
	s_ashr_i32 s8, s7, 31
	s_mov_b32 s15, 0
	s_lshr_b32 s8, s8, 24
	v_add_co_u32 v1, s1, s1, v1
	s_add_i32 s8, s7, s8
	v_add_co_ci_u32_e64 v2, null, s6, 0, s1
	s_and_b32 s6, s8, 0xffffff00
	s_cmpk_lt_i32 s7, 0x100
	s_cbranch_scc1 .LBB44_11
; %bb.9:
	v_mad_i64_i32 v[3:4], null, s0, v0, 0
	s_lshl_b64 s[20:21], s[2:3], 2
	s_ashr_i32 s1, s0, 31
	s_lshl_b64 s[8:9], s[4:5], 2
	s_add_u32 s20, s10, s20
	s_addc_u32 s21, s11, s21
	s_add_u32 s8, s20, s8
	s_delay_alu instid0(VALU_DEP_1) | instskip(SKIP_3) | instid1(VALU_DEP_3)
	v_lshlrev_b64 v[3:4], 2, v[3:4]
	s_addc_u32 s9, s21, s9
	v_dual_mov_b32 v7, 0 :: v_dual_mov_b32 v6, v2
	v_mov_b32_e32 v5, v1
	v_add_co_u32 v3, vcc_lo, s8, v3
	s_delay_alu instid0(VALU_DEP_4)
	v_add_co_ci_u32_e32 v4, vcc_lo, s9, v4, vcc_lo
	s_lshl_b64 s[8:9], s[0:1], 10
.LBB44_10:                              ; =>This Inner Loop Header: Depth=1
	global_load_b32 v8, v[5:6], off
	global_load_b32 v9, v[3:4], off
	v_add_co_u32 v3, vcc_lo, v3, s8
	v_add_co_ci_u32_e32 v4, vcc_lo, s9, v4, vcc_lo
	v_add_co_u32 v5, vcc_lo, 0x400, v5
	v_add_co_ci_u32_e32 v6, vcc_lo, 0, v6, vcc_lo
	s_addk_i32 s15, 0x100
	s_delay_alu instid0(SALU_CYCLE_1)
	s_cmp_ge_i32 s15, s6
	s_waitcnt vmcnt(0)
	v_fmac_f32_e32 v7, v8, v9
	s_cbranch_scc0 .LBB44_10
.LBB44_11:
	v_add_nc_u32_e32 v3, s6, v0
	s_mov_b32 s1, exec_lo
	s_delay_alu instid0(VALU_DEP_1)
	v_cmpx_gt_i32_e64 s7, v3
	s_cbranch_execz .LBB44_13
; %bb.12:
	v_mad_i64_i32 v[4:5], null, s0, v3, 0
	s_lshl_b64 s[4:5], s[4:5], 2
	s_delay_alu instid0(SALU_CYCLE_1) | instskip(SKIP_2) | instid1(SALU_CYCLE_1)
	s_add_u32 s4, s10, s4
	s_addc_u32 s5, s11, s5
	s_lshl_b64 s[2:3], s[2:3], 2
	s_add_u32 s0, s4, s2
	s_addc_u32 s4, s5, s3
	s_ashr_i32 s7, s6, 31
	v_lshlrev_b64 v[3:4], 2, v[4:5]
	s_lshl_b64 s[2:3], s[6:7], 2
	s_delay_alu instid0(SALU_CYCLE_1) | instskip(SKIP_1) | instid1(VALU_DEP_3)
	v_add_co_u32 v1, vcc_lo, v1, s2
	v_add_co_ci_u32_e32 v2, vcc_lo, s3, v2, vcc_lo
	v_add_co_u32 v3, vcc_lo, s0, v3
	s_delay_alu instid0(VALU_DEP_4)
	v_add_co_ci_u32_e32 v4, vcc_lo, s4, v4, vcc_lo
	global_load_b32 v1, v[1:2], off
	global_load_b32 v2, v[3:4], off
	s_waitcnt vmcnt(0)
	v_fmac_f32_e32 v7, v1, v2
.LBB44_13:
	s_or_b32 exec_lo, exec_lo, s1
	v_lshlrev_b32_e32 v1, 2, v0
	s_mov_b32 s0, exec_lo
	ds_store_b32 v1, v7
	s_waitcnt lgkmcnt(0)
	s_barrier
	buffer_gl0_inv
	v_cmpx_gt_u32_e32 0x80, v0
	s_cbranch_execz .LBB44_15
; %bb.14:
	ds_load_2addr_stride64_b32 v[2:3], v1 offset1:2
	s_waitcnt lgkmcnt(0)
	v_add_f32_e32 v2, v3, v2
	ds_store_b32 v1, v2
.LBB44_15:
	s_or_b32 exec_lo, exec_lo, s0
	s_delay_alu instid0(SALU_CYCLE_1)
	s_mov_b32 s0, exec_lo
	s_waitcnt lgkmcnt(0)
	s_barrier
	buffer_gl0_inv
	v_cmpx_gt_u32_e32 64, v0
	s_cbranch_execz .LBB44_17
; %bb.16:
	ds_load_2addr_stride64_b32 v[2:3], v1 offset1:1
	s_waitcnt lgkmcnt(0)
	v_add_f32_e32 v2, v3, v2
	ds_store_b32 v1, v2
.LBB44_17:
	s_or_b32 exec_lo, exec_lo, s0
	s_delay_alu instid0(SALU_CYCLE_1)
	s_mov_b32 s0, exec_lo
	s_waitcnt lgkmcnt(0)
	s_barrier
	buffer_gl0_inv
	v_cmpx_gt_u32_e32 32, v0
	s_cbranch_execz .LBB44_19
; %bb.18:
	ds_load_2addr_b32 v[2:3], v1 offset1:32
	s_waitcnt lgkmcnt(0)
	v_add_f32_e32 v2, v3, v2
	ds_store_b32 v1, v2
.LBB44_19:
	s_or_b32 exec_lo, exec_lo, s0
	s_delay_alu instid0(SALU_CYCLE_1)
	s_mov_b32 s0, exec_lo
	s_waitcnt lgkmcnt(0)
	s_barrier
	buffer_gl0_inv
	v_cmpx_gt_u32_e32 16, v0
	s_cbranch_execz .LBB44_21
; %bb.20:
	ds_load_2addr_b32 v[2:3], v1 offset1:16
	s_waitcnt lgkmcnt(0)
	v_add_f32_e32 v2, v3, v2
	ds_store_b32 v1, v2
.LBB44_21:
	;; [unrolled: 14-line block ×5, first 2 shown]
	s_or_b32 exec_lo, exec_lo, s0
	v_cmp_eq_u32_e32 vcc_lo, 0, v0
	s_waitcnt lgkmcnt(0)
	s_barrier
	buffer_gl0_inv
	s_and_saveexec_b32 s0, vcc_lo
	s_cbranch_execz .LBB44_29
; %bb.28:
	v_mov_b32_e32 v2, 0
	ds_load_b64 v[0:1], v2
	s_waitcnt lgkmcnt(0)
	v_add_f32_e32 v0, v1, v0
	ds_store_b32 v2, v0
.LBB44_29:
	s_or_b32 exec_lo, exec_lo, s0
	s_waitcnt lgkmcnt(0)
	s_barrier
	buffer_gl0_inv
                                        ; implicit-def: $vgpr1
                                        ; implicit-def: $sgpr6_sgpr7
	s_and_saveexec_b32 s0, vcc_lo
	s_cbranch_execz .LBB44_33
; %bb.30:
	v_mov_b32_e32 v0, 0
	v_cmp_eq_f32_e64 s1, s16, 0
	s_mul_hi_i32 s7, s19, s14
	s_mul_i32 s6, s19, s14
	ds_load_b32 v0, v0
	s_and_b32 vcc_lo, exec_lo, s1
	s_waitcnt lgkmcnt(0)
	v_mul_f32_e32 v1, s18, v0
	s_cbranch_vccnz .LBB44_32
; %bb.31:
	s_lshl_b64 s[2:3], s[6:7], 2
	s_delay_alu instid0(SALU_CYCLE_1)
	s_add_u32 s2, s12, s2
	s_addc_u32 s3, s13, s3
	s_load_b32 s1, s[2:3], 0x0
	s_waitcnt lgkmcnt(0)
	v_fmac_f32_e64 v1, s16, s1
.LBB44_32:
	s_or_b32 s17, s17, exec_lo
.LBB44_33:
	s_or_b32 exec_lo, exec_lo, s0
.LBB44_34:
	s_and_saveexec_b32 s0, s17
	s_cbranch_execz .LBB44_36
; %bb.35:
	s_lshl_b64 s[0:1], s[6:7], 2
	v_mov_b32_e32 v0, 0
	s_add_u32 s0, s12, s0
	s_addc_u32 s1, s13, s1
	global_store_b32 v0, v1, s[0:1]
.LBB44_36:
	s_nop 0
	s_sendmsg sendmsg(MSG_DEALLOC_VGPRS)
	s_endpgm
	.section	.rodata,"a",@progbits
	.p2align	6, 0x0
	.amdhsa_kernel _ZL20rocblas_gemvt_kernelILb1ELi256EfPKffEviiT2_lPKT1_lilS5_lilS2_lPT3_lili
		.amdhsa_group_segment_fixed_size 1024
		.amdhsa_private_segment_fixed_size 0
		.amdhsa_kernarg_size 140
		.amdhsa_user_sgpr_count 14
		.amdhsa_user_sgpr_dispatch_ptr 0
		.amdhsa_user_sgpr_queue_ptr 0
		.amdhsa_user_sgpr_kernarg_segment_ptr 1
		.amdhsa_user_sgpr_dispatch_id 0
		.amdhsa_user_sgpr_private_segment_size 0
		.amdhsa_wavefront_size32 1
		.amdhsa_uses_dynamic_stack 0
		.amdhsa_enable_private_segment 0
		.amdhsa_system_sgpr_workgroup_id_x 1
		.amdhsa_system_sgpr_workgroup_id_y 0
		.amdhsa_system_sgpr_workgroup_id_z 1
		.amdhsa_system_sgpr_workgroup_info 0
		.amdhsa_system_vgpr_workitem_id 0
		.amdhsa_next_free_vgpr 10
		.amdhsa_next_free_sgpr 26
		.amdhsa_reserve_vcc 1
		.amdhsa_float_round_mode_32 0
		.amdhsa_float_round_mode_16_64 0
		.amdhsa_float_denorm_mode_32 3
		.amdhsa_float_denorm_mode_16_64 3
		.amdhsa_dx10_clamp 1
		.amdhsa_ieee_mode 1
		.amdhsa_fp16_overflow 0
		.amdhsa_workgroup_processor_mode 1
		.amdhsa_memory_ordered 1
		.amdhsa_forward_progress 0
		.amdhsa_shared_vgpr_count 0
		.amdhsa_exception_fp_ieee_invalid_op 0
		.amdhsa_exception_fp_denorm_src 0
		.amdhsa_exception_fp_ieee_div_zero 0
		.amdhsa_exception_fp_ieee_overflow 0
		.amdhsa_exception_fp_ieee_underflow 0
		.amdhsa_exception_fp_ieee_inexact 0
		.amdhsa_exception_int_div_zero 0
	.end_amdhsa_kernel
	.section	.text._ZL20rocblas_gemvt_kernelILb1ELi256EfPKffEviiT2_lPKT1_lilS5_lilS2_lPT3_lili,"axG",@progbits,_ZL20rocblas_gemvt_kernelILb1ELi256EfPKffEviiT2_lPKT1_lilS5_lilS2_lPT3_lili,comdat
.Lfunc_end44:
	.size	_ZL20rocblas_gemvt_kernelILb1ELi256EfPKffEviiT2_lPKT1_lilS5_lilS2_lPT3_lili, .Lfunc_end44-_ZL20rocblas_gemvt_kernelILb1ELi256EfPKffEviiT2_lPKT1_lilS5_lilS2_lPT3_lili
                                        ; -- End function
	.section	.AMDGPU.csdata,"",@progbits
; Kernel info:
; codeLenInByte = 1488
; NumSgprs: 28
; NumVgprs: 10
; ScratchSize: 0
; MemoryBound: 0
; FloatMode: 240
; IeeeMode: 1
; LDSByteSize: 1024 bytes/workgroup (compile time only)
; SGPRBlocks: 3
; VGPRBlocks: 1
; NumSGPRsForWavesPerEU: 28
; NumVGPRsForWavesPerEU: 10
; Occupancy: 16
; WaveLimiterHint : 1
; COMPUTE_PGM_RSRC2:SCRATCH_EN: 0
; COMPUTE_PGM_RSRC2:USER_SGPR: 14
; COMPUTE_PGM_RSRC2:TRAP_HANDLER: 0
; COMPUTE_PGM_RSRC2:TGID_X_EN: 1
; COMPUTE_PGM_RSRC2:TGID_Y_EN: 0
; COMPUTE_PGM_RSRC2:TGID_Z_EN: 1
; COMPUTE_PGM_RSRC2:TIDIG_COMP_CNT: 0
	.section	.text._ZL20rocblas_gemvt_kernelILb1ELi256EfffEviiT2_lPKT1_lilS3_lilS0_lPT3_lili,"axG",@progbits,_ZL20rocblas_gemvt_kernelILb1ELi256EfffEviiT2_lPKT1_lilS3_lilS0_lPT3_lili,comdat
	.globl	_ZL20rocblas_gemvt_kernelILb1ELi256EfffEviiT2_lPKT1_lilS3_lilS0_lPT3_lili ; -- Begin function _ZL20rocblas_gemvt_kernelILb1ELi256EfffEviiT2_lPKT1_lilS3_lilS0_lPT3_lili
	.p2align	8
	.type	_ZL20rocblas_gemvt_kernelILb1ELi256EfffEviiT2_lPKT1_lilS3_lilS0_lPT3_lili,@function
_ZL20rocblas_gemvt_kernelILb1ELi256EfffEviiT2_lPKT1_lilS3_lilS0_lPT3_lili: ; @_ZL20rocblas_gemvt_kernelILb1ELi256EfffEviiT2_lPKT1_lilS3_lilS0_lPT3_lili
; %bb.0:
	s_clause 0x1
	s_load_b32 s18, s[0:1], 0x8
	s_load_b32 s16, s[0:1], 0x58
	s_mov_b32 s17, 0
	s_waitcnt lgkmcnt(0)
	v_cmp_eq_f32_e64 s2, s18, 0
	v_cmp_eq_f32_e64 s3, s16, 1.0
	s_delay_alu instid0(VALU_DEP_1) | instskip(NEXT) | instid1(SALU_CYCLE_1)
	s_and_b32 s2, s2, s3
	s_and_b32 vcc_lo, exec_lo, s2
	s_cbranch_vccnz .LBB45_36
; %bb.1:
	s_clause 0x2
	s_load_b64 s[2:3], s[0:1], 0x80
	s_load_b128 s[4:7], s[0:1], 0x68
	s_load_b32 s19, s[0:1], 0x78
	s_waitcnt lgkmcnt(0)
	s_mul_i32 s3, s15, s3
	s_mul_hi_u32 s8, s15, s2
	s_mul_i32 s2, s15, s2
	s_add_i32 s3, s8, s3
	v_cmp_neq_f32_e64 s8, s18, 0
	s_lshl_b64 s[2:3], s[2:3], 2
	s_delay_alu instid0(SALU_CYCLE_1) | instskip(SKIP_2) | instid1(SALU_CYCLE_1)
	s_add_u32 s4, s4, s2
	s_addc_u32 s5, s5, s3
	s_lshl_b64 s[2:3], s[6:7], 2
	s_add_u32 s12, s4, s2
	v_cmp_eq_u32_e64 s2, 0, v0
	s_addc_u32 s13, s5, s3
	s_and_b32 vcc_lo, exec_lo, s8
	s_cbranch_vccnz .LBB45_6
; %bb.2:
	s_mov_b32 s3, 0
                                        ; implicit-def: $vgpr1
                                        ; implicit-def: $sgpr4_sgpr5
	s_and_saveexec_b32 s6, s2
	s_cbranch_execz .LBB45_7
; %bb.3:
	v_cmp_eq_f32_e64 s2, s16, 0
	v_mov_b32_e32 v1, 0
	s_mul_hi_i32 s5, s19, s14
	s_mul_i32 s4, s19, s14
	s_delay_alu instid0(VALU_DEP_2)
	s_and_b32 vcc_lo, exec_lo, s2
	s_cbranch_vccnz .LBB45_5
; %bb.4:
	s_lshl_b64 s[8:9], s[4:5], 2
	s_delay_alu instid0(SALU_CYCLE_1)
	s_add_u32 s8, s12, s8
	s_addc_u32 s9, s13, s9
	s_load_b32 s2, s[8:9], 0x0
	s_waitcnt lgkmcnt(0)
	v_mul_f32_e64 v1, s2, s16
.LBB45_5:
	s_mov_b32 s17, exec_lo
	s_or_b32 exec_lo, exec_lo, s6
	s_delay_alu instid0(SALU_CYCLE_1)
	s_and_b32 vcc_lo, exec_lo, s3
	s_cbranch_vccnz .LBB45_8
	s_branch .LBB45_34
.LBB45_6:
                                        ; implicit-def: $vgpr1
                                        ; implicit-def: $sgpr4_sgpr5
	s_cbranch_execnz .LBB45_8
	s_branch .LBB45_34
.LBB45_7:
	s_or_b32 exec_lo, exec_lo, s6
	s_delay_alu instid0(SALU_CYCLE_1)
	s_and_b32 vcc_lo, exec_lo, s3
	s_cbranch_vccz .LBB45_34
.LBB45_8:
	s_clause 0x6
	s_load_b64 s[10:11], s[0:1], 0x50
	s_load_b128 s[4:7], s[0:1], 0x30
	s_load_b32 s9, s[0:1], 0x0
	s_load_b32 s8, s[0:1], 0x28
	s_load_b128 s[20:23], s[0:1], 0x18
	s_load_b64 s[2:3], s[0:1], 0x40
	s_load_b32 s0, s[0:1], 0x48
	v_mov_b32_e32 v7, 0
	s_waitcnt lgkmcnt(0)
	s_mul_i32 s1, s15, s11
	s_mul_i32 s5, s15, s5
	s_mul_hi_u32 s24, s15, s4
	v_cmp_gt_i32_e32 vcc_lo, s9, v0
	s_mul_i32 s4, s15, s4
	s_add_i32 s5, s24, s5
	s_mul_hi_u32 s11, s15, s10
	s_lshl_b64 s[26:27], s[4:5], 2
	v_cndmask_b32_e32 v1, 0, v0, vcc_lo
	s_add_i32 s5, s11, s1
	s_add_u32 s1, s20, s26
	s_addc_u32 s4, s21, s27
	s_lshl_b64 s[20:21], s[22:23], 2
	s_mul_hi_i32 s25, s8, s14
	s_mul_i32 s24, s8, s14
	s_add_u32 s1, s1, s20
	s_addc_u32 s4, s4, s21
	s_lshl_b64 s[20:21], s[24:25], 2
	v_lshlrev_b32_e32 v1, 2, v1
	s_add_u32 s1, s20, s1
	s_addc_u32 s8, s21, s4
	s_ashr_i32 s4, s9, 31
	s_delay_alu instid0(SALU_CYCLE_1)
	s_lshr_b32 s11, s4, 24
	v_add_co_u32 v1, s1, s1, v1
	s_mul_i32 s4, s15, s10
	s_add_i32 s10, s9, s11
	v_add_co_ci_u32_e64 v2, null, s8, 0, s1
	s_and_b32 s8, s10, 0xffffff00
	s_cmpk_lt_i32 s9, 0x100
	s_mov_b32 s15, 0
	s_cbranch_scc1 .LBB45_11
; %bb.9:
	v_mad_i64_i32 v[3:4], null, s0, v0, 0
	s_lshl_b64 s[20:21], s[2:3], 2
	s_ashr_i32 s1, s0, 31
	s_lshl_b64 s[10:11], s[4:5], 2
	s_add_u32 s20, s6, s20
	s_addc_u32 s21, s7, s21
	s_add_u32 s10, s20, s10
	s_delay_alu instid0(VALU_DEP_1) | instskip(SKIP_3) | instid1(VALU_DEP_3)
	v_lshlrev_b64 v[3:4], 2, v[3:4]
	s_addc_u32 s11, s21, s11
	v_dual_mov_b32 v7, 0 :: v_dual_mov_b32 v6, v2
	v_mov_b32_e32 v5, v1
	v_add_co_u32 v3, vcc_lo, s10, v3
	s_delay_alu instid0(VALU_DEP_4)
	v_add_co_ci_u32_e32 v4, vcc_lo, s11, v4, vcc_lo
	s_lshl_b64 s[10:11], s[0:1], 10
.LBB45_10:                              ; =>This Inner Loop Header: Depth=1
	global_load_b32 v8, v[5:6], off
	global_load_b32 v9, v[3:4], off
	v_add_co_u32 v3, vcc_lo, v3, s10
	v_add_co_ci_u32_e32 v4, vcc_lo, s11, v4, vcc_lo
	v_add_co_u32 v5, vcc_lo, 0x400, v5
	v_add_co_ci_u32_e32 v6, vcc_lo, 0, v6, vcc_lo
	s_addk_i32 s15, 0x100
	s_delay_alu instid0(SALU_CYCLE_1)
	s_cmp_ge_i32 s15, s8
	s_waitcnt vmcnt(0)
	v_fmac_f32_e32 v7, v8, v9
	s_cbranch_scc0 .LBB45_10
.LBB45_11:
	v_add_nc_u32_e32 v3, s8, v0
	s_mov_b32 s1, exec_lo
	s_delay_alu instid0(VALU_DEP_1)
	v_cmpx_gt_i32_e64 s9, v3
	s_cbranch_execz .LBB45_13
; %bb.12:
	v_mad_i64_i32 v[4:5], null, s0, v3, 0
	s_lshl_b64 s[4:5], s[4:5], 2
	s_delay_alu instid0(SALU_CYCLE_1) | instskip(SKIP_2) | instid1(SALU_CYCLE_1)
	s_add_u32 s4, s6, s4
	s_addc_u32 s5, s7, s5
	s_lshl_b64 s[2:3], s[2:3], 2
	s_add_u32 s0, s4, s2
	s_addc_u32 s4, s5, s3
	s_ashr_i32 s9, s8, 31
	v_lshlrev_b64 v[3:4], 2, v[4:5]
	s_lshl_b64 s[2:3], s[8:9], 2
	s_delay_alu instid0(SALU_CYCLE_1) | instskip(SKIP_1) | instid1(VALU_DEP_3)
	v_add_co_u32 v1, vcc_lo, v1, s2
	v_add_co_ci_u32_e32 v2, vcc_lo, s3, v2, vcc_lo
	v_add_co_u32 v3, vcc_lo, s0, v3
	s_delay_alu instid0(VALU_DEP_4)
	v_add_co_ci_u32_e32 v4, vcc_lo, s4, v4, vcc_lo
	global_load_b32 v1, v[1:2], off
	global_load_b32 v2, v[3:4], off
	s_waitcnt vmcnt(0)
	v_fmac_f32_e32 v7, v1, v2
.LBB45_13:
	s_or_b32 exec_lo, exec_lo, s1
	v_lshlrev_b32_e32 v1, 2, v0
	s_mov_b32 s0, exec_lo
	ds_store_b32 v1, v7
	s_waitcnt lgkmcnt(0)
	s_barrier
	buffer_gl0_inv
	v_cmpx_gt_u32_e32 0x80, v0
	s_cbranch_execz .LBB45_15
; %bb.14:
	ds_load_2addr_stride64_b32 v[2:3], v1 offset1:2
	s_waitcnt lgkmcnt(0)
	v_add_f32_e32 v2, v3, v2
	ds_store_b32 v1, v2
.LBB45_15:
	s_or_b32 exec_lo, exec_lo, s0
	s_delay_alu instid0(SALU_CYCLE_1)
	s_mov_b32 s0, exec_lo
	s_waitcnt lgkmcnt(0)
	s_barrier
	buffer_gl0_inv
	v_cmpx_gt_u32_e32 64, v0
	s_cbranch_execz .LBB45_17
; %bb.16:
	ds_load_2addr_stride64_b32 v[2:3], v1 offset1:1
	s_waitcnt lgkmcnt(0)
	v_add_f32_e32 v2, v3, v2
	ds_store_b32 v1, v2
.LBB45_17:
	s_or_b32 exec_lo, exec_lo, s0
	s_delay_alu instid0(SALU_CYCLE_1)
	s_mov_b32 s0, exec_lo
	s_waitcnt lgkmcnt(0)
	s_barrier
	buffer_gl0_inv
	v_cmpx_gt_u32_e32 32, v0
	s_cbranch_execz .LBB45_19
; %bb.18:
	ds_load_2addr_b32 v[2:3], v1 offset1:32
	s_waitcnt lgkmcnt(0)
	v_add_f32_e32 v2, v3, v2
	ds_store_b32 v1, v2
.LBB45_19:
	s_or_b32 exec_lo, exec_lo, s0
	s_delay_alu instid0(SALU_CYCLE_1)
	s_mov_b32 s0, exec_lo
	s_waitcnt lgkmcnt(0)
	s_barrier
	buffer_gl0_inv
	v_cmpx_gt_u32_e32 16, v0
	s_cbranch_execz .LBB45_21
; %bb.20:
	ds_load_2addr_b32 v[2:3], v1 offset1:16
	s_waitcnt lgkmcnt(0)
	v_add_f32_e32 v2, v3, v2
	ds_store_b32 v1, v2
.LBB45_21:
	;; [unrolled: 14-line block ×5, first 2 shown]
	s_or_b32 exec_lo, exec_lo, s0
	v_cmp_eq_u32_e32 vcc_lo, 0, v0
	s_waitcnt lgkmcnt(0)
	s_barrier
	buffer_gl0_inv
	s_and_saveexec_b32 s0, vcc_lo
	s_cbranch_execz .LBB45_29
; %bb.28:
	v_mov_b32_e32 v2, 0
	ds_load_b64 v[0:1], v2
	s_waitcnt lgkmcnt(0)
	v_add_f32_e32 v0, v1, v0
	ds_store_b32 v2, v0
.LBB45_29:
	s_or_b32 exec_lo, exec_lo, s0
	s_waitcnt lgkmcnt(0)
	s_barrier
	buffer_gl0_inv
                                        ; implicit-def: $vgpr1
                                        ; implicit-def: $sgpr4_sgpr5
	s_and_saveexec_b32 s0, vcc_lo
	s_cbranch_execz .LBB45_33
; %bb.30:
	v_mov_b32_e32 v0, 0
	v_cmp_eq_f32_e64 s1, s16, 0
	s_mul_hi_i32 s5, s19, s14
	s_mul_i32 s4, s19, s14
	ds_load_b32 v0, v0
	s_and_b32 vcc_lo, exec_lo, s1
	s_waitcnt lgkmcnt(0)
	v_mul_f32_e32 v1, s18, v0
	s_cbranch_vccnz .LBB45_32
; %bb.31:
	s_lshl_b64 s[2:3], s[4:5], 2
	s_delay_alu instid0(SALU_CYCLE_1)
	s_add_u32 s2, s12, s2
	s_addc_u32 s3, s13, s3
	s_load_b32 s1, s[2:3], 0x0
	s_waitcnt lgkmcnt(0)
	v_fmac_f32_e64 v1, s1, s16
.LBB45_32:
	s_or_b32 s17, s17, exec_lo
.LBB45_33:
	s_or_b32 exec_lo, exec_lo, s0
.LBB45_34:
	s_and_saveexec_b32 s0, s17
	s_cbranch_execz .LBB45_36
; %bb.35:
	s_lshl_b64 s[0:1], s[4:5], 2
	v_mov_b32_e32 v0, 0
	s_add_u32 s0, s12, s0
	s_addc_u32 s1, s13, s1
	global_store_b32 v0, v1, s[0:1]
.LBB45_36:
	s_nop 0
	s_sendmsg sendmsg(MSG_DEALLOC_VGPRS)
	s_endpgm
	.section	.rodata,"a",@progbits
	.p2align	6, 0x0
	.amdhsa_kernel _ZL20rocblas_gemvt_kernelILb1ELi256EfffEviiT2_lPKT1_lilS3_lilS0_lPT3_lili
		.amdhsa_group_segment_fixed_size 1024
		.amdhsa_private_segment_fixed_size 0
		.amdhsa_kernarg_size 140
		.amdhsa_user_sgpr_count 14
		.amdhsa_user_sgpr_dispatch_ptr 0
		.amdhsa_user_sgpr_queue_ptr 0
		.amdhsa_user_sgpr_kernarg_segment_ptr 1
		.amdhsa_user_sgpr_dispatch_id 0
		.amdhsa_user_sgpr_private_segment_size 0
		.amdhsa_wavefront_size32 1
		.amdhsa_uses_dynamic_stack 0
		.amdhsa_enable_private_segment 0
		.amdhsa_system_sgpr_workgroup_id_x 1
		.amdhsa_system_sgpr_workgroup_id_y 0
		.amdhsa_system_sgpr_workgroup_id_z 1
		.amdhsa_system_sgpr_workgroup_info 0
		.amdhsa_system_vgpr_workitem_id 0
		.amdhsa_next_free_vgpr 10
		.amdhsa_next_free_sgpr 28
		.amdhsa_reserve_vcc 1
		.amdhsa_float_round_mode_32 0
		.amdhsa_float_round_mode_16_64 0
		.amdhsa_float_denorm_mode_32 3
		.amdhsa_float_denorm_mode_16_64 3
		.amdhsa_dx10_clamp 1
		.amdhsa_ieee_mode 1
		.amdhsa_fp16_overflow 0
		.amdhsa_workgroup_processor_mode 1
		.amdhsa_memory_ordered 1
		.amdhsa_forward_progress 0
		.amdhsa_shared_vgpr_count 0
		.amdhsa_exception_fp_ieee_invalid_op 0
		.amdhsa_exception_fp_denorm_src 0
		.amdhsa_exception_fp_ieee_div_zero 0
		.amdhsa_exception_fp_ieee_overflow 0
		.amdhsa_exception_fp_ieee_underflow 0
		.amdhsa_exception_fp_ieee_inexact 0
		.amdhsa_exception_int_div_zero 0
	.end_amdhsa_kernel
	.section	.text._ZL20rocblas_gemvt_kernelILb1ELi256EfffEviiT2_lPKT1_lilS3_lilS0_lPT3_lili,"axG",@progbits,_ZL20rocblas_gemvt_kernelILb1ELi256EfffEviiT2_lPKT1_lilS3_lilS0_lPT3_lili,comdat
.Lfunc_end45:
	.size	_ZL20rocblas_gemvt_kernelILb1ELi256EfffEviiT2_lPKT1_lilS3_lilS0_lPT3_lili, .Lfunc_end45-_ZL20rocblas_gemvt_kernelILb1ELi256EfffEviiT2_lPKT1_lilS3_lilS0_lPT3_lili
                                        ; -- End function
	.section	.AMDGPU.csdata,"",@progbits
; Kernel info:
; codeLenInByte = 1428
; NumSgprs: 30
; NumVgprs: 10
; ScratchSize: 0
; MemoryBound: 0
; FloatMode: 240
; IeeeMode: 1
; LDSByteSize: 1024 bytes/workgroup (compile time only)
; SGPRBlocks: 3
; VGPRBlocks: 1
; NumSGPRsForWavesPerEU: 30
; NumVGPRsForWavesPerEU: 10
; Occupancy: 16
; WaveLimiterHint : 1
; COMPUTE_PGM_RSRC2:SCRATCH_EN: 0
; COMPUTE_PGM_RSRC2:USER_SGPR: 14
; COMPUTE_PGM_RSRC2:TRAP_HANDLER: 0
; COMPUTE_PGM_RSRC2:TGID_X_EN: 1
; COMPUTE_PGM_RSRC2:TGID_Y_EN: 0
; COMPUTE_PGM_RSRC2:TGID_Z_EN: 1
; COMPUTE_PGM_RSRC2:TIDIG_COMP_CNT: 0
	.section	.text._ZL32rocblas_gemvt_warp_reduce_kernelILb1ELi1024EifPKffEviiT3_lPKT2_lT1_lS5_lS6_lS2_lPT4_lS6_li,"axG",@progbits,_ZL32rocblas_gemvt_warp_reduce_kernelILb1ELi1024EifPKffEviiT3_lPKT2_lT1_lS5_lS6_lS2_lPT4_lS6_li,comdat
	.globl	_ZL32rocblas_gemvt_warp_reduce_kernelILb1ELi1024EifPKffEviiT3_lPKT2_lT1_lS5_lS6_lS2_lPT4_lS6_li ; -- Begin function _ZL32rocblas_gemvt_warp_reduce_kernelILb1ELi1024EifPKffEviiT3_lPKT2_lT1_lS5_lS6_lS2_lPT4_lS6_li
	.p2align	8
	.type	_ZL32rocblas_gemvt_warp_reduce_kernelILb1ELi1024EifPKffEviiT3_lPKT2_lT1_lS5_lS6_lS2_lPT4_lS6_li,@function
_ZL32rocblas_gemvt_warp_reduce_kernelILb1ELi1024EifPKffEviiT3_lPKT2_lT1_lS5_lS6_lS2_lPT4_lS6_li: ; @_ZL32rocblas_gemvt_warp_reduce_kernelILb1ELi1024EifPKffEviiT3_lPKT2_lT1_lS5_lS6_lS2_lPT4_lS6_li
; %bb.0:
	s_clause 0x1
	s_load_b256 s[4:11], s[0:1], 0x8
	s_load_b256 s[16:23], s[0:1], 0x50
	s_mov_b32 s13, 0
	s_waitcnt lgkmcnt(0)
	s_mul_i32 s3, s15, s7
	s_mul_hi_u32 s7, s15, s6
	s_mul_i32 s2, s15, s6
	s_add_i32 s3, s7, s3
	s_mul_i32 s6, s15, s21
	s_lshl_b64 s[2:3], s[2:3], 2
	s_mul_hi_u32 s7, s15, s20
	s_add_u32 s2, s4, s2
	s_addc_u32 s3, s5, s3
	s_add_i32 s5, s7, s6
	s_mul_i32 s4, s15, s20
	s_delay_alu instid0(SALU_CYCLE_1) | instskip(NEXT) | instid1(SALU_CYCLE_1)
	s_lshl_b64 s[4:5], s[4:5], 2
	s_add_u32 s4, s18, s4
	s_addc_u32 s5, s19, s5
	s_load_b32 s18, s[2:3], 0x0
	s_load_b32 s12, s[4:5], 0x0
	s_waitcnt lgkmcnt(0)
	v_cmp_eq_f32_e64 s2, s18, 0
	v_cmp_eq_f32_e64 s3, s12, 1.0
	s_delay_alu instid0(VALU_DEP_1) | instskip(NEXT) | instid1(SALU_CYCLE_1)
	s_and_b32 s2, s2, s3
	s_and_b32 vcc_lo, exec_lo, s2
	s_cbranch_vccnz .LBB46_29
; %bb.1:
	s_clause 0x2
	s_load_b64 s[2:3], s[0:1], 0x80
	s_load_b64 s[4:5], s[0:1], 0x70
	s_load_b32 s19, s[0:1], 0x78
	v_cmp_neq_f32_e64 s20, s18, 0
	s_waitcnt lgkmcnt(0)
	s_mul_i32 s3, s15, s3
	s_mul_hi_u32 s6, s15, s2
	s_mul_i32 s2, s15, s2
	s_add_i32 s3, s6, s3
	s_delay_alu instid0(SALU_CYCLE_1) | instskip(NEXT) | instid1(SALU_CYCLE_1)
	s_lshl_b64 s[2:3], s[2:3], 2
	s_add_u32 s6, s22, s2
	s_addc_u32 s7, s23, s3
	s_lshl_b64 s[2:3], s[4:5], 2
	s_delay_alu instid0(SALU_CYCLE_1)
	s_add_u32 s6, s6, s2
	v_cmp_eq_u32_e64 s2, 0, v0
	s_addc_u32 s7, s7, s3
	s_and_b32 vcc_lo, exec_lo, s20
	s_cbranch_vccnz .LBB46_6
; %bb.2:
	s_mov_b32 s3, 0
                                        ; implicit-def: $vgpr1
                                        ; implicit-def: $sgpr4_sgpr5
	s_and_saveexec_b32 s20, s2
	s_cbranch_execz .LBB46_7
; %bb.3:
	v_cmp_eq_f32_e64 s2, s12, 0
	v_mov_b32_e32 v1, 0
	s_mul_i32 s4, s14, s19
	s_delay_alu instid0(SALU_CYCLE_1) | instskip(NEXT) | instid1(VALU_DEP_2)
	s_ashr_i32 s5, s4, 31
	s_and_b32 vcc_lo, exec_lo, s2
	s_cbranch_vccnz .LBB46_5
; %bb.4:
	s_lshl_b64 s[22:23], s[4:5], 2
	s_delay_alu instid0(SALU_CYCLE_1)
	s_add_u32 s22, s6, s22
	s_addc_u32 s23, s7, s23
	s_load_b32 s2, s[22:23], 0x0
	s_waitcnt lgkmcnt(0)
	v_mul_f32_e64 v1, s12, s2
.LBB46_5:
	s_mov_b32 s13, exec_lo
	s_or_b32 exec_lo, exec_lo, s20
	s_delay_alu instid0(SALU_CYCLE_1)
	s_and_b32 vcc_lo, exec_lo, s3
	s_cbranch_vccnz .LBB46_8
	s_branch .LBB46_27
.LBB46_6:
                                        ; implicit-def: $vgpr1
                                        ; implicit-def: $sgpr4_sgpr5
	s_cbranch_execnz .LBB46_8
	s_branch .LBB46_27
.LBB46_7:
	s_or_b32 exec_lo, exec_lo, s20
	s_delay_alu instid0(SALU_CYCLE_1)
	s_and_b32 vcc_lo, exec_lo, s3
	s_cbranch_vccz .LBB46_27
.LBB46_8:
	s_mul_i32 s3, s15, s17
	s_mul_hi_u32 s17, s15, s16
	s_mul_i32 s2, s15, s16
	s_add_i32 s3, s17, s3
	s_clause 0x2
	s_load_b128 s[20:23], s[0:1], 0x30
	s_load_b64 s[4:5], s[0:1], 0x40
	s_load_b32 s24, s[0:1], 0x28
	s_lshl_b64 s[16:17], s[2:3], 2
	s_clause 0x1
	s_load_b32 s3, s[0:1], 0x0
	s_load_b32 s1, s[0:1], 0x48
	v_mov_b32_e32 v7, 0
	s_waitcnt lgkmcnt(0)
	s_add_u32 s2, s22, s16
	s_addc_u32 s17, s23, s17
	s_lshl_b64 s[4:5], s[4:5], 2
	s_mul_i32 s21, s15, s21
	s_mul_hi_u32 s22, s15, s20
	s_add_u32 s4, s2, s4
	v_cmp_gt_i32_e32 vcc_lo, s3, v0
	s_mul_i32 s16, s15, s20
	s_addc_u32 s5, s17, s5
	s_add_i32 s17, s22, s21
	s_delay_alu instid0(SALU_CYCLE_1)
	s_lshl_b64 s[16:17], s[16:17], 2
	v_cndmask_b32_e32 v1, 0, v0, vcc_lo
	s_add_u32 s2, s8, s16
	s_addc_u32 s15, s9, s17
	s_lshl_b64 s[8:9], s[10:11], 2
	s_mul_i32 s10, s14, s24
	s_add_u32 s2, s2, s8
	s_addc_u32 s15, s15, s9
	s_ashr_i32 s11, s10, 31
	v_lshlrev_b32_e32 v1, 2, v1
	s_lshl_b64 s[8:9], s[10:11], 2
	s_delay_alu instid0(SALU_CYCLE_1)
	s_add_u32 s0, s8, s2
	s_addc_u32 s8, s9, s15
	s_ashr_i32 s2, s3, 31
	v_add_co_u32 v1, s0, s0, v1
	s_lshr_b32 s2, s2, 22
	v_add_co_ci_u32_e64 v2, null, s8, 0, s0
	s_add_i32 s2, s3, s2
	s_mov_b32 s9, 0
	s_and_b32 s2, s2, 0xfffffc00
	s_mov_b32 s8, exec_lo
	v_cmpx_gt_i32_e64 s2, v0
	s_cbranch_execz .LBB46_12
; %bb.9:
	v_mul_lo_u32 v3, v0, s1
	v_dual_mov_b32 v7, 0 :: v_dual_mov_b32 v6, v2
	v_dual_mov_b32 v5, v1 :: v_dual_mov_b32 v8, v0
	s_lshl_b32 s10, s1, 10
	.p2align	6
.LBB46_10:                              ; =>This Inner Loop Header: Depth=1
	s_delay_alu instid0(VALU_DEP_3) | instskip(NEXT) | instid1(VALU_DEP_1)
	v_ashrrev_i32_e32 v4, 31, v3
	v_lshlrev_b64 v[9:10], 2, v[3:4]
	v_add_nc_u32_e32 v3, s10, v3
	s_delay_alu instid0(VALU_DEP_2) | instskip(NEXT) | instid1(VALU_DEP_3)
	v_add_co_u32 v9, vcc_lo, s4, v9
	v_add_co_ci_u32_e32 v10, vcc_lo, s5, v10, vcc_lo
	global_load_b32 v4, v[5:6], off
	global_load_b32 v9, v[9:10], off
	v_add_nc_u32_e32 v8, 0x400, v8
	v_add_co_u32 v5, vcc_lo, 0x1000, v5
	v_add_co_ci_u32_e32 v6, vcc_lo, 0, v6, vcc_lo
	s_waitcnt vmcnt(0)
	v_fmac_f32_e32 v7, v4, v9
	v_cmp_le_i32_e64 s0, s2, v8
	s_delay_alu instid0(VALU_DEP_1) | instskip(NEXT) | instid1(SALU_CYCLE_1)
	s_or_b32 s9, s0, s9
	s_and_not1_b32 exec_lo, exec_lo, s9
	s_cbranch_execnz .LBB46_10
; %bb.11:
	s_or_b32 exec_lo, exec_lo, s9
.LBB46_12:
	s_delay_alu instid0(SALU_CYCLE_1) | instskip(SKIP_2) | instid1(VALU_DEP_1)
	s_or_b32 exec_lo, exec_lo, s8
	v_or_b32_e32 v3, s2, v0
	s_mov_b32 s0, exec_lo
	v_cmpx_gt_i32_e64 s3, v3
	s_cbranch_execz .LBB46_14
; %bb.13:
	v_mul_lo_u32 v3, v3, s1
	s_ashr_i32 s3, s2, 31
	s_delay_alu instid0(SALU_CYCLE_1) | instskip(NEXT) | instid1(SALU_CYCLE_1)
	s_lshl_b64 s[2:3], s[2:3], 2
	v_add_co_u32 v1, vcc_lo, v1, s2
	v_add_co_ci_u32_e32 v2, vcc_lo, s3, v2, vcc_lo
	s_delay_alu instid0(VALU_DEP_3) | instskip(NEXT) | instid1(VALU_DEP_1)
	v_ashrrev_i32_e32 v4, 31, v3
	v_lshlrev_b64 v[3:4], 2, v[3:4]
	s_delay_alu instid0(VALU_DEP_1) | instskip(NEXT) | instid1(VALU_DEP_2)
	v_add_co_u32 v3, vcc_lo, s4, v3
	v_add_co_ci_u32_e32 v4, vcc_lo, s5, v4, vcc_lo
	global_load_b32 v1, v[1:2], off
	global_load_b32 v2, v[3:4], off
	s_waitcnt vmcnt(0)
	v_fmac_f32_e32 v7, v1, v2
.LBB46_14:
	s_or_b32 exec_lo, exec_lo, s0
	v_and_b32_e32 v6, 31, v0
	v_cmp_gt_u32_e32 vcc_lo, 32, v0
	s_delay_alu instid0(VALU_DEP_2)
	v_lshlrev_b32_e32 v1, 2, v6
	s_and_saveexec_b32 s0, vcc_lo
	s_cbranch_execz .LBB46_16
; %bb.15:
	v_mov_b32_e32 v2, 0
	ds_store_b32 v1, v2
.LBB46_16:
	s_or_b32 exec_lo, exec_lo, s0
	v_mbcnt_lo_u32_b32 v8, -1, 0
	s_mov_b32 s1, exec_lo
	s_waitcnt lgkmcnt(0)
	s_barrier
	buffer_gl0_inv
	v_cmp_gt_u32_e64 s0, 16, v8
	s_delay_alu instid0(VALU_DEP_1) | instskip(SKIP_1) | instid1(VALU_DEP_2)
	v_cndmask_b32_e64 v2, 0, 1, s0
	v_cmp_gt_u32_e64 s0, 24, v8
	v_lshlrev_b32_e32 v2, 4, v2
	s_delay_alu instid0(VALU_DEP_2) | instskip(SKIP_1) | instid1(VALU_DEP_3)
	v_cndmask_b32_e64 v3, 0, 1, s0
	v_cmp_gt_u32_e64 s0, 28, v8
	v_add_lshl_u32 v2, v2, v8, 2
	s_delay_alu instid0(VALU_DEP_3)
	v_lshlrev_b32_e32 v3, 3, v3
	ds_bpermute_b32 v4, v2, v7
	v_add_lshl_u32 v3, v3, v8, 2
	s_waitcnt lgkmcnt(0)
	v_add_f32_e32 v5, v7, v4
	v_cndmask_b32_e64 v4, 0, 1, s0
	v_cmp_gt_u32_e64 s0, 30, v8
	ds_bpermute_b32 v7, v3, v5
	s_waitcnt lgkmcnt(0)
	v_dual_add_f32 v7, v5, v7 :: v_dual_lshlrev_b32 v4, 2, v4
	s_delay_alu instid0(VALU_DEP_1)
	v_add_lshl_u32 v4, v4, v8, 2
	v_cndmask_b32_e64 v5, 0, 1, s0
	v_cmp_ne_u32_e64 s0, 31, v8
	ds_bpermute_b32 v9, v4, v7
	v_lshlrev_b32_e32 v5, 1, v5
	v_add_co_ci_u32_e64 v10, s0, 0, v8, s0
	s_delay_alu instid0(VALU_DEP_2)
	v_add_lshl_u32 v5, v5, v8, 2
	s_waitcnt lgkmcnt(0)
	v_add_f32_e32 v7, v7, v9
	ds_bpermute_b32 v9, v5, v7
	s_waitcnt lgkmcnt(0)
	v_dual_add_f32 v8, v7, v9 :: v_dual_lshlrev_b32 v7, 2, v10
	ds_bpermute_b32 v9, v7, v8
	v_cmpx_eq_u32_e32 0, v6
	s_cbranch_execz .LBB46_18
; %bb.17:
	v_lshrrev_b32_e32 v6, 3, v0
	s_waitcnt lgkmcnt(0)
	v_add_f32_e32 v8, v8, v9
	s_delay_alu instid0(VALU_DEP_2)
	v_and_b32_e32 v6, 0x7c, v6
	ds_store_b32 v6, v8
.LBB46_18:
	s_or_b32 exec_lo, exec_lo, s1
	v_mov_b32_e32 v6, 0
	s_waitcnt lgkmcnt(0)
	s_barrier
	buffer_gl0_inv
	s_and_saveexec_b32 s0, vcc_lo
	s_cbranch_execz .LBB46_20
; %bb.19:
	ds_load_b32 v6, v1
.LBB46_20:
	s_or_b32 exec_lo, exec_lo, s0
	s_and_saveexec_b32 s0, vcc_lo
	s_cbranch_execz .LBB46_22
; %bb.21:
	s_waitcnt lgkmcnt(0)
	ds_bpermute_b32 v1, v2, v6
	s_waitcnt lgkmcnt(0)
	v_add_f32_e32 v1, v6, v1
	ds_bpermute_b32 v2, v3, v1
	s_waitcnt lgkmcnt(0)
	v_add_f32_e32 v1, v1, v2
	;; [unrolled: 3-line block ×5, first 2 shown]
.LBB46_22:
	s_or_b32 exec_lo, exec_lo, s0
	s_delay_alu instid0(SALU_CYCLE_1)
	s_mov_b32 s0, exec_lo
                                        ; implicit-def: $vgpr1
                                        ; implicit-def: $sgpr4_sgpr5
	v_cmpx_eq_u32_e32 0, v0
	s_cbranch_execz .LBB46_26
; %bb.23:
	v_cmp_eq_f32_e64 s1, s12, 0
	s_waitcnt lgkmcnt(0)
	v_mul_f32_e32 v1, s18, v6
	s_mul_i32 s4, s14, s19
	s_delay_alu instid0(SALU_CYCLE_1)
	s_ashr_i32 s5, s4, 31
	s_and_b32 vcc_lo, exec_lo, s1
	s_cbranch_vccnz .LBB46_25
; %bb.24:
	s_lshl_b64 s[2:3], s[4:5], 2
	s_delay_alu instid0(SALU_CYCLE_1)
	s_add_u32 s2, s6, s2
	s_addc_u32 s3, s7, s3
	s_load_b32 s1, s[2:3], 0x0
	s_waitcnt lgkmcnt(0)
	v_fmac_f32_e64 v1, s12, s1
.LBB46_25:
	s_or_b32 s13, s13, exec_lo
.LBB46_26:
	s_or_b32 exec_lo, exec_lo, s0
.LBB46_27:
	s_and_saveexec_b32 s0, s13
	s_cbranch_execz .LBB46_29
; %bb.28:
	s_lshl_b64 s[0:1], s[4:5], 2
	v_mov_b32_e32 v0, 0
	s_add_u32 s0, s6, s0
	s_addc_u32 s1, s7, s1
	global_store_b32 v0, v1, s[0:1]
.LBB46_29:
	s_nop 0
	s_sendmsg sendmsg(MSG_DEALLOC_VGPRS)
	s_endpgm
	.section	.rodata,"a",@progbits
	.p2align	6, 0x0
	.amdhsa_kernel _ZL32rocblas_gemvt_warp_reduce_kernelILb1ELi1024EifPKffEviiT3_lPKT2_lT1_lS5_lS6_lS2_lPT4_lS6_li
		.amdhsa_group_segment_fixed_size 128
		.amdhsa_private_segment_fixed_size 0
		.amdhsa_kernarg_size 140
		.amdhsa_user_sgpr_count 14
		.amdhsa_user_sgpr_dispatch_ptr 0
		.amdhsa_user_sgpr_queue_ptr 0
		.amdhsa_user_sgpr_kernarg_segment_ptr 1
		.amdhsa_user_sgpr_dispatch_id 0
		.amdhsa_user_sgpr_private_segment_size 0
		.amdhsa_wavefront_size32 1
		.amdhsa_uses_dynamic_stack 0
		.amdhsa_enable_private_segment 0
		.amdhsa_system_sgpr_workgroup_id_x 1
		.amdhsa_system_sgpr_workgroup_id_y 0
		.amdhsa_system_sgpr_workgroup_id_z 1
		.amdhsa_system_sgpr_workgroup_info 0
		.amdhsa_system_vgpr_workitem_id 0
		.amdhsa_next_free_vgpr 11
		.amdhsa_next_free_sgpr 25
		.amdhsa_reserve_vcc 1
		.amdhsa_float_round_mode_32 0
		.amdhsa_float_round_mode_16_64 0
		.amdhsa_float_denorm_mode_32 3
		.amdhsa_float_denorm_mode_16_64 3
		.amdhsa_dx10_clamp 1
		.amdhsa_ieee_mode 1
		.amdhsa_fp16_overflow 0
		.amdhsa_workgroup_processor_mode 1
		.amdhsa_memory_ordered 1
		.amdhsa_forward_progress 0
		.amdhsa_shared_vgpr_count 0
		.amdhsa_exception_fp_ieee_invalid_op 0
		.amdhsa_exception_fp_denorm_src 0
		.amdhsa_exception_fp_ieee_div_zero 0
		.amdhsa_exception_fp_ieee_overflow 0
		.amdhsa_exception_fp_ieee_underflow 0
		.amdhsa_exception_fp_ieee_inexact 0
		.amdhsa_exception_int_div_zero 0
	.end_amdhsa_kernel
	.section	.text._ZL32rocblas_gemvt_warp_reduce_kernelILb1ELi1024EifPKffEviiT3_lPKT2_lT1_lS5_lS6_lS2_lPT4_lS6_li,"axG",@progbits,_ZL32rocblas_gemvt_warp_reduce_kernelILb1ELi1024EifPKffEviiT3_lPKT2_lT1_lS5_lS6_lS2_lPT4_lS6_li,comdat
.Lfunc_end46:
	.size	_ZL32rocblas_gemvt_warp_reduce_kernelILb1ELi1024EifPKffEviiT3_lPKT2_lT1_lS5_lS6_lS2_lPT4_lS6_li, .Lfunc_end46-_ZL32rocblas_gemvt_warp_reduce_kernelILb1ELi1024EifPKffEviiT3_lPKT2_lT1_lS5_lS6_lS2_lPT4_lS6_li
                                        ; -- End function
	.section	.AMDGPU.csdata,"",@progbits
; Kernel info:
; codeLenInByte = 1476
; NumSgprs: 27
; NumVgprs: 11
; ScratchSize: 0
; MemoryBound: 0
; FloatMode: 240
; IeeeMode: 1
; LDSByteSize: 128 bytes/workgroup (compile time only)
; SGPRBlocks: 3
; VGPRBlocks: 1
; NumSGPRsForWavesPerEU: 27
; NumVGPRsForWavesPerEU: 11
; Occupancy: 16
; WaveLimiterHint : 1
; COMPUTE_PGM_RSRC2:SCRATCH_EN: 0
; COMPUTE_PGM_RSRC2:USER_SGPR: 14
; COMPUTE_PGM_RSRC2:TRAP_HANDLER: 0
; COMPUTE_PGM_RSRC2:TGID_X_EN: 1
; COMPUTE_PGM_RSRC2:TGID_Y_EN: 0
; COMPUTE_PGM_RSRC2:TGID_Z_EN: 1
; COMPUTE_PGM_RSRC2:TIDIG_COMP_CNT: 0
	.section	.text._ZL32rocblas_gemvt_warp_reduce_kernelILb1ELi1024ElfPKffEviiT3_lPKT2_lT1_lS5_lS6_lS2_lPT4_lS6_li,"axG",@progbits,_ZL32rocblas_gemvt_warp_reduce_kernelILb1ELi1024ElfPKffEviiT3_lPKT2_lT1_lS5_lS6_lS2_lPT4_lS6_li,comdat
	.globl	_ZL32rocblas_gemvt_warp_reduce_kernelILb1ELi1024ElfPKffEviiT3_lPKT2_lT1_lS5_lS6_lS2_lPT4_lS6_li ; -- Begin function _ZL32rocblas_gemvt_warp_reduce_kernelILb1ELi1024ElfPKffEviiT3_lPKT2_lT1_lS5_lS6_lS2_lPT4_lS6_li
	.p2align	8
	.type	_ZL32rocblas_gemvt_warp_reduce_kernelILb1ELi1024ElfPKffEviiT3_lPKT2_lT1_lS5_lS6_lS2_lPT4_lS6_li,@function
_ZL32rocblas_gemvt_warp_reduce_kernelILb1ELi1024ElfPKffEviiT3_lPKT2_lT1_lS5_lS6_lS2_lPT4_lS6_li: ; @_ZL32rocblas_gemvt_warp_reduce_kernelILb1ELi1024ElfPKffEviiT3_lPKT2_lT1_lS5_lS6_lS2_lPT4_lS6_li
; %bb.0:
	s_clause 0x1
	s_load_b512 s[36:51], s[0:1], 0x8
	s_load_b512 s[16:31], s[0:1], 0x48
	s_mov_b32 s11, 0
	s_waitcnt lgkmcnt(0)
	s_mul_i32 s3, s15, s39
	s_mul_hi_u32 s4, s15, s38
	s_mul_i32 s2, s15, s38
	s_add_i32 s3, s4, s3
	s_mul_i32 s4, s15, s23
	s_lshl_b64 s[2:3], s[2:3], 2
	s_mul_hi_u32 s5, s15, s22
	s_add_u32 s2, s36, s2
	s_addc_u32 s3, s37, s3
	s_add_i32 s5, s5, s4
	s_mul_i32 s4, s15, s22
	s_delay_alu instid0(SALU_CYCLE_1) | instskip(NEXT) | instid1(SALU_CYCLE_1)
	s_lshl_b64 s[4:5], s[4:5], 2
	s_add_u32 s4, s20, s4
	s_addc_u32 s5, s21, s5
	s_load_b32 s12, s[2:3], 0x0
	s_load_b32 s10, s[4:5], 0x0
	s_waitcnt lgkmcnt(0)
	v_cmp_eq_f32_e64 s2, s12, 0
	v_cmp_eq_f32_e64 s3, s10, 1.0
	s_delay_alu instid0(VALU_DEP_1) | instskip(NEXT) | instid1(SALU_CYCLE_1)
	s_and_b32 s2, s2, s3
	s_and_b32 vcc_lo, exec_lo, s2
	s_cbranch_vccnz .LBB47_29
; %bb.1:
	s_mul_i32 s3, s15, s31
	s_mul_hi_u32 s4, s15, s30
	s_mul_i32 s2, s15, s30
	s_add_i32 s3, s4, s3
	v_cmp_neq_f32_e64 s4, s12, 0
	s_lshl_b64 s[2:3], s[2:3], 2
	s_delay_alu instid0(SALU_CYCLE_1) | instskip(SKIP_2) | instid1(SALU_CYCLE_1)
	s_add_u32 s5, s24, s2
	s_addc_u32 s6, s25, s3
	s_lshl_b64 s[2:3], s[26:27], 2
	s_add_u32 s8, s5, s2
	v_cmp_eq_u32_e64 s2, 0, v0
	s_addc_u32 s9, s6, s3
	s_and_b32 vcc_lo, exec_lo, s4
	s_cbranch_vccnz .LBB47_6
; %bb.2:
	s_mov_b32 s3, 0
                                        ; implicit-def: $vgpr1
                                        ; implicit-def: $sgpr4_sgpr5
	s_and_saveexec_b32 s6, s2
	s_cbranch_execz .LBB47_7
; %bb.3:
	v_cmp_eq_f32_e64 s2, s10, 0
	s_mul_i32 s4, s14, s29
	s_mul_hi_u32 s5, s14, s28
	s_ashr_i32 s7, s14, 31
	v_mov_b32_e32 v1, 0
	s_add_i32 s4, s5, s4
	s_mul_i32 s7, s7, s28
	s_and_b32 vcc_lo, exec_lo, s2
	s_add_i32 s5, s4, s7
	s_mul_i32 s4, s14, s28
	s_cbranch_vccnz .LBB47_5
; %bb.4:
	s_lshl_b64 s[20:21], s[4:5], 2
	s_delay_alu instid0(SALU_CYCLE_1)
	s_add_u32 s20, s8, s20
	s_addc_u32 s21, s9, s21
	s_load_b32 s2, s[20:21], 0x0
	s_waitcnt lgkmcnt(0)
	v_mul_f32_e64 v1, s10, s2
.LBB47_5:
	s_mov_b32 s11, exec_lo
	s_or_b32 exec_lo, exec_lo, s6
	s_delay_alu instid0(SALU_CYCLE_1)
	s_and_b32 vcc_lo, exec_lo, s3
	s_cbranch_vccnz .LBB47_8
	s_branch .LBB47_27
.LBB47_6:
                                        ; implicit-def: $vgpr1
                                        ; implicit-def: $sgpr4_sgpr5
	s_cbranch_execnz .LBB47_8
	s_branch .LBB47_27
.LBB47_7:
	s_or_b32 exec_lo, exec_lo, s6
	s_delay_alu instid0(SALU_CYCLE_1)
	s_and_b32 vcc_lo, exec_lo, s3
	s_cbranch_vccz .LBB47_27
.LBB47_8:
	s_load_b32 s5, s[0:1], 0x0
	s_mul_i32 s3, s15, s47
	s_mul_hi_u32 s4, s15, s46
	s_mul_i32 s0, s15, s46
	s_add_i32 s1, s4, s3
	s_mul_i32 s2, s15, s19
	s_mul_hi_u32 s3, s15, s18
	s_lshl_b64 s[0:1], s[0:1], 2
	s_add_i32 s3, s3, s2
	s_add_u32 s2, s40, s0
	s_addc_u32 s4, s41, s1
	s_lshl_b64 s[0:1], s[42:43], 2
	s_mul_hi_u32 s6, s14, s44
	s_add_u32 s0, s2, s0
	s_addc_u32 s2, s4, s1
	s_mul_i32 s4, s14, s45
	s_ashr_i32 s1, s14, 31
	s_add_i32 s4, s6, s4
	s_mul_i32 s6, s1, s44
	v_mov_b32_e32 v7, 0
	s_waitcnt lgkmcnt(0)
	v_cmp_gt_i32_e32 vcc_lo, s5, v0
	s_add_i32 s7, s4, s6
	s_mul_i32 s6, s14, s44
	s_mov_b32 s13, exec_lo
	s_lshl_b64 s[6:7], s[6:7], 2
	v_cndmask_b32_e32 v1, 0, v0, vcc_lo
	s_add_u32 s0, s6, s0
	s_addc_u32 s2, s7, s2
	s_ashr_i32 s4, s5, 31
	s_delay_alu instid0(SALU_CYCLE_1) | instskip(SKIP_2) | instid1(SALU_CYCLE_1)
	s_lshr_b32 s4, s4, 22
	v_lshlrev_b32_e32 v1, 2, v1
	s_add_i32 s4, s5, s4
	s_and_b32 s4, s4, 0xfffffc00
	s_delay_alu instid0(VALU_DEP_1) | instskip(NEXT) | instid1(VALU_DEP_1)
	v_add_co_u32 v1, s0, s0, v1
	v_add_co_ci_u32_e64 v2, null, s2, 0, s0
	s_mul_i32 s2, s15, s18
	s_mov_b32 s15, 0
	v_cmpx_gt_i32_e64 s4, v0
	s_cbranch_execz .LBB47_12
; %bb.9:
	v_mad_u64_u32 v[5:6], null, s16, v0, 0
	s_lshl_b64 s[18:19], s[50:51], 2
	s_lshl_b64 s[6:7], s[2:3], 2
	s_add_u32 s0, s48, s18
	s_addc_u32 s18, s49, s19
	s_add_u32 s0, s0, s6
	s_addc_u32 s6, s18, s7
	s_delay_alu instid0(VALU_DEP_1) | instskip(NEXT) | instid1(VALU_DEP_1)
	v_dual_mov_b32 v3, v6 :: v_dual_mov_b32 v8, v0
	v_mad_u64_u32 v[6:7], null, s17, v0, v[3:4]
	v_dual_mov_b32 v7, 0 :: v_dual_mov_b32 v4, v2
	v_mov_b32_e32 v3, v1
	s_delay_alu instid0(VALU_DEP_3) | instskip(NEXT) | instid1(VALU_DEP_1)
	v_lshlrev_b64 v[5:6], 2, v[5:6]
	v_add_co_u32 v5, vcc_lo, s0, v5
	s_delay_alu instid0(VALU_DEP_2)
	v_add_co_ci_u32_e32 v6, vcc_lo, s6, v6, vcc_lo
	s_lshl_b64 s[6:7], s[16:17], 12
	.p2align	6
.LBB47_10:                              ; =>This Inner Loop Header: Depth=1
	global_load_b32 v9, v[3:4], off
	global_load_b32 v10, v[5:6], off
	v_add_nc_u32_e32 v8, 0x400, v8
	v_add_co_u32 v3, vcc_lo, 0x1000, v3
	v_add_co_ci_u32_e32 v4, vcc_lo, 0, v4, vcc_lo
	v_add_co_u32 v5, vcc_lo, v5, s6
	v_add_co_ci_u32_e32 v6, vcc_lo, s7, v6, vcc_lo
	s_waitcnt vmcnt(0)
	v_fmac_f32_e32 v7, v9, v10
	v_cmp_le_i32_e64 s0, s4, v8
	s_delay_alu instid0(VALU_DEP_1) | instskip(NEXT) | instid1(SALU_CYCLE_1)
	s_or_b32 s15, s0, s15
	s_and_not1_b32 exec_lo, exec_lo, s15
	s_cbranch_execnz .LBB47_10
; %bb.11:
	s_or_b32 exec_lo, exec_lo, s15
.LBB47_12:
	s_delay_alu instid0(SALU_CYCLE_1) | instskip(SKIP_2) | instid1(VALU_DEP_1)
	s_or_b32 exec_lo, exec_lo, s13
	v_or_b32_e32 v3, s4, v0
	s_mov_b32 s0, exec_lo
	v_cmpx_gt_i32_e64 s5, v3
	s_cbranch_execz .LBB47_14
; %bb.13:
	v_ashrrev_i32_e32 v6, 31, v3
	v_mul_lo_u32 v8, v3, s17
	v_mad_u64_u32 v[4:5], null, v3, s16, 0
	s_lshl_b64 s[2:3], s[2:3], 2
	s_delay_alu instid0(VALU_DEP_3) | instskip(SKIP_3) | instid1(SALU_CYCLE_1)
	v_mul_lo_u32 v3, v6, s16
	s_add_u32 s5, s48, s2
	s_addc_u32 s6, s49, s3
	s_lshl_b64 s[2:3], s[50:51], 2
	s_add_u32 s7, s5, s2
	s_addc_u32 s6, s6, s3
	s_ashr_i32 s5, s4, 31
	s_delay_alu instid0(VALU_DEP_1) | instskip(SKIP_1) | instid1(SALU_CYCLE_1)
	v_add3_u32 v5, v5, v8, v3
	s_lshl_b64 s[2:3], s[4:5], 2
	v_add_co_u32 v1, vcc_lo, v1, s2
	s_delay_alu instid0(VALU_DEP_2) | instskip(SKIP_1) | instid1(VALU_DEP_2)
	v_lshlrev_b64 v[3:4], 2, v[4:5]
	v_add_co_ci_u32_e32 v2, vcc_lo, s3, v2, vcc_lo
	v_add_co_u32 v3, vcc_lo, s7, v3
	s_delay_alu instid0(VALU_DEP_3)
	v_add_co_ci_u32_e32 v4, vcc_lo, s6, v4, vcc_lo
	global_load_b32 v1, v[1:2], off
	global_load_b32 v2, v[3:4], off
	s_waitcnt vmcnt(0)
	v_fmac_f32_e32 v7, v1, v2
.LBB47_14:
	s_or_b32 exec_lo, exec_lo, s0
	v_and_b32_e32 v6, 31, v0
	v_cmp_gt_u32_e32 vcc_lo, 32, v0
	s_delay_alu instid0(VALU_DEP_2)
	v_lshlrev_b32_e32 v1, 2, v6
	s_and_saveexec_b32 s0, vcc_lo
	s_cbranch_execz .LBB47_16
; %bb.15:
	v_mov_b32_e32 v2, 0
	ds_store_b32 v1, v2
.LBB47_16:
	s_or_b32 exec_lo, exec_lo, s0
	v_mbcnt_lo_u32_b32 v8, -1, 0
	s_mov_b32 s2, exec_lo
	s_waitcnt lgkmcnt(0)
	s_barrier
	buffer_gl0_inv
	v_cmp_gt_u32_e64 s0, 16, v8
	s_delay_alu instid0(VALU_DEP_1) | instskip(SKIP_1) | instid1(VALU_DEP_2)
	v_cndmask_b32_e64 v2, 0, 1, s0
	v_cmp_gt_u32_e64 s0, 24, v8
	v_lshlrev_b32_e32 v2, 4, v2
	s_delay_alu instid0(VALU_DEP_2) | instskip(SKIP_1) | instid1(VALU_DEP_3)
	v_cndmask_b32_e64 v3, 0, 1, s0
	v_cmp_gt_u32_e64 s0, 28, v8
	v_add_lshl_u32 v2, v2, v8, 2
	s_delay_alu instid0(VALU_DEP_3)
	v_lshlrev_b32_e32 v3, 3, v3
	ds_bpermute_b32 v4, v2, v7
	v_add_lshl_u32 v3, v3, v8, 2
	s_waitcnt lgkmcnt(0)
	v_add_f32_e32 v5, v7, v4
	v_cndmask_b32_e64 v4, 0, 1, s0
	v_cmp_gt_u32_e64 s0, 30, v8
	ds_bpermute_b32 v7, v3, v5
	s_waitcnt lgkmcnt(0)
	v_dual_add_f32 v7, v5, v7 :: v_dual_lshlrev_b32 v4, 2, v4
	s_delay_alu instid0(VALU_DEP_1)
	v_add_lshl_u32 v4, v4, v8, 2
	v_cndmask_b32_e64 v5, 0, 1, s0
	v_cmp_ne_u32_e64 s0, 31, v8
	ds_bpermute_b32 v9, v4, v7
	v_lshlrev_b32_e32 v5, 1, v5
	v_add_co_ci_u32_e64 v10, s0, 0, v8, s0
	s_delay_alu instid0(VALU_DEP_2)
	v_add_lshl_u32 v5, v5, v8, 2
	s_waitcnt lgkmcnt(0)
	v_add_f32_e32 v7, v7, v9
	ds_bpermute_b32 v9, v5, v7
	s_waitcnt lgkmcnt(0)
	v_dual_add_f32 v8, v7, v9 :: v_dual_lshlrev_b32 v7, 2, v10
	ds_bpermute_b32 v9, v7, v8
	v_cmpx_eq_u32_e32 0, v6
	s_cbranch_execz .LBB47_18
; %bb.17:
	v_lshrrev_b32_e32 v6, 3, v0
	s_waitcnt lgkmcnt(0)
	v_add_f32_e32 v8, v8, v9
	s_delay_alu instid0(VALU_DEP_2)
	v_and_b32_e32 v6, 0x7c, v6
	ds_store_b32 v6, v8
.LBB47_18:
	s_or_b32 exec_lo, exec_lo, s2
	v_mov_b32_e32 v6, 0
	s_waitcnt lgkmcnt(0)
	s_barrier
	buffer_gl0_inv
	s_and_saveexec_b32 s0, vcc_lo
	s_cbranch_execz .LBB47_20
; %bb.19:
	ds_load_b32 v6, v1
.LBB47_20:
	s_or_b32 exec_lo, exec_lo, s0
	s_and_saveexec_b32 s0, vcc_lo
	s_cbranch_execz .LBB47_22
; %bb.21:
	s_waitcnt lgkmcnt(0)
	ds_bpermute_b32 v1, v2, v6
	s_waitcnt lgkmcnt(0)
	v_add_f32_e32 v1, v6, v1
	ds_bpermute_b32 v2, v3, v1
	s_waitcnt lgkmcnt(0)
	v_add_f32_e32 v1, v1, v2
	;; [unrolled: 3-line block ×5, first 2 shown]
.LBB47_22:
	s_or_b32 exec_lo, exec_lo, s0
	s_delay_alu instid0(SALU_CYCLE_1)
	s_mov_b32 s0, exec_lo
                                        ; implicit-def: $vgpr1
                                        ; implicit-def: $sgpr4_sgpr5
	v_cmpx_eq_u32_e32 0, v0
	s_cbranch_execz .LBB47_26
; %bb.23:
	v_cmp_eq_f32_e64 s4, s10, 0
	s_mul_i32 s2, s14, s29
	s_mul_hi_u32 s3, s14, s28
	s_waitcnt lgkmcnt(0)
	v_mul_f32_e32 v1, s12, v6
	s_add_i32 s2, s3, s2
	s_mul_i32 s1, s1, s28
	s_and_b32 vcc_lo, exec_lo, s4
	s_add_i32 s5, s2, s1
	s_mul_i32 s4, s14, s28
	s_cbranch_vccnz .LBB47_25
; %bb.24:
	s_lshl_b64 s[2:3], s[4:5], 2
	s_delay_alu instid0(SALU_CYCLE_1)
	s_add_u32 s2, s8, s2
	s_addc_u32 s3, s9, s3
	s_load_b32 s1, s[2:3], 0x0
	s_waitcnt lgkmcnt(0)
	v_fmac_f32_e64 v1, s10, s1
.LBB47_25:
	s_or_b32 s11, s11, exec_lo
.LBB47_26:
	s_or_b32 exec_lo, exec_lo, s0
.LBB47_27:
	s_and_saveexec_b32 s0, s11
	s_cbranch_execz .LBB47_29
; %bb.28:
	s_lshl_b64 s[0:1], s[4:5], 2
	v_mov_b32_e32 v0, 0
	s_add_u32 s0, s8, s0
	s_addc_u32 s1, s9, s1
	global_store_b32 v0, v1, s[0:1]
.LBB47_29:
	s_nop 0
	s_sendmsg sendmsg(MSG_DEALLOC_VGPRS)
	s_endpgm
	.section	.rodata,"a",@progbits
	.p2align	6, 0x0
	.amdhsa_kernel _ZL32rocblas_gemvt_warp_reduce_kernelILb1ELi1024ElfPKffEviiT3_lPKT2_lT1_lS5_lS6_lS2_lPT4_lS6_li
		.amdhsa_group_segment_fixed_size 128
		.amdhsa_private_segment_fixed_size 0
		.amdhsa_kernarg_size 140
		.amdhsa_user_sgpr_count 14
		.amdhsa_user_sgpr_dispatch_ptr 0
		.amdhsa_user_sgpr_queue_ptr 0
		.amdhsa_user_sgpr_kernarg_segment_ptr 1
		.amdhsa_user_sgpr_dispatch_id 0
		.amdhsa_user_sgpr_private_segment_size 0
		.amdhsa_wavefront_size32 1
		.amdhsa_uses_dynamic_stack 0
		.amdhsa_enable_private_segment 0
		.amdhsa_system_sgpr_workgroup_id_x 1
		.amdhsa_system_sgpr_workgroup_id_y 0
		.amdhsa_system_sgpr_workgroup_id_z 1
		.amdhsa_system_sgpr_workgroup_info 0
		.amdhsa_system_vgpr_workitem_id 0
		.amdhsa_next_free_vgpr 11
		.amdhsa_next_free_sgpr 52
		.amdhsa_reserve_vcc 1
		.amdhsa_float_round_mode_32 0
		.amdhsa_float_round_mode_16_64 0
		.amdhsa_float_denorm_mode_32 3
		.amdhsa_float_denorm_mode_16_64 3
		.amdhsa_dx10_clamp 1
		.amdhsa_ieee_mode 1
		.amdhsa_fp16_overflow 0
		.amdhsa_workgroup_processor_mode 1
		.amdhsa_memory_ordered 1
		.amdhsa_forward_progress 0
		.amdhsa_shared_vgpr_count 0
		.amdhsa_exception_fp_ieee_invalid_op 0
		.amdhsa_exception_fp_denorm_src 0
		.amdhsa_exception_fp_ieee_div_zero 0
		.amdhsa_exception_fp_ieee_overflow 0
		.amdhsa_exception_fp_ieee_underflow 0
		.amdhsa_exception_fp_ieee_inexact 0
		.amdhsa_exception_int_div_zero 0
	.end_amdhsa_kernel
	.section	.text._ZL32rocblas_gemvt_warp_reduce_kernelILb1ELi1024ElfPKffEviiT3_lPKT2_lT1_lS5_lS6_lS2_lPT4_lS6_li,"axG",@progbits,_ZL32rocblas_gemvt_warp_reduce_kernelILb1ELi1024ElfPKffEviiT3_lPKT2_lT1_lS5_lS6_lS2_lPT4_lS6_li,comdat
.Lfunc_end47:
	.size	_ZL32rocblas_gemvt_warp_reduce_kernelILb1ELi1024ElfPKffEviiT3_lPKT2_lT1_lS5_lS6_lS2_lPT4_lS6_li, .Lfunc_end47-_ZL32rocblas_gemvt_warp_reduce_kernelILb1ELi1024ElfPKffEviiT3_lPKT2_lT1_lS5_lS6_lS2_lPT4_lS6_li
                                        ; -- End function
	.section	.AMDGPU.csdata,"",@progbits
; Kernel info:
; codeLenInByte = 1520
; NumSgprs: 54
; NumVgprs: 11
; ScratchSize: 0
; MemoryBound: 0
; FloatMode: 240
; IeeeMode: 1
; LDSByteSize: 128 bytes/workgroup (compile time only)
; SGPRBlocks: 6
; VGPRBlocks: 1
; NumSGPRsForWavesPerEU: 54
; NumVGPRsForWavesPerEU: 11
; Occupancy: 16
; WaveLimiterHint : 0
; COMPUTE_PGM_RSRC2:SCRATCH_EN: 0
; COMPUTE_PGM_RSRC2:USER_SGPR: 14
; COMPUTE_PGM_RSRC2:TRAP_HANDLER: 0
; COMPUTE_PGM_RSRC2:TGID_X_EN: 1
; COMPUTE_PGM_RSRC2:TGID_Y_EN: 0
; COMPUTE_PGM_RSRC2:TGID_Z_EN: 1
; COMPUTE_PGM_RSRC2:TIDIG_COMP_CNT: 0
	.section	.text._ZL32rocblas_gemvt_warp_reduce_kernelILb1ELi1024EifffEviiT3_lPKT2_lT1_lS3_lS4_lS0_lPT4_lS4_li,"axG",@progbits,_ZL32rocblas_gemvt_warp_reduce_kernelILb1ELi1024EifffEviiT3_lPKT2_lT1_lS3_lS4_lS0_lPT4_lS4_li,comdat
	.globl	_ZL32rocblas_gemvt_warp_reduce_kernelILb1ELi1024EifffEviiT3_lPKT2_lT1_lS3_lS4_lS0_lPT4_lS4_li ; -- Begin function _ZL32rocblas_gemvt_warp_reduce_kernelILb1ELi1024EifffEviiT3_lPKT2_lT1_lS3_lS4_lS0_lPT4_lS4_li
	.p2align	8
	.type	_ZL32rocblas_gemvt_warp_reduce_kernelILb1ELi1024EifffEviiT3_lPKT2_lT1_lS3_lS4_lS0_lPT4_lS4_li,@function
_ZL32rocblas_gemvt_warp_reduce_kernelILb1ELi1024EifffEviiT3_lPKT2_lT1_lS3_lS4_lS0_lPT4_lS4_li: ; @_ZL32rocblas_gemvt_warp_reduce_kernelILb1ELi1024EifffEviiT3_lPKT2_lT1_lS3_lS4_lS0_lPT4_lS4_li
; %bb.0:
	s_clause 0x1
	s_load_b32 s10, s[0:1], 0x8
	s_load_b32 s8, s[0:1], 0x58
	s_mov_b32 s9, 0
	s_waitcnt lgkmcnt(0)
	v_cmp_eq_f32_e64 s2, s10, 0
	v_cmp_eq_f32_e64 s3, s8, 1.0
	s_delay_alu instid0(VALU_DEP_1) | instskip(NEXT) | instid1(SALU_CYCLE_1)
	s_and_b32 s2, s2, s3
	s_and_b32 vcc_lo, exec_lo, s2
	s_cbranch_vccnz .LBB48_29
; %bb.1:
	s_clause 0x2
	s_load_b64 s[2:3], s[0:1], 0x80
	s_load_b128 s[4:7], s[0:1], 0x68
	s_load_b32 s11, s[0:1], 0x78
	s_waitcnt lgkmcnt(0)
	s_mul_i32 s3, s15, s3
	s_mul_hi_u32 s12, s15, s2
	s_mul_i32 s2, s15, s2
	s_add_i32 s3, s12, s3
	v_cmp_neq_f32_e64 s12, s10, 0
	s_lshl_b64 s[2:3], s[2:3], 2
	s_delay_alu instid0(SALU_CYCLE_1) | instskip(SKIP_2) | instid1(SALU_CYCLE_1)
	s_add_u32 s4, s4, s2
	s_addc_u32 s5, s5, s3
	s_lshl_b64 s[2:3], s[6:7], 2
	s_add_u32 s6, s4, s2
	v_cmp_eq_u32_e64 s2, 0, v0
	s_addc_u32 s7, s5, s3
	s_and_b32 vcc_lo, exec_lo, s12
	s_cbranch_vccnz .LBB48_6
; %bb.2:
	s_mov_b32 s3, 0
                                        ; implicit-def: $vgpr1
                                        ; implicit-def: $sgpr4_sgpr5
	s_and_saveexec_b32 s12, s2
	s_cbranch_execz .LBB48_7
; %bb.3:
	v_cmp_eq_f32_e64 s2, s8, 0
	v_mov_b32_e32 v1, 0
	s_mul_i32 s4, s14, s11
	s_delay_alu instid0(SALU_CYCLE_1) | instskip(NEXT) | instid1(VALU_DEP_2)
	s_ashr_i32 s5, s4, 31
	s_and_b32 vcc_lo, exec_lo, s2
	s_cbranch_vccnz .LBB48_5
; %bb.4:
	s_lshl_b64 s[16:17], s[4:5], 2
	s_delay_alu instid0(SALU_CYCLE_1)
	s_add_u32 s16, s6, s16
	s_addc_u32 s17, s7, s17
	s_load_b32 s2, s[16:17], 0x0
	s_waitcnt lgkmcnt(0)
	v_mul_f32_e64 v1, s2, s8
.LBB48_5:
	s_mov_b32 s9, exec_lo
	s_or_b32 exec_lo, exec_lo, s12
	s_delay_alu instid0(SALU_CYCLE_1)
	s_and_b32 vcc_lo, exec_lo, s3
	s_cbranch_vccnz .LBB48_8
	s_branch .LBB48_27
.LBB48_6:
                                        ; implicit-def: $vgpr1
                                        ; implicit-def: $sgpr4_sgpr5
	s_cbranch_execnz .LBB48_8
	s_branch .LBB48_27
.LBB48_7:
	s_or_b32 exec_lo, exec_lo, s12
	s_delay_alu instid0(SALU_CYCLE_1)
	s_and_b32 vcc_lo, exec_lo, s3
	s_cbranch_vccz .LBB48_27
.LBB48_8:
	s_clause 0x6
	s_load_b64 s[4:5], s[0:1], 0x50
	s_load_b128 s[16:19], s[0:1], 0x30
	s_load_b64 s[12:13], s[0:1], 0x40
	s_load_b32 s3, s[0:1], 0x0
	s_load_b128 s[20:23], s[0:1], 0x18
	s_load_b32 s2, s[0:1], 0x28
	s_load_b32 s1, s[0:1], 0x48
	v_mov_b32_e32 v7, 0
	s_waitcnt lgkmcnt(0)
	s_mul_i32 s0, s15, s5
	s_mul_hi_u32 s5, s15, s4
	s_mul_i32 s4, s15, s4
	s_add_i32 s5, s5, s0
	s_mul_i32 s0, s15, s17
	s_lshl_b64 s[4:5], s[4:5], 2
	s_mul_hi_u32 s17, s15, s16
	s_add_u32 s18, s18, s4
	s_addc_u32 s19, s19, s5
	s_lshl_b64 s[4:5], s[12:13], 2
	v_cmp_gt_i32_e32 vcc_lo, s3, v0
	s_add_u32 s4, s18, s4
	s_mul_i32 s12, s15, s16
	s_addc_u32 s5, s19, s5
	s_add_i32 s13, s17, s0
	v_cndmask_b32_e32 v1, 0, v0, vcc_lo
	s_lshl_b64 s[12:13], s[12:13], 2
	s_mul_i32 s16, s14, s2
	s_add_u32 s0, s20, s12
	s_addc_u32 s15, s21, s13
	s_lshl_b64 s[12:13], s[22:23], 2
	v_lshlrev_b32_e32 v1, 2, v1
	s_add_u32 s0, s0, s12
	s_addc_u32 s2, s15, s13
	s_ashr_i32 s17, s16, 31
	s_delay_alu instid0(SALU_CYCLE_1) | instskip(NEXT) | instid1(SALU_CYCLE_1)
	s_lshl_b64 s[12:13], s[16:17], 2
	s_add_u32 s0, s12, s0
	s_addc_u32 s12, s13, s2
	s_ashr_i32 s2, s3, 31
	v_add_co_u32 v1, s0, s0, v1
	s_lshr_b32 s2, s2, 22
	v_add_co_ci_u32_e64 v2, null, s12, 0, s0
	s_add_i32 s2, s3, s2
	s_mov_b32 s13, 0
	s_and_b32 s2, s2, 0xfffffc00
	s_mov_b32 s12, exec_lo
	v_cmpx_gt_i32_e64 s2, v0
	s_cbranch_execz .LBB48_12
; %bb.9:
	v_mul_lo_u32 v3, v0, s1
	v_dual_mov_b32 v7, 0 :: v_dual_mov_b32 v6, v2
	v_dual_mov_b32 v5, v1 :: v_dual_mov_b32 v8, v0
	s_lshl_b32 s15, s1, 10
	.p2align	6
.LBB48_10:                              ; =>This Inner Loop Header: Depth=1
	s_delay_alu instid0(VALU_DEP_3) | instskip(NEXT) | instid1(VALU_DEP_1)
	v_ashrrev_i32_e32 v4, 31, v3
	v_lshlrev_b64 v[9:10], 2, v[3:4]
	v_add_nc_u32_e32 v3, s15, v3
	s_delay_alu instid0(VALU_DEP_2) | instskip(NEXT) | instid1(VALU_DEP_3)
	v_add_co_u32 v9, vcc_lo, s4, v9
	v_add_co_ci_u32_e32 v10, vcc_lo, s5, v10, vcc_lo
	global_load_b32 v4, v[5:6], off
	global_load_b32 v9, v[9:10], off
	v_add_nc_u32_e32 v8, 0x400, v8
	v_add_co_u32 v5, vcc_lo, 0x1000, v5
	v_add_co_ci_u32_e32 v6, vcc_lo, 0, v6, vcc_lo
	s_waitcnt vmcnt(0)
	v_fmac_f32_e32 v7, v4, v9
	v_cmp_le_i32_e64 s0, s2, v8
	s_delay_alu instid0(VALU_DEP_1) | instskip(NEXT) | instid1(SALU_CYCLE_1)
	s_or_b32 s13, s0, s13
	s_and_not1_b32 exec_lo, exec_lo, s13
	s_cbranch_execnz .LBB48_10
; %bb.11:
	s_or_b32 exec_lo, exec_lo, s13
.LBB48_12:
	s_delay_alu instid0(SALU_CYCLE_1) | instskip(SKIP_2) | instid1(VALU_DEP_1)
	s_or_b32 exec_lo, exec_lo, s12
	v_or_b32_e32 v3, s2, v0
	s_mov_b32 s0, exec_lo
	v_cmpx_gt_i32_e64 s3, v3
	s_cbranch_execz .LBB48_14
; %bb.13:
	v_mul_lo_u32 v3, v3, s1
	s_ashr_i32 s3, s2, 31
	s_delay_alu instid0(SALU_CYCLE_1) | instskip(NEXT) | instid1(SALU_CYCLE_1)
	s_lshl_b64 s[2:3], s[2:3], 2
	v_add_co_u32 v1, vcc_lo, v1, s2
	v_add_co_ci_u32_e32 v2, vcc_lo, s3, v2, vcc_lo
	s_delay_alu instid0(VALU_DEP_3) | instskip(NEXT) | instid1(VALU_DEP_1)
	v_ashrrev_i32_e32 v4, 31, v3
	v_lshlrev_b64 v[3:4], 2, v[3:4]
	s_delay_alu instid0(VALU_DEP_1) | instskip(NEXT) | instid1(VALU_DEP_2)
	v_add_co_u32 v3, vcc_lo, s4, v3
	v_add_co_ci_u32_e32 v4, vcc_lo, s5, v4, vcc_lo
	global_load_b32 v1, v[1:2], off
	global_load_b32 v2, v[3:4], off
	s_waitcnt vmcnt(0)
	v_fmac_f32_e32 v7, v1, v2
.LBB48_14:
	s_or_b32 exec_lo, exec_lo, s0
	v_and_b32_e32 v6, 31, v0
	v_cmp_gt_u32_e32 vcc_lo, 32, v0
	s_delay_alu instid0(VALU_DEP_2)
	v_lshlrev_b32_e32 v1, 2, v6
	s_and_saveexec_b32 s0, vcc_lo
	s_cbranch_execz .LBB48_16
; %bb.15:
	v_mov_b32_e32 v2, 0
	ds_store_b32 v1, v2
.LBB48_16:
	s_or_b32 exec_lo, exec_lo, s0
	v_mbcnt_lo_u32_b32 v8, -1, 0
	s_mov_b32 s1, exec_lo
	s_waitcnt lgkmcnt(0)
	s_barrier
	buffer_gl0_inv
	v_cmp_gt_u32_e64 s0, 16, v8
	s_delay_alu instid0(VALU_DEP_1) | instskip(SKIP_1) | instid1(VALU_DEP_2)
	v_cndmask_b32_e64 v2, 0, 1, s0
	v_cmp_gt_u32_e64 s0, 24, v8
	v_lshlrev_b32_e32 v2, 4, v2
	s_delay_alu instid0(VALU_DEP_2) | instskip(SKIP_1) | instid1(VALU_DEP_3)
	v_cndmask_b32_e64 v3, 0, 1, s0
	v_cmp_gt_u32_e64 s0, 28, v8
	v_add_lshl_u32 v2, v2, v8, 2
	s_delay_alu instid0(VALU_DEP_3)
	v_lshlrev_b32_e32 v3, 3, v3
	ds_bpermute_b32 v4, v2, v7
	v_add_lshl_u32 v3, v3, v8, 2
	s_waitcnt lgkmcnt(0)
	v_add_f32_e32 v5, v7, v4
	v_cndmask_b32_e64 v4, 0, 1, s0
	v_cmp_gt_u32_e64 s0, 30, v8
	ds_bpermute_b32 v7, v3, v5
	s_waitcnt lgkmcnt(0)
	v_dual_add_f32 v7, v5, v7 :: v_dual_lshlrev_b32 v4, 2, v4
	s_delay_alu instid0(VALU_DEP_1)
	v_add_lshl_u32 v4, v4, v8, 2
	v_cndmask_b32_e64 v5, 0, 1, s0
	v_cmp_ne_u32_e64 s0, 31, v8
	ds_bpermute_b32 v9, v4, v7
	v_lshlrev_b32_e32 v5, 1, v5
	v_add_co_ci_u32_e64 v10, s0, 0, v8, s0
	s_delay_alu instid0(VALU_DEP_2)
	v_add_lshl_u32 v5, v5, v8, 2
	s_waitcnt lgkmcnt(0)
	v_add_f32_e32 v7, v7, v9
	ds_bpermute_b32 v9, v5, v7
	s_waitcnt lgkmcnt(0)
	v_dual_add_f32 v8, v7, v9 :: v_dual_lshlrev_b32 v7, 2, v10
	ds_bpermute_b32 v9, v7, v8
	v_cmpx_eq_u32_e32 0, v6
	s_cbranch_execz .LBB48_18
; %bb.17:
	v_lshrrev_b32_e32 v6, 3, v0
	s_waitcnt lgkmcnt(0)
	v_add_f32_e32 v8, v8, v9
	s_delay_alu instid0(VALU_DEP_2)
	v_and_b32_e32 v6, 0x7c, v6
	ds_store_b32 v6, v8
.LBB48_18:
	s_or_b32 exec_lo, exec_lo, s1
	v_mov_b32_e32 v6, 0
	s_waitcnt lgkmcnt(0)
	s_barrier
	buffer_gl0_inv
	s_and_saveexec_b32 s0, vcc_lo
	s_cbranch_execz .LBB48_20
; %bb.19:
	ds_load_b32 v6, v1
.LBB48_20:
	s_or_b32 exec_lo, exec_lo, s0
	s_and_saveexec_b32 s0, vcc_lo
	s_cbranch_execz .LBB48_22
; %bb.21:
	s_waitcnt lgkmcnt(0)
	ds_bpermute_b32 v1, v2, v6
	s_waitcnt lgkmcnt(0)
	v_add_f32_e32 v1, v6, v1
	ds_bpermute_b32 v2, v3, v1
	s_waitcnt lgkmcnt(0)
	v_add_f32_e32 v1, v1, v2
	;; [unrolled: 3-line block ×5, first 2 shown]
.LBB48_22:
	s_or_b32 exec_lo, exec_lo, s0
	s_delay_alu instid0(SALU_CYCLE_1)
	s_mov_b32 s0, exec_lo
                                        ; implicit-def: $vgpr1
                                        ; implicit-def: $sgpr4_sgpr5
	v_cmpx_eq_u32_e32 0, v0
	s_cbranch_execz .LBB48_26
; %bb.23:
	v_cmp_eq_f32_e64 s1, s8, 0
	s_waitcnt lgkmcnt(0)
	v_mul_f32_e32 v1, s10, v6
	s_mul_i32 s4, s14, s11
	s_delay_alu instid0(SALU_CYCLE_1)
	s_ashr_i32 s5, s4, 31
	s_and_b32 vcc_lo, exec_lo, s1
	s_cbranch_vccnz .LBB48_25
; %bb.24:
	s_lshl_b64 s[2:3], s[4:5], 2
	s_delay_alu instid0(SALU_CYCLE_1)
	s_add_u32 s2, s6, s2
	s_addc_u32 s3, s7, s3
	s_load_b32 s1, s[2:3], 0x0
	s_waitcnt lgkmcnt(0)
	v_fmac_f32_e64 v1, s1, s8
.LBB48_25:
	s_or_b32 s9, s9, exec_lo
.LBB48_26:
	s_or_b32 exec_lo, exec_lo, s0
.LBB48_27:
	s_and_saveexec_b32 s0, s9
	s_cbranch_execz .LBB48_29
; %bb.28:
	s_lshl_b64 s[0:1], s[4:5], 2
	v_mov_b32_e32 v0, 0
	s_add_u32 s0, s6, s0
	s_addc_u32 s1, s7, s1
	global_store_b32 v0, v1, s[0:1]
.LBB48_29:
	s_nop 0
	s_sendmsg sendmsg(MSG_DEALLOC_VGPRS)
	s_endpgm
	.section	.rodata,"a",@progbits
	.p2align	6, 0x0
	.amdhsa_kernel _ZL32rocblas_gemvt_warp_reduce_kernelILb1ELi1024EifffEviiT3_lPKT2_lT1_lS3_lS4_lS0_lPT4_lS4_li
		.amdhsa_group_segment_fixed_size 128
		.amdhsa_private_segment_fixed_size 0
		.amdhsa_kernarg_size 140
		.amdhsa_user_sgpr_count 14
		.amdhsa_user_sgpr_dispatch_ptr 0
		.amdhsa_user_sgpr_queue_ptr 0
		.amdhsa_user_sgpr_kernarg_segment_ptr 1
		.amdhsa_user_sgpr_dispatch_id 0
		.amdhsa_user_sgpr_private_segment_size 0
		.amdhsa_wavefront_size32 1
		.amdhsa_uses_dynamic_stack 0
		.amdhsa_enable_private_segment 0
		.amdhsa_system_sgpr_workgroup_id_x 1
		.amdhsa_system_sgpr_workgroup_id_y 0
		.amdhsa_system_sgpr_workgroup_id_z 1
		.amdhsa_system_sgpr_workgroup_info 0
		.amdhsa_system_vgpr_workitem_id 0
		.amdhsa_next_free_vgpr 11
		.amdhsa_next_free_sgpr 24
		.amdhsa_reserve_vcc 1
		.amdhsa_float_round_mode_32 0
		.amdhsa_float_round_mode_16_64 0
		.amdhsa_float_denorm_mode_32 3
		.amdhsa_float_denorm_mode_16_64 3
		.amdhsa_dx10_clamp 1
		.amdhsa_ieee_mode 1
		.amdhsa_fp16_overflow 0
		.amdhsa_workgroup_processor_mode 1
		.amdhsa_memory_ordered 1
		.amdhsa_forward_progress 0
		.amdhsa_shared_vgpr_count 0
		.amdhsa_exception_fp_ieee_invalid_op 0
		.amdhsa_exception_fp_denorm_src 0
		.amdhsa_exception_fp_ieee_div_zero 0
		.amdhsa_exception_fp_ieee_overflow 0
		.amdhsa_exception_fp_ieee_underflow 0
		.amdhsa_exception_fp_ieee_inexact 0
		.amdhsa_exception_int_div_zero 0
	.end_amdhsa_kernel
	.section	.text._ZL32rocblas_gemvt_warp_reduce_kernelILb1ELi1024EifffEviiT3_lPKT2_lT1_lS3_lS4_lS0_lPT4_lS4_li,"axG",@progbits,_ZL32rocblas_gemvt_warp_reduce_kernelILb1ELi1024EifffEviiT3_lPKT2_lT1_lS3_lS4_lS0_lPT4_lS4_li,comdat
.Lfunc_end48:
	.size	_ZL32rocblas_gemvt_warp_reduce_kernelILb1ELi1024EifffEviiT3_lPKT2_lT1_lS3_lS4_lS0_lPT4_lS4_li, .Lfunc_end48-_ZL32rocblas_gemvt_warp_reduce_kernelILb1ELi1024EifffEviiT3_lPKT2_lT1_lS3_lS4_lS0_lPT4_lS4_li
                                        ; -- End function
	.section	.AMDGPU.csdata,"",@progbits
; Kernel info:
; codeLenInByte = 1400
; NumSgprs: 26
; NumVgprs: 11
; ScratchSize: 0
; MemoryBound: 0
; FloatMode: 240
; IeeeMode: 1
; LDSByteSize: 128 bytes/workgroup (compile time only)
; SGPRBlocks: 3
; VGPRBlocks: 1
; NumSGPRsForWavesPerEU: 26
; NumVGPRsForWavesPerEU: 11
; Occupancy: 16
; WaveLimiterHint : 1
; COMPUTE_PGM_RSRC2:SCRATCH_EN: 0
; COMPUTE_PGM_RSRC2:USER_SGPR: 14
; COMPUTE_PGM_RSRC2:TRAP_HANDLER: 0
; COMPUTE_PGM_RSRC2:TGID_X_EN: 1
; COMPUTE_PGM_RSRC2:TGID_Y_EN: 0
; COMPUTE_PGM_RSRC2:TGID_Z_EN: 1
; COMPUTE_PGM_RSRC2:TIDIG_COMP_CNT: 0
	.section	.text._ZL32rocblas_gemvt_warp_reduce_kernelILb1ELi1024ElfffEviiT3_lPKT2_lT1_lS3_lS4_lS0_lPT4_lS4_li,"axG",@progbits,_ZL32rocblas_gemvt_warp_reduce_kernelILb1ELi1024ElfffEviiT3_lPKT2_lT1_lS3_lS4_lS0_lPT4_lS4_li,comdat
	.globl	_ZL32rocblas_gemvt_warp_reduce_kernelILb1ELi1024ElfffEviiT3_lPKT2_lT1_lS3_lS4_lS0_lPT4_lS4_li ; -- Begin function _ZL32rocblas_gemvt_warp_reduce_kernelILb1ELi1024ElfffEviiT3_lPKT2_lT1_lS3_lS4_lS0_lPT4_lS4_li
	.p2align	8
	.type	_ZL32rocblas_gemvt_warp_reduce_kernelILb1ELi1024ElfffEviiT3_lPKT2_lT1_lS3_lS4_lS0_lPT4_lS4_li,@function
_ZL32rocblas_gemvt_warp_reduce_kernelILb1ELi1024ElfffEviiT3_lPKT2_lT1_lS3_lS4_lS0_lPT4_lS4_li: ; @_ZL32rocblas_gemvt_warp_reduce_kernelILb1ELi1024ElfffEviiT3_lPKT2_lT1_lS3_lS4_lS0_lPT4_lS4_li
; %bb.0:
	s_clause 0x1
	s_load_b32 s33, s[0:1], 0x8
	s_load_b32 s12, s[0:1], 0x58
	s_mov_b32 s13, 0
	s_waitcnt lgkmcnt(0)
	v_cmp_eq_f32_e64 s2, s33, 0
	v_cmp_eq_f32_e64 s3, s12, 1.0
	s_delay_alu instid0(VALU_DEP_1) | instskip(NEXT) | instid1(SALU_CYCLE_1)
	s_and_b32 s2, s2, s3
	s_and_b32 vcc_lo, exec_lo, s2
	s_cbranch_vccnz .LBB49_29
; %bb.1:
	s_load_b256 s[4:11], s[0:1], 0x68
	v_cmp_neq_f32_e64 s16, s33, 0
	s_waitcnt lgkmcnt(0)
	s_mul_i32 s3, s15, s11
	s_mul_hi_u32 s11, s15, s10
	s_mul_i32 s2, s15, s10
	s_add_i32 s3, s11, s3
	s_delay_alu instid0(SALU_CYCLE_1) | instskip(NEXT) | instid1(SALU_CYCLE_1)
	s_lshl_b64 s[2:3], s[2:3], 2
	s_add_u32 s4, s4, s2
	s_addc_u32 s5, s5, s3
	s_lshl_b64 s[2:3], s[6:7], 2
	s_delay_alu instid0(SALU_CYCLE_1)
	s_add_u32 s10, s4, s2
	v_cmp_eq_u32_e64 s2, 0, v0
	s_addc_u32 s11, s5, s3
	s_and_b32 vcc_lo, exec_lo, s16
	s_cbranch_vccnz .LBB49_6
; %bb.2:
	s_mov_b32 s3, 0
                                        ; implicit-def: $vgpr1
                                        ; implicit-def: $sgpr4_sgpr5
	s_and_saveexec_b32 s6, s2
	s_cbranch_execz .LBB49_7
; %bb.3:
	v_cmp_eq_f32_e64 s2, s12, 0
	s_mul_i32 s4, s14, s9
	s_mul_hi_u32 s5, s14, s8
	s_ashr_i32 s7, s14, 31
	v_mov_b32_e32 v1, 0
	s_add_i32 s4, s5, s4
	s_mul_i32 s7, s7, s8
	s_and_b32 vcc_lo, exec_lo, s2
	s_add_i32 s5, s4, s7
	s_mul_i32 s4, s14, s8
	s_cbranch_vccnz .LBB49_5
; %bb.4:
	s_lshl_b64 s[16:17], s[4:5], 2
	s_delay_alu instid0(SALU_CYCLE_1)
	s_add_u32 s16, s10, s16
	s_addc_u32 s17, s11, s17
	s_load_b32 s2, s[16:17], 0x0
	s_waitcnt lgkmcnt(0)
	v_mul_f32_e64 v1, s2, s12
.LBB49_5:
	s_mov_b32 s13, exec_lo
	s_or_b32 exec_lo, exec_lo, s6
	s_delay_alu instid0(SALU_CYCLE_1)
	s_and_b32 vcc_lo, exec_lo, s3
	s_cbranch_vccnz .LBB49_8
	s_branch .LBB49_27
.LBB49_6:
                                        ; implicit-def: $vgpr1
                                        ; implicit-def: $sgpr4_sgpr5
	s_cbranch_execnz .LBB49_8
	s_branch .LBB49_27
.LBB49_7:
	s_or_b32 exec_lo, exec_lo, s6
	s_delay_alu instid0(SALU_CYCLE_1)
	s_and_b32 vcc_lo, exec_lo, s3
	s_cbranch_vccz .LBB49_27
.LBB49_8:
	s_clause 0x1
	s_load_b512 s[16:31], s[0:1], 0x18
	s_load_b32 s5, s[0:1], 0x0
	v_mov_b32_e32 v7, 0
	s_waitcnt lgkmcnt(0)
	s_mul_i32 s1, s15, s23
	s_mul_hi_u32 s4, s15, s22
	s_mul_i32 s0, s15, s22
	s_add_i32 s1, s4, s1
	s_mul_i32 s2, s15, s31
	s_mul_hi_u32 s3, s15, s30
	s_lshl_b64 s[0:1], s[0:1], 2
	s_add_i32 s3, s3, s2
	v_cmp_gt_i32_e32 vcc_lo, s5, v0
	s_add_u32 s2, s16, s0
	s_addc_u32 s6, s17, s1
	s_lshl_b64 s[0:1], s[18:19], 2
	s_mul_i32 s4, s14, s21
	s_add_u32 s0, s2, s0
	s_mul_hi_u32 s7, s14, s20
	s_addc_u32 s2, s6, s1
	s_ashr_i32 s1, s14, 31
	v_cndmask_b32_e32 v1, 0, v0, vcc_lo
	s_add_i32 s4, s7, s4
	s_mul_i32 s7, s1, s20
	s_mul_i32 s6, s14, s20
	s_add_i32 s7, s4, s7
	v_lshlrev_b32_e32 v1, 2, v1
	s_lshl_b64 s[6:7], s[6:7], 2
	s_mov_b32 s16, 0
	s_add_u32 s0, s6, s0
	s_addc_u32 s2, s7, s2
	s_ashr_i32 s4, s5, 31
	v_add_co_u32 v1, s0, s0, v1
	s_lshr_b32 s4, s4, 22
	v_add_co_ci_u32_e64 v2, null, s2, 0, s0
	s_add_i32 s4, s5, s4
	s_mul_i32 s2, s15, s30
	s_and_b32 s4, s4, 0xfffffc00
	s_mov_b32 s15, exec_lo
	v_cmpx_gt_i32_e64 s4, v0
	s_cbranch_execz .LBB49_12
; %bb.9:
	v_mad_u64_u32 v[5:6], null, s28, v0, 0
	s_lshl_b64 s[18:19], s[26:27], 2
	s_lshl_b64 s[6:7], s[2:3], 2
	s_add_u32 s0, s24, s18
	s_addc_u32 s17, s25, s19
	s_add_u32 s0, s0, s6
	s_addc_u32 s6, s17, s7
	s_delay_alu instid0(VALU_DEP_1) | instskip(NEXT) | instid1(VALU_DEP_1)
	v_dual_mov_b32 v3, v6 :: v_dual_mov_b32 v8, v0
	v_mad_u64_u32 v[6:7], null, s29, v0, v[3:4]
	v_dual_mov_b32 v7, 0 :: v_dual_mov_b32 v4, v2
	v_mov_b32_e32 v3, v1
	s_delay_alu instid0(VALU_DEP_3) | instskip(NEXT) | instid1(VALU_DEP_1)
	v_lshlrev_b64 v[5:6], 2, v[5:6]
	v_add_co_u32 v5, vcc_lo, s0, v5
	s_delay_alu instid0(VALU_DEP_2)
	v_add_co_ci_u32_e32 v6, vcc_lo, s6, v6, vcc_lo
	s_lshl_b64 s[6:7], s[28:29], 12
	.p2align	6
.LBB49_10:                              ; =>This Inner Loop Header: Depth=1
	global_load_b32 v9, v[3:4], off
	global_load_b32 v10, v[5:6], off
	v_add_nc_u32_e32 v8, 0x400, v8
	v_add_co_u32 v3, vcc_lo, 0x1000, v3
	v_add_co_ci_u32_e32 v4, vcc_lo, 0, v4, vcc_lo
	v_add_co_u32 v5, vcc_lo, v5, s6
	v_add_co_ci_u32_e32 v6, vcc_lo, s7, v6, vcc_lo
	s_waitcnt vmcnt(0)
	v_fmac_f32_e32 v7, v9, v10
	v_cmp_le_i32_e64 s0, s4, v8
	s_delay_alu instid0(VALU_DEP_1) | instskip(NEXT) | instid1(SALU_CYCLE_1)
	s_or_b32 s16, s0, s16
	s_and_not1_b32 exec_lo, exec_lo, s16
	s_cbranch_execnz .LBB49_10
; %bb.11:
	s_or_b32 exec_lo, exec_lo, s16
.LBB49_12:
	s_delay_alu instid0(SALU_CYCLE_1) | instskip(SKIP_2) | instid1(VALU_DEP_1)
	s_or_b32 exec_lo, exec_lo, s15
	v_or_b32_e32 v3, s4, v0
	s_mov_b32 s0, exec_lo
	v_cmpx_gt_i32_e64 s5, v3
	s_cbranch_execz .LBB49_14
; %bb.13:
	v_ashrrev_i32_e32 v6, 31, v3
	v_mul_lo_u32 v8, v3, s29
	v_mad_u64_u32 v[4:5], null, v3, s28, 0
	s_lshl_b64 s[2:3], s[2:3], 2
	s_delay_alu instid0(VALU_DEP_3) | instskip(SKIP_3) | instid1(SALU_CYCLE_1)
	v_mul_lo_u32 v3, v6, s28
	s_add_u32 s5, s24, s2
	s_addc_u32 s6, s25, s3
	s_lshl_b64 s[2:3], s[26:27], 2
	s_add_u32 s7, s5, s2
	s_addc_u32 s6, s6, s3
	s_ashr_i32 s5, s4, 31
	s_delay_alu instid0(VALU_DEP_1) | instskip(SKIP_1) | instid1(SALU_CYCLE_1)
	v_add3_u32 v5, v5, v8, v3
	s_lshl_b64 s[2:3], s[4:5], 2
	v_add_co_u32 v1, vcc_lo, v1, s2
	s_delay_alu instid0(VALU_DEP_2) | instskip(SKIP_1) | instid1(VALU_DEP_2)
	v_lshlrev_b64 v[3:4], 2, v[4:5]
	v_add_co_ci_u32_e32 v2, vcc_lo, s3, v2, vcc_lo
	v_add_co_u32 v3, vcc_lo, s7, v3
	s_delay_alu instid0(VALU_DEP_3)
	v_add_co_ci_u32_e32 v4, vcc_lo, s6, v4, vcc_lo
	global_load_b32 v1, v[1:2], off
	global_load_b32 v2, v[3:4], off
	s_waitcnt vmcnt(0)
	v_fmac_f32_e32 v7, v1, v2
.LBB49_14:
	s_or_b32 exec_lo, exec_lo, s0
	v_and_b32_e32 v6, 31, v0
	v_cmp_gt_u32_e32 vcc_lo, 32, v0
	s_delay_alu instid0(VALU_DEP_2)
	v_lshlrev_b32_e32 v1, 2, v6
	s_and_saveexec_b32 s0, vcc_lo
	s_cbranch_execz .LBB49_16
; %bb.15:
	v_mov_b32_e32 v2, 0
	ds_store_b32 v1, v2
.LBB49_16:
	s_or_b32 exec_lo, exec_lo, s0
	v_mbcnt_lo_u32_b32 v8, -1, 0
	s_mov_b32 s2, exec_lo
	s_waitcnt lgkmcnt(0)
	s_barrier
	buffer_gl0_inv
	v_cmp_gt_u32_e64 s0, 16, v8
	s_delay_alu instid0(VALU_DEP_1) | instskip(SKIP_1) | instid1(VALU_DEP_2)
	v_cndmask_b32_e64 v2, 0, 1, s0
	v_cmp_gt_u32_e64 s0, 24, v8
	v_lshlrev_b32_e32 v2, 4, v2
	s_delay_alu instid0(VALU_DEP_2) | instskip(SKIP_1) | instid1(VALU_DEP_3)
	v_cndmask_b32_e64 v3, 0, 1, s0
	v_cmp_gt_u32_e64 s0, 28, v8
	v_add_lshl_u32 v2, v2, v8, 2
	s_delay_alu instid0(VALU_DEP_3)
	v_lshlrev_b32_e32 v3, 3, v3
	ds_bpermute_b32 v4, v2, v7
	v_add_lshl_u32 v3, v3, v8, 2
	s_waitcnt lgkmcnt(0)
	v_add_f32_e32 v5, v7, v4
	v_cndmask_b32_e64 v4, 0, 1, s0
	v_cmp_gt_u32_e64 s0, 30, v8
	ds_bpermute_b32 v7, v3, v5
	s_waitcnt lgkmcnt(0)
	v_dual_add_f32 v7, v5, v7 :: v_dual_lshlrev_b32 v4, 2, v4
	s_delay_alu instid0(VALU_DEP_1)
	v_add_lshl_u32 v4, v4, v8, 2
	v_cndmask_b32_e64 v5, 0, 1, s0
	v_cmp_ne_u32_e64 s0, 31, v8
	ds_bpermute_b32 v9, v4, v7
	v_lshlrev_b32_e32 v5, 1, v5
	v_add_co_ci_u32_e64 v10, s0, 0, v8, s0
	s_delay_alu instid0(VALU_DEP_2)
	v_add_lshl_u32 v5, v5, v8, 2
	s_waitcnt lgkmcnt(0)
	v_add_f32_e32 v7, v7, v9
	ds_bpermute_b32 v9, v5, v7
	s_waitcnt lgkmcnt(0)
	v_dual_add_f32 v8, v7, v9 :: v_dual_lshlrev_b32 v7, 2, v10
	ds_bpermute_b32 v9, v7, v8
	v_cmpx_eq_u32_e32 0, v6
	s_cbranch_execz .LBB49_18
; %bb.17:
	v_lshrrev_b32_e32 v6, 3, v0
	s_waitcnt lgkmcnt(0)
	v_add_f32_e32 v8, v8, v9
	s_delay_alu instid0(VALU_DEP_2)
	v_and_b32_e32 v6, 0x7c, v6
	ds_store_b32 v6, v8
.LBB49_18:
	s_or_b32 exec_lo, exec_lo, s2
	v_mov_b32_e32 v6, 0
	s_waitcnt lgkmcnt(0)
	s_barrier
	buffer_gl0_inv
	s_and_saveexec_b32 s0, vcc_lo
	s_cbranch_execz .LBB49_20
; %bb.19:
	ds_load_b32 v6, v1
.LBB49_20:
	s_or_b32 exec_lo, exec_lo, s0
	s_and_saveexec_b32 s0, vcc_lo
	s_cbranch_execz .LBB49_22
; %bb.21:
	s_waitcnt lgkmcnt(0)
	ds_bpermute_b32 v1, v2, v6
	s_waitcnt lgkmcnt(0)
	v_add_f32_e32 v1, v6, v1
	ds_bpermute_b32 v2, v3, v1
	s_waitcnt lgkmcnt(0)
	v_add_f32_e32 v1, v1, v2
	;; [unrolled: 3-line block ×5, first 2 shown]
.LBB49_22:
	s_or_b32 exec_lo, exec_lo, s0
	s_delay_alu instid0(SALU_CYCLE_1)
	s_mov_b32 s0, exec_lo
                                        ; implicit-def: $vgpr1
                                        ; implicit-def: $sgpr4_sgpr5
	v_cmpx_eq_u32_e32 0, v0
	s_cbranch_execz .LBB49_26
; %bb.23:
	v_cmp_eq_f32_e64 s4, s12, 0
	s_mul_i32 s2, s14, s9
	s_mul_hi_u32 s3, s14, s8
	s_waitcnt lgkmcnt(0)
	v_mul_f32_e32 v1, s33, v6
	s_add_i32 s2, s3, s2
	s_mul_i32 s1, s1, s8
	s_and_b32 vcc_lo, exec_lo, s4
	s_add_i32 s5, s2, s1
	s_mul_i32 s4, s14, s8
	s_cbranch_vccnz .LBB49_25
; %bb.24:
	s_lshl_b64 s[2:3], s[4:5], 2
	s_delay_alu instid0(SALU_CYCLE_1)
	s_add_u32 s2, s10, s2
	s_addc_u32 s3, s11, s3
	s_load_b32 s1, s[2:3], 0x0
	s_waitcnt lgkmcnt(0)
	v_fmac_f32_e64 v1, s1, s12
.LBB49_25:
	s_or_b32 s13, s13, exec_lo
.LBB49_26:
	s_or_b32 exec_lo, exec_lo, s0
.LBB49_27:
	s_and_saveexec_b32 s0, s13
	s_cbranch_execz .LBB49_29
; %bb.28:
	s_lshl_b64 s[0:1], s[4:5], 2
	v_mov_b32_e32 v0, 0
	s_add_u32 s0, s10, s0
	s_addc_u32 s1, s11, s1
	global_store_b32 v0, v1, s[0:1]
.LBB49_29:
	s_nop 0
	s_sendmsg sendmsg(MSG_DEALLOC_VGPRS)
	s_endpgm
	.section	.rodata,"a",@progbits
	.p2align	6, 0x0
	.amdhsa_kernel _ZL32rocblas_gemvt_warp_reduce_kernelILb1ELi1024ElfffEviiT3_lPKT2_lT1_lS3_lS4_lS0_lPT4_lS4_li
		.amdhsa_group_segment_fixed_size 128
		.amdhsa_private_segment_fixed_size 0
		.amdhsa_kernarg_size 140
		.amdhsa_user_sgpr_count 14
		.amdhsa_user_sgpr_dispatch_ptr 0
		.amdhsa_user_sgpr_queue_ptr 0
		.amdhsa_user_sgpr_kernarg_segment_ptr 1
		.amdhsa_user_sgpr_dispatch_id 0
		.amdhsa_user_sgpr_private_segment_size 0
		.amdhsa_wavefront_size32 1
		.amdhsa_uses_dynamic_stack 0
		.amdhsa_enable_private_segment 0
		.amdhsa_system_sgpr_workgroup_id_x 1
		.amdhsa_system_sgpr_workgroup_id_y 0
		.amdhsa_system_sgpr_workgroup_id_z 1
		.amdhsa_system_sgpr_workgroup_info 0
		.amdhsa_system_vgpr_workitem_id 0
		.amdhsa_next_free_vgpr 11
		.amdhsa_next_free_sgpr 34
		.amdhsa_reserve_vcc 1
		.amdhsa_float_round_mode_32 0
		.amdhsa_float_round_mode_16_64 0
		.amdhsa_float_denorm_mode_32 3
		.amdhsa_float_denorm_mode_16_64 3
		.amdhsa_dx10_clamp 1
		.amdhsa_ieee_mode 1
		.amdhsa_fp16_overflow 0
		.amdhsa_workgroup_processor_mode 1
		.amdhsa_memory_ordered 1
		.amdhsa_forward_progress 0
		.amdhsa_shared_vgpr_count 0
		.amdhsa_exception_fp_ieee_invalid_op 0
		.amdhsa_exception_fp_denorm_src 0
		.amdhsa_exception_fp_ieee_div_zero 0
		.amdhsa_exception_fp_ieee_overflow 0
		.amdhsa_exception_fp_ieee_underflow 0
		.amdhsa_exception_fp_ieee_inexact 0
		.amdhsa_exception_int_div_zero 0
	.end_amdhsa_kernel
	.section	.text._ZL32rocblas_gemvt_warp_reduce_kernelILb1ELi1024ElfffEviiT3_lPKT2_lT1_lS3_lS4_lS0_lPT4_lS4_li,"axG",@progbits,_ZL32rocblas_gemvt_warp_reduce_kernelILb1ELi1024ElfffEviiT3_lPKT2_lT1_lS3_lS4_lS0_lPT4_lS4_li,comdat
.Lfunc_end49:
	.size	_ZL32rocblas_gemvt_warp_reduce_kernelILb1ELi1024ElfffEviiT3_lPKT2_lT1_lS3_lS4_lS0_lPT4_lS4_li, .Lfunc_end49-_ZL32rocblas_gemvt_warp_reduce_kernelILb1ELi1024ElfffEviiT3_lPKT2_lT1_lS3_lS4_lS0_lPT4_lS4_li
                                        ; -- End function
	.section	.AMDGPU.csdata,"",@progbits
; Kernel info:
; codeLenInByte = 1460
; NumSgprs: 36
; NumVgprs: 11
; ScratchSize: 0
; MemoryBound: 0
; FloatMode: 240
; IeeeMode: 1
; LDSByteSize: 128 bytes/workgroup (compile time only)
; SGPRBlocks: 4
; VGPRBlocks: 1
; NumSGPRsForWavesPerEU: 36
; NumVGPRsForWavesPerEU: 11
; Occupancy: 16
; WaveLimiterHint : 1
; COMPUTE_PGM_RSRC2:SCRATCH_EN: 0
; COMPUTE_PGM_RSRC2:USER_SGPR: 14
; COMPUTE_PGM_RSRC2:TRAP_HANDLER: 0
; COMPUTE_PGM_RSRC2:TGID_X_EN: 1
; COMPUTE_PGM_RSRC2:TGID_Y_EN: 0
; COMPUTE_PGM_RSRC2:TGID_Z_EN: 1
; COMPUTE_PGM_RSRC2:TIDIG_COMP_CNT: 0
	.section	.text._ZL34rocblas_gemvn_sm_mn_batched_kernelILi32ELi24EdPKddEviiT2_lPKT1_lilS5_lilS2_lPT3_lili,"axG",@progbits,_ZL34rocblas_gemvn_sm_mn_batched_kernelILi32ELi24EdPKddEviiT2_lPKT1_lilS5_lilS2_lPT3_lili,comdat
	.globl	_ZL34rocblas_gemvn_sm_mn_batched_kernelILi32ELi24EdPKddEviiT2_lPKT1_lilS5_lilS2_lPT3_lili ; -- Begin function _ZL34rocblas_gemvn_sm_mn_batched_kernelILi32ELi24EdPKddEviiT2_lPKT1_lilS5_lilS2_lPT3_lili
	.p2align	8
	.type	_ZL34rocblas_gemvn_sm_mn_batched_kernelILi32ELi24EdPKddEviiT2_lPKT1_lilS5_lilS2_lPT3_lili,@function
_ZL34rocblas_gemvn_sm_mn_batched_kernelILi32ELi24EdPKddEviiT2_lPKT1_lilS5_lilS2_lPT3_lili: ; @_ZL34rocblas_gemvn_sm_mn_batched_kernelILi32ELi24EdPKddEviiT2_lPKT1_lilS5_lilS2_lPT3_lili
; %bb.0:
	s_endpgm
	.section	.rodata,"a",@progbits
	.p2align	6, 0x0
	.amdhsa_kernel _ZL34rocblas_gemvn_sm_mn_batched_kernelILi32ELi24EdPKddEviiT2_lPKT1_lilS5_lilS2_lPT3_lili
		.amdhsa_group_segment_fixed_size 0
		.amdhsa_private_segment_fixed_size 0
		.amdhsa_kernarg_size 140
		.amdhsa_user_sgpr_count 15
		.amdhsa_user_sgpr_dispatch_ptr 0
		.amdhsa_user_sgpr_queue_ptr 0
		.amdhsa_user_sgpr_kernarg_segment_ptr 1
		.amdhsa_user_sgpr_dispatch_id 0
		.amdhsa_user_sgpr_private_segment_size 0
		.amdhsa_wavefront_size32 1
		.amdhsa_uses_dynamic_stack 0
		.amdhsa_enable_private_segment 0
		.amdhsa_system_sgpr_workgroup_id_x 1
		.amdhsa_system_sgpr_workgroup_id_y 0
		.amdhsa_system_sgpr_workgroup_id_z 0
		.amdhsa_system_sgpr_workgroup_info 0
		.amdhsa_system_vgpr_workitem_id 0
		.amdhsa_next_free_vgpr 1
		.amdhsa_next_free_sgpr 1
		.amdhsa_reserve_vcc 0
		.amdhsa_float_round_mode_32 0
		.amdhsa_float_round_mode_16_64 0
		.amdhsa_float_denorm_mode_32 3
		.amdhsa_float_denorm_mode_16_64 3
		.amdhsa_dx10_clamp 1
		.amdhsa_ieee_mode 1
		.amdhsa_fp16_overflow 0
		.amdhsa_workgroup_processor_mode 1
		.amdhsa_memory_ordered 1
		.amdhsa_forward_progress 0
		.amdhsa_shared_vgpr_count 0
		.amdhsa_exception_fp_ieee_invalid_op 0
		.amdhsa_exception_fp_denorm_src 0
		.amdhsa_exception_fp_ieee_div_zero 0
		.amdhsa_exception_fp_ieee_overflow 0
		.amdhsa_exception_fp_ieee_underflow 0
		.amdhsa_exception_fp_ieee_inexact 0
		.amdhsa_exception_int_div_zero 0
	.end_amdhsa_kernel
	.section	.text._ZL34rocblas_gemvn_sm_mn_batched_kernelILi32ELi24EdPKddEviiT2_lPKT1_lilS5_lilS2_lPT3_lili,"axG",@progbits,_ZL34rocblas_gemvn_sm_mn_batched_kernelILi32ELi24EdPKddEviiT2_lPKT1_lilS5_lilS2_lPT3_lili,comdat
.Lfunc_end50:
	.size	_ZL34rocblas_gemvn_sm_mn_batched_kernelILi32ELi24EdPKddEviiT2_lPKT1_lilS5_lilS2_lPT3_lili, .Lfunc_end50-_ZL34rocblas_gemvn_sm_mn_batched_kernelILi32ELi24EdPKddEviiT2_lPKT1_lilS5_lilS2_lPT3_lili
                                        ; -- End function
	.section	.AMDGPU.csdata,"",@progbits
; Kernel info:
; codeLenInByte = 4
; NumSgprs: 0
; NumVgprs: 0
; ScratchSize: 0
; MemoryBound: 0
; FloatMode: 240
; IeeeMode: 1
; LDSByteSize: 0 bytes/workgroup (compile time only)
; SGPRBlocks: 0
; VGPRBlocks: 0
; NumSGPRsForWavesPerEU: 1
; NumVGPRsForWavesPerEU: 1
; Occupancy: 12
; WaveLimiterHint : 0
; COMPUTE_PGM_RSRC2:SCRATCH_EN: 0
; COMPUTE_PGM_RSRC2:USER_SGPR: 15
; COMPUTE_PGM_RSRC2:TRAP_HANDLER: 0
; COMPUTE_PGM_RSRC2:TGID_X_EN: 1
; COMPUTE_PGM_RSRC2:TGID_Y_EN: 0
; COMPUTE_PGM_RSRC2:TGID_Z_EN: 0
; COMPUTE_PGM_RSRC2:TIDIG_COMP_CNT: 0
	.section	.text._ZL34rocblas_gemvn_sm_mn_batched_kernelILi32ELi24EdddEviiT2_lPKT1_lilS3_lilS0_lPT3_lili,"axG",@progbits,_ZL34rocblas_gemvn_sm_mn_batched_kernelILi32ELi24EdddEviiT2_lPKT1_lilS3_lilS0_lPT3_lili,comdat
	.globl	_ZL34rocblas_gemvn_sm_mn_batched_kernelILi32ELi24EdddEviiT2_lPKT1_lilS3_lilS0_lPT3_lili ; -- Begin function _ZL34rocblas_gemvn_sm_mn_batched_kernelILi32ELi24EdddEviiT2_lPKT1_lilS3_lilS0_lPT3_lili
	.p2align	8
	.type	_ZL34rocblas_gemvn_sm_mn_batched_kernelILi32ELi24EdddEviiT2_lPKT1_lilS3_lilS0_lPT3_lili,@function
_ZL34rocblas_gemvn_sm_mn_batched_kernelILi32ELi24EdddEviiT2_lPKT1_lilS3_lilS0_lPT3_lili: ; @_ZL34rocblas_gemvn_sm_mn_batched_kernelILi32ELi24EdddEviiT2_lPKT1_lilS3_lilS0_lPT3_lili
; %bb.0:
	s_endpgm
	.section	.rodata,"a",@progbits
	.p2align	6, 0x0
	.amdhsa_kernel _ZL34rocblas_gemvn_sm_mn_batched_kernelILi32ELi24EdddEviiT2_lPKT1_lilS3_lilS0_lPT3_lili
		.amdhsa_group_segment_fixed_size 0
		.amdhsa_private_segment_fixed_size 0
		.amdhsa_kernarg_size 140
		.amdhsa_user_sgpr_count 15
		.amdhsa_user_sgpr_dispatch_ptr 0
		.amdhsa_user_sgpr_queue_ptr 0
		.amdhsa_user_sgpr_kernarg_segment_ptr 1
		.amdhsa_user_sgpr_dispatch_id 0
		.amdhsa_user_sgpr_private_segment_size 0
		.amdhsa_wavefront_size32 1
		.amdhsa_uses_dynamic_stack 0
		.amdhsa_enable_private_segment 0
		.amdhsa_system_sgpr_workgroup_id_x 1
		.amdhsa_system_sgpr_workgroup_id_y 0
		.amdhsa_system_sgpr_workgroup_id_z 0
		.amdhsa_system_sgpr_workgroup_info 0
		.amdhsa_system_vgpr_workitem_id 0
		.amdhsa_next_free_vgpr 1
		.amdhsa_next_free_sgpr 1
		.amdhsa_reserve_vcc 0
		.amdhsa_float_round_mode_32 0
		.amdhsa_float_round_mode_16_64 0
		.amdhsa_float_denorm_mode_32 3
		.amdhsa_float_denorm_mode_16_64 3
		.amdhsa_dx10_clamp 1
		.amdhsa_ieee_mode 1
		.amdhsa_fp16_overflow 0
		.amdhsa_workgroup_processor_mode 1
		.amdhsa_memory_ordered 1
		.amdhsa_forward_progress 0
		.amdhsa_shared_vgpr_count 0
		.amdhsa_exception_fp_ieee_invalid_op 0
		.amdhsa_exception_fp_denorm_src 0
		.amdhsa_exception_fp_ieee_div_zero 0
		.amdhsa_exception_fp_ieee_overflow 0
		.amdhsa_exception_fp_ieee_underflow 0
		.amdhsa_exception_fp_ieee_inexact 0
		.amdhsa_exception_int_div_zero 0
	.end_amdhsa_kernel
	.section	.text._ZL34rocblas_gemvn_sm_mn_batched_kernelILi32ELi24EdddEviiT2_lPKT1_lilS3_lilS0_lPT3_lili,"axG",@progbits,_ZL34rocblas_gemvn_sm_mn_batched_kernelILi32ELi24EdddEviiT2_lPKT1_lilS3_lilS0_lPT3_lili,comdat
.Lfunc_end51:
	.size	_ZL34rocblas_gemvn_sm_mn_batched_kernelILi32ELi24EdddEviiT2_lPKT1_lilS3_lilS0_lPT3_lili, .Lfunc_end51-_ZL34rocblas_gemvn_sm_mn_batched_kernelILi32ELi24EdddEviiT2_lPKT1_lilS3_lilS0_lPT3_lili
                                        ; -- End function
	.section	.AMDGPU.csdata,"",@progbits
; Kernel info:
; codeLenInByte = 4
; NumSgprs: 0
; NumVgprs: 0
; ScratchSize: 0
; MemoryBound: 0
; FloatMode: 240
; IeeeMode: 1
; LDSByteSize: 0 bytes/workgroup (compile time only)
; SGPRBlocks: 0
; VGPRBlocks: 0
; NumSGPRsForWavesPerEU: 1
; NumVGPRsForWavesPerEU: 1
; Occupancy: 12
; WaveLimiterHint : 0
; COMPUTE_PGM_RSRC2:SCRATCH_EN: 0
; COMPUTE_PGM_RSRC2:USER_SGPR: 15
; COMPUTE_PGM_RSRC2:TRAP_HANDLER: 0
; COMPUTE_PGM_RSRC2:TGID_X_EN: 1
; COMPUTE_PGM_RSRC2:TGID_Y_EN: 0
; COMPUTE_PGM_RSRC2:TGID_Z_EN: 0
; COMPUTE_PGM_RSRC2:TIDIG_COMP_CNT: 0
	.section	.text._ZL20rocblas_gemvn_kernelILi64ELi4EidPKddEviiT3_lPKT2_lT1_lS5_lS6_lS2_lPT4_lS6_li,"axG",@progbits,_ZL20rocblas_gemvn_kernelILi64ELi4EidPKddEviiT3_lPKT2_lT1_lS5_lS6_lS2_lPT4_lS6_li,comdat
	.globl	_ZL20rocblas_gemvn_kernelILi64ELi4EidPKddEviiT3_lPKT2_lT1_lS5_lS6_lS2_lPT4_lS6_li ; -- Begin function _ZL20rocblas_gemvn_kernelILi64ELi4EidPKddEviiT3_lPKT2_lT1_lS5_lS6_lS2_lPT4_lS6_li
	.p2align	8
	.type	_ZL20rocblas_gemvn_kernelILi64ELi4EidPKddEviiT3_lPKT2_lT1_lS5_lS6_lS2_lPT4_lS6_li,@function
_ZL20rocblas_gemvn_kernelILi64ELi4EidPKddEviiT3_lPKT2_lT1_lS5_lS6_lS2_lPT4_lS6_li: ; @_ZL20rocblas_gemvn_kernelILi64ELi4EidPKddEviiT3_lPKT2_lT1_lS5_lS6_lS2_lPT4_lS6_li
; %bb.0:
	s_load_b64 s[2:3], s[0:1], 0x9c
	s_waitcnt lgkmcnt(0)
	s_lshr_b32 s4, s2, 16
	s_and_b32 s2, s2, 0xffff
	s_and_b32 s3, s3, 0xffff
	s_mul_i32 s2, s4, s2
	s_delay_alu instid0(SALU_CYCLE_1) | instskip(NEXT) | instid1(SALU_CYCLE_1)
	s_mul_i32 s2, s2, s3
	s_cmpk_lg_i32 s2, 0x100
	s_cbranch_scc1 .LBB52_50
; %bb.1:
	s_clause 0x1
	s_load_b256 s[16:23], s[0:1], 0x8
	s_load_b256 s[4:11], s[0:1], 0x50
	s_waitcnt lgkmcnt(0)
	s_mul_i32 s3, s15, s19
	s_mul_hi_u32 s12, s15, s18
	s_mul_i32 s2, s15, s18
	s_add_i32 s3, s12, s3
	s_mul_i32 s9, s15, s9
	s_lshl_b64 s[2:3], s[2:3], 3
	s_mul_hi_u32 s12, s15, s8
	s_add_u32 s2, s16, s2
	s_addc_u32 s3, s17, s3
	s_add_i32 s9, s12, s9
	s_mul_i32 s8, s15, s8
	s_delay_alu instid0(SALU_CYCLE_1) | instskip(NEXT) | instid1(SALU_CYCLE_1)
	s_lshl_b64 s[8:9], s[8:9], 3
	s_add_u32 s6, s6, s8
	s_addc_u32 s7, s7, s9
	s_load_b64 s[8:9], s[2:3], 0x0
	s_load_b64 s[6:7], s[6:7], 0x0
	s_waitcnt lgkmcnt(0)
	v_cmp_eq_f64_e64 s2, s[8:9], 0
	v_cmp_eq_f64_e64 s3, s[6:7], 1.0
	s_delay_alu instid0(VALU_DEP_1) | instskip(NEXT) | instid1(SALU_CYCLE_1)
	s_and_b32 s2, s2, s3
	s_and_b32 vcc_lo, exec_lo, s2
	s_cbranch_vccnz .LBB52_50
; %bb.2:
	v_cmp_neq_f64_e64 s17, s[8:9], 0
	s_clause 0x3
	s_load_b64 s[2:3], s[0:1], 0x80
	s_load_b64 s[18:19], s[0:1], 0x70
	s_load_b32 s16, s[0:1], 0x78
	s_load_b64 s[12:13], s[0:1], 0x0
	v_and_b32_e32 v1, 0x3ff, v0
	v_bfe_u32 v0, v0, 10, 10
	s_delay_alu instid0(VALU_DEP_1)
	v_lshl_add_u32 v53, v0, 6, v1
	s_waitcnt lgkmcnt(0)
	s_mul_i32 s3, s15, s3
	s_mul_hi_u32 s24, s15, s2
	s_mul_i32 s2, s15, s2
	s_add_i32 s3, s24, s3
	s_delay_alu instid0(SALU_CYCLE_1) | instskip(NEXT) | instid1(SALU_CYCLE_1)
	s_lshl_b64 s[2:3], s[2:3], 3
	s_add_u32 s10, s10, s2
	s_addc_u32 s11, s11, s3
	s_lshl_b64 s[2:3], s[18:19], 3
	s_delay_alu instid0(SALU_CYCLE_1)
	s_add_u32 s10, s10, s2
	v_cmp_gt_u32_e64 s2, 0x100, v53
	s_addc_u32 s11, s11, s3
	s_and_b32 vcc_lo, exec_lo, s17
	s_mov_b32 s17, 0
	s_cbranch_vccnz .LBB52_9
; %bb.3:
	s_mov_b32 s3, 0
                                        ; implicit-def: $vgpr4_vgpr5
                                        ; implicit-def: $vgpr2_vgpr3
	s_and_saveexec_b32 s18, s2
	s_cbranch_execz .LBB52_10
; %bb.4:
	v_lshl_or_b32 v6, s14, 8, v53
	v_mov_b32_e32 v7, 0
	s_ashr_i32 s25, s12, 31
	s_mov_b32 s24, s12
	s_mov_b32 s2, exec_lo
                                        ; implicit-def: $vgpr4_vgpr5
                                        ; implicit-def: $vgpr2_vgpr3
	s_delay_alu instid0(VALU_DEP_1)
	v_cmpx_gt_i64_e64 s[24:25], v[6:7]
	s_cbranch_execz .LBB52_8
; %bb.5:
	v_cmp_eq_f64_e64 s17, s[6:7], 0
	v_mad_u64_u32 v[2:3], null, s16, v6, 0
	s_ashr_i32 s19, s16, 31
	s_delay_alu instid0(VALU_DEP_1) | instid1(SALU_CYCLE_1)
	v_mad_u64_u32 v[4:5], null, s19, v6, v[3:4]
	s_delay_alu instid0(VALU_DEP_1)
	v_dual_mov_b32 v3, v4 :: v_dual_mov_b32 v4, 0
	v_mov_b32_e32 v5, 0
	s_and_b32 vcc_lo, exec_lo, s17
	s_cbranch_vccnz .LBB52_7
; %bb.6:
	s_delay_alu instid0(VALU_DEP_2) | instskip(NEXT) | instid1(VALU_DEP_1)
	v_lshlrev_b64 v[4:5], 3, v[2:3]
	v_add_co_u32 v4, vcc_lo, s10, v4
	s_delay_alu instid0(VALU_DEP_2)
	v_add_co_ci_u32_e32 v5, vcc_lo, s11, v5, vcc_lo
	global_load_b64 v[4:5], v[4:5], off
	s_waitcnt vmcnt(0)
	v_mul_f64 v[4:5], s[6:7], v[4:5]
.LBB52_7:
	s_mov_b32 s17, exec_lo
.LBB52_8:
	s_or_b32 exec_lo, exec_lo, s2
	s_delay_alu instid0(SALU_CYCLE_1) | instskip(SKIP_1) | instid1(SALU_CYCLE_1)
	s_and_b32 s17, s17, exec_lo
	s_or_b32 exec_lo, exec_lo, s18
	s_and_b32 vcc_lo, exec_lo, s3
	s_cbranch_vccnz .LBB52_11
	s_branch .LBB52_48
.LBB52_9:
                                        ; implicit-def: $vgpr4_vgpr5
                                        ; implicit-def: $vgpr2_vgpr3
	s_cbranch_execnz .LBB52_11
	s_branch .LBB52_48
.LBB52_10:
	s_or_b32 exec_lo, exec_lo, s18
	s_delay_alu instid0(SALU_CYCLE_1)
	s_and_b32 vcc_lo, exec_lo, s3
	s_cbranch_vccz .LBB52_48
.LBB52_11:
	s_clause 0x2
	s_load_b128 s[24:27], s[0:1], 0x30
	s_load_b32 s18, s[0:1], 0x28
	s_load_b64 s[2:3], s[0:1], 0x40
	s_mul_i32 s5, s15, s5
	s_mul_hi_u32 s28, s15, s4
	v_dual_mov_b32 v8, 0 :: v_dual_lshlrev_b32 v55, 2, v0
	s_waitcnt lgkmcnt(0)
	s_mul_i32 s19, s15, s25
	s_mul_hi_u32 s25, s15, s24
	s_mul_i32 s24, s15, s24
	s_add_i32 s25, s25, s19
	s_delay_alu instid0(SALU_CYCLE_1) | instskip(NEXT) | instid1(SALU_CYCLE_1)
	s_lshl_b64 s[24:25], s[24:25], 3
	s_add_u32 s19, s20, s24
	s_addc_u32 s24, s21, s25
	s_lshl_b64 s[20:21], s[22:23], 3
	s_mul_i32 s22, s15, s4
	s_load_b32 s4, s[0:1], 0x48
	s_add_u32 s15, s19, s20
	s_addc_u32 s19, s24, s21
	s_add_i32 s23, s28, s5
	s_delay_alu instid0(SALU_CYCLE_1) | instskip(SKIP_4) | instid1(SALU_CYCLE_1)
	s_lshl_b64 s[0:1], s[22:23], 3
	s_mov_b32 s22, exec_lo
	s_add_u32 s5, s26, s0
	s_addc_u32 s21, s27, s1
	s_lshl_b64 s[0:1], s[2:3], 3
	s_add_u32 s20, s5, s0
	s_addc_u32 s21, s21, s1
	s_lshl_b32 s5, s14, 8
	s_delay_alu instid0(SALU_CYCLE_1) | instskip(SKIP_3) | instid1(VALU_DEP_2)
	v_dual_mov_b32 v9, 0 :: v_dual_add_nc_u32 v54, s5, v1
	s_ashr_i32 s0, s13, 31
	v_mov_b32_e32 v6, v8
	s_lshr_b32 s0, s0, 28
	v_dual_mov_b32 v7, v9 :: v_dual_mov_b32 v4, v8
	v_dual_mov_b32 v5, v9 :: v_dual_mov_b32 v2, v8
	v_mov_b32_e32 v3, v9
	s_add_i32 s0, s13, s0
	s_delay_alu instid0(SALU_CYCLE_1) | instskip(NEXT) | instid1(SALU_CYCLE_1)
	s_and_b32 s14, s0, -16
	v_cmpx_gt_i32_e64 s14, v55
	s_cbranch_execz .LBB52_23
; %bb.12:
	v_mul_lo_u32 v3, s18, v55
	v_dual_mov_b32 v8, 0 :: v_dual_add_nc_u32 v5, 0xc0, v54
	v_dual_mov_b32 v9, 0 :: v_dual_add_nc_u32 v2, 64, v54
	v_add_nc_u32_e32 v4, 0x80, v54
	s_delay_alu instid0(VALU_DEP_3)
	v_cmp_gt_i32_e64 s2, s12, v5
	s_waitcnt lgkmcnt(0)
	v_mul_lo_u32 v5, v0, s4
	v_cmp_gt_i32_e64 s0, s12, v2
	v_add_nc_u32_e32 v2, 2, v55
	v_mov_b32_e32 v6, v8
	v_add3_u32 v56, v3, s18, v1
	v_mul_lo_u32 v3, v0, s18
	v_mov_b32_e32 v7, v9
	v_cmp_gt_i32_e64 s1, s12, v4
	v_add_nc_u32_e32 v4, 3, v55
	v_mad_u64_u32 v[10:11], null, s18, v2, v[1:2]
	v_lshlrev_b32_e32 v60, 2, v5
	v_cmp_gt_i32_e32 vcc_lo, s12, v54
	s_delay_alu instid0(VALU_DEP_4)
	v_mad_u64_u32 v[11:12], null, s18, v4, v[1:2]
	v_mul_lo_u32 v59, s4, v4
	v_mov_b32_e32 v4, v8
	v_mad_u64_u32 v[12:13], null, s4, v55, s[4:5]
	v_mov_b32_e32 v5, v9
	v_mul_lo_u32 v58, s4, v2
	v_lshl_add_u32 v57, v3, 2, v1
	v_dual_mov_b32 v2, v8 :: v_dual_mov_b32 v3, v9
	s_lshl_b32 s23, s18, 4
	s_lshl_b32 s25, s4, 4
	s_mov_b32 s24, 0
	s_mov_b32 s26, 0
	s_branch .LBB52_17
.LBB52_13:                              ;   in Loop: Header=BB52_17 Depth=1
	s_or_b32 exec_lo, exec_lo, s29
	s_waitcnt vmcnt(3)
	v_fma_f64 v[4:5], v[13:14], v[45:46], v[4:5]
	s_waitcnt vmcnt(2)
	s_delay_alu instid0(VALU_DEP_1) | instskip(SKIP_1) | instid1(VALU_DEP_1)
	v_fma_f64 v[4:5], v[15:16], v[47:48], v[4:5]
	s_waitcnt vmcnt(1)
	v_fma_f64 v[4:5], v[17:18], v[49:50], v[4:5]
	s_waitcnt vmcnt(0)
	s_delay_alu instid0(VALU_DEP_1)
	v_fma_f64 v[4:5], v[19:20], v[51:52], v[4:5]
.LBB52_14:                              ;   in Loop: Header=BB52_17 Depth=1
	s_or_b32 exec_lo, exec_lo, s28
	s_waitcnt vmcnt(3)
	v_fma_f64 v[6:7], v[13:14], v[37:38], v[6:7]
	s_waitcnt vmcnt(2)
	s_delay_alu instid0(VALU_DEP_1) | instskip(SKIP_1) | instid1(VALU_DEP_1)
	v_fma_f64 v[6:7], v[15:16], v[39:40], v[6:7]
	s_waitcnt vmcnt(1)
	v_fma_f64 v[6:7], v[17:18], v[41:42], v[6:7]
	s_waitcnt vmcnt(0)
	s_delay_alu instid0(VALU_DEP_1)
	v_fma_f64 v[6:7], v[19:20], v[43:44], v[6:7]
.LBB52_15:                              ;   in Loop: Header=BB52_17 Depth=1
	s_or_b32 exec_lo, exec_lo, s3
	s_waitcnt vmcnt(3)
	v_fma_f64 v[8:9], v[13:14], v[21:22], v[8:9]
	s_waitcnt vmcnt(2)
	s_delay_alu instid0(VALU_DEP_1) | instskip(SKIP_1) | instid1(VALU_DEP_1)
	v_fma_f64 v[8:9], v[15:16], v[23:24], v[8:9]
	s_waitcnt vmcnt(1)
	v_fma_f64 v[8:9], v[17:18], v[25:26], v[8:9]
	s_waitcnt vmcnt(0)
	s_delay_alu instid0(VALU_DEP_1)
	v_fma_f64 v[8:9], v[19:20], v[27:28], v[8:9]
.LBB52_16:                              ;   in Loop: Header=BB52_17 Depth=1
	s_or_b32 exec_lo, exec_lo, s27
	v_add_nc_u32_e32 v55, 16, v55
	v_add_nc_u32_e32 v56, s23, v56
	;; [unrolled: 1-line block ×5, first 2 shown]
	v_cmp_le_i32_e64 s3, s14, v55
	s_add_i32 s26, s26, s25
	s_delay_alu instid0(VALU_DEP_1) | instskip(NEXT) | instid1(SALU_CYCLE_1)
	s_or_b32 s24, s3, s24
	s_and_not1_b32 exec_lo, exec_lo, s24
	s_cbranch_execz .LBB52_22
.LBB52_17:                              ; =>This Inner Loop Header: Depth=1
	s_and_saveexec_b32 s27, vcc_lo
	s_cbranch_execz .LBB52_16
; %bb.18:                               ;   in Loop: Header=BB52_17 Depth=1
	v_add_nc_u32_e32 v13, s26, v60
	v_add_nc_u32_e32 v15, s26, v12
	v_add_nc_u32_e32 v17, s26, v58
	v_add_nc_u32_e32 v19, s26, v59
	v_add_nc_u32_e32 v21, s5, v57
	v_ashrrev_i32_e32 v14, 31, v13
	v_ashrrev_i32_e32 v16, 31, v15
	;; [unrolled: 1-line block ×4, first 2 shown]
	v_add_nc_u32_e32 v23, s5, v56
	v_lshlrev_b64 v[13:14], 3, v[13:14]
	v_lshlrev_b64 v[15:16], 3, v[15:16]
	;; [unrolled: 1-line block ×3, first 2 shown]
	v_ashrrev_i32_e32 v22, 31, v21
	v_lshlrev_b64 v[19:20], 3, v[19:20]
	v_ashrrev_i32_e32 v24, 31, v23
	v_add_co_u32 v13, s3, s20, v13
	s_delay_alu instid0(VALU_DEP_1)
	v_add_co_ci_u32_e64 v14, s3, s21, v14, s3
	v_add_co_u32 v15, s3, s20, v15
	v_add_nc_u32_e32 v25, s5, v10
	v_add_co_ci_u32_e64 v16, s3, s21, v16, s3
	v_add_co_u32 v17, s3, s20, v17
	v_lshlrev_b64 v[21:22], 3, v[21:22]
	v_add_nc_u32_e32 v27, s5, v11
	v_add_co_ci_u32_e64 v18, s3, s21, v18, s3
	v_add_co_u32 v19, s3, s20, v19
	v_lshlrev_b64 v[23:24], 3, v[23:24]
	v_ashrrev_i32_e32 v26, 31, v25
	v_add_co_ci_u32_e64 v20, s3, s21, v20, s3
	v_add_co_u32 v29, s3, s15, v21
	v_ashrrev_i32_e32 v28, 31, v27
	v_add_co_ci_u32_e64 v30, s3, s19, v22, s3
	v_lshlrev_b64 v[21:22], 3, v[25:26]
	v_add_co_u32 v31, s3, s15, v23
	s_delay_alu instid0(VALU_DEP_1) | instskip(SKIP_1) | instid1(VALU_DEP_4)
	v_add_co_ci_u32_e64 v32, s3, s19, v24, s3
	v_lshlrev_b64 v[23:24], 3, v[27:28]
	v_add_co_u32 v33, s3, s15, v21
	s_delay_alu instid0(VALU_DEP_1) | instskip(NEXT) | instid1(VALU_DEP_3)
	v_add_co_ci_u32_e64 v34, s3, s19, v22, s3
	v_add_co_u32 v35, s3, s15, v23
	s_delay_alu instid0(VALU_DEP_1)
	v_add_co_ci_u32_e64 v36, s3, s19, v24, s3
	s_clause 0x3
	global_load_b64 v[13:14], v[13:14], off
	global_load_b64 v[15:16], v[15:16], off
	;; [unrolled: 1-line block ×4, first 2 shown]
	s_clause 0x3
	global_load_b64 v[21:22], v[29:30], off
	global_load_b64 v[23:24], v[31:32], off
	;; [unrolled: 1-line block ×4, first 2 shown]
	s_and_saveexec_b32 s3, s0
	s_cbranch_execz .LBB52_15
; %bb.19:                               ;   in Loop: Header=BB52_17 Depth=1
	s_clause 0x3
	global_load_b64 v[37:38], v[29:30], off offset:512
	global_load_b64 v[39:40], v[31:32], off offset:512
	global_load_b64 v[41:42], v[33:34], off offset:512
	global_load_b64 v[43:44], v[35:36], off offset:512
	s_and_saveexec_b32 s28, s1
	s_cbranch_execz .LBB52_14
; %bb.20:                               ;   in Loop: Header=BB52_17 Depth=1
	s_clause 0x3
	global_load_b64 v[45:46], v[29:30], off offset:1024
	global_load_b64 v[47:48], v[31:32], off offset:1024
	global_load_b64 v[49:50], v[33:34], off offset:1024
	global_load_b64 v[51:52], v[35:36], off offset:1024
	;; [unrolled: 8-line block ×3, first 2 shown]
	s_waitcnt vmcnt(3)
	v_fma_f64 v[2:3], v[13:14], v[29:30], v[2:3]
	s_waitcnt vmcnt(2)
	s_delay_alu instid0(VALU_DEP_1) | instskip(SKIP_1) | instid1(VALU_DEP_1)
	v_fma_f64 v[2:3], v[15:16], v[31:32], v[2:3]
	s_waitcnt vmcnt(1)
	v_fma_f64 v[2:3], v[17:18], v[33:34], v[2:3]
	s_waitcnt vmcnt(0)
	s_delay_alu instid0(VALU_DEP_1)
	v_fma_f64 v[2:3], v[19:20], v[35:36], v[2:3]
	s_branch .LBB52_13
.LBB52_22:
	s_or_b32 exec_lo, exec_lo, s24
.LBB52_23:
	s_delay_alu instid0(SALU_CYCLE_1) | instskip(SKIP_1) | instid1(SALU_CYCLE_1)
	s_or_b32 exec_lo, exec_lo, s22
	s_sub_i32 s0, s13, s14
	s_cmp_lt_i32 s0, 1
	s_cbranch_scc1 .LBB52_41
; %bb.24:
	v_mov_b32_e32 v14, 0
	v_mov_b32_e32 v15, 0
	v_cmp_gt_i32_e32 vcc_lo, s13, v55
	v_or_b32_e32 v20, 1, v55
	s_delay_alu instid0(VALU_DEP_4) | instskip(NEXT) | instid1(VALU_DEP_4)
	v_mov_b32_e32 v12, v14
	v_dual_mov_b32 v10, v14 :: v_dual_mov_b32 v11, v15
	v_dual_mov_b32 v17, v15 :: v_dual_mov_b32 v16, v14
	v_mov_b32_e32 v13, v15
	s_and_saveexec_b32 s1, vcc_lo
	s_cbranch_execz .LBB52_32
; %bb.25:
	s_waitcnt lgkmcnt(0)
	v_mul_lo_u32 v10, v55, s4
	v_mov_b32_e32 v12, 0
	v_mov_b32_e32 v13, 0
	s_mov_b32 s2, exec_lo
	s_delay_alu instid0(VALU_DEP_1) | instskip(NEXT) | instid1(VALU_DEP_4)
	v_dual_mov_b32 v17, v13 :: v_dual_mov_b32 v16, v12
	v_ashrrev_i32_e32 v11, 31, v10
	v_dual_mov_b32 v15, v13 :: v_dual_mov_b32 v14, v12
	s_delay_alu instid0(VALU_DEP_2) | instskip(NEXT) | instid1(VALU_DEP_1)
	v_lshlrev_b64 v[10:11], 3, v[10:11]
	v_add_co_u32 v10, s0, s20, v10
	s_delay_alu instid0(VALU_DEP_1)
	v_add_co_ci_u32_e64 v11, s0, s21, v11, s0
	global_load_b64 v[10:11], v[10:11], off
	v_cmpx_gt_i32_e64 s13, v20
	s_cbranch_execz .LBB52_31
; %bb.26:
	v_mul_lo_u32 v12, v20, s4
	v_mov_b32_e32 v16, 0
	v_mov_b32_e32 v17, 0
	v_or_b32_e32 v18, 2, v55
	s_delay_alu instid0(VALU_DEP_3) | instskip(SKIP_1) | instid1(VALU_DEP_3)
	v_mov_b32_e32 v14, v16
	s_mov_b32 s3, exec_lo
	v_mov_b32_e32 v15, v17
	v_ashrrev_i32_e32 v13, 31, v12
	s_delay_alu instid0(VALU_DEP_1) | instskip(NEXT) | instid1(VALU_DEP_1)
	v_lshlrev_b64 v[12:13], 3, v[12:13]
	v_add_co_u32 v12, s0, s20, v12
	s_delay_alu instid0(VALU_DEP_1)
	v_add_co_ci_u32_e64 v13, s0, s21, v13, s0
	global_load_b64 v[12:13], v[12:13], off
	v_cmpx_gt_i32_e64 s13, v18
	s_cbranch_execz .LBB52_30
; %bb.27:
	v_mul_lo_u32 v14, v18, s4
	v_or_b32_e32 v18, 3, v55
	s_mov_b32 s14, exec_lo
	s_delay_alu instid0(VALU_DEP_2) | instskip(NEXT) | instid1(VALU_DEP_1)
	v_ashrrev_i32_e32 v15, 31, v14
	v_lshlrev_b64 v[14:15], 3, v[14:15]
	s_delay_alu instid0(VALU_DEP_1) | instskip(NEXT) | instid1(VALU_DEP_1)
	v_add_co_u32 v14, s0, s20, v14
	v_add_co_ci_u32_e64 v15, s0, s21, v15, s0
	global_load_b64 v[16:17], v[14:15], off
	v_mov_b32_e32 v14, 0
	v_mov_b32_e32 v15, 0
	v_cmpx_gt_i32_e64 s13, v18
	s_cbranch_execz .LBB52_29
; %bb.28:
	v_mul_lo_u32 v14, v18, s4
	s_delay_alu instid0(VALU_DEP_1) | instskip(NEXT) | instid1(VALU_DEP_1)
	v_ashrrev_i32_e32 v15, 31, v14
	v_lshlrev_b64 v[14:15], 3, v[14:15]
	s_delay_alu instid0(VALU_DEP_1) | instskip(NEXT) | instid1(VALU_DEP_1)
	v_add_co_u32 v14, s0, s20, v14
	v_add_co_ci_u32_e64 v15, s0, s21, v15, s0
	global_load_b64 v[14:15], v[14:15], off
.LBB52_29:
	s_or_b32 exec_lo, exec_lo, s14
.LBB52_30:
	s_delay_alu instid0(SALU_CYCLE_1)
	s_or_b32 exec_lo, exec_lo, s3
.LBB52_31:
	s_delay_alu instid0(SALU_CYCLE_1)
	s_or_b32 exec_lo, exec_lo, s2
.LBB52_32:
	s_delay_alu instid0(SALU_CYCLE_1) | instskip(NEXT) | instid1(SALU_CYCLE_1)
	s_or_b32 exec_lo, exec_lo, s1
	s_mov_b32 s1, exec_lo
	v_cmpx_gt_i32_e64 s12, v54
	s_cbranch_execz .LBB52_40
; %bb.33:
	v_mul_lo_u32 v18, v55, s18
	v_mul_lo_u32 v21, v20, s18
	v_or_b32_e32 v22, 2, v55
	s_mov_b32 s0, exec_lo
	s_delay_alu instid0(VALU_DEP_1) | instskip(NEXT) | instid1(VALU_DEP_4)
	v_mul_lo_u32 v23, v22, s18
	v_cndmask_b32_e32 v18, 0, v18, vcc_lo
	s_delay_alu instid0(VALU_DEP_1) | instskip(NEXT) | instid1(VALU_DEP_1)
	v_add_nc_u32_e32 v18, v18, v54
	v_ashrrev_i32_e32 v19, 31, v18
	s_delay_alu instid0(VALU_DEP_1) | instskip(NEXT) | instid1(VALU_DEP_1)
	v_lshlrev_b64 v[18:19], 3, v[18:19]
	v_add_co_u32 v18, vcc_lo, s15, v18
	s_delay_alu instid0(VALU_DEP_2) | instskip(SKIP_3) | instid1(VALU_DEP_1)
	v_add_co_ci_u32_e32 v19, vcc_lo, s19, v19, vcc_lo
	v_cmp_gt_i32_e32 vcc_lo, s13, v20
	global_load_b64 v[28:29], v[18:19], off
	v_cndmask_b32_e32 v20, 0, v21, vcc_lo
	v_add_nc_u32_e32 v20, v20, v54
	s_delay_alu instid0(VALU_DEP_1) | instskip(NEXT) | instid1(VALU_DEP_1)
	v_ashrrev_i32_e32 v21, 31, v20
	v_lshlrev_b64 v[20:21], 3, v[20:21]
	s_delay_alu instid0(VALU_DEP_1) | instskip(NEXT) | instid1(VALU_DEP_2)
	v_add_co_u32 v20, vcc_lo, s15, v20
	v_add_co_ci_u32_e32 v21, vcc_lo, s19, v21, vcc_lo
	v_cmp_gt_i32_e32 vcc_lo, s13, v22
	global_load_b64 v[30:31], v[20:21], off
	v_cndmask_b32_e32 v22, 0, v23, vcc_lo
	s_delay_alu instid0(VALU_DEP_1) | instskip(NEXT) | instid1(VALU_DEP_1)
	v_add_nc_u32_e32 v22, v22, v54
	v_ashrrev_i32_e32 v23, 31, v22
	s_delay_alu instid0(VALU_DEP_1) | instskip(NEXT) | instid1(VALU_DEP_1)
	v_lshlrev_b64 v[22:23], 3, v[22:23]
	v_add_co_u32 v24, vcc_lo, s15, v22
	s_delay_alu instid0(VALU_DEP_2) | instskip(SKIP_4) | instid1(VALU_DEP_2)
	v_add_co_ci_u32_e32 v25, vcc_lo, s19, v23, vcc_lo
	v_or_b32_e32 v22, 3, v55
	global_load_b64 v[32:33], v[24:25], off
	v_mul_lo_u32 v23, v22, s18
	v_cmp_gt_i32_e32 vcc_lo, s13, v22
	v_cndmask_b32_e32 v22, 0, v23, vcc_lo
	s_delay_alu instid0(VALU_DEP_1) | instskip(NEXT) | instid1(VALU_DEP_1)
	v_add_nc_u32_e32 v22, v22, v54
	v_ashrrev_i32_e32 v23, 31, v22
	s_delay_alu instid0(VALU_DEP_1) | instskip(NEXT) | instid1(VALU_DEP_1)
	v_lshlrev_b64 v[22:23], 3, v[22:23]
	v_add_co_u32 v26, vcc_lo, s15, v22
	s_delay_alu instid0(VALU_DEP_2)
	v_add_co_ci_u32_e32 v27, vcc_lo, s19, v23, vcc_lo
	global_load_b64 v[22:23], v[26:27], off
	s_waitcnt vmcnt(3)
	v_fma_f64 v[8:9], v[10:11], v[28:29], v[8:9]
	v_add_nc_u32_e32 v28, 64, v54
	s_waitcnt vmcnt(2)
	s_delay_alu instid0(VALU_DEP_2) | instskip(SKIP_1) | instid1(VALU_DEP_1)
	v_fma_f64 v[8:9], v[12:13], v[30:31], v[8:9]
	s_waitcnt vmcnt(1)
	v_fma_f64 v[8:9], v[16:17], v[32:33], v[8:9]
	v_cmpx_gt_i32_e64 s12, v28
	s_cbranch_execz .LBB52_39
; %bb.34:
	s_clause 0x3
	global_load_b64 v[30:31], v[18:19], off offset:512
	global_load_b64 v[32:33], v[20:21], off offset:512
	;; [unrolled: 1-line block ×4, first 2 shown]
	s_mov_b32 s2, exec_lo
	s_waitcnt vmcnt(3)
	v_fma_f64 v[6:7], v[10:11], v[30:31], v[6:7]
	v_add_nc_u32_e32 v30, 0x80, v54
	s_waitcnt vmcnt(2)
	s_delay_alu instid0(VALU_DEP_2) | instskip(SKIP_1) | instid1(VALU_DEP_1)
	v_fma_f64 v[6:7], v[12:13], v[32:33], v[6:7]
	s_waitcnt vmcnt(1)
	v_fma_f64 v[6:7], v[16:17], v[34:35], v[6:7]
	v_cmpx_gt_i32_e64 s12, v30
	s_cbranch_execz .LBB52_38
; %bb.35:
	s_clause 0x3
	global_load_b64 v[32:33], v[18:19], off offset:1024
	global_load_b64 v[34:35], v[20:21], off offset:1024
	;; [unrolled: 1-line block ×4, first 2 shown]
	s_mov_b32 s3, exec_lo
	s_waitcnt vmcnt(3)
	v_fma_f64 v[4:5], v[10:11], v[32:33], v[4:5]
	v_add_nc_u32_e32 v32, 0xc0, v54
	s_waitcnt vmcnt(2)
	s_delay_alu instid0(VALU_DEP_2) | instskip(SKIP_1) | instid1(VALU_DEP_1)
	v_fma_f64 v[4:5], v[12:13], v[34:35], v[4:5]
	s_waitcnt vmcnt(1)
	v_fma_f64 v[4:5], v[16:17], v[36:37], v[4:5]
	v_cmpx_gt_i32_e64 s12, v32
	s_cbranch_execz .LBB52_37
; %bb.36:
	s_clause 0x3
	global_load_b64 v[18:19], v[18:19], off offset:1536
	global_load_b64 v[20:21], v[20:21], off offset:1536
	;; [unrolled: 1-line block ×4, first 2 shown]
	s_waitcnt vmcnt(3)
	v_fma_f64 v[2:3], v[10:11], v[18:19], v[2:3]
	s_waitcnt vmcnt(2)
	s_delay_alu instid0(VALU_DEP_1) | instskip(SKIP_1) | instid1(VALU_DEP_1)
	v_fma_f64 v[2:3], v[12:13], v[20:21], v[2:3]
	s_waitcnt vmcnt(1)
	v_fma_f64 v[2:3], v[16:17], v[24:25], v[2:3]
	s_waitcnt vmcnt(0)
	s_delay_alu instid0(VALU_DEP_1)
	v_fma_f64 v[2:3], v[14:15], v[26:27], v[2:3]
.LBB52_37:
	s_or_b32 exec_lo, exec_lo, s3
	s_waitcnt vmcnt(0)
	s_delay_alu instid0(VALU_DEP_2)
	v_fma_f64 v[4:5], v[14:15], v[30:31], v[4:5]
.LBB52_38:
	s_or_b32 exec_lo, exec_lo, s2
	s_waitcnt vmcnt(0)
	s_delay_alu instid0(VALU_DEP_2)
	v_fma_f64 v[6:7], v[14:15], v[28:29], v[6:7]
.LBB52_39:
	s_or_b32 exec_lo, exec_lo, s0
	s_waitcnt vmcnt(0)
	s_delay_alu instid0(VALU_DEP_2)
	v_fma_f64 v[8:9], v[14:15], v[22:23], v[8:9]
.LBB52_40:
	s_or_b32 exec_lo, exec_lo, s1
.LBB52_41:
	v_lshlrev_b32_e32 v0, 8, v0
	s_mov_b32 s0, exec_lo
	s_delay_alu instid0(VALU_DEP_1)
	v_add_lshl_u32 v0, v0, v1, 3
	ds_store_2addr_stride64_b64 v0, v[8:9], v[6:7] offset1:1
	ds_store_2addr_stride64_b64 v0, v[4:5], v[2:3] offset0:2 offset1:3
	s_waitcnt vmcnt(0) lgkmcnt(0)
	s_barrier
	buffer_gl0_inv
                                        ; implicit-def: $vgpr4_vgpr5
                                        ; implicit-def: $vgpr2_vgpr3
	v_cmpx_gt_u32_e32 0x100, v53
	s_cbranch_execz .LBB52_47
; %bb.42:
	v_lshlrev_b32_e32 v7, 3, v53
	v_or_b32_e32 v6, s5, v53
	s_mov_b32 s2, s17
	s_mov_b32 s1, exec_lo
	ds_load_2addr_stride64_b64 v[0:3], v7 offset1:4
	s_waitcnt lgkmcnt(0)
	v_add_f64 v[4:5], v[0:1], v[2:3]
	ds_load_2addr_stride64_b64 v[0:3], v7 offset0:8 offset1:12
	s_waitcnt lgkmcnt(0)
	v_add_f64 v[0:1], v[0:1], v[4:5]
                                        ; implicit-def: $vgpr4_vgpr5
	s_delay_alu instid0(VALU_DEP_1)
	v_add_f64 v[0:1], v[2:3], v[0:1]
                                        ; implicit-def: $vgpr2_vgpr3
	ds_store_b64 v7, v[0:1]
	v_cmpx_gt_i32_e64 s12, v6
	s_cbranch_execz .LBB52_46
; %bb.43:
	v_cmp_eq_f64_e64 s2, s[6:7], 0
	v_mul_f64 v[4:5], s[8:9], v[0:1]
	v_mul_lo_u32 v2, v6, s16
	s_delay_alu instid0(VALU_DEP_1) | instskip(NEXT) | instid1(VALU_DEP_4)
	v_ashrrev_i32_e32 v3, 31, v2
	s_and_b32 vcc_lo, exec_lo, s2
	s_cbranch_vccnz .LBB52_45
; %bb.44:
	s_delay_alu instid0(VALU_DEP_1) | instskip(NEXT) | instid1(VALU_DEP_1)
	v_lshlrev_b64 v[0:1], 3, v[2:3]
	v_add_co_u32 v0, vcc_lo, s10, v0
	s_delay_alu instid0(VALU_DEP_2)
	v_add_co_ci_u32_e32 v1, vcc_lo, s11, v1, vcc_lo
	global_load_b64 v[0:1], v[0:1], off
	s_waitcnt vmcnt(0)
	v_fma_f64 v[4:5], s[6:7], v[0:1], v[4:5]
.LBB52_45:
	s_or_b32 s2, s17, exec_lo
.LBB52_46:
	s_or_b32 exec_lo, exec_lo, s1
	s_delay_alu instid0(SALU_CYCLE_1) | instskip(SKIP_1) | instid1(SALU_CYCLE_1)
	s_and_not1_b32 s1, s17, exec_lo
	s_and_b32 s2, s2, exec_lo
	s_or_b32 s17, s1, s2
.LBB52_47:
	s_or_b32 exec_lo, exec_lo, s0
.LBB52_48:
	s_and_saveexec_b32 s0, s17
	s_cbranch_execz .LBB52_50
; %bb.49:
	v_lshlrev_b64 v[0:1], 3, v[2:3]
	s_delay_alu instid0(VALU_DEP_1) | instskip(NEXT) | instid1(VALU_DEP_2)
	v_add_co_u32 v0, vcc_lo, s10, v0
	v_add_co_ci_u32_e32 v1, vcc_lo, s11, v1, vcc_lo
	global_store_b64 v[0:1], v[4:5], off
.LBB52_50:
	s_nop 0
	s_sendmsg sendmsg(MSG_DEALLOC_VGPRS)
	s_endpgm
	.section	.rodata,"a",@progbits
	.p2align	6, 0x0
	.amdhsa_kernel _ZL20rocblas_gemvn_kernelILi64ELi4EidPKddEviiT3_lPKT2_lT1_lS5_lS6_lS2_lPT4_lS6_li
		.amdhsa_group_segment_fixed_size 8192
		.amdhsa_private_segment_fixed_size 0
		.amdhsa_kernarg_size 400
		.amdhsa_user_sgpr_count 14
		.amdhsa_user_sgpr_dispatch_ptr 0
		.amdhsa_user_sgpr_queue_ptr 0
		.amdhsa_user_sgpr_kernarg_segment_ptr 1
		.amdhsa_user_sgpr_dispatch_id 0
		.amdhsa_user_sgpr_private_segment_size 0
		.amdhsa_wavefront_size32 1
		.amdhsa_uses_dynamic_stack 0
		.amdhsa_enable_private_segment 0
		.amdhsa_system_sgpr_workgroup_id_x 1
		.amdhsa_system_sgpr_workgroup_id_y 0
		.amdhsa_system_sgpr_workgroup_id_z 1
		.amdhsa_system_sgpr_workgroup_info 0
		.amdhsa_system_vgpr_workitem_id 1
		.amdhsa_next_free_vgpr 61
		.amdhsa_next_free_sgpr 30
		.amdhsa_reserve_vcc 1
		.amdhsa_float_round_mode_32 0
		.amdhsa_float_round_mode_16_64 0
		.amdhsa_float_denorm_mode_32 3
		.amdhsa_float_denorm_mode_16_64 3
		.amdhsa_dx10_clamp 1
		.amdhsa_ieee_mode 1
		.amdhsa_fp16_overflow 0
		.amdhsa_workgroup_processor_mode 1
		.amdhsa_memory_ordered 1
		.amdhsa_forward_progress 0
		.amdhsa_shared_vgpr_count 0
		.amdhsa_exception_fp_ieee_invalid_op 0
		.amdhsa_exception_fp_denorm_src 0
		.amdhsa_exception_fp_ieee_div_zero 0
		.amdhsa_exception_fp_ieee_overflow 0
		.amdhsa_exception_fp_ieee_underflow 0
		.amdhsa_exception_fp_ieee_inexact 0
		.amdhsa_exception_int_div_zero 0
	.end_amdhsa_kernel
	.section	.text._ZL20rocblas_gemvn_kernelILi64ELi4EidPKddEviiT3_lPKT2_lT1_lS5_lS6_lS2_lPT4_lS6_li,"axG",@progbits,_ZL20rocblas_gemvn_kernelILi64ELi4EidPKddEviiT3_lPKT2_lT1_lS5_lS6_lS2_lPT4_lS6_li,comdat
.Lfunc_end52:
	.size	_ZL20rocblas_gemvn_kernelILi64ELi4EidPKddEviiT3_lPKT2_lT1_lS5_lS6_lS2_lPT4_lS6_li, .Lfunc_end52-_ZL20rocblas_gemvn_kernelILi64ELi4EidPKddEviiT3_lPKT2_lT1_lS5_lS6_lS2_lPT4_lS6_li
                                        ; -- End function
	.section	.AMDGPU.csdata,"",@progbits
; Kernel info:
; codeLenInByte = 3180
; NumSgprs: 32
; NumVgprs: 61
; ScratchSize: 0
; MemoryBound: 0
; FloatMode: 240
; IeeeMode: 1
; LDSByteSize: 8192 bytes/workgroup (compile time only)
; SGPRBlocks: 3
; VGPRBlocks: 7
; NumSGPRsForWavesPerEU: 32
; NumVGPRsForWavesPerEU: 61
; Occupancy: 16
; WaveLimiterHint : 1
; COMPUTE_PGM_RSRC2:SCRATCH_EN: 0
; COMPUTE_PGM_RSRC2:USER_SGPR: 14
; COMPUTE_PGM_RSRC2:TRAP_HANDLER: 0
; COMPUTE_PGM_RSRC2:TGID_X_EN: 1
; COMPUTE_PGM_RSRC2:TGID_Y_EN: 0
; COMPUTE_PGM_RSRC2:TGID_Z_EN: 1
; COMPUTE_PGM_RSRC2:TIDIG_COMP_CNT: 1
	.section	.text._ZL20rocblas_gemvn_kernelILi64ELi4EldPKddEviiT3_lPKT2_lT1_lS5_lS6_lS2_lPT4_lS6_li,"axG",@progbits,_ZL20rocblas_gemvn_kernelILi64ELi4EldPKddEviiT3_lPKT2_lT1_lS5_lS6_lS2_lPT4_lS6_li,comdat
	.globl	_ZL20rocblas_gemvn_kernelILi64ELi4EldPKddEviiT3_lPKT2_lT1_lS5_lS6_lS2_lPT4_lS6_li ; -- Begin function _ZL20rocblas_gemvn_kernelILi64ELi4EldPKddEviiT3_lPKT2_lT1_lS5_lS6_lS2_lPT4_lS6_li
	.p2align	8
	.type	_ZL20rocblas_gemvn_kernelILi64ELi4EldPKddEviiT3_lPKT2_lT1_lS5_lS6_lS2_lPT4_lS6_li,@function
_ZL20rocblas_gemvn_kernelILi64ELi4EldPKddEviiT3_lPKT2_lT1_lS5_lS6_lS2_lPT4_lS6_li: ; @_ZL20rocblas_gemvn_kernelILi64ELi4EldPKddEviiT3_lPKT2_lT1_lS5_lS6_lS2_lPT4_lS6_li
; %bb.0:
	s_load_b64 s[2:3], s[0:1], 0x9c
	s_waitcnt lgkmcnt(0)
	s_lshr_b32 s4, s2, 16
	s_and_b32 s2, s2, 0xffff
	s_and_b32 s3, s3, 0xffff
	s_mul_i32 s2, s4, s2
	s_delay_alu instid0(SALU_CYCLE_1) | instskip(NEXT) | instid1(SALU_CYCLE_1)
	s_mul_i32 s2, s2, s3
	s_cmpk_lg_i32 s2, 0x100
	s_cbranch_scc1 .LBB53_50
; %bb.1:
	s_clause 0x1
	s_load_b512 s[36:51], s[0:1], 0x8
	s_load_b512 s[16:31], s[0:1], 0x48
	s_waitcnt lgkmcnt(0)
	s_mul_i32 s3, s15, s39
	s_mul_hi_u32 s4, s15, s38
	s_mul_i32 s2, s15, s38
	s_add_i32 s3, s4, s3
	s_mul_i32 s4, s15, s23
	s_lshl_b64 s[2:3], s[2:3], 3
	s_mul_hi_u32 s5, s15, s22
	s_add_u32 s2, s36, s2
	s_addc_u32 s3, s37, s3
	s_add_i32 s5, s5, s4
	s_mul_i32 s4, s15, s22
	s_delay_alu instid0(SALU_CYCLE_1) | instskip(NEXT) | instid1(SALU_CYCLE_1)
	s_lshl_b64 s[4:5], s[4:5], 3
	s_add_u32 s4, s20, s4
	s_addc_u32 s5, s21, s5
	s_load_b64 s[8:9], s[2:3], 0x0
	s_load_b64 s[6:7], s[4:5], 0x0
	s_waitcnt lgkmcnt(0)
	v_cmp_eq_f64_e64 s2, s[8:9], 0
	v_cmp_eq_f64_e64 s3, s[6:7], 1.0
	s_delay_alu instid0(VALU_DEP_1) | instskip(NEXT) | instid1(SALU_CYCLE_1)
	s_and_b32 s2, s2, s3
	s_and_b32 vcc_lo, exec_lo, s2
	s_cbranch_vccnz .LBB53_50
; %bb.2:
	v_cmp_neq_f64_e64 s2, s[8:9], 0
	s_load_b64 s[10:11], s[0:1], 0x0
	v_and_b32_e32 v53, 0x3ff, v0
	v_bfe_u32 v54, v0, 10, 10
	s_mul_i32 s1, s15, s31
	s_mul_hi_u32 s3, s15, s30
	s_mul_i32 s0, s15, s30
	s_add_i32 s1, s3, s1
	v_lshl_add_u32 v52, v54, 6, v53
	s_lshl_b64 s[0:1], s[0:1], 3
	s_delay_alu instid0(SALU_CYCLE_1)
	s_add_u32 s3, s24, s0
	s_addc_u32 s4, s25, s1
	s_lshl_b64 s[0:1], s[26:27], 3
	s_mov_b32 s25, 0
	s_add_u32 s5, s3, s0
	v_cmp_gt_u32_e64 s0, 0x100, v52
	s_addc_u32 s24, s4, s1
	s_and_b32 vcc_lo, exec_lo, s2
	s_cbranch_vccnz .LBB53_9
; %bb.3:
	s_mov_b32 s1, 0
                                        ; implicit-def: $vgpr2_vgpr3
                                        ; implicit-def: $vgpr0_vgpr1
	s_and_saveexec_b32 s2, s0
	s_cbranch_execz .LBB53_10
; %bb.4:
	v_lshl_or_b32 v4, s14, 8, v52
	v_mov_b32_e32 v5, 0
	s_waitcnt lgkmcnt(0)
	s_ashr_i32 s13, s10, 31
	s_mov_b32 s12, s10
	s_mov_b32 s3, 0
	s_mov_b32 s0, exec_lo
                                        ; implicit-def: $vgpr2_vgpr3
                                        ; implicit-def: $vgpr0_vgpr1
	v_cmpx_gt_i64_e64 s[12:13], v[4:5]
	s_cbranch_execz .LBB53_8
; %bb.5:
	v_cmp_eq_f64_e64 s3, s[6:7], 0
	v_mad_u64_u32 v[0:1], null, v4, s28, 0
	s_delay_alu instid0(VALU_DEP_1) | instskip(NEXT) | instid1(VALU_DEP_1)
	v_mad_u64_u32 v[2:3], null, v4, s29, v[1:2]
	v_dual_mov_b32 v1, v2 :: v_dual_mov_b32 v2, 0
	v_mov_b32_e32 v3, 0
	s_and_b32 vcc_lo, exec_lo, s3
	s_cbranch_vccnz .LBB53_7
; %bb.6:
	s_delay_alu instid0(VALU_DEP_2) | instskip(NEXT) | instid1(VALU_DEP_1)
	v_lshlrev_b64 v[2:3], 3, v[0:1]
	v_add_co_u32 v2, vcc_lo, s5, v2
	s_delay_alu instid0(VALU_DEP_2)
	v_add_co_ci_u32_e32 v3, vcc_lo, s24, v3, vcc_lo
	global_load_b64 v[2:3], v[2:3], off
	s_waitcnt vmcnt(0)
	v_mul_f64 v[2:3], s[6:7], v[2:3]
.LBB53_7:
	s_mov_b32 s3, exec_lo
.LBB53_8:
	s_or_b32 exec_lo, exec_lo, s0
	s_delay_alu instid0(SALU_CYCLE_1) | instskip(SKIP_1) | instid1(SALU_CYCLE_1)
	s_and_b32 s25, s3, exec_lo
	s_or_b32 exec_lo, exec_lo, s2
	s_and_b32 vcc_lo, exec_lo, s1
	s_cbranch_vccnz .LBB53_11
	s_branch .LBB53_48
.LBB53_9:
                                        ; implicit-def: $vgpr2_vgpr3
                                        ; implicit-def: $vgpr0_vgpr1
	s_cbranch_execnz .LBB53_11
	s_branch .LBB53_48
.LBB53_10:
	s_or_b32 exec_lo, exec_lo, s2
	s_delay_alu instid0(SALU_CYCLE_1)
	s_and_b32 vcc_lo, exec_lo, s1
	s_cbranch_vccz .LBB53_48
.LBB53_11:
	v_dual_mov_b32 v8, 0 :: v_dual_lshlrev_b32 v55, 2, v54
	s_mul_i32 s0, s15, s47
	s_mul_hi_u32 s1, s15, s46
	s_lshl_b32 s26, s14, 8
	s_delay_alu instid0(SALU_CYCLE_1) | instskip(SKIP_3) | instid1(VALU_DEP_1)
	v_dual_mov_b32 v9, 0 :: v_dual_add_nc_u32 v0, s26, v53
	s_add_i32 s13, s1, s0
	s_waitcnt lgkmcnt(0)
	s_ashr_i32 s1, s11, 31
	v_dual_mov_b32 v6, v8 :: v_dual_mov_b32 v7, v9
	s_lshr_b32 s1, s1, 28
	v_dual_mov_b32 v4, v8 :: v_dual_mov_b32 v5, v9
	v_dual_mov_b32 v2, v8 :: v_dual_mov_b32 v3, v9
	s_mul_i32 s0, s15, s19
	s_mul_hi_u32 s2, s15, s18
	s_add_i32 s1, s11, s1
	s_mul_i32 s12, s15, s46
	s_and_b32 s27, s1, -16
	s_add_i32 s19, s2, s0
	s_mul_i32 s18, s15, s18
	s_mov_b32 s30, exec_lo
	v_cmpx_gt_i32_e64 s27, v55
	s_cbranch_execz .LBB53_23
; %bb.12:
	v_lshlrev_b32_e32 v21, 2, v54
	v_mad_u64_u32 v[2:3], null, s16, v54, 0
	s_lshl_b64 s[0:1], s[18:19], 3
	s_lshl_b64 s[14:15], s[50:51], 3
	s_delay_alu instid0(VALU_DEP_2)
	v_or_b32_e32 v12, 3, v21
	s_add_u32 s4, s48, s0
	v_ashrrev_i32_e32 v1, 31, v0
	s_addc_u32 s31, s49, s1
	s_lshl_b64 s[22:23], s[42:43], 3
	v_mad_u64_u32 v[4:5], null, s44, v12, 0
	s_lshl_b64 s[20:21], s[16:17], 7
	s_lshl_b64 s[34:35], s[12:13], 3
	v_cmp_gt_i32_e32 vcc_lo, s10, v0
	s_delay_alu instid0(VALU_DEP_2) | instskip(SKIP_1) | instid1(VALU_DEP_2)
	v_mad_u64_u32 v[6:7], null, s17, v54, v[3:4]
	v_mad_u64_u32 v[7:8], null, s16, v12, 0
	v_dual_mov_b32 v3, v6 :: v_dual_add_nc_u32 v14, 0xc0, v0
	v_mad_u64_u32 v[9:10], null, s45, v12, v[5:6]
	s_delay_alu instid0(VALU_DEP_3)
	v_mov_b32_e32 v6, v8
	v_or_b32_e32 v22, 2, v21
	v_mad_u64_u32 v[17:18], null, s16, v21, s[16:17]
	v_add_nc_u32_e32 v13, 0x80, v0
	v_lshlrev_b64 v[2:3], 5, v[2:3]
	v_mov_b32_e32 v5, v9
	v_mad_u64_u32 v[8:9], null, s17, v12, v[6:7]
	s_delay_alu instid0(VALU_DEP_4) | instskip(SKIP_3) | instid1(VALU_DEP_2)
	v_cmp_gt_i32_e64 s1, s10, v13
	v_mad_u64_u32 v[12:13], null, s44, v22, 0
	v_add_nc_u32_e32 v11, 64, v0
	v_cmp_gt_i32_e64 s2, s10, v14
	v_cmp_gt_i32_e64 s0, s10, v11
	v_lshlrev_b64 v[10:11], 3, v[0:1]
	v_add_co_u32 v1, s3, s4, v2
	s_delay_alu instid0(VALU_DEP_1)
	v_add_co_ci_u32_e64 v56, s3, s31, v3, s3
	v_lshlrev_b64 v[2:3], 3, v[4:5]
	v_mad_u64_u32 v[4:5], null, s44, v54, 0
	s_add_u32 s3, s40, s22
	s_addc_u32 s22, s41, s23
	s_add_u32 s23, s3, s34
	s_addc_u32 s22, s22, s35
	v_add_co_u32 v57, s3, s23, v2
	v_mov_b32_e32 v2, v13
	s_delay_alu instid0(VALU_DEP_3) | instskip(SKIP_3) | instid1(VALU_DEP_3)
	v_mad_u64_u32 v[14:15], null, s45, v54, v[5:6]
	v_mad_u64_u32 v[15:16], null, s16, v22, 0
	v_add_co_ci_u32_e64 v58, s3, s22, v3, s3
	v_lshlrev_b64 v[6:7], 3, v[7:8]
	v_mov_b32_e32 v3, v16
	s_delay_alu instid0(VALU_DEP_2) | instskip(SKIP_1) | instid1(VALU_DEP_3)
	v_add_co_u32 v59, s3, s4, v6
	v_mov_b32_e32 v6, v18
	v_mad_u64_u32 v[8:9], null, s45, v22, v[2:3]
	v_add_co_ci_u32_e64 v60, s3, s31, v7, s3
	v_mad_u64_u32 v[19:20], null, s17, v22, v[3:4]
	v_mad_u64_u32 v[2:3], null, s44, v21, s[44:45]
	s_delay_alu instid0(VALU_DEP_4) | instskip(SKIP_1) | instid1(VALU_DEP_4)
	v_mov_b32_e32 v13, v8
	v_mad_u64_u32 v[7:8], null, s17, v21, v[6:7]
	v_dual_mov_b32 v5, v14 :: v_dual_mov_b32 v16, v19
	s_delay_alu instid0(VALU_DEP_2) | instskip(NEXT) | instid1(VALU_DEP_2)
	v_mov_b32_e32 v18, v7
	v_lshlrev_b64 v[4:5], 5, v[4:5]
	s_delay_alu instid0(VALU_DEP_1) | instskip(NEXT) | instid1(VALU_DEP_1)
	v_add_co_u32 v61, s3, s23, v4
	v_add_co_ci_u32_e64 v62, s3, s22, v5, s3
	v_lshlrev_b64 v[4:5], 3, v[12:13]
	v_lshlrev_b64 v[12:13], 3, v[15:16]
	s_delay_alu instid0(VALU_DEP_2) | instskip(SKIP_1) | instid1(VALU_DEP_1)
	v_mad_u64_u32 v[8:9], null, s45, v21, v[3:4]
	v_add_co_u32 v63, s3, s23, v4
	v_add_co_ci_u32_e64 v64, s3, s22, v5, s3
	v_lshlrev_b64 v[4:5], 3, v[17:18]
	v_add_co_u32 v65, s3, s4, v12
	v_mov_b32_e32 v3, v8
	v_add_co_ci_u32_e64 v66, s3, s31, v13, s3
	v_mov_b32_e32 v8, 0
	v_mov_b32_e32 v9, 0
	s_delay_alu instid0(VALU_DEP_4) | instskip(SKIP_1) | instid1(VALU_DEP_1)
	v_lshlrev_b64 v[2:3], 3, v[2:3]
	v_add_co_u32 v67, s3, s4, v4
	v_add_co_ci_u32_e64 v68, s3, s31, v5, s3
	s_delay_alu instid0(VALU_DEP_4) | instskip(NEXT) | instid1(VALU_DEP_4)
	v_dual_mov_b32 v6, v8 :: v_dual_mov_b32 v7, v9
	v_add_co_u32 v69, s3, s23, v2
	s_delay_alu instid0(VALU_DEP_1)
	v_add_co_ci_u32_e64 v70, s3, s22, v3, s3
	v_dual_mov_b32 v4, v8 :: v_dual_mov_b32 v5, v9
	v_dual_mov_b32 v2, v8 :: v_dual_mov_b32 v3, v9
	s_lshl_b64 s[22:23], s[44:45], 7
	s_mov_b32 s31, 0
	s_branch .LBB53_17
.LBB53_13:                              ;   in Loop: Header=BB53_17 Depth=1
	s_or_b32 exec_lo, exec_lo, s34
	s_waitcnt vmcnt(3)
	v_fma_f64 v[4:5], v[12:13], v[44:45], v[4:5]
	s_waitcnt vmcnt(2)
	s_delay_alu instid0(VALU_DEP_1) | instskip(SKIP_1) | instid1(VALU_DEP_1)
	v_fma_f64 v[4:5], v[14:15], v[46:47], v[4:5]
	s_waitcnt vmcnt(1)
	v_fma_f64 v[4:5], v[16:17], v[48:49], v[4:5]
	s_waitcnt vmcnt(0)
	s_delay_alu instid0(VALU_DEP_1)
	v_fma_f64 v[4:5], v[18:19], v[50:51], v[4:5]
.LBB53_14:                              ;   in Loop: Header=BB53_17 Depth=1
	s_or_b32 exec_lo, exec_lo, s33
	s_waitcnt vmcnt(3)
	v_fma_f64 v[6:7], v[12:13], v[34:35], v[6:7]
	s_waitcnt vmcnt(2)
	s_delay_alu instid0(VALU_DEP_1) | instskip(SKIP_1) | instid1(VALU_DEP_1)
	v_fma_f64 v[6:7], v[14:15], v[36:37], v[6:7]
	s_waitcnt vmcnt(1)
	v_fma_f64 v[6:7], v[16:17], v[38:39], v[6:7]
	s_waitcnt vmcnt(0)
	s_delay_alu instid0(VALU_DEP_1)
	v_fma_f64 v[6:7], v[18:19], v[40:41], v[6:7]
.LBB53_15:                              ;   in Loop: Header=BB53_17 Depth=1
	s_or_b32 exec_lo, exec_lo, s3
	s_waitcnt vmcnt(3)
	v_fma_f64 v[8:9], v[12:13], v[20:21], v[8:9]
	s_waitcnt vmcnt(2)
	s_delay_alu instid0(VALU_DEP_1) | instskip(SKIP_1) | instid1(VALU_DEP_1)
	v_fma_f64 v[8:9], v[14:15], v[22:23], v[8:9]
	s_waitcnt vmcnt(1)
	v_fma_f64 v[8:9], v[16:17], v[24:25], v[8:9]
	s_waitcnt vmcnt(0)
	s_delay_alu instid0(VALU_DEP_1)
	v_fma_f64 v[8:9], v[18:19], v[26:27], v[8:9]
.LBB53_16:                              ;   in Loop: Header=BB53_17 Depth=1
	s_or_b32 exec_lo, exec_lo, s4
	v_add_co_u32 v1, s3, v1, s20
	s_delay_alu instid0(VALU_DEP_1) | instskip(SKIP_1) | instid1(VALU_DEP_1)
	v_add_co_ci_u32_e64 v56, s3, s21, v56, s3
	v_add_co_u32 v57, s3, v57, s22
	v_add_co_ci_u32_e64 v58, s3, s23, v58, s3
	v_add_co_u32 v59, s3, v59, s20
	s_delay_alu instid0(VALU_DEP_1) | instskip(SKIP_1) | instid1(VALU_DEP_1)
	v_add_co_ci_u32_e64 v60, s3, s21, v60, s3
	v_add_co_u32 v61, s3, v61, s22
	v_add_co_ci_u32_e64 v62, s3, s23, v62, s3
	v_add_co_u32 v63, s3, v63, s22
	s_delay_alu instid0(VALU_DEP_1) | instskip(SKIP_4) | instid1(VALU_DEP_1)
	v_add_co_ci_u32_e64 v64, s3, s23, v64, s3
	v_add_co_u32 v65, s3, v65, s20
	v_add_nc_u32_e32 v55, 16, v55
	v_add_co_ci_u32_e64 v66, s3, s21, v66, s3
	v_add_co_u32 v67, s3, v67, s20
	v_add_co_ci_u32_e64 v68, s3, s21, v68, s3
	s_delay_alu instid0(VALU_DEP_4) | instskip(SKIP_1) | instid1(VALU_DEP_1)
	v_cmp_le_i32_e64 s3, s27, v55
	v_add_co_u32 v69, s4, v69, s22
	v_add_co_ci_u32_e64 v70, s4, s23, v70, s4
	s_delay_alu instid0(VALU_DEP_3) | instskip(NEXT) | instid1(SALU_CYCLE_1)
	s_or_b32 s31, s3, s31
	s_and_not1_b32 exec_lo, exec_lo, s31
	s_cbranch_execz .LBB53_22
.LBB53_17:                              ; =>This Inner Loop Header: Depth=1
	s_and_saveexec_b32 s4, vcc_lo
	s_cbranch_execz .LBB53_16
; %bb.18:                               ;   in Loop: Header=BB53_17 Depth=1
	v_add_co_u32 v12, s3, v1, s14
	s_delay_alu instid0(VALU_DEP_1) | instskip(SKIP_1) | instid1(VALU_DEP_1)
	v_add_co_ci_u32_e64 v13, s3, s15, v56, s3
	v_add_co_u32 v14, s3, v67, s14
	v_add_co_ci_u32_e64 v15, s3, s15, v68, s3
	v_add_co_u32 v16, s3, v65, s14
	s_delay_alu instid0(VALU_DEP_1) | instskip(SKIP_1) | instid1(VALU_DEP_1)
	v_add_co_ci_u32_e64 v17, s3, s15, v66, s3
	v_add_co_u32 v18, s3, v59, s14
	v_add_co_ci_u32_e64 v19, s3, s15, v60, s3
	;; [unrolled: 5-line block ×4, first 2 shown]
	global_load_b64 v[12:13], v[12:13], off
	global_load_b64 v[14:15], v[14:15], off
	;; [unrolled: 1-line block ×8, first 2 shown]
	s_and_saveexec_b32 s3, s0
	s_cbranch_execz .LBB53_15
; %bb.19:                               ;   in Loop: Header=BB53_17 Depth=1
	global_load_b64 v[34:35], v[28:29], off offset:512
	global_load_b64 v[36:37], v[30:31], off offset:512
	global_load_b64 v[38:39], v[32:33], off offset:512
	global_load_b64 v[40:41], v[42:43], off offset:512
	s_and_saveexec_b32 s33, s1
	s_cbranch_execz .LBB53_14
; %bb.20:                               ;   in Loop: Header=BB53_17 Depth=1
	global_load_b64 v[44:45], v[28:29], off offset:1024
	global_load_b64 v[46:47], v[30:31], off offset:1024
	global_load_b64 v[48:49], v[32:33], off offset:1024
	global_load_b64 v[50:51], v[42:43], off offset:1024
	;; [unrolled: 7-line block ×3, first 2 shown]
	s_waitcnt vmcnt(3)
	v_fma_f64 v[2:3], v[12:13], v[28:29], v[2:3]
	s_waitcnt vmcnt(2)
	s_delay_alu instid0(VALU_DEP_1) | instskip(SKIP_1) | instid1(VALU_DEP_1)
	v_fma_f64 v[2:3], v[14:15], v[30:31], v[2:3]
	s_waitcnt vmcnt(1)
	v_fma_f64 v[2:3], v[16:17], v[32:33], v[2:3]
	s_waitcnt vmcnt(0)
	s_delay_alu instid0(VALU_DEP_1)
	v_fma_f64 v[2:3], v[18:19], v[42:43], v[2:3]
	s_branch .LBB53_13
.LBB53_22:
	s_or_b32 exec_lo, exec_lo, s31
.LBB53_23:
	s_delay_alu instid0(SALU_CYCLE_1) | instskip(SKIP_1) | instid1(SALU_CYCLE_1)
	s_or_b32 exec_lo, exec_lo, s30
	s_sub_i32 s0, s11, s27
	s_cmp_lt_i32 s0, 1
	s_cbranch_scc1 .LBB53_41
; %bb.24:
	v_mov_b32_e32 v14, 0
	v_mov_b32_e32 v15, 0
	v_cmp_gt_i32_e32 vcc_lo, s11, v55
	v_or_b32_e32 v20, 1, v55
	s_delay_alu instid0(VALU_DEP_4) | instskip(NEXT) | instid1(VALU_DEP_4)
	v_mov_b32_e32 v12, v14
	v_dual_mov_b32 v10, v14 :: v_dual_mov_b32 v11, v15
	v_dual_mov_b32 v17, v15 :: v_dual_mov_b32 v16, v14
	v_mov_b32_e32 v13, v15
	s_and_saveexec_b32 s1, vcc_lo
	s_cbranch_execz .LBB53_32
; %bb.25:
	v_mad_u64_u32 v[10:11], null, v55, s16, 0
	s_lshl_b64 s[2:3], s[18:19], 3
	s_delay_alu instid0(SALU_CYCLE_1) | instskip(SKIP_2) | instid1(SALU_CYCLE_1)
	s_add_u32 s0, s48, s2
	s_addc_u32 s2, s49, s3
	s_lshl_b64 s[14:15], s[50:51], 3
	s_add_u32 s3, s0, s14
	s_delay_alu instid0(VALU_DEP_1) | instskip(SKIP_2) | instid1(VALU_DEP_1)
	v_mov_b32_e32 v1, v11
	s_addc_u32 s4, s2, s15
	s_mov_b32 s2, exec_lo
	v_mad_u64_u32 v[11:12], null, v55, s17, v[1:2]
	v_mov_b32_e32 v12, 0
	v_mov_b32_e32 v13, 0
	s_delay_alu instid0(VALU_DEP_1) | instskip(NEXT) | instid1(VALU_DEP_4)
	v_dual_mov_b32 v17, v13 :: v_dual_mov_b32 v16, v12
	v_lshlrev_b64 v[10:11], 3, v[10:11]
	v_dual_mov_b32 v15, v13 :: v_dual_mov_b32 v14, v12
	s_delay_alu instid0(VALU_DEP_2) | instskip(NEXT) | instid1(VALU_DEP_1)
	v_add_co_u32 v10, s0, s3, v10
	v_add_co_ci_u32_e64 v11, s0, s4, v11, s0
	global_load_b64 v[10:11], v[10:11], off
	v_cmpx_gt_i32_e64 s11, v20
	s_cbranch_execz .LBB53_31
; %bb.26:
	v_mad_u64_u32 v[12:13], null, v20, s16, 0
	s_mov_b32 s14, exec_lo
	v_mov_b32_e32 v16, 0
	v_mov_b32_e32 v17, 0
	s_delay_alu instid0(VALU_DEP_3) | instskip(NEXT) | instid1(VALU_DEP_1)
	v_mov_b32_e32 v1, v13
	v_mad_u64_u32 v[13:14], null, v20, s17, v[1:2]
	v_or_b32_e32 v1, 2, v55
	s_delay_alu instid0(VALU_DEP_4) | instskip(NEXT) | instid1(VALU_DEP_3)
	v_dual_mov_b32 v14, v16 :: v_dual_mov_b32 v15, v17
	v_lshlrev_b64 v[12:13], 3, v[12:13]
	s_delay_alu instid0(VALU_DEP_1) | instskip(NEXT) | instid1(VALU_DEP_1)
	v_add_co_u32 v12, s0, s3, v12
	v_add_co_ci_u32_e64 v13, s0, s4, v13, s0
	global_load_b64 v[12:13], v[12:13], off
	v_cmpx_gt_i32_e64 s11, v1
	s_cbranch_execz .LBB53_30
; %bb.27:
	v_mad_u64_u32 v[14:15], null, v1, s16, 0
	s_mov_b32 s15, exec_lo
	s_delay_alu instid0(VALU_DEP_1) | instskip(SKIP_1) | instid1(VALU_DEP_2)
	v_mad_u64_u32 v[16:17], null, v1, s17, v[15:16]
	v_or_b32_e32 v1, 3, v55
	v_mov_b32_e32 v15, v16
	s_delay_alu instid0(VALU_DEP_1) | instskip(NEXT) | instid1(VALU_DEP_1)
	v_lshlrev_b64 v[14:15], 3, v[14:15]
	v_add_co_u32 v14, s0, s3, v14
	s_delay_alu instid0(VALU_DEP_1)
	v_add_co_ci_u32_e64 v15, s0, s4, v15, s0
	global_load_b64 v[16:17], v[14:15], off
	v_mov_b32_e32 v14, 0
	v_mov_b32_e32 v15, 0
	v_cmpx_gt_i32_e64 s11, v1
	s_cbranch_execz .LBB53_29
; %bb.28:
	v_mad_u64_u32 v[14:15], null, v1, s16, 0
	s_waitcnt vmcnt(0)
	s_delay_alu instid0(VALU_DEP_1) | instskip(NEXT) | instid1(VALU_DEP_1)
	v_mad_u64_u32 v[18:19], null, v1, s17, v[15:16]
	v_mov_b32_e32 v15, v18
	s_delay_alu instid0(VALU_DEP_1) | instskip(NEXT) | instid1(VALU_DEP_1)
	v_lshlrev_b64 v[14:15], 3, v[14:15]
	v_add_co_u32 v14, s0, s3, v14
	s_delay_alu instid0(VALU_DEP_1)
	v_add_co_ci_u32_e64 v15, s0, s4, v15, s0
	global_load_b64 v[14:15], v[14:15], off
.LBB53_29:
	s_or_b32 exec_lo, exec_lo, s15
.LBB53_30:
	s_delay_alu instid0(SALU_CYCLE_1)
	s_or_b32 exec_lo, exec_lo, s14
.LBB53_31:
	s_delay_alu instid0(SALU_CYCLE_1)
	s_or_b32 exec_lo, exec_lo, s2
.LBB53_32:
	s_delay_alu instid0(SALU_CYCLE_1) | instskip(NEXT) | instid1(SALU_CYCLE_1)
	s_or_b32 exec_lo, exec_lo, s1
	s_mov_b32 s1, exec_lo
	v_cmpx_gt_i32_e64 s10, v0
	s_cbranch_execz .LBB53_40
; %bb.33:
	v_mad_u64_u32 v[18:19], null, v55, s44, 0
	v_mad_u64_u32 v[24:25], null, v20, s44, 0
	s_lshl_b64 s[2:3], s[12:13], 3
	v_or_b32_e32 v27, 2, v55
	s_add_u32 s0, s40, s2
	s_addc_u32 s4, s41, s3
	s_delay_alu instid0(VALU_DEP_3) | instskip(SKIP_3) | instid1(VALU_DEP_2)
	v_dual_mov_b32 v1, v19 :: v_dual_cndmask_b32 v18, 0, v18
	s_lshl_b64 s[2:3], s[42:43], 3
	v_or_b32_e32 v36, 3, v55
	s_add_u32 s0, s0, s2
	v_mad_u64_u32 v[21:22], null, v55, s45, v[1:2]
	v_ashrrev_i32_e32 v1, 31, v0
	s_addc_u32 s2, s4, s3
	s_delay_alu instid0(VALU_DEP_1) | instskip(NEXT) | instid1(VALU_DEP_3)
	v_lshlrev_b64 v[22:23], 3, v[0:1]
	v_cndmask_b32_e32 v19, 0, v21, vcc_lo
	s_delay_alu instid0(VALU_DEP_1) | instskip(NEXT) | instid1(VALU_DEP_1)
	v_lshlrev_b64 v[18:19], 3, v[18:19]
	v_add_co_u32 v1, vcc_lo, s0, v18
	s_delay_alu instid0(VALU_DEP_2) | instskip(NEXT) | instid1(VALU_DEP_2)
	v_add_co_ci_u32_e32 v19, vcc_lo, s2, v19, vcc_lo
	v_add_co_u32 v18, vcc_lo, v1, v22
	s_delay_alu instid0(VALU_DEP_2) | instskip(SKIP_4) | instid1(VALU_DEP_1)
	v_add_co_ci_u32_e32 v19, vcc_lo, v19, v23, vcc_lo
	v_mov_b32_e32 v1, v25
	v_cmp_gt_i32_e32 vcc_lo, s11, v20
	global_load_b64 v[28:29], v[18:19], off
	v_mad_u64_u32 v[25:26], null, v20, s45, v[1:2]
	v_dual_cndmask_b32 v20, 0, v24 :: v_dual_cndmask_b32 v21, 0, v25
	v_mad_u64_u32 v[24:25], null, v27, s44, 0
	s_delay_alu instid0(VALU_DEP_2) | instskip(NEXT) | instid1(VALU_DEP_1)
	v_lshlrev_b64 v[20:21], 3, v[20:21]
	v_add_co_u32 v1, vcc_lo, s0, v20
	s_delay_alu instid0(VALU_DEP_2) | instskip(NEXT) | instid1(VALU_DEP_2)
	v_add_co_ci_u32_e32 v21, vcc_lo, s2, v21, vcc_lo
	v_add_co_u32 v20, vcc_lo, v1, v22
	s_delay_alu instid0(VALU_DEP_2)
	v_add_co_ci_u32_e32 v21, vcc_lo, v21, v23, vcc_lo
	v_mov_b32_e32 v1, v25
	v_cmp_gt_i32_e32 vcc_lo, s11, v27
	global_load_b64 v[30:31], v[20:21], off
	v_mad_u64_u32 v[25:26], null, v27, s45, v[1:2]
	v_cndmask_b32_e32 v24, 0, v24, vcc_lo
	v_mad_u64_u32 v[26:27], null, v36, s44, 0
	s_delay_alu instid0(VALU_DEP_3) | instskip(NEXT) | instid1(VALU_DEP_1)
	v_cndmask_b32_e32 v25, 0, v25, vcc_lo
	v_lshlrev_b64 v[24:25], 3, v[24:25]
	s_delay_alu instid0(VALU_DEP_1) | instskip(NEXT) | instid1(VALU_DEP_2)
	v_add_co_u32 v1, vcc_lo, s0, v24
	v_add_co_ci_u32_e32 v25, vcc_lo, s2, v25, vcc_lo
	s_delay_alu instid0(VALU_DEP_2) | instskip(NEXT) | instid1(VALU_DEP_2)
	v_add_co_u32 v24, vcc_lo, v1, v22
	v_add_co_ci_u32_e32 v25, vcc_lo, v25, v23, vcc_lo
	v_mov_b32_e32 v1, v27
	v_cmp_gt_i32_e32 vcc_lo, s11, v36
	global_load_b64 v[32:33], v[24:25], off
	v_mad_u64_u32 v[34:35], null, v36, s45, v[1:2]
	v_cndmask_b32_e32 v26, 0, v26, vcc_lo
	s_delay_alu instid0(VALU_DEP_2) | instskip(NEXT) | instid1(VALU_DEP_1)
	v_cndmask_b32_e32 v27, 0, v34, vcc_lo
	v_lshlrev_b64 v[26:27], 3, v[26:27]
	s_delay_alu instid0(VALU_DEP_1) | instskip(NEXT) | instid1(VALU_DEP_2)
	v_add_co_u32 v1, vcc_lo, s0, v26
	v_add_co_ci_u32_e32 v27, vcc_lo, s2, v27, vcc_lo
	s_mov_b32 s0, exec_lo
	s_delay_alu instid0(VALU_DEP_2) | instskip(NEXT) | instid1(VALU_DEP_2)
	v_add_co_u32 v26, vcc_lo, v1, v22
	v_add_co_ci_u32_e32 v27, vcc_lo, v27, v23, vcc_lo
	v_add_nc_u32_e32 v1, 64, v0
	global_load_b64 v[22:23], v[26:27], off
	s_waitcnt vmcnt(3)
	v_fma_f64 v[8:9], v[10:11], v[28:29], v[8:9]
	s_waitcnt vmcnt(2)
	s_delay_alu instid0(VALU_DEP_1) | instskip(SKIP_1) | instid1(VALU_DEP_1)
	v_fma_f64 v[8:9], v[12:13], v[30:31], v[8:9]
	s_waitcnt vmcnt(1)
	v_fma_f64 v[8:9], v[16:17], v[32:33], v[8:9]
	v_cmpx_gt_i32_e64 s10, v1
	s_cbranch_execz .LBB53_39
; %bb.34:
	s_clause 0x3
	global_load_b64 v[30:31], v[18:19], off offset:512
	global_load_b64 v[32:33], v[20:21], off offset:512
	;; [unrolled: 1-line block ×4, first 2 shown]
	v_add_nc_u32_e32 v1, 0x80, v0
	s_mov_b32 s2, exec_lo
	s_waitcnt vmcnt(3)
	v_fma_f64 v[6:7], v[10:11], v[30:31], v[6:7]
	s_waitcnt vmcnt(2)
	s_delay_alu instid0(VALU_DEP_1) | instskip(SKIP_1) | instid1(VALU_DEP_1)
	v_fma_f64 v[6:7], v[12:13], v[32:33], v[6:7]
	s_waitcnt vmcnt(1)
	v_fma_f64 v[6:7], v[16:17], v[34:35], v[6:7]
	v_cmpx_gt_i32_e64 s10, v1
	s_cbranch_execz .LBB53_38
; %bb.35:
	s_clause 0x3
	global_load_b64 v[32:33], v[18:19], off offset:1024
	global_load_b64 v[34:35], v[20:21], off offset:1024
	;; [unrolled: 1-line block ×4, first 2 shown]
	v_add_nc_u32_e32 v0, 0xc0, v0
	s_mov_b32 s3, exec_lo
	s_waitcnt vmcnt(3)
	v_fma_f64 v[4:5], v[10:11], v[32:33], v[4:5]
	s_waitcnt vmcnt(2)
	s_delay_alu instid0(VALU_DEP_1) | instskip(SKIP_1) | instid1(VALU_DEP_1)
	v_fma_f64 v[4:5], v[12:13], v[34:35], v[4:5]
	s_waitcnt vmcnt(1)
	v_fma_f64 v[4:5], v[16:17], v[36:37], v[4:5]
	v_cmpx_gt_i32_e64 s10, v0
	s_cbranch_execz .LBB53_37
; %bb.36:
	s_clause 0x3
	global_load_b64 v[0:1], v[18:19], off offset:1536
	global_load_b64 v[18:19], v[20:21], off offset:1536
	;; [unrolled: 1-line block ×4, first 2 shown]
	s_waitcnt vmcnt(3)
	v_fma_f64 v[0:1], v[10:11], v[0:1], v[2:3]
	s_waitcnt vmcnt(2)
	s_delay_alu instid0(VALU_DEP_1) | instskip(SKIP_1) | instid1(VALU_DEP_1)
	v_fma_f64 v[0:1], v[12:13], v[18:19], v[0:1]
	s_waitcnt vmcnt(1)
	v_fma_f64 v[0:1], v[16:17], v[20:21], v[0:1]
	s_waitcnt vmcnt(0)
	s_delay_alu instid0(VALU_DEP_1)
	v_fma_f64 v[2:3], v[14:15], v[24:25], v[0:1]
.LBB53_37:
	s_or_b32 exec_lo, exec_lo, s3
	s_waitcnt vmcnt(0)
	s_delay_alu instid0(VALU_DEP_2)
	v_fma_f64 v[4:5], v[14:15], v[30:31], v[4:5]
.LBB53_38:
	s_or_b32 exec_lo, exec_lo, s2
	s_waitcnt vmcnt(0)
	s_delay_alu instid0(VALU_DEP_2)
	v_fma_f64 v[6:7], v[14:15], v[28:29], v[6:7]
.LBB53_39:
	s_or_b32 exec_lo, exec_lo, s0
	s_waitcnt vmcnt(0)
	s_delay_alu instid0(VALU_DEP_2)
	v_fma_f64 v[8:9], v[14:15], v[22:23], v[8:9]
.LBB53_40:
	s_or_b32 exec_lo, exec_lo, s1
.LBB53_41:
	v_lshlrev_b32_e32 v0, 8, v54
	s_mov_b32 s0, exec_lo
	s_delay_alu instid0(VALU_DEP_1)
	v_add_lshl_u32 v0, v0, v53, 3
	ds_store_2addr_stride64_b64 v0, v[8:9], v[6:7] offset1:1
	ds_store_2addr_stride64_b64 v0, v[4:5], v[2:3] offset0:2 offset1:3
	s_waitcnt vmcnt(0) lgkmcnt(0)
	s_barrier
	buffer_gl0_inv
                                        ; implicit-def: $vgpr2_vgpr3
                                        ; implicit-def: $vgpr0_vgpr1
	v_cmpx_gt_u32_e32 0x100, v52
	s_cbranch_execz .LBB53_47
; %bb.42:
	v_lshlrev_b32_e32 v7, 3, v52
	v_or_b32_e32 v6, s26, v52
	s_mov_b32 s2, s25
	s_mov_b32 s1, exec_lo
	ds_load_2addr_stride64_b64 v[0:3], v7 offset1:4
	s_waitcnt lgkmcnt(0)
	v_add_f64 v[4:5], v[0:1], v[2:3]
	ds_load_2addr_stride64_b64 v[0:3], v7 offset0:8 offset1:12
	s_waitcnt lgkmcnt(0)
	v_add_f64 v[0:1], v[0:1], v[4:5]
	s_delay_alu instid0(VALU_DEP_1)
	v_add_f64 v[4:5], v[2:3], v[0:1]
                                        ; implicit-def: $vgpr2_vgpr3
                                        ; implicit-def: $vgpr0_vgpr1
	ds_store_b64 v7, v[4:5]
	v_cmpx_gt_i32_e64 s10, v6
	s_cbranch_execz .LBB53_46
; %bb.43:
	v_cmp_eq_f64_e64 s2, s[6:7], 0
	v_mul_f64 v[2:3], s[8:9], v[4:5]
	v_ashrrev_i32_e32 v0, 31, v6
	v_mul_lo_u32 v4, v6, s29
	s_delay_alu instid0(VALU_DEP_2) | instskip(SKIP_1) | instid1(VALU_DEP_1)
	v_mul_lo_u32 v5, v0, s28
	v_mad_u64_u32 v[0:1], null, v6, s28, 0
	v_add3_u32 v1, v1, v4, v5
	s_and_b32 vcc_lo, exec_lo, s2
	s_cbranch_vccnz .LBB53_45
; %bb.44:
	s_delay_alu instid0(VALU_DEP_1) | instskip(NEXT) | instid1(VALU_DEP_1)
	v_lshlrev_b64 v[4:5], 3, v[0:1]
	v_add_co_u32 v4, vcc_lo, s5, v4
	s_delay_alu instid0(VALU_DEP_2)
	v_add_co_ci_u32_e32 v5, vcc_lo, s24, v5, vcc_lo
	global_load_b64 v[4:5], v[4:5], off
	s_waitcnt vmcnt(0)
	v_fma_f64 v[2:3], s[6:7], v[4:5], v[2:3]
.LBB53_45:
	s_or_b32 s2, s25, exec_lo
.LBB53_46:
	s_or_b32 exec_lo, exec_lo, s1
	s_delay_alu instid0(SALU_CYCLE_1) | instskip(SKIP_1) | instid1(SALU_CYCLE_1)
	s_and_not1_b32 s1, s25, exec_lo
	s_and_b32 s2, s2, exec_lo
	s_or_b32 s25, s1, s2
.LBB53_47:
	s_or_b32 exec_lo, exec_lo, s0
.LBB53_48:
	s_and_saveexec_b32 s0, s25
	s_cbranch_execz .LBB53_50
; %bb.49:
	v_lshlrev_b64 v[0:1], 3, v[0:1]
	s_delay_alu instid0(VALU_DEP_1) | instskip(NEXT) | instid1(VALU_DEP_2)
	v_add_co_u32 v0, vcc_lo, s5, v0
	v_add_co_ci_u32_e32 v1, vcc_lo, s24, v1, vcc_lo
	global_store_b64 v[0:1], v[2:3], off
.LBB53_50:
	s_nop 0
	s_sendmsg sendmsg(MSG_DEALLOC_VGPRS)
	s_endpgm
	.section	.rodata,"a",@progbits
	.p2align	6, 0x0
	.amdhsa_kernel _ZL20rocblas_gemvn_kernelILi64ELi4EldPKddEviiT3_lPKT2_lT1_lS5_lS6_lS2_lPT4_lS6_li
		.amdhsa_group_segment_fixed_size 8192
		.amdhsa_private_segment_fixed_size 0
		.amdhsa_kernarg_size 400
		.amdhsa_user_sgpr_count 14
		.amdhsa_user_sgpr_dispatch_ptr 0
		.amdhsa_user_sgpr_queue_ptr 0
		.amdhsa_user_sgpr_kernarg_segment_ptr 1
		.amdhsa_user_sgpr_dispatch_id 0
		.amdhsa_user_sgpr_private_segment_size 0
		.amdhsa_wavefront_size32 1
		.amdhsa_uses_dynamic_stack 0
		.amdhsa_enable_private_segment 0
		.amdhsa_system_sgpr_workgroup_id_x 1
		.amdhsa_system_sgpr_workgroup_id_y 0
		.amdhsa_system_sgpr_workgroup_id_z 1
		.amdhsa_system_sgpr_workgroup_info 0
		.amdhsa_system_vgpr_workitem_id 1
		.amdhsa_next_free_vgpr 71
		.amdhsa_next_free_sgpr 52
		.amdhsa_reserve_vcc 1
		.amdhsa_float_round_mode_32 0
		.amdhsa_float_round_mode_16_64 0
		.amdhsa_float_denorm_mode_32 3
		.amdhsa_float_denorm_mode_16_64 3
		.amdhsa_dx10_clamp 1
		.amdhsa_ieee_mode 1
		.amdhsa_fp16_overflow 0
		.amdhsa_workgroup_processor_mode 1
		.amdhsa_memory_ordered 1
		.amdhsa_forward_progress 0
		.amdhsa_shared_vgpr_count 0
		.amdhsa_exception_fp_ieee_invalid_op 0
		.amdhsa_exception_fp_denorm_src 0
		.amdhsa_exception_fp_ieee_div_zero 0
		.amdhsa_exception_fp_ieee_overflow 0
		.amdhsa_exception_fp_ieee_underflow 0
		.amdhsa_exception_fp_ieee_inexact 0
		.amdhsa_exception_int_div_zero 0
	.end_amdhsa_kernel
	.section	.text._ZL20rocblas_gemvn_kernelILi64ELi4EldPKddEviiT3_lPKT2_lT1_lS5_lS6_lS2_lPT4_lS6_li,"axG",@progbits,_ZL20rocblas_gemvn_kernelILi64ELi4EldPKddEviiT3_lPKT2_lT1_lS5_lS6_lS2_lPT4_lS6_li,comdat
.Lfunc_end53:
	.size	_ZL20rocblas_gemvn_kernelILi64ELi4EldPKddEviiT3_lPKT2_lT1_lS5_lS6_lS2_lPT4_lS6_li, .Lfunc_end53-_ZL20rocblas_gemvn_kernelILi64ELi4EldPKddEviiT3_lPKT2_lT1_lS5_lS6_lS2_lPT4_lS6_li
                                        ; -- End function
	.section	.AMDGPU.csdata,"",@progbits
; Kernel info:
; codeLenInByte = 3608
; NumSgprs: 54
; NumVgprs: 71
; ScratchSize: 0
; MemoryBound: 1
; FloatMode: 240
; IeeeMode: 1
; LDSByteSize: 8192 bytes/workgroup (compile time only)
; SGPRBlocks: 6
; VGPRBlocks: 8
; NumSGPRsForWavesPerEU: 54
; NumVGPRsForWavesPerEU: 71
; Occupancy: 16
; WaveLimiterHint : 0
; COMPUTE_PGM_RSRC2:SCRATCH_EN: 0
; COMPUTE_PGM_RSRC2:USER_SGPR: 14
; COMPUTE_PGM_RSRC2:TRAP_HANDLER: 0
; COMPUTE_PGM_RSRC2:TGID_X_EN: 1
; COMPUTE_PGM_RSRC2:TGID_Y_EN: 0
; COMPUTE_PGM_RSRC2:TGID_Z_EN: 1
; COMPUTE_PGM_RSRC2:TIDIG_COMP_CNT: 1
	.section	.text._ZL20rocblas_gemvn_kernelILi64ELi4EidddEviiT3_lPKT2_lT1_lS3_lS4_lS0_lPT4_lS4_li,"axG",@progbits,_ZL20rocblas_gemvn_kernelILi64ELi4EidddEviiT3_lPKT2_lT1_lS3_lS4_lS0_lPT4_lS4_li,comdat
	.globl	_ZL20rocblas_gemvn_kernelILi64ELi4EidddEviiT3_lPKT2_lT1_lS3_lS4_lS0_lPT4_lS4_li ; -- Begin function _ZL20rocblas_gemvn_kernelILi64ELi4EidddEviiT3_lPKT2_lT1_lS3_lS4_lS0_lPT4_lS4_li
	.p2align	8
	.type	_ZL20rocblas_gemvn_kernelILi64ELi4EidddEviiT3_lPKT2_lT1_lS3_lS4_lS0_lPT4_lS4_li,@function
_ZL20rocblas_gemvn_kernelILi64ELi4EidddEviiT3_lPKT2_lT1_lS3_lS4_lS0_lPT4_lS4_li: ; @_ZL20rocblas_gemvn_kernelILi64ELi4EidddEviiT3_lPKT2_lT1_lS3_lS4_lS0_lPT4_lS4_li
; %bb.0:
	s_load_b64 s[2:3], s[0:1], 0x9c
	s_waitcnt lgkmcnt(0)
	s_lshr_b32 s4, s2, 16
	s_and_b32 s2, s2, 0xffff
	s_and_b32 s3, s3, 0xffff
	s_mul_i32 s2, s4, s2
	s_delay_alu instid0(SALU_CYCLE_1) | instskip(NEXT) | instid1(SALU_CYCLE_1)
	s_mul_i32 s2, s2, s3
	s_cmpk_lg_i32 s2, 0x100
	s_cbranch_scc1 .LBB54_50
; %bb.1:
	s_clause 0x1
	s_load_b64 s[12:13], s[0:1], 0x8
	s_load_b128 s[4:7], s[0:1], 0x50
	s_waitcnt lgkmcnt(0)
	v_cmp_eq_f64_e64 s2, s[12:13], 0
	v_cmp_eq_f64_e64 s3, s[6:7], 1.0
	s_delay_alu instid0(VALU_DEP_1) | instskip(NEXT) | instid1(SALU_CYCLE_1)
	s_and_b32 s2, s2, s3
	s_and_b32 vcc_lo, exec_lo, s2
	s_cbranch_vccnz .LBB54_50
; %bb.2:
	v_cmp_neq_f64_e64 s21, s[12:13], 0
	s_clause 0x3
	s_load_b64 s[2:3], s[0:1], 0x80
	s_load_b128 s[8:11], s[0:1], 0x68
	s_load_b32 s20, s[0:1], 0x78
	s_load_b64 s[16:17], s[0:1], 0x0
	v_and_b32_e32 v1, 0x3ff, v0
	v_bfe_u32 v0, v0, 10, 10
	s_delay_alu instid0(VALU_DEP_1)
	v_lshl_add_u32 v53, v0, 6, v1
	s_waitcnt lgkmcnt(0)
	s_mul_i32 s3, s15, s3
	s_mul_hi_u32 s18, s15, s2
	s_mul_i32 s2, s15, s2
	s_add_i32 s3, s18, s3
	s_delay_alu instid0(SALU_CYCLE_1) | instskip(NEXT) | instid1(SALU_CYCLE_1)
	s_lshl_b64 s[2:3], s[2:3], 3
	s_add_u32 s8, s8, s2
	s_addc_u32 s9, s9, s3
	s_lshl_b64 s[2:3], s[10:11], 3
	s_delay_alu instid0(SALU_CYCLE_1)
	s_add_u32 s18, s8, s2
	v_cmp_gt_u32_e64 s2, 0x100, v53
	s_addc_u32 s19, s9, s3
	s_and_b32 vcc_lo, exec_lo, s21
	s_mov_b32 s21, 0
	s_cbranch_vccnz .LBB54_9
; %bb.3:
	s_mov_b32 s3, 0
                                        ; implicit-def: $vgpr4_vgpr5
                                        ; implicit-def: $vgpr2_vgpr3
	s_and_saveexec_b32 s8, s2
	s_cbranch_execz .LBB54_10
; %bb.4:
	v_lshl_or_b32 v6, s14, 8, v53
	v_mov_b32_e32 v7, 0
	s_ashr_i32 s11, s16, 31
	s_mov_b32 s10, s16
	s_mov_b32 s9, 0
	s_mov_b32 s2, exec_lo
                                        ; implicit-def: $vgpr4_vgpr5
                                        ; implicit-def: $vgpr2_vgpr3
	v_cmpx_gt_i64_e64 s[10:11], v[6:7]
	s_cbranch_execz .LBB54_8
; %bb.5:
	v_cmp_eq_f64_e64 s9, s[6:7], 0
	v_mad_u64_u32 v[2:3], null, s20, v6, 0
	s_ashr_i32 s10, s20, 31
	s_delay_alu instid0(VALU_DEP_1) | instid1(SALU_CYCLE_1)
	v_mad_u64_u32 v[4:5], null, s10, v6, v[3:4]
	s_delay_alu instid0(VALU_DEP_1)
	v_dual_mov_b32 v3, v4 :: v_dual_mov_b32 v4, 0
	v_mov_b32_e32 v5, 0
	s_and_b32 vcc_lo, exec_lo, s9
	s_cbranch_vccnz .LBB54_7
; %bb.6:
	s_delay_alu instid0(VALU_DEP_2) | instskip(NEXT) | instid1(VALU_DEP_1)
	v_lshlrev_b64 v[4:5], 3, v[2:3]
	v_add_co_u32 v4, vcc_lo, s18, v4
	s_delay_alu instid0(VALU_DEP_2)
	v_add_co_ci_u32_e32 v5, vcc_lo, s19, v5, vcc_lo
	global_load_b64 v[4:5], v[4:5], off
	s_waitcnt vmcnt(0)
	v_mul_f64 v[4:5], v[4:5], s[6:7]
.LBB54_7:
	s_mov_b32 s9, exec_lo
.LBB54_8:
	s_or_b32 exec_lo, exec_lo, s2
	s_delay_alu instid0(SALU_CYCLE_1) | instskip(SKIP_1) | instid1(SALU_CYCLE_1)
	s_and_b32 s21, s9, exec_lo
	s_or_b32 exec_lo, exec_lo, s8
	s_and_b32 vcc_lo, exec_lo, s3
	s_cbranch_vccnz .LBB54_11
	s_branch .LBB54_48
.LBB54_9:
                                        ; implicit-def: $vgpr4_vgpr5
                                        ; implicit-def: $vgpr2_vgpr3
	s_cbranch_execnz .LBB54_11
	s_branch .LBB54_48
.LBB54_10:
	s_or_b32 exec_lo, exec_lo, s8
	s_delay_alu instid0(SALU_CYCLE_1)
	s_and_b32 vcc_lo, exec_lo, s3
	s_cbranch_vccz .LBB54_48
.LBB54_11:
	s_clause 0x3
	s_load_b128 s[8:11], s[0:1], 0x30
	s_load_b128 s[24:27], s[0:1], 0x18
	s_load_b32 s22, s[0:1], 0x28
	s_load_b64 s[2:3], s[0:1], 0x40
	s_mul_i32 s5, s15, s5
	v_dual_mov_b32 v8, 0 :: v_dual_lshlrev_b32 v55, 2, v0
	s_waitcnt lgkmcnt(0)
	s_mul_i32 s9, s15, s9
	s_mul_hi_u32 s23, s15, s8
	s_mul_i32 s8, s15, s8
	s_add_i32 s9, s23, s9
	s_mul_hi_u32 s23, s15, s4
	s_lshl_b64 s[8:9], s[8:9], 3
	s_delay_alu instid0(SALU_CYCLE_1)
	s_add_u32 s28, s24, s8
	s_addc_u32 s25, s25, s9
	s_lshl_b64 s[8:9], s[26:27], 3
	s_mul_i32 s24, s15, s4
	s_load_b32 s4, s[0:1], 0x48
	s_add_u32 s8, s28, s8
	s_addc_u32 s9, s25, s9
	s_add_i32 s25, s23, s5
	s_mov_b32 s15, exec_lo
	s_lshl_b64 s[0:1], s[24:25], 3
	s_delay_alu instid0(SALU_CYCLE_1) | instskip(SKIP_2) | instid1(SALU_CYCLE_1)
	s_add_u32 s5, s10, s0
	s_addc_u32 s11, s11, s1
	s_lshl_b64 s[0:1], s[2:3], 3
	s_add_u32 s10, s5, s0
	s_addc_u32 s11, s11, s1
	s_lshl_b32 s5, s14, 8
	s_delay_alu instid0(SALU_CYCLE_1) | instskip(SKIP_3) | instid1(VALU_DEP_2)
	v_dual_mov_b32 v9, 0 :: v_dual_add_nc_u32 v54, s5, v1
	s_ashr_i32 s0, s17, 31
	v_mov_b32_e32 v6, v8
	s_lshr_b32 s0, s0, 28
	v_dual_mov_b32 v7, v9 :: v_dual_mov_b32 v4, v8
	v_dual_mov_b32 v5, v9 :: v_dual_mov_b32 v2, v8
	v_mov_b32_e32 v3, v9
	s_add_i32 s0, s17, s0
	s_delay_alu instid0(SALU_CYCLE_1) | instskip(NEXT) | instid1(SALU_CYCLE_1)
	s_and_b32 s14, s0, -16
	v_cmpx_gt_i32_e64 s14, v55
	s_cbranch_execz .LBB54_23
; %bb.12:
	v_mul_lo_u32 v3, s22, v55
	v_dual_mov_b32 v8, 0 :: v_dual_add_nc_u32 v5, 0xc0, v54
	v_dual_mov_b32 v9, 0 :: v_dual_add_nc_u32 v2, 64, v54
	v_add_nc_u32_e32 v4, 0x80, v54
	s_delay_alu instid0(VALU_DEP_3)
	v_cmp_gt_i32_e64 s2, s16, v5
	s_waitcnt lgkmcnt(0)
	v_mul_lo_u32 v5, v0, s4
	v_cmp_gt_i32_e64 s0, s16, v2
	v_add_nc_u32_e32 v2, 2, v55
	v_mov_b32_e32 v6, v8
	v_add3_u32 v56, v3, s22, v1
	v_mul_lo_u32 v3, v0, s22
	v_mov_b32_e32 v7, v9
	v_cmp_gt_i32_e64 s1, s16, v4
	v_add_nc_u32_e32 v4, 3, v55
	v_mad_u64_u32 v[10:11], null, s22, v2, v[1:2]
	v_lshlrev_b32_e32 v60, 2, v5
	v_cmp_gt_i32_e32 vcc_lo, s16, v54
	s_delay_alu instid0(VALU_DEP_4)
	v_mad_u64_u32 v[11:12], null, s22, v4, v[1:2]
	v_mul_lo_u32 v59, s4, v4
	v_mov_b32_e32 v4, v8
	v_mad_u64_u32 v[12:13], null, s4, v55, s[4:5]
	v_mov_b32_e32 v5, v9
	v_mul_lo_u32 v58, s4, v2
	v_lshl_add_u32 v57, v3, 2, v1
	v_dual_mov_b32 v2, v8 :: v_dual_mov_b32 v3, v9
	s_lshl_b32 s23, s22, 4
	s_lshl_b32 s25, s4, 4
	s_mov_b32 s24, 0
	s_mov_b32 s26, 0
	s_branch .LBB54_17
.LBB54_13:                              ;   in Loop: Header=BB54_17 Depth=1
	s_or_b32 exec_lo, exec_lo, s29
	s_waitcnt vmcnt(3)
	v_fma_f64 v[4:5], v[13:14], v[45:46], v[4:5]
	s_waitcnt vmcnt(2)
	s_delay_alu instid0(VALU_DEP_1) | instskip(SKIP_1) | instid1(VALU_DEP_1)
	v_fma_f64 v[4:5], v[15:16], v[47:48], v[4:5]
	s_waitcnt vmcnt(1)
	v_fma_f64 v[4:5], v[17:18], v[49:50], v[4:5]
	s_waitcnt vmcnt(0)
	s_delay_alu instid0(VALU_DEP_1)
	v_fma_f64 v[4:5], v[19:20], v[51:52], v[4:5]
.LBB54_14:                              ;   in Loop: Header=BB54_17 Depth=1
	s_or_b32 exec_lo, exec_lo, s28
	s_waitcnt vmcnt(3)
	v_fma_f64 v[6:7], v[13:14], v[37:38], v[6:7]
	s_waitcnt vmcnt(2)
	s_delay_alu instid0(VALU_DEP_1) | instskip(SKIP_1) | instid1(VALU_DEP_1)
	v_fma_f64 v[6:7], v[15:16], v[39:40], v[6:7]
	s_waitcnt vmcnt(1)
	v_fma_f64 v[6:7], v[17:18], v[41:42], v[6:7]
	s_waitcnt vmcnt(0)
	s_delay_alu instid0(VALU_DEP_1)
	v_fma_f64 v[6:7], v[19:20], v[43:44], v[6:7]
.LBB54_15:                              ;   in Loop: Header=BB54_17 Depth=1
	s_or_b32 exec_lo, exec_lo, s3
	s_waitcnt vmcnt(3)
	v_fma_f64 v[8:9], v[13:14], v[21:22], v[8:9]
	s_waitcnt vmcnt(2)
	s_delay_alu instid0(VALU_DEP_1) | instskip(SKIP_1) | instid1(VALU_DEP_1)
	v_fma_f64 v[8:9], v[15:16], v[23:24], v[8:9]
	s_waitcnt vmcnt(1)
	v_fma_f64 v[8:9], v[17:18], v[25:26], v[8:9]
	s_waitcnt vmcnt(0)
	s_delay_alu instid0(VALU_DEP_1)
	v_fma_f64 v[8:9], v[19:20], v[27:28], v[8:9]
.LBB54_16:                              ;   in Loop: Header=BB54_17 Depth=1
	s_or_b32 exec_lo, exec_lo, s27
	v_add_nc_u32_e32 v55, 16, v55
	v_add_nc_u32_e32 v56, s23, v56
	;; [unrolled: 1-line block ×5, first 2 shown]
	v_cmp_le_i32_e64 s3, s14, v55
	s_add_i32 s26, s26, s25
	s_delay_alu instid0(VALU_DEP_1) | instskip(NEXT) | instid1(SALU_CYCLE_1)
	s_or_b32 s24, s3, s24
	s_and_not1_b32 exec_lo, exec_lo, s24
	s_cbranch_execz .LBB54_22
.LBB54_17:                              ; =>This Inner Loop Header: Depth=1
	s_and_saveexec_b32 s27, vcc_lo
	s_cbranch_execz .LBB54_16
; %bb.18:                               ;   in Loop: Header=BB54_17 Depth=1
	v_add_nc_u32_e32 v13, s26, v60
	v_add_nc_u32_e32 v15, s26, v12
	;; [unrolled: 1-line block ×5, first 2 shown]
	v_ashrrev_i32_e32 v14, 31, v13
	v_ashrrev_i32_e32 v16, 31, v15
	;; [unrolled: 1-line block ×4, first 2 shown]
	v_add_nc_u32_e32 v23, s5, v56
	v_lshlrev_b64 v[13:14], 3, v[13:14]
	v_lshlrev_b64 v[15:16], 3, v[15:16]
	v_lshlrev_b64 v[17:18], 3, v[17:18]
	v_ashrrev_i32_e32 v22, 31, v21
	v_lshlrev_b64 v[19:20], 3, v[19:20]
	v_ashrrev_i32_e32 v24, 31, v23
	v_add_co_u32 v13, s3, s10, v13
	s_delay_alu instid0(VALU_DEP_1)
	v_add_co_ci_u32_e64 v14, s3, s11, v14, s3
	v_add_co_u32 v15, s3, s10, v15
	v_add_nc_u32_e32 v25, s5, v10
	v_add_co_ci_u32_e64 v16, s3, s11, v16, s3
	v_add_co_u32 v17, s3, s10, v17
	v_lshlrev_b64 v[21:22], 3, v[21:22]
	v_add_nc_u32_e32 v27, s5, v11
	v_add_co_ci_u32_e64 v18, s3, s11, v18, s3
	v_add_co_u32 v19, s3, s10, v19
	v_lshlrev_b64 v[23:24], 3, v[23:24]
	v_ashrrev_i32_e32 v26, 31, v25
	v_add_co_ci_u32_e64 v20, s3, s11, v20, s3
	v_add_co_u32 v29, s3, s8, v21
	v_ashrrev_i32_e32 v28, 31, v27
	v_add_co_ci_u32_e64 v30, s3, s9, v22, s3
	v_lshlrev_b64 v[21:22], 3, v[25:26]
	v_add_co_u32 v31, s3, s8, v23
	s_delay_alu instid0(VALU_DEP_1) | instskip(SKIP_1) | instid1(VALU_DEP_4)
	v_add_co_ci_u32_e64 v32, s3, s9, v24, s3
	v_lshlrev_b64 v[23:24], 3, v[27:28]
	v_add_co_u32 v33, s3, s8, v21
	s_delay_alu instid0(VALU_DEP_1) | instskip(NEXT) | instid1(VALU_DEP_3)
	v_add_co_ci_u32_e64 v34, s3, s9, v22, s3
	v_add_co_u32 v35, s3, s8, v23
	s_delay_alu instid0(VALU_DEP_1)
	v_add_co_ci_u32_e64 v36, s3, s9, v24, s3
	s_clause 0x3
	global_load_b64 v[13:14], v[13:14], off
	global_load_b64 v[15:16], v[15:16], off
	global_load_b64 v[17:18], v[17:18], off
	global_load_b64 v[19:20], v[19:20], off
	s_clause 0x3
	global_load_b64 v[21:22], v[29:30], off
	global_load_b64 v[23:24], v[31:32], off
	;; [unrolled: 1-line block ×4, first 2 shown]
	s_and_saveexec_b32 s3, s0
	s_cbranch_execz .LBB54_15
; %bb.19:                               ;   in Loop: Header=BB54_17 Depth=1
	s_clause 0x3
	global_load_b64 v[37:38], v[29:30], off offset:512
	global_load_b64 v[39:40], v[31:32], off offset:512
	global_load_b64 v[41:42], v[33:34], off offset:512
	global_load_b64 v[43:44], v[35:36], off offset:512
	s_and_saveexec_b32 s28, s1
	s_cbranch_execz .LBB54_14
; %bb.20:                               ;   in Loop: Header=BB54_17 Depth=1
	s_clause 0x3
	global_load_b64 v[45:46], v[29:30], off offset:1024
	global_load_b64 v[47:48], v[31:32], off offset:1024
	global_load_b64 v[49:50], v[33:34], off offset:1024
	global_load_b64 v[51:52], v[35:36], off offset:1024
	;; [unrolled: 8-line block ×3, first 2 shown]
	s_waitcnt vmcnt(3)
	v_fma_f64 v[2:3], v[13:14], v[29:30], v[2:3]
	s_waitcnt vmcnt(2)
	s_delay_alu instid0(VALU_DEP_1) | instskip(SKIP_1) | instid1(VALU_DEP_1)
	v_fma_f64 v[2:3], v[15:16], v[31:32], v[2:3]
	s_waitcnt vmcnt(1)
	v_fma_f64 v[2:3], v[17:18], v[33:34], v[2:3]
	s_waitcnt vmcnt(0)
	s_delay_alu instid0(VALU_DEP_1)
	v_fma_f64 v[2:3], v[19:20], v[35:36], v[2:3]
	s_branch .LBB54_13
.LBB54_22:
	s_or_b32 exec_lo, exec_lo, s24
.LBB54_23:
	s_delay_alu instid0(SALU_CYCLE_1) | instskip(SKIP_1) | instid1(SALU_CYCLE_1)
	s_or_b32 exec_lo, exec_lo, s15
	s_sub_i32 s0, s17, s14
	s_cmp_lt_i32 s0, 1
	s_cbranch_scc1 .LBB54_41
; %bb.24:
	v_mov_b32_e32 v14, 0
	v_mov_b32_e32 v15, 0
	v_cmp_gt_i32_e32 vcc_lo, s17, v55
	v_or_b32_e32 v20, 1, v55
	s_delay_alu instid0(VALU_DEP_4) | instskip(NEXT) | instid1(VALU_DEP_4)
	v_mov_b32_e32 v12, v14
	v_dual_mov_b32 v10, v14 :: v_dual_mov_b32 v11, v15
	v_dual_mov_b32 v17, v15 :: v_dual_mov_b32 v16, v14
	v_mov_b32_e32 v13, v15
	s_and_saveexec_b32 s1, vcc_lo
	s_cbranch_execz .LBB54_32
; %bb.25:
	s_waitcnt lgkmcnt(0)
	v_mul_lo_u32 v10, v55, s4
	v_mov_b32_e32 v12, 0
	v_mov_b32_e32 v13, 0
	s_mov_b32 s2, exec_lo
	s_delay_alu instid0(VALU_DEP_1) | instskip(NEXT) | instid1(VALU_DEP_4)
	v_dual_mov_b32 v17, v13 :: v_dual_mov_b32 v16, v12
	v_ashrrev_i32_e32 v11, 31, v10
	v_dual_mov_b32 v15, v13 :: v_dual_mov_b32 v14, v12
	s_delay_alu instid0(VALU_DEP_2) | instskip(NEXT) | instid1(VALU_DEP_1)
	v_lshlrev_b64 v[10:11], 3, v[10:11]
	v_add_co_u32 v10, s0, s10, v10
	s_delay_alu instid0(VALU_DEP_1)
	v_add_co_ci_u32_e64 v11, s0, s11, v11, s0
	global_load_b64 v[10:11], v[10:11], off
	v_cmpx_gt_i32_e64 s17, v20
	s_cbranch_execz .LBB54_31
; %bb.26:
	v_mul_lo_u32 v12, v20, s4
	v_mov_b32_e32 v16, 0
	v_mov_b32_e32 v17, 0
	v_or_b32_e32 v18, 2, v55
	s_delay_alu instid0(VALU_DEP_3) | instskip(SKIP_1) | instid1(VALU_DEP_3)
	v_mov_b32_e32 v14, v16
	s_mov_b32 s3, exec_lo
	v_mov_b32_e32 v15, v17
	v_ashrrev_i32_e32 v13, 31, v12
	s_delay_alu instid0(VALU_DEP_1) | instskip(NEXT) | instid1(VALU_DEP_1)
	v_lshlrev_b64 v[12:13], 3, v[12:13]
	v_add_co_u32 v12, s0, s10, v12
	s_delay_alu instid0(VALU_DEP_1)
	v_add_co_ci_u32_e64 v13, s0, s11, v13, s0
	global_load_b64 v[12:13], v[12:13], off
	v_cmpx_gt_i32_e64 s17, v18
	s_cbranch_execz .LBB54_30
; %bb.27:
	v_mul_lo_u32 v14, v18, s4
	v_or_b32_e32 v18, 3, v55
	s_mov_b32 s14, exec_lo
	s_delay_alu instid0(VALU_DEP_2) | instskip(NEXT) | instid1(VALU_DEP_1)
	v_ashrrev_i32_e32 v15, 31, v14
	v_lshlrev_b64 v[14:15], 3, v[14:15]
	s_delay_alu instid0(VALU_DEP_1) | instskip(NEXT) | instid1(VALU_DEP_1)
	v_add_co_u32 v14, s0, s10, v14
	v_add_co_ci_u32_e64 v15, s0, s11, v15, s0
	global_load_b64 v[16:17], v[14:15], off
	v_mov_b32_e32 v14, 0
	v_mov_b32_e32 v15, 0
	v_cmpx_gt_i32_e64 s17, v18
	s_cbranch_execz .LBB54_29
; %bb.28:
	v_mul_lo_u32 v14, v18, s4
	s_delay_alu instid0(VALU_DEP_1) | instskip(NEXT) | instid1(VALU_DEP_1)
	v_ashrrev_i32_e32 v15, 31, v14
	v_lshlrev_b64 v[14:15], 3, v[14:15]
	s_delay_alu instid0(VALU_DEP_1) | instskip(NEXT) | instid1(VALU_DEP_1)
	v_add_co_u32 v14, s0, s10, v14
	v_add_co_ci_u32_e64 v15, s0, s11, v15, s0
	global_load_b64 v[14:15], v[14:15], off
.LBB54_29:
	s_or_b32 exec_lo, exec_lo, s14
.LBB54_30:
	s_delay_alu instid0(SALU_CYCLE_1)
	s_or_b32 exec_lo, exec_lo, s3
.LBB54_31:
	s_delay_alu instid0(SALU_CYCLE_1)
	s_or_b32 exec_lo, exec_lo, s2
.LBB54_32:
	s_delay_alu instid0(SALU_CYCLE_1) | instskip(NEXT) | instid1(SALU_CYCLE_1)
	s_or_b32 exec_lo, exec_lo, s1
	s_mov_b32 s1, exec_lo
	v_cmpx_gt_i32_e64 s16, v54
	s_cbranch_execz .LBB54_40
; %bb.33:
	v_mul_lo_u32 v18, v55, s22
	v_mul_lo_u32 v21, v20, s22
	v_or_b32_e32 v22, 2, v55
	s_mov_b32 s0, exec_lo
	s_delay_alu instid0(VALU_DEP_1) | instskip(NEXT) | instid1(VALU_DEP_4)
	v_mul_lo_u32 v23, v22, s22
	v_cndmask_b32_e32 v18, 0, v18, vcc_lo
	s_delay_alu instid0(VALU_DEP_1) | instskip(NEXT) | instid1(VALU_DEP_1)
	v_add_nc_u32_e32 v18, v18, v54
	v_ashrrev_i32_e32 v19, 31, v18
	s_delay_alu instid0(VALU_DEP_1) | instskip(NEXT) | instid1(VALU_DEP_1)
	v_lshlrev_b64 v[18:19], 3, v[18:19]
	v_add_co_u32 v18, vcc_lo, s8, v18
	s_delay_alu instid0(VALU_DEP_2) | instskip(SKIP_3) | instid1(VALU_DEP_1)
	v_add_co_ci_u32_e32 v19, vcc_lo, s9, v19, vcc_lo
	v_cmp_gt_i32_e32 vcc_lo, s17, v20
	global_load_b64 v[28:29], v[18:19], off
	v_cndmask_b32_e32 v20, 0, v21, vcc_lo
	v_add_nc_u32_e32 v20, v20, v54
	s_delay_alu instid0(VALU_DEP_1) | instskip(NEXT) | instid1(VALU_DEP_1)
	v_ashrrev_i32_e32 v21, 31, v20
	v_lshlrev_b64 v[20:21], 3, v[20:21]
	s_delay_alu instid0(VALU_DEP_1) | instskip(NEXT) | instid1(VALU_DEP_2)
	v_add_co_u32 v20, vcc_lo, s8, v20
	v_add_co_ci_u32_e32 v21, vcc_lo, s9, v21, vcc_lo
	v_cmp_gt_i32_e32 vcc_lo, s17, v22
	global_load_b64 v[30:31], v[20:21], off
	v_cndmask_b32_e32 v22, 0, v23, vcc_lo
	s_delay_alu instid0(VALU_DEP_1) | instskip(NEXT) | instid1(VALU_DEP_1)
	v_add_nc_u32_e32 v22, v22, v54
	v_ashrrev_i32_e32 v23, 31, v22
	s_delay_alu instid0(VALU_DEP_1) | instskip(NEXT) | instid1(VALU_DEP_1)
	v_lshlrev_b64 v[22:23], 3, v[22:23]
	v_add_co_u32 v24, vcc_lo, s8, v22
	s_delay_alu instid0(VALU_DEP_2) | instskip(SKIP_4) | instid1(VALU_DEP_2)
	v_add_co_ci_u32_e32 v25, vcc_lo, s9, v23, vcc_lo
	v_or_b32_e32 v22, 3, v55
	global_load_b64 v[32:33], v[24:25], off
	v_mul_lo_u32 v23, v22, s22
	v_cmp_gt_i32_e32 vcc_lo, s17, v22
	v_cndmask_b32_e32 v22, 0, v23, vcc_lo
	s_delay_alu instid0(VALU_DEP_1) | instskip(NEXT) | instid1(VALU_DEP_1)
	v_add_nc_u32_e32 v22, v22, v54
	v_ashrrev_i32_e32 v23, 31, v22
	s_delay_alu instid0(VALU_DEP_1) | instskip(NEXT) | instid1(VALU_DEP_1)
	v_lshlrev_b64 v[22:23], 3, v[22:23]
	v_add_co_u32 v26, vcc_lo, s8, v22
	s_delay_alu instid0(VALU_DEP_2)
	v_add_co_ci_u32_e32 v27, vcc_lo, s9, v23, vcc_lo
	global_load_b64 v[22:23], v[26:27], off
	s_waitcnt vmcnt(3)
	v_fma_f64 v[8:9], v[10:11], v[28:29], v[8:9]
	v_add_nc_u32_e32 v28, 64, v54
	s_waitcnt vmcnt(2)
	s_delay_alu instid0(VALU_DEP_2) | instskip(SKIP_1) | instid1(VALU_DEP_1)
	v_fma_f64 v[8:9], v[12:13], v[30:31], v[8:9]
	s_waitcnt vmcnt(1)
	v_fma_f64 v[8:9], v[16:17], v[32:33], v[8:9]
	v_cmpx_gt_i32_e64 s16, v28
	s_cbranch_execz .LBB54_39
; %bb.34:
	s_clause 0x3
	global_load_b64 v[30:31], v[18:19], off offset:512
	global_load_b64 v[32:33], v[20:21], off offset:512
	;; [unrolled: 1-line block ×4, first 2 shown]
	s_mov_b32 s2, exec_lo
	s_waitcnt vmcnt(3)
	v_fma_f64 v[6:7], v[10:11], v[30:31], v[6:7]
	v_add_nc_u32_e32 v30, 0x80, v54
	s_waitcnt vmcnt(2)
	s_delay_alu instid0(VALU_DEP_2) | instskip(SKIP_1) | instid1(VALU_DEP_1)
	v_fma_f64 v[6:7], v[12:13], v[32:33], v[6:7]
	s_waitcnt vmcnt(1)
	v_fma_f64 v[6:7], v[16:17], v[34:35], v[6:7]
	v_cmpx_gt_i32_e64 s16, v30
	s_cbranch_execz .LBB54_38
; %bb.35:
	s_clause 0x3
	global_load_b64 v[32:33], v[18:19], off offset:1024
	global_load_b64 v[34:35], v[20:21], off offset:1024
	;; [unrolled: 1-line block ×4, first 2 shown]
	s_mov_b32 s3, exec_lo
	s_waitcnt vmcnt(3)
	v_fma_f64 v[4:5], v[10:11], v[32:33], v[4:5]
	v_add_nc_u32_e32 v32, 0xc0, v54
	s_waitcnt vmcnt(2)
	s_delay_alu instid0(VALU_DEP_2) | instskip(SKIP_1) | instid1(VALU_DEP_1)
	v_fma_f64 v[4:5], v[12:13], v[34:35], v[4:5]
	s_waitcnt vmcnt(1)
	v_fma_f64 v[4:5], v[16:17], v[36:37], v[4:5]
	v_cmpx_gt_i32_e64 s16, v32
	s_cbranch_execz .LBB54_37
; %bb.36:
	s_clause 0x3
	global_load_b64 v[18:19], v[18:19], off offset:1536
	global_load_b64 v[20:21], v[20:21], off offset:1536
	global_load_b64 v[24:25], v[24:25], off offset:1536
	global_load_b64 v[26:27], v[26:27], off offset:1536
	s_waitcnt vmcnt(3)
	v_fma_f64 v[2:3], v[10:11], v[18:19], v[2:3]
	s_waitcnt vmcnt(2)
	s_delay_alu instid0(VALU_DEP_1) | instskip(SKIP_1) | instid1(VALU_DEP_1)
	v_fma_f64 v[2:3], v[12:13], v[20:21], v[2:3]
	s_waitcnt vmcnt(1)
	v_fma_f64 v[2:3], v[16:17], v[24:25], v[2:3]
	s_waitcnt vmcnt(0)
	s_delay_alu instid0(VALU_DEP_1)
	v_fma_f64 v[2:3], v[14:15], v[26:27], v[2:3]
.LBB54_37:
	s_or_b32 exec_lo, exec_lo, s3
	s_waitcnt vmcnt(0)
	s_delay_alu instid0(VALU_DEP_2)
	v_fma_f64 v[4:5], v[14:15], v[30:31], v[4:5]
.LBB54_38:
	s_or_b32 exec_lo, exec_lo, s2
	s_waitcnt vmcnt(0)
	s_delay_alu instid0(VALU_DEP_2)
	v_fma_f64 v[6:7], v[14:15], v[28:29], v[6:7]
.LBB54_39:
	s_or_b32 exec_lo, exec_lo, s0
	s_waitcnt vmcnt(0)
	s_delay_alu instid0(VALU_DEP_2)
	v_fma_f64 v[8:9], v[14:15], v[22:23], v[8:9]
.LBB54_40:
	s_or_b32 exec_lo, exec_lo, s1
.LBB54_41:
	v_lshlrev_b32_e32 v0, 8, v0
	s_mov_b32 s0, exec_lo
	s_delay_alu instid0(VALU_DEP_1)
	v_add_lshl_u32 v0, v0, v1, 3
	ds_store_2addr_stride64_b64 v0, v[8:9], v[6:7] offset1:1
	ds_store_2addr_stride64_b64 v0, v[4:5], v[2:3] offset0:2 offset1:3
	s_waitcnt vmcnt(0) lgkmcnt(0)
	s_barrier
	buffer_gl0_inv
                                        ; implicit-def: $vgpr4_vgpr5
                                        ; implicit-def: $vgpr2_vgpr3
	v_cmpx_gt_u32_e32 0x100, v53
	s_cbranch_execz .LBB54_47
; %bb.42:
	v_lshlrev_b32_e32 v7, 3, v53
	v_or_b32_e32 v6, s5, v53
	s_mov_b32 s2, s21
	s_mov_b32 s1, exec_lo
	ds_load_2addr_stride64_b64 v[0:3], v7 offset1:4
	s_waitcnt lgkmcnt(0)
	v_add_f64 v[4:5], v[0:1], v[2:3]
	ds_load_2addr_stride64_b64 v[0:3], v7 offset0:8 offset1:12
	s_waitcnt lgkmcnt(0)
	v_add_f64 v[0:1], v[0:1], v[4:5]
                                        ; implicit-def: $vgpr4_vgpr5
	s_delay_alu instid0(VALU_DEP_1)
	v_add_f64 v[0:1], v[2:3], v[0:1]
                                        ; implicit-def: $vgpr2_vgpr3
	ds_store_b64 v7, v[0:1]
	v_cmpx_gt_i32_e64 s16, v6
	s_cbranch_execz .LBB54_46
; %bb.43:
	v_cmp_eq_f64_e64 s2, s[6:7], 0
	v_mul_f64 v[4:5], v[0:1], s[12:13]
	v_mul_lo_u32 v2, v6, s20
	s_delay_alu instid0(VALU_DEP_1) | instskip(NEXT) | instid1(VALU_DEP_4)
	v_ashrrev_i32_e32 v3, 31, v2
	s_and_b32 vcc_lo, exec_lo, s2
	s_cbranch_vccnz .LBB54_45
; %bb.44:
	s_delay_alu instid0(VALU_DEP_1) | instskip(NEXT) | instid1(VALU_DEP_1)
	v_lshlrev_b64 v[0:1], 3, v[2:3]
	v_add_co_u32 v0, vcc_lo, s18, v0
	s_delay_alu instid0(VALU_DEP_2)
	v_add_co_ci_u32_e32 v1, vcc_lo, s19, v1, vcc_lo
	global_load_b64 v[0:1], v[0:1], off
	s_waitcnt vmcnt(0)
	v_fma_f64 v[4:5], v[0:1], s[6:7], v[4:5]
.LBB54_45:
	s_or_b32 s2, s21, exec_lo
.LBB54_46:
	s_or_b32 exec_lo, exec_lo, s1
	s_delay_alu instid0(SALU_CYCLE_1) | instskip(SKIP_1) | instid1(SALU_CYCLE_1)
	s_and_not1_b32 s1, s21, exec_lo
	s_and_b32 s2, s2, exec_lo
	s_or_b32 s21, s1, s2
.LBB54_47:
	s_or_b32 exec_lo, exec_lo, s0
.LBB54_48:
	s_and_saveexec_b32 s0, s21
	s_cbranch_execz .LBB54_50
; %bb.49:
	v_lshlrev_b64 v[0:1], 3, v[2:3]
	s_delay_alu instid0(VALU_DEP_1) | instskip(NEXT) | instid1(VALU_DEP_2)
	v_add_co_u32 v0, vcc_lo, s18, v0
	v_add_co_ci_u32_e32 v1, vcc_lo, s19, v1, vcc_lo
	global_store_b64 v[0:1], v[4:5], off
.LBB54_50:
	s_nop 0
	s_sendmsg sendmsg(MSG_DEALLOC_VGPRS)
	s_endpgm
	.section	.rodata,"a",@progbits
	.p2align	6, 0x0
	.amdhsa_kernel _ZL20rocblas_gemvn_kernelILi64ELi4EidddEviiT3_lPKT2_lT1_lS3_lS4_lS0_lPT4_lS4_li
		.amdhsa_group_segment_fixed_size 8192
		.amdhsa_private_segment_fixed_size 0
		.amdhsa_kernarg_size 400
		.amdhsa_user_sgpr_count 14
		.amdhsa_user_sgpr_dispatch_ptr 0
		.amdhsa_user_sgpr_queue_ptr 0
		.amdhsa_user_sgpr_kernarg_segment_ptr 1
		.amdhsa_user_sgpr_dispatch_id 0
		.amdhsa_user_sgpr_private_segment_size 0
		.amdhsa_wavefront_size32 1
		.amdhsa_uses_dynamic_stack 0
		.amdhsa_enable_private_segment 0
		.amdhsa_system_sgpr_workgroup_id_x 1
		.amdhsa_system_sgpr_workgroup_id_y 0
		.amdhsa_system_sgpr_workgroup_id_z 1
		.amdhsa_system_sgpr_workgroup_info 0
		.amdhsa_system_vgpr_workitem_id 1
		.amdhsa_next_free_vgpr 61
		.amdhsa_next_free_sgpr 30
		.amdhsa_reserve_vcc 1
		.amdhsa_float_round_mode_32 0
		.amdhsa_float_round_mode_16_64 0
		.amdhsa_float_denorm_mode_32 3
		.amdhsa_float_denorm_mode_16_64 3
		.amdhsa_dx10_clamp 1
		.amdhsa_ieee_mode 1
		.amdhsa_fp16_overflow 0
		.amdhsa_workgroup_processor_mode 1
		.amdhsa_memory_ordered 1
		.amdhsa_forward_progress 0
		.amdhsa_shared_vgpr_count 0
		.amdhsa_exception_fp_ieee_invalid_op 0
		.amdhsa_exception_fp_denorm_src 0
		.amdhsa_exception_fp_ieee_div_zero 0
		.amdhsa_exception_fp_ieee_overflow 0
		.amdhsa_exception_fp_ieee_underflow 0
		.amdhsa_exception_fp_ieee_inexact 0
		.amdhsa_exception_int_div_zero 0
	.end_amdhsa_kernel
	.section	.text._ZL20rocblas_gemvn_kernelILi64ELi4EidddEviiT3_lPKT2_lT1_lS3_lS4_lS0_lPT4_lS4_li,"axG",@progbits,_ZL20rocblas_gemvn_kernelILi64ELi4EidddEviiT3_lPKT2_lT1_lS3_lS4_lS0_lPT4_lS4_li,comdat
.Lfunc_end54:
	.size	_ZL20rocblas_gemvn_kernelILi64ELi4EidddEviiT3_lPKT2_lT1_lS3_lS4_lS0_lPT4_lS4_li, .Lfunc_end54-_ZL20rocblas_gemvn_kernelILi64ELi4EidddEviiT3_lPKT2_lT1_lS3_lS4_lS0_lPT4_lS4_li
                                        ; -- End function
	.section	.AMDGPU.csdata,"",@progbits
; Kernel info:
; codeLenInByte = 3108
; NumSgprs: 32
; NumVgprs: 61
; ScratchSize: 0
; MemoryBound: 0
; FloatMode: 240
; IeeeMode: 1
; LDSByteSize: 8192 bytes/workgroup (compile time only)
; SGPRBlocks: 3
; VGPRBlocks: 7
; NumSGPRsForWavesPerEU: 32
; NumVGPRsForWavesPerEU: 61
; Occupancy: 16
; WaveLimiterHint : 1
; COMPUTE_PGM_RSRC2:SCRATCH_EN: 0
; COMPUTE_PGM_RSRC2:USER_SGPR: 14
; COMPUTE_PGM_RSRC2:TRAP_HANDLER: 0
; COMPUTE_PGM_RSRC2:TGID_X_EN: 1
; COMPUTE_PGM_RSRC2:TGID_Y_EN: 0
; COMPUTE_PGM_RSRC2:TGID_Z_EN: 1
; COMPUTE_PGM_RSRC2:TIDIG_COMP_CNT: 1
	.section	.text._ZL20rocblas_gemvn_kernelILi64ELi4EldddEviiT3_lPKT2_lT1_lS3_lS4_lS0_lPT4_lS4_li,"axG",@progbits,_ZL20rocblas_gemvn_kernelILi64ELi4EldddEviiT3_lPKT2_lT1_lS3_lS4_lS0_lPT4_lS4_li,comdat
	.globl	_ZL20rocblas_gemvn_kernelILi64ELi4EldddEviiT3_lPKT2_lT1_lS3_lS4_lS0_lPT4_lS4_li ; -- Begin function _ZL20rocblas_gemvn_kernelILi64ELi4EldddEviiT3_lPKT2_lT1_lS3_lS4_lS0_lPT4_lS4_li
	.p2align	8
	.type	_ZL20rocblas_gemvn_kernelILi64ELi4EldddEviiT3_lPKT2_lT1_lS3_lS4_lS0_lPT4_lS4_li,@function
_ZL20rocblas_gemvn_kernelILi64ELi4EldddEviiT3_lPKT2_lT1_lS3_lS4_lS0_lPT4_lS4_li: ; @_ZL20rocblas_gemvn_kernelILi64ELi4EldddEviiT3_lPKT2_lT1_lS3_lS4_lS0_lPT4_lS4_li
; %bb.0:
	s_load_b64 s[2:3], s[0:1], 0x9c
	s_waitcnt lgkmcnt(0)
	s_lshr_b32 s4, s2, 16
	s_and_b32 s2, s2, 0xffff
	s_and_b32 s3, s3, 0xffff
	s_mul_i32 s2, s4, s2
	s_delay_alu instid0(SALU_CYCLE_1) | instskip(NEXT) | instid1(SALU_CYCLE_1)
	s_mul_i32 s2, s2, s3
	s_cmpk_lg_i32 s2, 0x100
	s_cbranch_scc1 .LBB55_50
; %bb.1:
	s_clause 0x1
	s_load_b64 s[34:35], s[0:1], 0x8
	s_load_b64 s[12:13], s[0:1], 0x58
	s_waitcnt lgkmcnt(0)
	v_cmp_eq_f64_e64 s2, s[34:35], 0
	v_cmp_eq_f64_e64 s3, s[12:13], 1.0
	s_delay_alu instid0(VALU_DEP_1) | instskip(NEXT) | instid1(SALU_CYCLE_1)
	s_and_b32 s2, s2, s3
	s_and_b32 vcc_lo, exec_lo, s2
	s_cbranch_vccnz .LBB55_50
; %bb.2:
	v_cmp_neq_f64_e64 s16, s[34:35], 0
	s_clause 0x1
	s_load_b256 s[4:11], s[0:1], 0x68
	s_load_b64 s[36:37], s[0:1], 0x0
	v_and_b32_e32 v53, 0x3ff, v0
	v_bfe_u32 v54, v0, 10, 10
	s_mov_b32 s38, 0
	s_delay_alu instid0(VALU_DEP_1)
	v_lshl_add_u32 v52, v54, 6, v53
	s_waitcnt lgkmcnt(0)
	s_mul_i32 s3, s15, s11
	s_mul_hi_u32 s11, s15, s10
	s_mul_i32 s2, s15, s10
	s_add_i32 s3, s11, s3
	s_delay_alu instid0(SALU_CYCLE_1) | instskip(NEXT) | instid1(SALU_CYCLE_1)
	s_lshl_b64 s[2:3], s[2:3], 3
	s_add_u32 s4, s4, s2
	s_addc_u32 s10, s5, s3
	s_lshl_b64 s[2:3], s[6:7], 3
	s_delay_alu instid0(SALU_CYCLE_1)
	s_add_u32 s5, s4, s2
	v_cmp_gt_u32_e64 s2, 0x100, v52
	s_addc_u32 s33, s10, s3
	s_and_b32 vcc_lo, exec_lo, s16
	s_cbranch_vccnz .LBB55_9
; %bb.3:
	s_mov_b32 s3, 0
                                        ; implicit-def: $vgpr2_vgpr3
                                        ; implicit-def: $vgpr0_vgpr1
	s_and_saveexec_b32 s4, s2
	s_cbranch_execz .LBB55_10
; %bb.4:
	v_lshl_or_b32 v4, s14, 8, v52
	v_mov_b32_e32 v5, 0
	s_ashr_i32 s7, s36, 31
	s_mov_b32 s6, s36
                                        ; implicit-def: $vgpr2_vgpr3
                                        ; implicit-def: $vgpr0_vgpr1
	s_delay_alu instid0(VALU_DEP_1) | instid1(SALU_CYCLE_1)
	v_cmp_gt_i64_e32 vcc_lo, s[6:7], v[4:5]
	s_mov_b32 s6, 0
	s_and_saveexec_b32 s2, vcc_lo
	s_cbranch_execz .LBB55_8
; %bb.5:
	v_cmp_eq_f64_e64 s6, s[12:13], 0
	v_mad_u64_u32 v[0:1], null, v4, s8, 0
	s_delay_alu instid0(VALU_DEP_1) | instskip(NEXT) | instid1(VALU_DEP_1)
	v_mad_u64_u32 v[2:3], null, v4, s9, v[1:2]
	v_dual_mov_b32 v1, v2 :: v_dual_mov_b32 v2, 0
	v_mov_b32_e32 v3, 0
	s_and_b32 vcc_lo, exec_lo, s6
	s_cbranch_vccnz .LBB55_7
; %bb.6:
	s_delay_alu instid0(VALU_DEP_2) | instskip(NEXT) | instid1(VALU_DEP_1)
	v_lshlrev_b64 v[2:3], 3, v[0:1]
	v_add_co_u32 v2, vcc_lo, s5, v2
	s_delay_alu instid0(VALU_DEP_2)
	v_add_co_ci_u32_e32 v3, vcc_lo, s33, v3, vcc_lo
	global_load_b64 v[2:3], v[2:3], off
	s_waitcnt vmcnt(0)
	v_mul_f64 v[2:3], v[2:3], s[12:13]
.LBB55_7:
	s_mov_b32 s6, exec_lo
.LBB55_8:
	s_or_b32 exec_lo, exec_lo, s2
	s_delay_alu instid0(SALU_CYCLE_1) | instskip(SKIP_1) | instid1(SALU_CYCLE_1)
	s_and_b32 s38, s6, exec_lo
	s_or_b32 exec_lo, exec_lo, s4
	s_and_b32 vcc_lo, exec_lo, s3
	s_cbranch_vccnz .LBB55_11
	s_branch .LBB55_48
.LBB55_9:
                                        ; implicit-def: $vgpr2_vgpr3
                                        ; implicit-def: $vgpr0_vgpr1
	s_cbranch_execnz .LBB55_11
	s_branch .LBB55_48
.LBB55_10:
	s_or_b32 exec_lo, exec_lo, s4
	s_delay_alu instid0(SALU_CYCLE_1)
	s_and_b32 vcc_lo, exec_lo, s3
	s_cbranch_vccz .LBB55_48
.LBB55_11:
	s_load_b512 s[16:31], s[0:1], 0x18
	v_dual_mov_b32 v8, 0 :: v_dual_lshlrev_b32 v55, 2, v54
	s_lshl_b32 s39, s14, 8
	s_ashr_i32 s0, s37, 31
	v_dual_mov_b32 v9, 0 :: v_dual_add_nc_u32 v0, s39, v53
	s_lshr_b32 s0, s0, 28
	v_mov_b32_e32 v6, v8
	s_add_i32 s0, s37, s0
	s_delay_alu instid0(VALU_DEP_2)
	v_dual_mov_b32 v7, v9 :: v_dual_mov_b32 v4, v8
	v_dual_mov_b32 v5, v9 :: v_dual_mov_b32 v2, v8
	v_mov_b32_e32 v3, v9
	s_and_b32 s40, s0, -16
	s_mov_b32 s41, exec_lo
	s_waitcnt lgkmcnt(0)
	s_mul_i32 s0, s15, s23
	s_mul_hi_u32 s1, s15, s22
	s_mul_i32 s2, s15, s31
	s_mul_hi_u32 s3, s15, s30
	s_mul_i32 s6, s15, s22
	s_add_i32 s7, s1, s0
	s_add_i32 s11, s3, s2
	s_mul_i32 s10, s15, s30
	v_cmpx_gt_i32_e64 s40, v55
	s_cbranch_execz .LBB55_23
; %bb.12:
	v_lshlrev_b32_e32 v21, 2, v54
	v_mad_u64_u32 v[2:3], null, s28, v54, 0
	s_lshl_b64 s[0:1], s[10:11], 3
	s_lshl_b64 s[14:15], s[26:27], 3
	s_delay_alu instid0(VALU_DEP_2)
	v_or_b32_e32 v12, 3, v21
	s_add_u32 s4, s24, s0
	v_ashrrev_i32_e32 v1, 31, v0
	s_addc_u32 s44, s25, s1
	s_lshl_b64 s[30:31], s[18:19], 3
	v_mad_u64_u32 v[4:5], null, s20, v12, 0
	s_lshl_b64 s[22:23], s[28:29], 7
	s_lshl_b64 s[42:43], s[6:7], 3
	v_cmp_gt_i32_e32 vcc_lo, s36, v0
	s_delay_alu instid0(VALU_DEP_2) | instskip(SKIP_1) | instid1(VALU_DEP_2)
	v_mad_u64_u32 v[6:7], null, s29, v54, v[3:4]
	v_mad_u64_u32 v[7:8], null, s28, v12, 0
	v_dual_mov_b32 v3, v6 :: v_dual_add_nc_u32 v14, 0xc0, v0
	v_mad_u64_u32 v[9:10], null, s21, v12, v[5:6]
	s_delay_alu instid0(VALU_DEP_3)
	v_mov_b32_e32 v6, v8
	v_or_b32_e32 v22, 2, v21
	v_mad_u64_u32 v[17:18], null, s28, v21, s[28:29]
	v_add_nc_u32_e32 v13, 0x80, v0
	v_lshlrev_b64 v[2:3], 5, v[2:3]
	v_mov_b32_e32 v5, v9
	v_mad_u64_u32 v[8:9], null, s29, v12, v[6:7]
	s_delay_alu instid0(VALU_DEP_4) | instskip(SKIP_3) | instid1(VALU_DEP_2)
	v_cmp_gt_i32_e64 s1, s36, v13
	v_mad_u64_u32 v[12:13], null, s20, v22, 0
	v_add_nc_u32_e32 v11, 64, v0
	v_cmp_gt_i32_e64 s2, s36, v14
	v_cmp_gt_i32_e64 s0, s36, v11
	v_lshlrev_b64 v[10:11], 3, v[0:1]
	v_add_co_u32 v1, s3, s4, v2
	s_delay_alu instid0(VALU_DEP_1)
	v_add_co_ci_u32_e64 v56, s3, s44, v3, s3
	v_lshlrev_b64 v[2:3], 3, v[4:5]
	v_mad_u64_u32 v[4:5], null, s20, v54, 0
	s_add_u32 s3, s16, s30
	s_addc_u32 s30, s17, s31
	s_add_u32 s31, s3, s42
	s_addc_u32 s30, s30, s43
	v_add_co_u32 v57, s3, s31, v2
	v_mov_b32_e32 v2, v13
	s_delay_alu instid0(VALU_DEP_3) | instskip(SKIP_4) | instid1(VALU_DEP_3)
	v_mad_u64_u32 v[14:15], null, s21, v54, v[5:6]
	v_mad_u64_u32 v[15:16], null, s28, v22, 0
	v_add_co_ci_u32_e64 v58, s3, s30, v3, s3
	v_lshlrev_b64 v[6:7], 3, v[7:8]
	s_mov_b32 s42, 0
	v_mov_b32_e32 v3, v16
	s_delay_alu instid0(VALU_DEP_2) | instskip(SKIP_1) | instid1(VALU_DEP_3)
	v_add_co_u32 v59, s3, s4, v6
	v_mov_b32_e32 v6, v18
	v_mad_u64_u32 v[8:9], null, s21, v22, v[2:3]
	v_add_co_ci_u32_e64 v60, s3, s44, v7, s3
	v_mad_u64_u32 v[19:20], null, s29, v22, v[3:4]
	v_mad_u64_u32 v[2:3], null, s20, v21, s[20:21]
	s_delay_alu instid0(VALU_DEP_4) | instskip(SKIP_1) | instid1(VALU_DEP_4)
	v_mov_b32_e32 v13, v8
	v_mad_u64_u32 v[7:8], null, s29, v21, v[6:7]
	v_dual_mov_b32 v5, v14 :: v_dual_mov_b32 v16, v19
	s_delay_alu instid0(VALU_DEP_2) | instskip(NEXT) | instid1(VALU_DEP_2)
	v_mov_b32_e32 v18, v7
	v_lshlrev_b64 v[4:5], 5, v[4:5]
	s_delay_alu instid0(VALU_DEP_1) | instskip(NEXT) | instid1(VALU_DEP_1)
	v_add_co_u32 v61, s3, s31, v4
	v_add_co_ci_u32_e64 v62, s3, s30, v5, s3
	v_lshlrev_b64 v[4:5], 3, v[12:13]
	v_lshlrev_b64 v[12:13], 3, v[15:16]
	s_delay_alu instid0(VALU_DEP_2) | instskip(SKIP_1) | instid1(VALU_DEP_1)
	v_mad_u64_u32 v[8:9], null, s21, v21, v[3:4]
	v_add_co_u32 v63, s3, s31, v4
	v_add_co_ci_u32_e64 v64, s3, s30, v5, s3
	v_lshlrev_b64 v[4:5], 3, v[17:18]
	v_add_co_u32 v65, s3, s4, v12
	v_mov_b32_e32 v3, v8
	v_add_co_ci_u32_e64 v66, s3, s44, v13, s3
	v_mov_b32_e32 v8, 0
	v_mov_b32_e32 v9, 0
	s_delay_alu instid0(VALU_DEP_4) | instskip(SKIP_1) | instid1(VALU_DEP_1)
	v_lshlrev_b64 v[2:3], 3, v[2:3]
	v_add_co_u32 v67, s3, s4, v4
	v_add_co_ci_u32_e64 v68, s3, s44, v5, s3
	s_delay_alu instid0(VALU_DEP_4) | instskip(NEXT) | instid1(VALU_DEP_4)
	v_dual_mov_b32 v6, v8 :: v_dual_mov_b32 v7, v9
	v_add_co_u32 v69, s3, s31, v2
	s_delay_alu instid0(VALU_DEP_1)
	v_add_co_ci_u32_e64 v70, s3, s30, v3, s3
	v_dual_mov_b32 v4, v8 :: v_dual_mov_b32 v5, v9
	v_dual_mov_b32 v2, v8 :: v_dual_mov_b32 v3, v9
	s_lshl_b64 s[30:31], s[20:21], 7
	s_branch .LBB55_17
.LBB55_13:                              ;   in Loop: Header=BB55_17 Depth=1
	s_or_b32 exec_lo, exec_lo, s44
	s_waitcnt vmcnt(3)
	v_fma_f64 v[4:5], v[12:13], v[44:45], v[4:5]
	s_waitcnt vmcnt(2)
	s_delay_alu instid0(VALU_DEP_1) | instskip(SKIP_1) | instid1(VALU_DEP_1)
	v_fma_f64 v[4:5], v[14:15], v[46:47], v[4:5]
	s_waitcnt vmcnt(1)
	v_fma_f64 v[4:5], v[16:17], v[48:49], v[4:5]
	s_waitcnt vmcnt(0)
	s_delay_alu instid0(VALU_DEP_1)
	v_fma_f64 v[4:5], v[18:19], v[50:51], v[4:5]
.LBB55_14:                              ;   in Loop: Header=BB55_17 Depth=1
	s_or_b32 exec_lo, exec_lo, s43
	s_waitcnt vmcnt(3)
	v_fma_f64 v[6:7], v[12:13], v[34:35], v[6:7]
	s_waitcnt vmcnt(2)
	s_delay_alu instid0(VALU_DEP_1) | instskip(SKIP_1) | instid1(VALU_DEP_1)
	v_fma_f64 v[6:7], v[14:15], v[36:37], v[6:7]
	s_waitcnt vmcnt(1)
	v_fma_f64 v[6:7], v[16:17], v[38:39], v[6:7]
	s_waitcnt vmcnt(0)
	s_delay_alu instid0(VALU_DEP_1)
	v_fma_f64 v[6:7], v[18:19], v[40:41], v[6:7]
.LBB55_15:                              ;   in Loop: Header=BB55_17 Depth=1
	s_or_b32 exec_lo, exec_lo, s3
	s_waitcnt vmcnt(3)
	v_fma_f64 v[8:9], v[12:13], v[20:21], v[8:9]
	s_waitcnt vmcnt(2)
	s_delay_alu instid0(VALU_DEP_1) | instskip(SKIP_1) | instid1(VALU_DEP_1)
	v_fma_f64 v[8:9], v[14:15], v[22:23], v[8:9]
	s_waitcnt vmcnt(1)
	v_fma_f64 v[8:9], v[16:17], v[24:25], v[8:9]
	s_waitcnt vmcnt(0)
	s_delay_alu instid0(VALU_DEP_1)
	v_fma_f64 v[8:9], v[18:19], v[26:27], v[8:9]
.LBB55_16:                              ;   in Loop: Header=BB55_17 Depth=1
	s_or_b32 exec_lo, exec_lo, s4
	v_add_co_u32 v1, s3, v1, s22
	s_delay_alu instid0(VALU_DEP_1) | instskip(SKIP_1) | instid1(VALU_DEP_1)
	v_add_co_ci_u32_e64 v56, s3, s23, v56, s3
	v_add_co_u32 v57, s3, v57, s30
	v_add_co_ci_u32_e64 v58, s3, s31, v58, s3
	v_add_co_u32 v59, s3, v59, s22
	s_delay_alu instid0(VALU_DEP_1) | instskip(SKIP_1) | instid1(VALU_DEP_1)
	v_add_co_ci_u32_e64 v60, s3, s23, v60, s3
	v_add_co_u32 v61, s3, v61, s30
	v_add_co_ci_u32_e64 v62, s3, s31, v62, s3
	v_add_co_u32 v63, s3, v63, s30
	s_delay_alu instid0(VALU_DEP_1) | instskip(SKIP_4) | instid1(VALU_DEP_1)
	v_add_co_ci_u32_e64 v64, s3, s31, v64, s3
	v_add_co_u32 v65, s3, v65, s22
	v_add_nc_u32_e32 v55, 16, v55
	v_add_co_ci_u32_e64 v66, s3, s23, v66, s3
	v_add_co_u32 v67, s3, v67, s22
	v_add_co_ci_u32_e64 v68, s3, s23, v68, s3
	s_delay_alu instid0(VALU_DEP_4) | instskip(SKIP_1) | instid1(VALU_DEP_1)
	v_cmp_le_i32_e64 s3, s40, v55
	v_add_co_u32 v69, s4, v69, s30
	v_add_co_ci_u32_e64 v70, s4, s31, v70, s4
	s_delay_alu instid0(VALU_DEP_3) | instskip(NEXT) | instid1(SALU_CYCLE_1)
	s_or_b32 s42, s3, s42
	s_and_not1_b32 exec_lo, exec_lo, s42
	s_cbranch_execz .LBB55_22
.LBB55_17:                              ; =>This Inner Loop Header: Depth=1
	s_and_saveexec_b32 s4, vcc_lo
	s_cbranch_execz .LBB55_16
; %bb.18:                               ;   in Loop: Header=BB55_17 Depth=1
	v_add_co_u32 v12, s3, v1, s14
	s_delay_alu instid0(VALU_DEP_1) | instskip(SKIP_1) | instid1(VALU_DEP_1)
	v_add_co_ci_u32_e64 v13, s3, s15, v56, s3
	v_add_co_u32 v14, s3, v67, s14
	v_add_co_ci_u32_e64 v15, s3, s15, v68, s3
	v_add_co_u32 v16, s3, v65, s14
	s_delay_alu instid0(VALU_DEP_1) | instskip(SKIP_1) | instid1(VALU_DEP_1)
	v_add_co_ci_u32_e64 v17, s3, s15, v66, s3
	v_add_co_u32 v18, s3, v59, s14
	v_add_co_ci_u32_e64 v19, s3, s15, v60, s3
	;; [unrolled: 5-line block ×4, first 2 shown]
	global_load_b64 v[12:13], v[12:13], off
	global_load_b64 v[14:15], v[14:15], off
	;; [unrolled: 1-line block ×8, first 2 shown]
	s_and_saveexec_b32 s3, s0
	s_cbranch_execz .LBB55_15
; %bb.19:                               ;   in Loop: Header=BB55_17 Depth=1
	global_load_b64 v[34:35], v[28:29], off offset:512
	global_load_b64 v[36:37], v[30:31], off offset:512
	global_load_b64 v[38:39], v[32:33], off offset:512
	global_load_b64 v[40:41], v[42:43], off offset:512
	s_and_saveexec_b32 s43, s1
	s_cbranch_execz .LBB55_14
; %bb.20:                               ;   in Loop: Header=BB55_17 Depth=1
	global_load_b64 v[44:45], v[28:29], off offset:1024
	global_load_b64 v[46:47], v[30:31], off offset:1024
	global_load_b64 v[48:49], v[32:33], off offset:1024
	global_load_b64 v[50:51], v[42:43], off offset:1024
	;; [unrolled: 7-line block ×3, first 2 shown]
	s_waitcnt vmcnt(3)
	v_fma_f64 v[2:3], v[12:13], v[28:29], v[2:3]
	s_waitcnt vmcnt(2)
	s_delay_alu instid0(VALU_DEP_1) | instskip(SKIP_1) | instid1(VALU_DEP_1)
	v_fma_f64 v[2:3], v[14:15], v[30:31], v[2:3]
	s_waitcnt vmcnt(1)
	v_fma_f64 v[2:3], v[16:17], v[32:33], v[2:3]
	s_waitcnt vmcnt(0)
	s_delay_alu instid0(VALU_DEP_1)
	v_fma_f64 v[2:3], v[18:19], v[42:43], v[2:3]
	s_branch .LBB55_13
.LBB55_22:
	s_or_b32 exec_lo, exec_lo, s42
.LBB55_23:
	s_delay_alu instid0(SALU_CYCLE_1) | instskip(SKIP_1) | instid1(SALU_CYCLE_1)
	s_or_b32 exec_lo, exec_lo, s41
	s_sub_i32 s0, s37, s40
	s_cmp_lt_i32 s0, 1
	s_cbranch_scc1 .LBB55_41
; %bb.24:
	v_mov_b32_e32 v14, 0
	v_mov_b32_e32 v15, 0
	v_cmp_gt_i32_e32 vcc_lo, s37, v55
	v_or_b32_e32 v20, 1, v55
	s_delay_alu instid0(VALU_DEP_4) | instskip(NEXT) | instid1(VALU_DEP_4)
	v_mov_b32_e32 v12, v14
	v_dual_mov_b32 v10, v14 :: v_dual_mov_b32 v11, v15
	v_dual_mov_b32 v17, v15 :: v_dual_mov_b32 v16, v14
	v_mov_b32_e32 v13, v15
	s_and_saveexec_b32 s1, vcc_lo
	s_cbranch_execz .LBB55_32
; %bb.25:
	v_mad_u64_u32 v[10:11], null, v55, s28, 0
	s_lshl_b64 s[2:3], s[10:11], 3
	s_delay_alu instid0(SALU_CYCLE_1) | instskip(SKIP_2) | instid1(SALU_CYCLE_1)
	s_add_u32 s0, s24, s2
	s_addc_u32 s2, s25, s3
	s_lshl_b64 s[10:11], s[26:27], 3
	s_add_u32 s3, s0, s10
	s_delay_alu instid0(VALU_DEP_1) | instskip(SKIP_2) | instid1(VALU_DEP_1)
	v_mov_b32_e32 v1, v11
	s_addc_u32 s4, s2, s11
	s_mov_b32 s2, exec_lo
	v_mad_u64_u32 v[11:12], null, v55, s29, v[1:2]
	v_mov_b32_e32 v12, 0
	v_mov_b32_e32 v13, 0
	s_delay_alu instid0(VALU_DEP_1) | instskip(NEXT) | instid1(VALU_DEP_4)
	v_dual_mov_b32 v17, v13 :: v_dual_mov_b32 v16, v12
	v_lshlrev_b64 v[10:11], 3, v[10:11]
	v_dual_mov_b32 v15, v13 :: v_dual_mov_b32 v14, v12
	s_delay_alu instid0(VALU_DEP_2) | instskip(NEXT) | instid1(VALU_DEP_1)
	v_add_co_u32 v10, s0, s3, v10
	v_add_co_ci_u32_e64 v11, s0, s4, v11, s0
	global_load_b64 v[10:11], v[10:11], off
	v_cmpx_gt_i32_e64 s37, v20
	s_cbranch_execz .LBB55_31
; %bb.26:
	v_mad_u64_u32 v[12:13], null, v20, s28, 0
	s_mov_b32 s10, exec_lo
	v_mov_b32_e32 v16, 0
	v_mov_b32_e32 v17, 0
	s_delay_alu instid0(VALU_DEP_3) | instskip(NEXT) | instid1(VALU_DEP_1)
	v_mov_b32_e32 v1, v13
	v_mad_u64_u32 v[13:14], null, v20, s29, v[1:2]
	v_or_b32_e32 v1, 2, v55
	s_delay_alu instid0(VALU_DEP_4) | instskip(NEXT) | instid1(VALU_DEP_3)
	v_dual_mov_b32 v14, v16 :: v_dual_mov_b32 v15, v17
	v_lshlrev_b64 v[12:13], 3, v[12:13]
	s_delay_alu instid0(VALU_DEP_1) | instskip(NEXT) | instid1(VALU_DEP_1)
	v_add_co_u32 v12, s0, s3, v12
	v_add_co_ci_u32_e64 v13, s0, s4, v13, s0
	global_load_b64 v[12:13], v[12:13], off
	v_cmpx_gt_i32_e64 s37, v1
	s_cbranch_execz .LBB55_30
; %bb.27:
	v_mad_u64_u32 v[14:15], null, v1, s28, 0
	s_mov_b32 s11, exec_lo
	s_delay_alu instid0(VALU_DEP_1) | instskip(SKIP_1) | instid1(VALU_DEP_2)
	v_mad_u64_u32 v[16:17], null, v1, s29, v[15:16]
	v_or_b32_e32 v1, 3, v55
	v_mov_b32_e32 v15, v16
	s_delay_alu instid0(VALU_DEP_1) | instskip(NEXT) | instid1(VALU_DEP_1)
	v_lshlrev_b64 v[14:15], 3, v[14:15]
	v_add_co_u32 v14, s0, s3, v14
	s_delay_alu instid0(VALU_DEP_1)
	v_add_co_ci_u32_e64 v15, s0, s4, v15, s0
	global_load_b64 v[16:17], v[14:15], off
	v_mov_b32_e32 v14, 0
	v_mov_b32_e32 v15, 0
	v_cmpx_gt_i32_e64 s37, v1
	s_cbranch_execz .LBB55_29
; %bb.28:
	v_mad_u64_u32 v[14:15], null, v1, s28, 0
	s_waitcnt vmcnt(0)
	s_delay_alu instid0(VALU_DEP_1) | instskip(NEXT) | instid1(VALU_DEP_1)
	v_mad_u64_u32 v[18:19], null, v1, s29, v[15:16]
	v_mov_b32_e32 v15, v18
	s_delay_alu instid0(VALU_DEP_1) | instskip(NEXT) | instid1(VALU_DEP_1)
	v_lshlrev_b64 v[14:15], 3, v[14:15]
	v_add_co_u32 v14, s0, s3, v14
	s_delay_alu instid0(VALU_DEP_1)
	v_add_co_ci_u32_e64 v15, s0, s4, v15, s0
	global_load_b64 v[14:15], v[14:15], off
.LBB55_29:
	s_or_b32 exec_lo, exec_lo, s11
.LBB55_30:
	s_delay_alu instid0(SALU_CYCLE_1)
	s_or_b32 exec_lo, exec_lo, s10
.LBB55_31:
	s_delay_alu instid0(SALU_CYCLE_1)
	s_or_b32 exec_lo, exec_lo, s2
.LBB55_32:
	s_delay_alu instid0(SALU_CYCLE_1) | instskip(NEXT) | instid1(SALU_CYCLE_1)
	s_or_b32 exec_lo, exec_lo, s1
	s_mov_b32 s1, exec_lo
	v_cmpx_gt_i32_e64 s36, v0
	s_cbranch_execz .LBB55_40
; %bb.33:
	v_mad_u64_u32 v[18:19], null, v55, s20, 0
	v_mad_u64_u32 v[24:25], null, v20, s20, 0
	s_lshl_b64 s[2:3], s[6:7], 3
	v_or_b32_e32 v27, 2, v55
	s_add_u32 s0, s16, s2
	s_addc_u32 s4, s17, s3
	s_delay_alu instid0(VALU_DEP_3) | instskip(SKIP_3) | instid1(VALU_DEP_2)
	v_dual_mov_b32 v1, v19 :: v_dual_cndmask_b32 v18, 0, v18
	s_lshl_b64 s[2:3], s[18:19], 3
	v_or_b32_e32 v36, 3, v55
	s_add_u32 s0, s0, s2
	v_mad_u64_u32 v[21:22], null, v55, s21, v[1:2]
	v_ashrrev_i32_e32 v1, 31, v0
	s_addc_u32 s2, s4, s3
	s_delay_alu instid0(VALU_DEP_1) | instskip(NEXT) | instid1(VALU_DEP_3)
	v_lshlrev_b64 v[22:23], 3, v[0:1]
	v_cndmask_b32_e32 v19, 0, v21, vcc_lo
	s_delay_alu instid0(VALU_DEP_1) | instskip(NEXT) | instid1(VALU_DEP_1)
	v_lshlrev_b64 v[18:19], 3, v[18:19]
	v_add_co_u32 v1, vcc_lo, s0, v18
	s_delay_alu instid0(VALU_DEP_2) | instskip(NEXT) | instid1(VALU_DEP_2)
	v_add_co_ci_u32_e32 v19, vcc_lo, s2, v19, vcc_lo
	v_add_co_u32 v18, vcc_lo, v1, v22
	s_delay_alu instid0(VALU_DEP_2) | instskip(SKIP_4) | instid1(VALU_DEP_1)
	v_add_co_ci_u32_e32 v19, vcc_lo, v19, v23, vcc_lo
	v_mov_b32_e32 v1, v25
	v_cmp_gt_i32_e32 vcc_lo, s37, v20
	global_load_b64 v[28:29], v[18:19], off
	v_mad_u64_u32 v[25:26], null, v20, s21, v[1:2]
	v_dual_cndmask_b32 v20, 0, v24 :: v_dual_cndmask_b32 v21, 0, v25
	v_mad_u64_u32 v[24:25], null, v27, s20, 0
	s_delay_alu instid0(VALU_DEP_2) | instskip(NEXT) | instid1(VALU_DEP_1)
	v_lshlrev_b64 v[20:21], 3, v[20:21]
	v_add_co_u32 v1, vcc_lo, s0, v20
	s_delay_alu instid0(VALU_DEP_2) | instskip(NEXT) | instid1(VALU_DEP_2)
	v_add_co_ci_u32_e32 v21, vcc_lo, s2, v21, vcc_lo
	v_add_co_u32 v20, vcc_lo, v1, v22
	s_delay_alu instid0(VALU_DEP_2)
	v_add_co_ci_u32_e32 v21, vcc_lo, v21, v23, vcc_lo
	v_mov_b32_e32 v1, v25
	v_cmp_gt_i32_e32 vcc_lo, s37, v27
	global_load_b64 v[30:31], v[20:21], off
	v_mad_u64_u32 v[25:26], null, v27, s21, v[1:2]
	v_cndmask_b32_e32 v24, 0, v24, vcc_lo
	v_mad_u64_u32 v[26:27], null, v36, s20, 0
	s_delay_alu instid0(VALU_DEP_3) | instskip(NEXT) | instid1(VALU_DEP_1)
	v_cndmask_b32_e32 v25, 0, v25, vcc_lo
	v_lshlrev_b64 v[24:25], 3, v[24:25]
	s_delay_alu instid0(VALU_DEP_1) | instskip(NEXT) | instid1(VALU_DEP_2)
	v_add_co_u32 v1, vcc_lo, s0, v24
	v_add_co_ci_u32_e32 v25, vcc_lo, s2, v25, vcc_lo
	s_delay_alu instid0(VALU_DEP_2) | instskip(NEXT) | instid1(VALU_DEP_2)
	v_add_co_u32 v24, vcc_lo, v1, v22
	v_add_co_ci_u32_e32 v25, vcc_lo, v25, v23, vcc_lo
	v_mov_b32_e32 v1, v27
	v_cmp_gt_i32_e32 vcc_lo, s37, v36
	global_load_b64 v[32:33], v[24:25], off
	v_mad_u64_u32 v[34:35], null, v36, s21, v[1:2]
	v_cndmask_b32_e32 v26, 0, v26, vcc_lo
	s_delay_alu instid0(VALU_DEP_2) | instskip(NEXT) | instid1(VALU_DEP_1)
	v_cndmask_b32_e32 v27, 0, v34, vcc_lo
	v_lshlrev_b64 v[26:27], 3, v[26:27]
	s_delay_alu instid0(VALU_DEP_1) | instskip(NEXT) | instid1(VALU_DEP_2)
	v_add_co_u32 v1, vcc_lo, s0, v26
	v_add_co_ci_u32_e32 v27, vcc_lo, s2, v27, vcc_lo
	s_mov_b32 s0, exec_lo
	s_delay_alu instid0(VALU_DEP_2) | instskip(NEXT) | instid1(VALU_DEP_2)
	v_add_co_u32 v26, vcc_lo, v1, v22
	v_add_co_ci_u32_e32 v27, vcc_lo, v27, v23, vcc_lo
	v_add_nc_u32_e32 v1, 64, v0
	global_load_b64 v[22:23], v[26:27], off
	s_waitcnt vmcnt(3)
	v_fma_f64 v[8:9], v[10:11], v[28:29], v[8:9]
	s_waitcnt vmcnt(2)
	s_delay_alu instid0(VALU_DEP_1) | instskip(SKIP_1) | instid1(VALU_DEP_1)
	v_fma_f64 v[8:9], v[12:13], v[30:31], v[8:9]
	s_waitcnt vmcnt(1)
	v_fma_f64 v[8:9], v[16:17], v[32:33], v[8:9]
	v_cmpx_gt_i32_e64 s36, v1
	s_cbranch_execz .LBB55_39
; %bb.34:
	s_clause 0x3
	global_load_b64 v[30:31], v[18:19], off offset:512
	global_load_b64 v[32:33], v[20:21], off offset:512
	;; [unrolled: 1-line block ×4, first 2 shown]
	v_add_nc_u32_e32 v1, 0x80, v0
	s_mov_b32 s2, exec_lo
	s_waitcnt vmcnt(3)
	v_fma_f64 v[6:7], v[10:11], v[30:31], v[6:7]
	s_waitcnt vmcnt(2)
	s_delay_alu instid0(VALU_DEP_1) | instskip(SKIP_1) | instid1(VALU_DEP_1)
	v_fma_f64 v[6:7], v[12:13], v[32:33], v[6:7]
	s_waitcnt vmcnt(1)
	v_fma_f64 v[6:7], v[16:17], v[34:35], v[6:7]
	v_cmpx_gt_i32_e64 s36, v1
	s_cbranch_execz .LBB55_38
; %bb.35:
	s_clause 0x3
	global_load_b64 v[32:33], v[18:19], off offset:1024
	global_load_b64 v[34:35], v[20:21], off offset:1024
	;; [unrolled: 1-line block ×4, first 2 shown]
	v_add_nc_u32_e32 v0, 0xc0, v0
	s_mov_b32 s3, exec_lo
	s_waitcnt vmcnt(3)
	v_fma_f64 v[4:5], v[10:11], v[32:33], v[4:5]
	s_waitcnt vmcnt(2)
	s_delay_alu instid0(VALU_DEP_1) | instskip(SKIP_1) | instid1(VALU_DEP_1)
	v_fma_f64 v[4:5], v[12:13], v[34:35], v[4:5]
	s_waitcnt vmcnt(1)
	v_fma_f64 v[4:5], v[16:17], v[36:37], v[4:5]
	v_cmpx_gt_i32_e64 s36, v0
	s_cbranch_execz .LBB55_37
; %bb.36:
	s_clause 0x3
	global_load_b64 v[0:1], v[18:19], off offset:1536
	global_load_b64 v[18:19], v[20:21], off offset:1536
	;; [unrolled: 1-line block ×4, first 2 shown]
	s_waitcnt vmcnt(3)
	v_fma_f64 v[0:1], v[10:11], v[0:1], v[2:3]
	s_waitcnt vmcnt(2)
	s_delay_alu instid0(VALU_DEP_1) | instskip(SKIP_1) | instid1(VALU_DEP_1)
	v_fma_f64 v[0:1], v[12:13], v[18:19], v[0:1]
	s_waitcnt vmcnt(1)
	v_fma_f64 v[0:1], v[16:17], v[20:21], v[0:1]
	s_waitcnt vmcnt(0)
	s_delay_alu instid0(VALU_DEP_1)
	v_fma_f64 v[2:3], v[14:15], v[24:25], v[0:1]
.LBB55_37:
	s_or_b32 exec_lo, exec_lo, s3
	s_waitcnt vmcnt(0)
	s_delay_alu instid0(VALU_DEP_2)
	v_fma_f64 v[4:5], v[14:15], v[30:31], v[4:5]
.LBB55_38:
	s_or_b32 exec_lo, exec_lo, s2
	s_waitcnt vmcnt(0)
	s_delay_alu instid0(VALU_DEP_2)
	v_fma_f64 v[6:7], v[14:15], v[28:29], v[6:7]
.LBB55_39:
	s_or_b32 exec_lo, exec_lo, s0
	s_waitcnt vmcnt(0)
	s_delay_alu instid0(VALU_DEP_2)
	v_fma_f64 v[8:9], v[14:15], v[22:23], v[8:9]
.LBB55_40:
	s_or_b32 exec_lo, exec_lo, s1
.LBB55_41:
	v_lshlrev_b32_e32 v0, 8, v54
	s_mov_b32 s0, exec_lo
	s_delay_alu instid0(VALU_DEP_1)
	v_add_lshl_u32 v0, v0, v53, 3
	ds_store_2addr_stride64_b64 v0, v[8:9], v[6:7] offset1:1
	ds_store_2addr_stride64_b64 v0, v[4:5], v[2:3] offset0:2 offset1:3
	s_waitcnt vmcnt(0) lgkmcnt(0)
	s_barrier
	buffer_gl0_inv
                                        ; implicit-def: $vgpr2_vgpr3
                                        ; implicit-def: $vgpr0_vgpr1
	v_cmpx_gt_u32_e32 0x100, v52
	s_cbranch_execz .LBB55_47
; %bb.42:
	v_lshlrev_b32_e32 v7, 3, v52
	v_or_b32_e32 v6, s39, v52
	s_mov_b32 s2, s38
	s_mov_b32 s1, exec_lo
	ds_load_2addr_stride64_b64 v[0:3], v7 offset1:4
	s_waitcnt lgkmcnt(0)
	v_add_f64 v[4:5], v[0:1], v[2:3]
	ds_load_2addr_stride64_b64 v[0:3], v7 offset0:8 offset1:12
	s_waitcnt lgkmcnt(0)
	v_add_f64 v[0:1], v[0:1], v[4:5]
	s_delay_alu instid0(VALU_DEP_1)
	v_add_f64 v[4:5], v[2:3], v[0:1]
                                        ; implicit-def: $vgpr2_vgpr3
                                        ; implicit-def: $vgpr0_vgpr1
	ds_store_b64 v7, v[4:5]
	v_cmpx_gt_i32_e64 s36, v6
	s_cbranch_execz .LBB55_46
; %bb.43:
	v_cmp_eq_f64_e64 s2, s[12:13], 0
	v_mul_f64 v[2:3], v[4:5], s[34:35]
	v_ashrrev_i32_e32 v0, 31, v6
	v_mul_lo_u32 v4, v6, s9
	s_delay_alu instid0(VALU_DEP_2) | instskip(SKIP_1) | instid1(VALU_DEP_1)
	v_mul_lo_u32 v5, v0, s8
	v_mad_u64_u32 v[0:1], null, v6, s8, 0
	v_add3_u32 v1, v1, v4, v5
	s_and_b32 vcc_lo, exec_lo, s2
	s_cbranch_vccnz .LBB55_45
; %bb.44:
	s_delay_alu instid0(VALU_DEP_1) | instskip(NEXT) | instid1(VALU_DEP_1)
	v_lshlrev_b64 v[4:5], 3, v[0:1]
	v_add_co_u32 v4, vcc_lo, s5, v4
	s_delay_alu instid0(VALU_DEP_2)
	v_add_co_ci_u32_e32 v5, vcc_lo, s33, v5, vcc_lo
	global_load_b64 v[4:5], v[4:5], off
	s_waitcnt vmcnt(0)
	v_fma_f64 v[2:3], v[4:5], s[12:13], v[2:3]
.LBB55_45:
	s_or_b32 s2, s38, exec_lo
.LBB55_46:
	s_or_b32 exec_lo, exec_lo, s1
	s_delay_alu instid0(SALU_CYCLE_1) | instskip(SKIP_1) | instid1(SALU_CYCLE_1)
	s_and_not1_b32 s1, s38, exec_lo
	s_and_b32 s2, s2, exec_lo
	s_or_b32 s38, s1, s2
.LBB55_47:
	s_or_b32 exec_lo, exec_lo, s0
.LBB55_48:
	s_and_saveexec_b32 s0, s38
	s_cbranch_execz .LBB55_50
; %bb.49:
	v_lshlrev_b64 v[0:1], 3, v[0:1]
	s_delay_alu instid0(VALU_DEP_1) | instskip(NEXT) | instid1(VALU_DEP_2)
	v_add_co_u32 v0, vcc_lo, s5, v0
	v_add_co_ci_u32_e32 v1, vcc_lo, s33, v1, vcc_lo
	global_store_b64 v[0:1], v[2:3], off
.LBB55_50:
	s_nop 0
	s_sendmsg sendmsg(MSG_DEALLOC_VGPRS)
	s_endpgm
	.section	.rodata,"a",@progbits
	.p2align	6, 0x0
	.amdhsa_kernel _ZL20rocblas_gemvn_kernelILi64ELi4EldddEviiT3_lPKT2_lT1_lS3_lS4_lS0_lPT4_lS4_li
		.amdhsa_group_segment_fixed_size 8192
		.amdhsa_private_segment_fixed_size 0
		.amdhsa_kernarg_size 400
		.amdhsa_user_sgpr_count 14
		.amdhsa_user_sgpr_dispatch_ptr 0
		.amdhsa_user_sgpr_queue_ptr 0
		.amdhsa_user_sgpr_kernarg_segment_ptr 1
		.amdhsa_user_sgpr_dispatch_id 0
		.amdhsa_user_sgpr_private_segment_size 0
		.amdhsa_wavefront_size32 1
		.amdhsa_uses_dynamic_stack 0
		.amdhsa_enable_private_segment 0
		.amdhsa_system_sgpr_workgroup_id_x 1
		.amdhsa_system_sgpr_workgroup_id_y 0
		.amdhsa_system_sgpr_workgroup_id_z 1
		.amdhsa_system_sgpr_workgroup_info 0
		.amdhsa_system_vgpr_workitem_id 1
		.amdhsa_next_free_vgpr 71
		.amdhsa_next_free_sgpr 45
		.amdhsa_reserve_vcc 1
		.amdhsa_float_round_mode_32 0
		.amdhsa_float_round_mode_16_64 0
		.amdhsa_float_denorm_mode_32 3
		.amdhsa_float_denorm_mode_16_64 3
		.amdhsa_dx10_clamp 1
		.amdhsa_ieee_mode 1
		.amdhsa_fp16_overflow 0
		.amdhsa_workgroup_processor_mode 1
		.amdhsa_memory_ordered 1
		.amdhsa_forward_progress 0
		.amdhsa_shared_vgpr_count 0
		.amdhsa_exception_fp_ieee_invalid_op 0
		.amdhsa_exception_fp_denorm_src 0
		.amdhsa_exception_fp_ieee_div_zero 0
		.amdhsa_exception_fp_ieee_overflow 0
		.amdhsa_exception_fp_ieee_underflow 0
		.amdhsa_exception_fp_ieee_inexact 0
		.amdhsa_exception_int_div_zero 0
	.end_amdhsa_kernel
	.section	.text._ZL20rocblas_gemvn_kernelILi64ELi4EldddEviiT3_lPKT2_lT1_lS3_lS4_lS0_lPT4_lS4_li,"axG",@progbits,_ZL20rocblas_gemvn_kernelILi64ELi4EldddEviiT3_lPKT2_lT1_lS3_lS4_lS0_lPT4_lS4_li,comdat
.Lfunc_end55:
	.size	_ZL20rocblas_gemvn_kernelILi64ELi4EldddEviiT3_lPKT2_lT1_lS3_lS4_lS0_lPT4_lS4_li, .Lfunc_end55-_ZL20rocblas_gemvn_kernelILi64ELi4EldddEviiT3_lPKT2_lT1_lS3_lS4_lS0_lPT4_lS4_li
                                        ; -- End function
	.section	.AMDGPU.csdata,"",@progbits
; Kernel info:
; codeLenInByte = 3556
; NumSgprs: 47
; NumVgprs: 71
; ScratchSize: 0
; MemoryBound: 1
; FloatMode: 240
; IeeeMode: 1
; LDSByteSize: 8192 bytes/workgroup (compile time only)
; SGPRBlocks: 5
; VGPRBlocks: 8
; NumSGPRsForWavesPerEU: 47
; NumVGPRsForWavesPerEU: 71
; Occupancy: 16
; WaveLimiterHint : 1
; COMPUTE_PGM_RSRC2:SCRATCH_EN: 0
; COMPUTE_PGM_RSRC2:USER_SGPR: 14
; COMPUTE_PGM_RSRC2:TRAP_HANDLER: 0
; COMPUTE_PGM_RSRC2:TGID_X_EN: 1
; COMPUTE_PGM_RSRC2:TGID_Y_EN: 0
; COMPUTE_PGM_RSRC2:TGID_Z_EN: 1
; COMPUTE_PGM_RSRC2:TIDIG_COMP_CNT: 1
	.section	.text._ZL24rocblas_gemv_scal_kernelILi256EPKdPdEviT0_lT1_lili,"axG",@progbits,_ZL24rocblas_gemv_scal_kernelILi256EPKdPdEviT0_lT1_lili,comdat
	.globl	_ZL24rocblas_gemv_scal_kernelILi256EPKdPdEviT0_lT1_lili ; -- Begin function _ZL24rocblas_gemv_scal_kernelILi256EPKdPdEviT0_lT1_lili
	.p2align	8
	.type	_ZL24rocblas_gemv_scal_kernelILi256EPKdPdEviT0_lT1_lili,@function
_ZL24rocblas_gemv_scal_kernelILi256EPKdPdEviT0_lT1_lili: ; @_ZL24rocblas_gemv_scal_kernelILi256EPKdPdEviT0_lT1_lili
; %bb.0:
	s_load_b256 s[4:11], s[0:1], 0x8
	s_waitcnt lgkmcnt(0)
	s_mul_i32 s2, s15, s7
	s_mul_hi_u32 s3, s15, s6
	s_delay_alu instid0(SALU_CYCLE_1) | instskip(SKIP_1) | instid1(SALU_CYCLE_1)
	s_add_i32 s3, s3, s2
	s_mul_i32 s2, s15, s6
	s_lshl_b64 s[2:3], s[2:3], 3
	s_delay_alu instid0(SALU_CYCLE_1) | instskip(SKIP_4) | instid1(VALU_DEP_1)
	s_add_u32 s2, s4, s2
	s_addc_u32 s3, s5, s3
	s_load_b64 s[2:3], s[2:3], 0x0
	s_waitcnt lgkmcnt(0)
	v_cmp_eq_f64_e64 s4, s[2:3], 1.0
	s_and_b32 vcc_lo, exec_lo, s4
	s_cbranch_vccnz .LBB56_5
; %bb.1:
	s_clause 0x1
	s_load_b32 s5, s[0:1], 0x4c
	s_load_b32 s4, s[0:1], 0x0
	s_waitcnt lgkmcnt(0)
	s_and_b32 s5, s5, 0xffff
	s_delay_alu instid0(SALU_CYCLE_1)
	v_mad_u64_u32 v[1:2], null, s14, s5, v[0:1]
	v_mov_b32_e32 v2, 0
	s_ashr_i32 s5, s4, 31
	s_delay_alu instid0(VALU_DEP_1) | instid1(SALU_CYCLE_1)
	v_cmp_gt_i64_e32 vcc_lo, s[4:5], v[1:2]
	s_and_saveexec_b32 s4, vcc_lo
	s_cbranch_execz .LBB56_5
; %bb.2:
	s_load_b32 s4, s[0:1], 0x28
	v_cmp_eq_f64_e64 s5, s[2:3], 0
	s_load_b64 s[0:1], s[0:1], 0x30
	s_waitcnt lgkmcnt(0)
	v_mad_u64_u32 v[2:3], null, v1, s4, 0
	s_ashr_i32 s4, s4, 31
	s_mul_i32 s1, s15, s1
	s_delay_alu instid0(VALU_DEP_1) | instskip(NEXT) | instid1(VALU_DEP_1)
	v_mov_b32_e32 v0, v3
	v_mad_u64_u32 v[3:4], null, v1, s4, v[0:1]
	s_mul_hi_u32 s4, s15, s0
	s_mul_i32 s0, s15, s0
	s_add_i32 s1, s4, s1
	v_mov_b32_e32 v0, 0
	s_lshl_b64 s[0:1], s[0:1], 3
	v_mov_b32_e32 v1, 0
	s_delay_alu instid0(VALU_DEP_3) | instskip(SKIP_3) | instid1(SALU_CYCLE_1)
	v_lshlrev_b64 v[2:3], 3, v[2:3]
	s_add_u32 s4, s8, s0
	s_addc_u32 s6, s9, s1
	s_lshl_b64 s[0:1], s[10:11], 3
	s_add_u32 s0, s4, s0
	s_addc_u32 s1, s6, s1
	v_add_co_u32 v2, vcc_lo, s0, v2
	v_add_co_ci_u32_e32 v3, vcc_lo, s1, v3, vcc_lo
	s_and_b32 vcc_lo, exec_lo, s5
	s_cbranch_vccnz .LBB56_4
; %bb.3:
	global_load_b64 v[0:1], v[2:3], off
	s_waitcnt vmcnt(0)
	v_mul_f64 v[0:1], s[2:3], v[0:1]
.LBB56_4:
	global_store_b64 v[2:3], v[0:1], off
.LBB56_5:
	s_nop 0
	s_sendmsg sendmsg(MSG_DEALLOC_VGPRS)
	s_endpgm
	.section	.rodata,"a",@progbits
	.p2align	6, 0x0
	.amdhsa_kernel _ZL24rocblas_gemv_scal_kernelILi256EPKdPdEviT0_lT1_lili
		.amdhsa_group_segment_fixed_size 0
		.amdhsa_private_segment_fixed_size 0
		.amdhsa_kernarg_size 320
		.amdhsa_user_sgpr_count 14
		.amdhsa_user_sgpr_dispatch_ptr 0
		.amdhsa_user_sgpr_queue_ptr 0
		.amdhsa_user_sgpr_kernarg_segment_ptr 1
		.amdhsa_user_sgpr_dispatch_id 0
		.amdhsa_user_sgpr_private_segment_size 0
		.amdhsa_wavefront_size32 1
		.amdhsa_uses_dynamic_stack 0
		.amdhsa_enable_private_segment 0
		.amdhsa_system_sgpr_workgroup_id_x 1
		.amdhsa_system_sgpr_workgroup_id_y 0
		.amdhsa_system_sgpr_workgroup_id_z 1
		.amdhsa_system_sgpr_workgroup_info 0
		.amdhsa_system_vgpr_workitem_id 0
		.amdhsa_next_free_vgpr 5
		.amdhsa_next_free_sgpr 16
		.amdhsa_reserve_vcc 1
		.amdhsa_float_round_mode_32 0
		.amdhsa_float_round_mode_16_64 0
		.amdhsa_float_denorm_mode_32 3
		.amdhsa_float_denorm_mode_16_64 3
		.amdhsa_dx10_clamp 1
		.amdhsa_ieee_mode 1
		.amdhsa_fp16_overflow 0
		.amdhsa_workgroup_processor_mode 1
		.amdhsa_memory_ordered 1
		.amdhsa_forward_progress 0
		.amdhsa_shared_vgpr_count 0
		.amdhsa_exception_fp_ieee_invalid_op 0
		.amdhsa_exception_fp_denorm_src 0
		.amdhsa_exception_fp_ieee_div_zero 0
		.amdhsa_exception_fp_ieee_overflow 0
		.amdhsa_exception_fp_ieee_underflow 0
		.amdhsa_exception_fp_ieee_inexact 0
		.amdhsa_exception_int_div_zero 0
	.end_amdhsa_kernel
	.section	.text._ZL24rocblas_gemv_scal_kernelILi256EPKdPdEviT0_lT1_lili,"axG",@progbits,_ZL24rocblas_gemv_scal_kernelILi256EPKdPdEviT0_lT1_lili,comdat
.Lfunc_end56:
	.size	_ZL24rocblas_gemv_scal_kernelILi256EPKdPdEviT0_lT1_lili, .Lfunc_end56-_ZL24rocblas_gemv_scal_kernelILi256EPKdPdEviT0_lT1_lili
                                        ; -- End function
	.section	.AMDGPU.csdata,"",@progbits
; Kernel info:
; codeLenInByte = 320
; NumSgprs: 18
; NumVgprs: 5
; ScratchSize: 0
; MemoryBound: 1
; FloatMode: 240
; IeeeMode: 1
; LDSByteSize: 0 bytes/workgroup (compile time only)
; SGPRBlocks: 2
; VGPRBlocks: 0
; NumSGPRsForWavesPerEU: 18
; NumVGPRsForWavesPerEU: 5
; Occupancy: 16
; WaveLimiterHint : 0
; COMPUTE_PGM_RSRC2:SCRATCH_EN: 0
; COMPUTE_PGM_RSRC2:USER_SGPR: 14
; COMPUTE_PGM_RSRC2:TRAP_HANDLER: 0
; COMPUTE_PGM_RSRC2:TGID_X_EN: 1
; COMPUTE_PGM_RSRC2:TGID_Y_EN: 0
; COMPUTE_PGM_RSRC2:TGID_Z_EN: 1
; COMPUTE_PGM_RSRC2:TIDIG_COMP_CNT: 0
	.section	.text._ZL24rocblas_gemv_scal_kernelILi256EdPdEviT0_lT1_lili,"axG",@progbits,_ZL24rocblas_gemv_scal_kernelILi256EdPdEviT0_lT1_lili,comdat
	.globl	_ZL24rocblas_gemv_scal_kernelILi256EdPdEviT0_lT1_lili ; -- Begin function _ZL24rocblas_gemv_scal_kernelILi256EdPdEviT0_lT1_lili
	.p2align	8
	.type	_ZL24rocblas_gemv_scal_kernelILi256EdPdEviT0_lT1_lili,@function
_ZL24rocblas_gemv_scal_kernelILi256EdPdEviT0_lT1_lili: ; @_ZL24rocblas_gemv_scal_kernelILi256EdPdEviT0_lT1_lili
; %bb.0:
	s_load_b64 s[2:3], s[0:1], 0x8
	s_waitcnt lgkmcnt(0)
	v_cmp_eq_f64_e64 s4, s[2:3], 1.0
	s_delay_alu instid0(VALU_DEP_1)
	s_and_b32 vcc_lo, exec_lo, s4
	s_cbranch_vccnz .LBB57_5
; %bb.1:
	s_clause 0x1
	s_load_b32 s5, s[0:1], 0x4c
	s_load_b32 s4, s[0:1], 0x0
	s_waitcnt lgkmcnt(0)
	s_and_b32 s5, s5, 0xffff
	s_delay_alu instid0(SALU_CYCLE_1)
	v_mad_u64_u32 v[1:2], null, s14, s5, v[0:1]
	v_mov_b32_e32 v2, 0
	s_ashr_i32 s5, s4, 31
	s_delay_alu instid0(VALU_DEP_1) | instid1(SALU_CYCLE_1)
	v_cmp_gt_i64_e32 vcc_lo, s[4:5], v[1:2]
	s_and_saveexec_b32 s4, vcc_lo
	s_cbranch_execz .LBB57_5
; %bb.2:
	s_clause 0x1
	s_load_b32 s10, s[0:1], 0x28
	s_load_b64 s[8:9], s[0:1], 0x30
	v_cmp_eq_f64_e64 s11, s[2:3], 0
	s_load_b128 s[4:7], s[0:1], 0x18
	s_waitcnt lgkmcnt(0)
	v_mad_u64_u32 v[2:3], null, v1, s10, 0
	s_ashr_i32 s0, s10, 31
	s_mul_i32 s1, s15, s9
	s_mul_hi_u32 s9, s15, s8
	s_delay_alu instid0(SALU_CYCLE_1) | instskip(NEXT) | instid1(VALU_DEP_1)
	s_add_i32 s1, s9, s1
	v_mov_b32_e32 v0, v3
	s_delay_alu instid0(VALU_DEP_1)
	v_mad_u64_u32 v[3:4], null, v1, s0, v[0:1]
	s_mul_i32 s0, s15, s8
	v_mov_b32_e32 v0, 0
	s_lshl_b64 s[0:1], s[0:1], 3
	v_mov_b32_e32 v1, 0
	s_add_u32 s4, s4, s0
	s_addc_u32 s5, s5, s1
	s_delay_alu instid0(VALU_DEP_3) | instskip(SKIP_1) | instid1(SALU_CYCLE_1)
	v_lshlrev_b64 v[2:3], 3, v[2:3]
	s_lshl_b64 s[0:1], s[6:7], 3
	s_add_u32 s0, s4, s0
	s_addc_u32 s1, s5, s1
	s_delay_alu instid0(VALU_DEP_1) | instskip(NEXT) | instid1(VALU_DEP_2)
	v_add_co_u32 v2, vcc_lo, s0, v2
	v_add_co_ci_u32_e32 v3, vcc_lo, s1, v3, vcc_lo
	s_and_b32 vcc_lo, exec_lo, s11
	s_cbranch_vccnz .LBB57_4
; %bb.3:
	global_load_b64 v[0:1], v[2:3], off
	s_waitcnt vmcnt(0)
	v_mul_f64 v[0:1], v[0:1], s[2:3]
.LBB57_4:
	global_store_b64 v[2:3], v[0:1], off
.LBB57_5:
	s_nop 0
	s_sendmsg sendmsg(MSG_DEALLOC_VGPRS)
	s_endpgm
	.section	.rodata,"a",@progbits
	.p2align	6, 0x0
	.amdhsa_kernel _ZL24rocblas_gemv_scal_kernelILi256EdPdEviT0_lT1_lili
		.amdhsa_group_segment_fixed_size 0
		.amdhsa_private_segment_fixed_size 0
		.amdhsa_kernarg_size 320
		.amdhsa_user_sgpr_count 14
		.amdhsa_user_sgpr_dispatch_ptr 0
		.amdhsa_user_sgpr_queue_ptr 0
		.amdhsa_user_sgpr_kernarg_segment_ptr 1
		.amdhsa_user_sgpr_dispatch_id 0
		.amdhsa_user_sgpr_private_segment_size 0
		.amdhsa_wavefront_size32 1
		.amdhsa_uses_dynamic_stack 0
		.amdhsa_enable_private_segment 0
		.amdhsa_system_sgpr_workgroup_id_x 1
		.amdhsa_system_sgpr_workgroup_id_y 0
		.amdhsa_system_sgpr_workgroup_id_z 1
		.amdhsa_system_sgpr_workgroup_info 0
		.amdhsa_system_vgpr_workitem_id 0
		.amdhsa_next_free_vgpr 5
		.amdhsa_next_free_sgpr 16
		.amdhsa_reserve_vcc 1
		.amdhsa_float_round_mode_32 0
		.amdhsa_float_round_mode_16_64 0
		.amdhsa_float_denorm_mode_32 3
		.amdhsa_float_denorm_mode_16_64 3
		.amdhsa_dx10_clamp 1
		.amdhsa_ieee_mode 1
		.amdhsa_fp16_overflow 0
		.amdhsa_workgroup_processor_mode 1
		.amdhsa_memory_ordered 1
		.amdhsa_forward_progress 0
		.amdhsa_shared_vgpr_count 0
		.amdhsa_exception_fp_ieee_invalid_op 0
		.amdhsa_exception_fp_denorm_src 0
		.amdhsa_exception_fp_ieee_div_zero 0
		.amdhsa_exception_fp_ieee_overflow 0
		.amdhsa_exception_fp_ieee_underflow 0
		.amdhsa_exception_fp_ieee_inexact 0
		.amdhsa_exception_int_div_zero 0
	.end_amdhsa_kernel
	.section	.text._ZL24rocblas_gemv_scal_kernelILi256EdPdEviT0_lT1_lili,"axG",@progbits,_ZL24rocblas_gemv_scal_kernelILi256EdPdEviT0_lT1_lili,comdat
.Lfunc_end57:
	.size	_ZL24rocblas_gemv_scal_kernelILi256EdPdEviT0_lT1_lili, .Lfunc_end57-_ZL24rocblas_gemv_scal_kernelILi256EdPdEviT0_lT1_lili
                                        ; -- End function
	.section	.AMDGPU.csdata,"",@progbits
; Kernel info:
; codeLenInByte = 296
; NumSgprs: 18
; NumVgprs: 5
; ScratchSize: 0
; MemoryBound: 1
; FloatMode: 240
; IeeeMode: 1
; LDSByteSize: 0 bytes/workgroup (compile time only)
; SGPRBlocks: 2
; VGPRBlocks: 0
; NumSGPRsForWavesPerEU: 18
; NumVGPRsForWavesPerEU: 5
; Occupancy: 16
; WaveLimiterHint : 0
; COMPUTE_PGM_RSRC2:SCRATCH_EN: 0
; COMPUTE_PGM_RSRC2:USER_SGPR: 14
; COMPUTE_PGM_RSRC2:TRAP_HANDLER: 0
; COMPUTE_PGM_RSRC2:TGID_X_EN: 1
; COMPUTE_PGM_RSRC2:TGID_Y_EN: 0
; COMPUTE_PGM_RSRC2:TGID_Z_EN: 1
; COMPUTE_PGM_RSRC2:TIDIG_COMP_CNT: 0
	.section	.text._ZL36rocblas_gemvn_double_buffered_kernelILi128ELi4ELi16EdPKddEviiT3_lPKT2_lilS5_lilPT4_lili,"axG",@progbits,_ZL36rocblas_gemvn_double_buffered_kernelILi128ELi4ELi16EdPKddEviiT3_lPKT2_lilS5_lilPT4_lili,comdat
	.globl	_ZL36rocblas_gemvn_double_buffered_kernelILi128ELi4ELi16EdPKddEviiT3_lPKT2_lilS5_lilPT4_lili ; -- Begin function _ZL36rocblas_gemvn_double_buffered_kernelILi128ELi4ELi16EdPKddEviiT3_lPKT2_lilS5_lilPT4_lili
	.p2align	8
	.type	_ZL36rocblas_gemvn_double_buffered_kernelILi128ELi4ELi16EdPKddEviiT3_lPKT2_lilS5_lilPT4_lili,@function
_ZL36rocblas_gemvn_double_buffered_kernelILi128ELi4ELi16EdPKddEviiT3_lPKT2_lilS5_lilPT4_lili: ; @_ZL36rocblas_gemvn_double_buffered_kernelILi128ELi4ELi16EdPKddEviiT3_lPKT2_lilS5_lilPT4_lili
; %bb.0:
	s_load_b256 s[4:11], s[0:1], 0x8
	s_waitcnt lgkmcnt(0)
	s_mul_i32 s2, s15, s7
	s_mul_hi_u32 s3, s15, s6
	s_delay_alu instid0(SALU_CYCLE_1) | instskip(SKIP_1) | instid1(SALU_CYCLE_1)
	s_add_i32 s3, s3, s2
	s_mul_i32 s2, s15, s6
	s_lshl_b64 s[2:3], s[2:3], 3
	s_delay_alu instid0(SALU_CYCLE_1) | instskip(SKIP_4) | instid1(VALU_DEP_1)
	s_add_u32 s2, s4, s2
	s_addc_u32 s3, s5, s3
	s_load_b64 s[2:3], s[2:3], 0x0
	s_waitcnt lgkmcnt(0)
	v_cmp_eq_f64_e64 s4, s[2:3], 0
	s_and_b32 vcc_lo, exec_lo, s4
	s_cbranch_vccnz .LBB58_11
; %bb.1:
	s_clause 0x1
	s_load_b32 s4, s[0:1], 0x84
	s_load_b32 s5, s[0:1], 0x4
	s_waitcnt lgkmcnt(0)
	v_cvt_f32_u32_e32 v1, s4
	s_ashr_i32 s7, s5, 31
	s_sub_i32 s12, 0, s4
	s_lshr_b32 s7, s7, 25
	s_delay_alu instid0(SALU_CYCLE_1) | instskip(SKIP_4) | instid1(VALU_DEP_1)
	s_add_i32 s5, s5, s7
	v_rcp_iflag_f32_e32 v1, v1
	s_ashr_i32 s5, s5, 7
	s_waitcnt_depctr 0xfff
	v_mul_f32_e32 v1, 0x4f7ffffe, v1
	v_cvt_u32_f32_e32 v1, v1
	s_delay_alu instid0(VALU_DEP_1) | instskip(NEXT) | instid1(VALU_DEP_1)
	v_readfirstlane_b32 s6, v1
	s_mul_i32 s12, s12, s6
	s_delay_alu instid0(SALU_CYCLE_1) | instskip(NEXT) | instid1(SALU_CYCLE_1)
	s_mul_hi_u32 s7, s6, s12
	s_add_i32 s6, s6, s7
	s_delay_alu instid0(SALU_CYCLE_1) | instskip(NEXT) | instid1(SALU_CYCLE_1)
	s_mul_hi_u32 s6, s5, s6
	s_mul_i32 s7, s6, s4
	s_add_i32 s12, s6, 1
	s_sub_i32 s7, s5, s7
	s_delay_alu instid0(SALU_CYCLE_1)
	s_sub_i32 s16, s7, s4
	s_cmp_ge_u32 s7, s4
	s_cselect_b32 s6, s12, s6
	s_cselect_b32 s7, s16, s7
	s_add_i32 s12, s6, 1
	s_cmp_ge_u32 s7, s4
	s_cselect_b32 s16, s12, s6
	s_delay_alu instid0(SALU_CYCLE_1) | instskip(NEXT) | instid1(SALU_CYCLE_1)
	s_mul_i32 s4, s16, s4
	s_sub_i32 s17, s5, s4
	s_delay_alu instid0(SALU_CYCLE_1) | instskip(SKIP_1) | instid1(SALU_CYCLE_1)
	s_cmp_lt_u32 s14, s17
	s_cselect_b32 s4, -1, 0
	s_cmp_lg_u32 s4, 0
	s_addc_u32 s30, s16, 0
	s_delay_alu instid0(SALU_CYCLE_1)
	s_cmp_eq_u32 s30, 0
	s_cbranch_scc1 .LBB58_11
; %bb.2:
	s_clause 0x1
	s_load_b128 s[4:7], s[0:1], 0x50
	s_load_b64 s[20:21], s[0:1], 0x60
	v_and_b32_e32 v166, 0x3ff, v0
	v_bfe_u32 v167, v0, 10, 10
	v_mov_b32_e32 v98, 0
	v_mov_b32_e32 v99, 0
	s_lshl_b32 s12, s13, 7
	v_and_b32_e32 v0, 63, v166
	v_lshl_add_u32 v32, v167, 7, v166
	s_ashr_i32 s13, s12, 31
	v_dual_mov_b32 v101, v99 :: v_dual_mov_b32 v100, v98
	s_delay_alu instid0(VALU_DEP_3) | instskip(NEXT) | instid1(VALU_DEP_3)
	v_lshlrev_b32_e32 v169, 3, v0
	v_lshrrev_b32_e32 v168, 6, v32
	s_cmp_lt_i32 s30, 1
	s_cbranch_scc1 .LBB58_8
; %bb.3:
	v_cvt_f64_i32_e32 v[1:2], s14
	v_cvt_f64_u32_e32 v[3:4], s17
	s_mul_i32 s16, s16, s14
	s_load_b64 s[26:27], s[0:1], 0x40
	v_cvt_f64_u32_e32 v[5:6], s16
	s_clause 0x2
	s_load_b128 s[16:19], s[0:1], 0x30
	s_load_b32 s24, s[0:1], 0x28
	s_load_b32 s22, s[0:1], 0x48
	s_waitcnt lgkmcnt(0)
	s_mul_i32 s5, s5, s15
	v_mov_b32_e32 v98, 0
	v_dual_mov_b32 v99, 0 :: v_dual_lshlrev_b32 v32, 1, v32
	s_delay_alu instid0(VALU_DEP_1) | instskip(NEXT) | instid1(VALU_DEP_3)
	v_dual_mov_b32 v101, v99 :: v_dual_and_b32 v32, 0x7ff80, v32
	v_mov_b32_e32 v100, v98
	s_mul_i32 s14, s15, s17
	s_mul_hi_u32 s17, s15, s16
	s_mul_i32 s16, s15, s16
	s_add_i32 s17, s17, s14
	s_ashr_i32 s25, s24, 31
	s_lshl_b64 s[34:35], s[16:17], 3
	s_ashr_i32 s23, s22, 31
	s_add_u32 s14, s8, s34
	s_addc_u32 s16, s9, s35
	s_lshl_b64 s[36:37], s[10:11], 3
	s_delay_alu instid0(SALU_CYCLE_1) | instskip(SKIP_2) | instid1(SALU_CYCLE_1)
	s_add_u32 s10, s14, s36
	s_addc_u32 s11, s16, s37
	s_lshl_b64 s[38:39], s[12:13], 3
	s_add_u32 s13, s10, s38
	v_min_f64 v[1:2], v[1:2], v[3:4]
	s_addc_u32 s16, s11, s39
	s_delay_alu instid0(VALU_DEP_1) | instskip(SKIP_1) | instid1(VALU_DEP_2)
	v_add_f64 v[1:2], v[1:2], v[5:6]
	v_lshlrev_b32_e32 v5, 4, v168
	v_cvt_i32_f64_e32 v4, v[1:2]
	v_mov_b32_e32 v1, 0
	s_delay_alu instid0(VALU_DEP_1) | instskip(NEXT) | instid1(VALU_DEP_1)
	v_mad_i64_i32 v[2:3], null, s24, v5, v[0:1]
	v_lshlrev_b64 v[0:1], 3, v[2:3]
	s_delay_alu instid0(VALU_DEP_4) | instskip(NEXT) | instid1(VALU_DEP_1)
	v_readfirstlane_b32 s14, v4
	s_lshl_b32 s40, s14, 7
	s_delay_alu instid0(SALU_CYCLE_1) | instskip(SKIP_3) | instid1(SALU_CYCLE_1)
	s_mul_hi_i32 s11, s40, s24
	s_mul_i32 s10, s40, s24
	s_ashr_i32 s41, s40, 31
	s_lshl_b64 s[10:11], s[10:11], 3
	s_add_u32 s10, s13, s10
	s_addc_u32 s11, s16, s11
	v_add_co_u32 v0, vcc_lo, s10, v0
	v_add_co_ci_u32_e32 v1, vcc_lo, s11, v1, vcc_lo
	s_lshl_b64 s[10:11], s[24:25], 3
	s_lshl_b32 s28, s22, 7
	s_delay_alu instid0(VALU_DEP_2) | instskip(NEXT) | instid1(VALU_DEP_2)
	v_add_co_u32 v2, vcc_lo, v0, s10
	v_add_co_ci_u32_e32 v3, vcc_lo, s11, v1, vcc_lo
	s_lshl_b64 s[40:41], s[40:41], 3
	s_delay_alu instid0(VALU_DEP_2) | instskip(NEXT) | instid1(VALU_DEP_2)
	v_add_co_u32 v4, vcc_lo, v2, s10
	v_add_co_ci_u32_e32 v5, vcc_lo, s11, v3, vcc_lo
	s_clause 0x1
	global_load_b64 v[0:1], v[0:1], off
	global_load_b64 v[2:3], v[2:3], off
	v_add_co_u32 v6, vcc_lo, v4, s10
	v_add_co_ci_u32_e32 v7, vcc_lo, s11, v5, vcc_lo
	global_load_b64 v[4:5], v[4:5], off
	v_add_co_u32 v8, vcc_lo, v6, s10
	v_add_co_ci_u32_e32 v9, vcc_lo, s11, v7, vcc_lo
	;; [unrolled: 3-line block ×10, first 2 shown]
	s_lshl_b64 s[16:17], s[24:25], 10
	s_delay_alu instid0(VALU_DEP_2) | instskip(NEXT) | instid1(VALU_DEP_2)
	v_add_co_u32 v26, vcc_lo, v24, s10
	v_add_co_ci_u32_e32 v27, vcc_lo, s11, v25, vcc_lo
	s_add_i32 s13, s30, -1
	s_delay_alu instid0(VALU_DEP_2) | instskip(NEXT) | instid1(VALU_DEP_2)
	v_add_co_u32 v28, vcc_lo, v26, s10
	v_add_co_ci_u32_e32 v29, vcc_lo, s11, v27, vcc_lo
	s_ashr_i32 s29, s28, 31
	s_delay_alu instid0(VALU_DEP_2) | instskip(NEXT) | instid1(VALU_DEP_2)
	v_add_co_u32 v30, vcc_lo, v28, s10
	v_add_co_ci_u32_e32 v31, vcc_lo, s11, v29, vcc_lo
	global_load_b64 v[22:23], v[22:23], off
	global_load_b64 v[24:25], v[24:25], off
	;; [unrolled: 1-line block ×5, first 2 shown]
	v_add_co_u32 v34, s14, v32, s40
	s_add_u32 s8, s8, s38
	s_addc_u32 s9, s9, s39
	v_add_co_ci_u32_e64 v35, null, 0, s41, s14
	s_add_u32 s8, s8, s36
	s_addc_u32 s9, s9, s37
	s_add_u32 s8, s8, s34
	s_addc_u32 s9, s9, s35
	v_mul_lo_u32 v36, v34, s25
	v_mad_u64_u32 v[32:33], null, v34, s24, s[8:9]
	v_mul_lo_u32 v37, v35, s24
	v_add_co_u32 v38, vcc_lo, 0x400, v34
	s_mov_b32 s14, 0
	s_delay_alu instid0(VALU_DEP_1) | instskip(NEXT) | instid1(VALU_DEP_3)
	v_mad_u64_u32 v[64:65], null, v38, s24, s[8:9]
	v_add3_u32 v33, v37, v33, v36
	v_add_co_ci_u32_e32 v36, vcc_lo, 0, v35, vcc_lo
	v_mul_lo_u32 v37, v38, s25
	v_add_co_u32 v38, vcc_lo, 0x410, v34
	v_add_co_ci_u32_e32 v39, vcc_lo, 0, v35, vcc_lo
	v_add_co_u32 v40, vcc_lo, 0x418, v34
	v_add_co_ci_u32_e32 v41, vcc_lo, 0, v35, vcc_lo
	v_add_co_u32 v42, vcc_lo, 0x420, v34
	v_mul_lo_u32 v36, v36, s24
	v_add_co_ci_u32_e32 v43, vcc_lo, 0, v35, vcc_lo
	v_add_co_u32 v170, vcc_lo, 0x200, v32
	v_mad_u64_u32 v[66:67], null, v38, s24, s[8:9]
	v_mul_lo_u32 v38, v38, s25
	v_mul_lo_u32 v39, v39, s24
	v_add_co_ci_u32_e32 v171, vcc_lo, 0, v33, vcc_lo
	v_add_co_u32 v32, vcc_lo, 0x428, v34
	v_mad_u64_u32 v[68:69], null, v40, s24, s[8:9]
	v_mul_lo_u32 v40, v40, s25
	v_mul_lo_u32 v41, v41, s24
	v_add_co_ci_u32_e32 v33, vcc_lo, 0, v35, vcc_lo
	v_add3_u32 v65, v36, v65, v37
	v_add_co_u32 v36, vcc_lo, 0x430, v34
	v_mad_u64_u32 v[70:71], null, v42, s24, s[8:9]
	v_mul_lo_u32 v42, v42, s25
	v_mul_lo_u32 v43, v43, s24
	v_add_co_ci_u32_e32 v37, vcc_lo, 0, v35, vcc_lo
	v_add3_u32 v67, v39, v67, v38
	v_add_co_u32 v38, vcc_lo, 0x438, v34
	v_add_co_ci_u32_e32 v39, vcc_lo, 0, v35, vcc_lo
	v_add3_u32 v69, v41, v69, v40
	v_add_co_u32 v40, vcc_lo, 0x440, v34
	v_mad_u64_u32 v[72:73], null, v32, s24, s[8:9]
	v_mul_lo_u32 v32, v32, s25
	v_mul_lo_u32 v33, v33, s24
	v_add_co_ci_u32_e32 v41, vcc_lo, 0, v35, vcc_lo
	v_add3_u32 v71, v43, v71, v42
	v_add_co_u32 v42, vcc_lo, 0x448, v34
	v_mad_u64_u32 v[74:75], null, v36, s24, s[8:9]
	v_mul_lo_u32 v36, v36, s25
	v_mul_lo_u32 v37, v37, s24
	v_add_co_ci_u32_e32 v43, vcc_lo, 0, v35, vcc_lo
	v_add_co_u32 v44, vcc_lo, 0x450, v34
	v_mad_u64_u32 v[76:77], null, v38, s24, s[8:9]
	v_mul_lo_u32 v38, v38, s25
	v_mul_lo_u32 v39, v39, s24
	v_add_co_ci_u32_e32 v45, vcc_lo, 0, v35, vcc_lo
	v_add3_u32 v73, v33, v73, v32
	v_add_co_u32 v32, vcc_lo, 0x458, v34
	v_mad_u64_u32 v[78:79], null, v40, s24, s[8:9]
	v_mul_lo_u32 v40, v40, s25
	v_mul_lo_u32 v41, v41, s24
	v_add_co_ci_u32_e32 v33, vcc_lo, 0, v35, vcc_lo
	v_add3_u32 v75, v37, v75, v36
	;; [unrolled: 6-line block ×4, first 2 shown]
	v_add_co_u32 v40, vcc_lo, 0x470, v34
	v_add_co_ci_u32_e32 v41, vcc_lo, 0, v35, vcc_lo
	v_add3_u32 v81, v43, v81, v42
	v_add_co_u32 v42, vcc_lo, 0x478, v34
	v_add_co_ci_u32_e32 v43, vcc_lo, 0, v35, vcc_lo
	v_add3_u32 v83, v45, v83, v44
	v_add_co_u32 v44, vcc_lo, 0x408, v34
	v_mad_u64_u32 v[84:85], null, v32, s24, s[8:9]
	v_mad_u64_u32 v[86:87], null, v36, s24, s[8:9]
	;; [unrolled: 1-line block ×6, first 2 shown]
	s_mul_hi_u32 s8, s4, s15
	s_mul_i32 s4, s4, s15
	s_add_i32 s5, s8, s5
	s_lshl_b64 s[8:9], s[26:27], 3
	s_lshl_b64 s[4:5], s[4:5], 3
	v_add_co_ci_u32_e32 v45, vcc_lo, 0, v35, vcc_lo
	s_add_u32 s8, s18, s8
	s_addc_u32 s9, s19, s9
	s_add_u32 s4, s8, s4
	s_addc_u32 s5, s9, s5
	v_mul_lo_u32 v32, v32, s25
	v_mul_lo_u32 v33, v33, s24
	;; [unrolled: 1-line block ×12, first 2 shown]
	v_mad_u64_u32 v[96:97], null, v34, s22, s[4:5]
	v_mul_lo_u32 v34, v34, s23
	v_mul_lo_u32 v35, v35, s22
	v_add3_u32 v85, v33, v85, v32
	v_add3_u32 v87, v37, v87, v36
	;; [unrolled: 1-line block ×6, first 2 shown]
	s_lshl_b64 s[4:5], s[28:29], 3
	v_add3_u32 v97, v35, v97, v34
	s_lshl_b64 s[8:9], s[22:23], 3
	s_waitcnt vmcnt(0)
	v_dual_mov_b32 v63, v31 :: v_dual_mov_b32 v62, v30
	v_dual_mov_b32 v61, v29 :: v_dual_mov_b32 v60, v28
	;; [unrolled: 1-line block ×16, first 2 shown]
.LBB58_4:                               ; =>This Inner Loop Header: Depth=1
	v_add_co_u32 v102, vcc_lo, v170, v169
	v_add_co_ci_u32_e32 v103, vcc_lo, 0, v171, vcc_lo
	s_cmp_eq_u32 s13, s14
	s_delay_alu instid0(VALU_DEP_2) | instskip(NEXT) | instid1(VALU_DEP_2)
	v_add_co_u32 v104, vcc_lo, v102, s10
	v_add_co_ci_u32_e32 v105, vcc_lo, s11, v103, vcc_lo
	global_load_b64 v[102:103], v[102:103], off
	v_add_co_u32 v106, vcc_lo, v104, s10
	v_add_co_ci_u32_e32 v107, vcc_lo, s11, v105, vcc_lo
	global_load_b64 v[104:105], v[104:105], off
	;; [unrolled: 3-line block ×10, first 2 shown]
	global_load_b64 v[120:121], v[124:125], off
	v_add_co_u32 v126, vcc_lo, v124, s10
	v_add_co_ci_u32_e32 v127, vcc_lo, s11, v125, vcc_lo
	global_load_b64 v[136:137], v[96:97], off
	v_add_co_u32 v130, vcc_lo, v126, s10
	v_add_co_ci_u32_e32 v131, vcc_lo, s11, v127, vcc_lo
	v_add_co_u32 v134, vcc_lo, v96, s8
	v_add_co_ci_u32_e32 v135, vcc_lo, s9, v97, vcc_lo
	global_load_b64 v[124:125], v[126:127], off
	v_add_co_u32 v138, vcc_lo, v134, s8
	v_add_co_ci_u32_e32 v139, vcc_lo, s9, v135, vcc_lo
	v_add_co_u32 v126, vcc_lo, v130, s10
	v_add_co_ci_u32_e32 v127, vcc_lo, s11, v131, vcc_lo
	s_delay_alu instid0(VALU_DEP_4) | instskip(NEXT) | instid1(VALU_DEP_4)
	v_add_co_u32 v140, vcc_lo, v138, s8
	v_add_co_ci_u32_e32 v141, vcc_lo, s9, v139, vcc_lo
	global_load_b64 v[128:129], v[130:131], off
	v_add_co_u32 v146, vcc_lo, v140, s8
	v_add_co_ci_u32_e32 v147, vcc_lo, s9, v141, vcc_lo
	global_load_b64 v[130:131], v[126:127], off
	v_add_co_u32 v126, vcc_lo, v126, s10
	v_add_co_ci_u32_e32 v127, vcc_lo, s11, v127, vcc_lo
	v_add_co_u32 v148, vcc_lo, v146, s8
	v_add_co_ci_u32_e32 v149, vcc_lo, s9, v147, vcc_lo
	global_load_b64 v[132:133], v[126:127], off
	v_add_co_u32 v150, vcc_lo, v148, s8
	v_add_co_ci_u32_e32 v151, vcc_lo, s9, v149, vcc_lo
	v_add_co_u32 v126, vcc_lo, v126, s10
	v_add_co_ci_u32_e32 v127, vcc_lo, s11, v127, vcc_lo
	s_delay_alu instid0(VALU_DEP_4) | instskip(NEXT) | instid1(VALU_DEP_4)
	v_add_co_u32 v152, vcc_lo, v150, s8
	v_add_co_ci_u32_e32 v153, vcc_lo, s9, v151, vcc_lo
	global_load_b64 v[126:127], v[126:127], off
	v_add_co_u32 v154, vcc_lo, v152, s8
	v_add_co_ci_u32_e32 v155, vcc_lo, s9, v153, vcc_lo
	s_clause 0x3
	global_load_b64 v[144:145], v[134:135], off
	global_load_b64 v[142:143], v[138:139], off
	global_load_b64 v[140:141], v[140:141], off
	global_load_b64 v[138:139], v[146:147], off
	v_add_co_u32 v156, vcc_lo, v154, s8
	v_add_co_ci_u32_e32 v157, vcc_lo, s9, v155, vcc_lo
	s_clause 0x1
	global_load_b64 v[148:149], v[148:149], off
	global_load_b64 v[146:147], v[150:151], off
	v_add_co_u32 v134, vcc_lo, v156, s8
	v_add_co_ci_u32_e32 v135, vcc_lo, s9, v157, vcc_lo
	global_load_b64 v[150:151], v[152:153], off
	v_add_co_u32 v160, vcc_lo, v134, s8
	v_add_co_ci_u32_e32 v161, vcc_lo, s9, v135, vcc_lo
	;; [unrolled: 3-line block ×5, first 2 shown]
	s_delay_alu instid0(VALU_DEP_2) | instskip(NEXT) | instid1(VALU_DEP_2)
	v_add_co_u32 v134, vcc_lo, v156, s8
	v_add_co_ci_u32_e32 v135, vcc_lo, s9, v157, vcc_lo
	global_load_b64 v[164:165], v[160:161], off
	global_load_b64 v[162:163], v[162:163], off
	;; [unrolled: 1-line block ×5, first 2 shown]
	s_cbranch_scc1 .LBB58_6
; %bb.5:                                ;   in Loop: Header=BB58_4 Depth=1
	v_add_co_u32 v32, vcc_lo, v64, v169
	v_add_co_ci_u32_e32 v33, vcc_lo, 0, v65, vcc_lo
	v_add_co_u32 v34, vcc_lo, v94, v169
	v_add_co_ci_u32_e32 v35, vcc_lo, 0, v95, vcc_lo
	;; [unrolled: 2-line block ×16, first 2 shown]
	global_load_b64 v[32:33], v[32:33], off
	global_load_b64 v[34:35], v[34:35], off
	;; [unrolled: 1-line block ×16, first 2 shown]
.LBB58_6:                               ;   in Loop: Header=BB58_4 Depth=1
	s_waitcnt vmcnt(20)
	v_fma_f64 v[0:1], v[0:1], v[136:137], v[100:101]
	v_fma_f64 v[98:99], v[102:103], v[136:137], v[98:99]
	v_add_co_u32 v170, vcc_lo, v170, s16
	v_add_co_ci_u32_e32 v171, vcc_lo, s17, v171, vcc_lo
	v_add_co_u32 v64, vcc_lo, v64, s16
	v_add_co_ci_u32_e32 v65, vcc_lo, s17, v65, vcc_lo
	;; [unrolled: 2-line block ×9, first 2 shown]
	s_waitcnt vmcnt(14)
	v_fma_f64 v[0:1], v[2:3], v[144:145], v[0:1]
	v_fma_f64 v[2:3], v[104:105], v[144:145], v[98:99]
	v_add_co_u32 v80, vcc_lo, v80, s16
	v_add_co_ci_u32_e32 v81, vcc_lo, s17, v81, vcc_lo
	v_add_co_u32 v82, vcc_lo, v82, s16
	v_add_co_ci_u32_e32 v83, vcc_lo, s17, v83, vcc_lo
	;; [unrolled: 2-line block ×9, first 2 shown]
	s_waitcnt vmcnt(13)
	v_fma_f64 v[0:1], v[4:5], v[142:143], v[0:1]
	v_fma_f64 v[2:3], v[106:107], v[142:143], v[2:3]
	s_add_i32 s14, s14, 1
	s_delay_alu instid0(SALU_CYCLE_1) | instskip(SKIP_1) | instid1(VALU_DEP_2)
	s_cmp_lt_i32 s14, s30
	s_waitcnt vmcnt(12)
	v_fma_f64 v[0:1], v[6:7], v[140:141], v[0:1]
	s_delay_alu instid0(VALU_DEP_2) | instskip(SKIP_1) | instid1(VALU_DEP_2)
	v_fma_f64 v[2:3], v[108:109], v[140:141], v[2:3]
	s_waitcnt vmcnt(11)
	v_fma_f64 v[0:1], v[8:9], v[138:139], v[0:1]
	s_delay_alu instid0(VALU_DEP_2) | instskip(SKIP_1) | instid1(VALU_DEP_2)
	v_fma_f64 v[2:3], v[110:111], v[138:139], v[2:3]
	;; [unrolled: 4-line block ×12, first 2 shown]
	s_waitcnt vmcnt(0)
	v_fma_f64 v[100:101], v[30:31], v[134:135], v[0:1]
	s_delay_alu instid0(VALU_DEP_2)
	v_fma_f64 v[98:99], v[126:127], v[134:135], v[2:3]
	s_cbranch_scc0 .LBB58_8
; %bb.7:                                ;   in Loop: Header=BB58_4 Depth=1
	v_dual_mov_b32 v0, v32 :: v_dual_mov_b32 v1, v33
	v_dual_mov_b32 v2, v34 :: v_dual_mov_b32 v3, v35
	;; [unrolled: 1-line block ×16, first 2 shown]
	s_branch .LBB58_4
.LBB58_8:
	s_delay_alu instid0(VALU_DEP_1)
	v_lshl_or_b32 v0, v168, 10, v169
	s_waitcnt lgkmcnt(0)
	s_mov_b32 s4, 0
	s_mov_b32 s5, exec_lo
	ds_store_2addr_stride64_b64 v0, v[100:101], v[98:99] offset1:1
	s_waitcnt lgkmcnt(0)
	s_barrier
	buffer_gl0_inv
	v_cmpx_eq_u32_e32 0, v167
	s_cbranch_execz .LBB58_11
; %bb.9:
	v_lshlrev_b32_e32 v10, 3, v166
	s_clause 0x1
	s_load_b64 s[8:9], s[0:1], 0x70
	s_load_b32 s5, s[0:1], 0x68
	ds_load_2addr_stride64_b64 v[4:7], v10 offset1:2
	s_waitcnt lgkmcnt(0)
	s_mul_i32 s1, s15, s9
	s_mul_hi_u32 s9, s15, s8
	s_mul_i32 s0, s15, s8
	s_add_i32 s1, s9, s1
	v_add_f64 v[0:1], v[4:5], 0
	v_mad_i64_i32 v[2:3], null, s5, v166, 0
	s_lshl_b64 s[0:1], s[0:1], 3
	s_delay_alu instid0(SALU_CYCLE_1) | instskip(SKIP_2) | instid1(SALU_CYCLE_1)
	s_add_u32 s6, s6, s0
	s_addc_u32 s7, s7, s1
	s_lshl_b64 s[0:1], s[20:21], 3
	s_add_u32 s6, s6, s0
	s_addc_u32 s7, s7, s1
	s_mul_hi_i32 s1, s5, s12
	s_mul_i32 s0, s5, s12
	v_lshlrev_b64 v[2:3], 3, v[2:3]
	s_lshl_b64 s[0:1], s[0:1], 3
	s_delay_alu instid0(SALU_CYCLE_1) | instskip(SKIP_1) | instid1(VALU_DEP_1)
	s_add_u32 s0, s6, s0
	s_addc_u32 s1, s7, s1
	v_add_co_u32 v4, vcc_lo, s0, v2
	s_delay_alu instid0(VALU_DEP_2)
	v_add_co_ci_u32_e32 v5, vcc_lo, s1, v3, vcc_lo
	global_load_b64 v[2:3], v[4:5], off
	v_add_f64 v[0:1], v[0:1], v[6:7]
	ds_load_2addr_stride64_b64 v[6:9], v10 offset0:4 offset1:6
	s_waitcnt lgkmcnt(0)
	v_add_f64 v[0:1], v[0:1], v[6:7]
	s_delay_alu instid0(VALU_DEP_1) | instskip(SKIP_3) | instid1(VALU_DEP_1)
	v_add_f64 v[0:1], v[0:1], v[8:9]
	ds_load_2addr_stride64_b64 v[6:9], v10 offset0:8 offset1:10
	s_waitcnt lgkmcnt(0)
	v_add_f64 v[0:1], v[0:1], v[6:7]
	v_add_f64 v[0:1], v[0:1], v[8:9]
	ds_load_2addr_stride64_b64 v[6:9], v10 offset0:12 offset1:14
	s_waitcnt lgkmcnt(0)
	v_add_f64 v[0:1], v[0:1], v[6:7]
	s_delay_alu instid0(VALU_DEP_1) | instskip(NEXT) | instid1(VALU_DEP_1)
	v_add_f64 v[0:1], v[0:1], v[8:9]
	v_mul_f64 v[6:7], s[2:3], v[0:1]
.LBB58_10:                              ; =>This Inner Loop Header: Depth=1
	s_waitcnt vmcnt(0)
	s_delay_alu instid0(VALU_DEP_1)
	v_add_f64 v[0:1], v[2:3], v[6:7]
	global_atomic_cmpswap_b64 v[0:1], v[4:5], v[0:3], off glc
	s_waitcnt vmcnt(0)
	v_cmp_eq_u64_e32 vcc_lo, v[0:1], v[2:3]
	v_dual_mov_b32 v3, v1 :: v_dual_mov_b32 v2, v0
	s_or_b32 s4, vcc_lo, s4
	s_delay_alu instid0(SALU_CYCLE_1)
	s_and_not1_b32 exec_lo, exec_lo, s4
	s_cbranch_execnz .LBB58_10
.LBB58_11:
	s_endpgm
	.section	.rodata,"a",@progbits
	.p2align	6, 0x0
	.amdhsa_kernel _ZL36rocblas_gemvn_double_buffered_kernelILi128ELi4ELi16EdPKddEviiT3_lPKT2_lilS5_lilPT4_lili
		.amdhsa_group_segment_fixed_size 8192
		.amdhsa_private_segment_fixed_size 0
		.amdhsa_kernarg_size 384
		.amdhsa_user_sgpr_count 13
		.amdhsa_user_sgpr_dispatch_ptr 0
		.amdhsa_user_sgpr_queue_ptr 0
		.amdhsa_user_sgpr_kernarg_segment_ptr 1
		.amdhsa_user_sgpr_dispatch_id 0
		.amdhsa_user_sgpr_private_segment_size 0
		.amdhsa_wavefront_size32 1
		.amdhsa_uses_dynamic_stack 0
		.amdhsa_enable_private_segment 0
		.amdhsa_system_sgpr_workgroup_id_x 1
		.amdhsa_system_sgpr_workgroup_id_y 1
		.amdhsa_system_sgpr_workgroup_id_z 1
		.amdhsa_system_sgpr_workgroup_info 0
		.amdhsa_system_vgpr_workitem_id 1
		.amdhsa_next_free_vgpr 174
		.amdhsa_next_free_sgpr 42
		.amdhsa_reserve_vcc 1
		.amdhsa_float_round_mode_32 0
		.amdhsa_float_round_mode_16_64 0
		.amdhsa_float_denorm_mode_32 3
		.amdhsa_float_denorm_mode_16_64 3
		.amdhsa_dx10_clamp 1
		.amdhsa_ieee_mode 1
		.amdhsa_fp16_overflow 0
		.amdhsa_workgroup_processor_mode 1
		.amdhsa_memory_ordered 1
		.amdhsa_forward_progress 0
		.amdhsa_shared_vgpr_count 0
		.amdhsa_exception_fp_ieee_invalid_op 0
		.amdhsa_exception_fp_denorm_src 0
		.amdhsa_exception_fp_ieee_div_zero 0
		.amdhsa_exception_fp_ieee_overflow 0
		.amdhsa_exception_fp_ieee_underflow 0
		.amdhsa_exception_fp_ieee_inexact 0
		.amdhsa_exception_int_div_zero 0
	.end_amdhsa_kernel
	.section	.text._ZL36rocblas_gemvn_double_buffered_kernelILi128ELi4ELi16EdPKddEviiT3_lPKT2_lilS5_lilPT4_lili,"axG",@progbits,_ZL36rocblas_gemvn_double_buffered_kernelILi128ELi4ELi16EdPKddEviiT3_lPKT2_lilS5_lilPT4_lili,comdat
.Lfunc_end58:
	.size	_ZL36rocblas_gemvn_double_buffered_kernelILi128ELi4ELi16EdPKddEviiT3_lPKT2_lilS5_lilPT4_lili, .Lfunc_end58-_ZL36rocblas_gemvn_double_buffered_kernelILi128ELi4ELi16EdPKddEviiT3_lPKT2_lilS5_lilPT4_lili
                                        ; -- End function
	.section	.AMDGPU.csdata,"",@progbits
; Kernel info:
; codeLenInByte = 4140
; NumSgprs: 44
; NumVgprs: 174
; ScratchSize: 0
; MemoryBound: 1
; FloatMode: 240
; IeeeMode: 1
; LDSByteSize: 8192 bytes/workgroup (compile time only)
; SGPRBlocks: 5
; VGPRBlocks: 21
; NumSGPRsForWavesPerEU: 44
; NumVGPRsForWavesPerEU: 174
; Occupancy: 8
; WaveLimiterHint : 0
; COMPUTE_PGM_RSRC2:SCRATCH_EN: 0
; COMPUTE_PGM_RSRC2:USER_SGPR: 13
; COMPUTE_PGM_RSRC2:TRAP_HANDLER: 0
; COMPUTE_PGM_RSRC2:TGID_X_EN: 1
; COMPUTE_PGM_RSRC2:TGID_Y_EN: 1
; COMPUTE_PGM_RSRC2:TGID_Z_EN: 1
; COMPUTE_PGM_RSRC2:TIDIG_COMP_CNT: 1
	.section	.text._ZL36rocblas_gemvn_double_buffered_kernelILi128ELi4ELi16EdddEviiT3_lPKT2_lilS3_lilPT4_lili,"axG",@progbits,_ZL36rocblas_gemvn_double_buffered_kernelILi128ELi4ELi16EdddEviiT3_lPKT2_lilS3_lilPT4_lili,comdat
	.globl	_ZL36rocblas_gemvn_double_buffered_kernelILi128ELi4ELi16EdddEviiT3_lPKT2_lilS3_lilPT4_lili ; -- Begin function _ZL36rocblas_gemvn_double_buffered_kernelILi128ELi4ELi16EdddEviiT3_lPKT2_lilS3_lilPT4_lili
	.p2align	8
	.type	_ZL36rocblas_gemvn_double_buffered_kernelILi128ELi4ELi16EdddEviiT3_lPKT2_lilS3_lilPT4_lili,@function
_ZL36rocblas_gemvn_double_buffered_kernelILi128ELi4ELi16EdddEviiT3_lPKT2_lilS3_lilPT4_lili: ; @_ZL36rocblas_gemvn_double_buffered_kernelILi128ELi4ELi16EdddEviiT3_lPKT2_lilS3_lilPT4_lili
; %bb.0:
	s_load_b64 s[2:3], s[0:1], 0x8
	s_waitcnt lgkmcnt(0)
	v_cmp_eq_f64_e64 s4, s[2:3], 0
	s_delay_alu instid0(VALU_DEP_1)
	s_and_b32 vcc_lo, exec_lo, s4
	s_cbranch_vccnz .LBB59_11
; %bb.1:
	s_clause 0x1
	s_load_b32 s4, s[0:1], 0x84
	s_load_b32 s5, s[0:1], 0x4
	s_waitcnt lgkmcnt(0)
	v_cvt_f32_u32_e32 v1, s4
	s_ashr_i32 s7, s5, 31
	s_sub_i32 s8, 0, s4
	s_lshr_b32 s7, s7, 25
	s_delay_alu instid0(SALU_CYCLE_1) | instskip(SKIP_4) | instid1(VALU_DEP_1)
	s_add_i32 s5, s5, s7
	v_rcp_iflag_f32_e32 v1, v1
	s_ashr_i32 s5, s5, 7
	s_waitcnt_depctr 0xfff
	v_mul_f32_e32 v1, 0x4f7ffffe, v1
	v_cvt_u32_f32_e32 v1, v1
	s_delay_alu instid0(VALU_DEP_1) | instskip(NEXT) | instid1(VALU_DEP_1)
	v_readfirstlane_b32 s6, v1
	s_mul_i32 s8, s8, s6
	s_delay_alu instid0(SALU_CYCLE_1) | instskip(NEXT) | instid1(SALU_CYCLE_1)
	s_mul_hi_u32 s7, s6, s8
	s_add_i32 s6, s6, s7
	s_delay_alu instid0(SALU_CYCLE_1) | instskip(NEXT) | instid1(SALU_CYCLE_1)
	s_mul_hi_u32 s6, s5, s6
	s_mul_i32 s7, s6, s4
	s_add_i32 s8, s6, 1
	s_sub_i32 s7, s5, s7
	s_delay_alu instid0(SALU_CYCLE_1)
	s_sub_i32 s9, s7, s4
	s_cmp_ge_u32 s7, s4
	s_cselect_b32 s6, s8, s6
	s_cselect_b32 s7, s9, s7
	s_add_i32 s8, s6, 1
	s_cmp_ge_u32 s7, s4
	s_cselect_b32 s8, s8, s6
	s_delay_alu instid0(SALU_CYCLE_1) | instskip(NEXT) | instid1(SALU_CYCLE_1)
	s_mul_i32 s4, s8, s4
	s_sub_i32 s9, s5, s4
	s_delay_alu instid0(SALU_CYCLE_1) | instskip(SKIP_1) | instid1(SALU_CYCLE_1)
	s_cmp_lt_u32 s14, s9
	s_cselect_b32 s4, -1, 0
	s_cmp_lg_u32 s4, 0
	s_addc_u32 s33, s8, 0
	s_delay_alu instid0(SALU_CYCLE_1)
	s_cmp_eq_u32 s33, 0
	s_cbranch_scc1 .LBB59_11
; %bb.2:
	s_clause 0x1
	s_load_b128 s[4:7], s[0:1], 0x50
	s_load_b64 s[20:21], s[0:1], 0x60
	v_and_b32_e32 v166, 0x3ff, v0
	v_bfe_u32 v167, v0, 10, 10
	v_mov_b32_e32 v98, 0
	v_mov_b32_e32 v99, 0
	s_lshl_b32 s12, s13, 7
	v_and_b32_e32 v0, 63, v166
	v_lshl_add_u32 v32, v167, 7, v166
	s_ashr_i32 s13, s12, 31
	v_dual_mov_b32 v101, v99 :: v_dual_mov_b32 v100, v98
	s_delay_alu instid0(VALU_DEP_3) | instskip(NEXT) | instid1(VALU_DEP_3)
	v_lshlrev_b32_e32 v169, 3, v0
	v_lshrrev_b32_e32 v168, 6, v32
	s_cmp_lt_i32 s33, 1
	s_cbranch_scc1 .LBB59_8
; %bb.3:
	v_cvt_f64_i32_e32 v[1:2], s14
	v_cvt_f64_u32_e32 v[3:4], s9
	s_mul_i32 s8, s8, s14
	s_waitcnt lgkmcnt(0)
	s_mul_i32 s5, s5, s15
	v_cvt_f64_u32_e32 v[5:6], s8
	s_clause 0x4
	s_load_b128 s[8:11], s[0:1], 0x30
	s_load_b32 s26, s[0:1], 0x28
	s_load_b32 s22, s[0:1], 0x48
	s_load_b128 s[16:19], s[0:1], 0x18
	s_load_b64 s[24:25], s[0:1], 0x40
	v_mov_b32_e32 v98, 0
	v_dual_mov_b32 v99, 0 :: v_dual_lshlrev_b32 v32, 1, v32
	s_delay_alu instid0(VALU_DEP_1) | instskip(NEXT) | instid1(VALU_DEP_3)
	v_dual_mov_b32 v101, v99 :: v_dual_and_b32 v32, 0x7ff80, v32
	v_mov_b32_e32 v100, v98
	s_waitcnt lgkmcnt(0)
	s_mul_i32 s9, s15, s9
	s_mul_hi_u32 s14, s15, s8
	s_mul_i32 s8, s15, s8
	s_add_i32 s9, s14, s9
	s_ashr_i32 s27, s26, 31
	s_lshl_b64 s[30:31], s[8:9], 3
	s_ashr_i32 s23, s22, 31
	s_add_u32 s8, s16, s30
	s_addc_u32 s9, s17, s31
	s_lshl_b64 s[34:35], s[18:19], 3
	s_delay_alu instid0(SALU_CYCLE_1) | instskip(SKIP_2) | instid1(SALU_CYCLE_1)
	s_add_u32 s8, s8, s34
	s_addc_u32 s9, s9, s35
	s_lshl_b64 s[36:37], s[12:13], 3
	s_add_u32 s13, s8, s36
	s_addc_u32 s18, s9, s37
	v_min_f64 v[1:2], v[1:2], v[3:4]
	s_delay_alu instid0(VALU_DEP_1) | instskip(SKIP_1) | instid1(VALU_DEP_2)
	v_add_f64 v[1:2], v[1:2], v[5:6]
	v_lshlrev_b32_e32 v5, 4, v168
	v_cvt_i32_f64_e32 v4, v[1:2]
	v_mov_b32_e32 v1, 0
	s_delay_alu instid0(VALU_DEP_1) | instskip(NEXT) | instid1(VALU_DEP_1)
	v_mad_i64_i32 v[2:3], null, s26, v5, v[0:1]
	v_lshlrev_b64 v[0:1], 3, v[2:3]
	s_delay_alu instid0(VALU_DEP_4) | instskip(NEXT) | instid1(VALU_DEP_1)
	v_readfirstlane_b32 s14, v4
	s_lshl_b32 s38, s14, 7
	s_delay_alu instid0(SALU_CYCLE_1) | instskip(SKIP_3) | instid1(SALU_CYCLE_1)
	s_mul_hi_i32 s9, s38, s26
	s_mul_i32 s8, s38, s26
	s_ashr_i32 s39, s38, 31
	s_lshl_b64 s[8:9], s[8:9], 3
	s_add_u32 s8, s13, s8
	s_addc_u32 s9, s18, s9
	v_add_co_u32 v0, vcc_lo, s8, v0
	v_add_co_ci_u32_e32 v1, vcc_lo, s9, v1, vcc_lo
	s_lshl_b64 s[8:9], s[26:27], 3
	s_lshl_b64 s[38:39], s[38:39], 3
	s_delay_alu instid0(VALU_DEP_2) | instskip(NEXT) | instid1(VALU_DEP_2)
	v_add_co_u32 v2, vcc_lo, v0, s8
	v_add_co_ci_u32_e32 v3, vcc_lo, s9, v1, vcc_lo
	s_lshl_b32 s28, s22, 7
	s_delay_alu instid0(VALU_DEP_2) | instskip(NEXT) | instid1(VALU_DEP_2)
	v_add_co_u32 v4, vcc_lo, v2, s8
	v_add_co_ci_u32_e32 v5, vcc_lo, s9, v3, vcc_lo
	s_clause 0x1
	global_load_b64 v[0:1], v[0:1], off
	global_load_b64 v[2:3], v[2:3], off
	v_add_co_u32 v6, vcc_lo, v4, s8
	v_add_co_ci_u32_e32 v7, vcc_lo, s9, v5, vcc_lo
	global_load_b64 v[4:5], v[4:5], off
	v_add_co_u32 v8, vcc_lo, v6, s8
	v_add_co_ci_u32_e32 v9, vcc_lo, s9, v7, vcc_lo
	;; [unrolled: 3-line block ×10, first 2 shown]
	v_add_co_u32 v34, s14, v32, s38
	s_delay_alu instid0(VALU_DEP_3) | instskip(NEXT) | instid1(VALU_DEP_3)
	v_add_co_u32 v26, vcc_lo, v24, s8
	v_add_co_ci_u32_e32 v27, vcc_lo, s9, v25, vcc_lo
	s_lshl_b64 s[18:19], s[26:27], 10
	s_delay_alu instid0(VALU_DEP_2) | instskip(NEXT) | instid1(VALU_DEP_2)
	v_add_co_u32 v28, vcc_lo, v26, s8
	v_add_co_ci_u32_e32 v29, vcc_lo, s9, v27, vcc_lo
	s_add_i32 s13, s33, -1
	s_delay_alu instid0(VALU_DEP_2) | instskip(NEXT) | instid1(VALU_DEP_2)
	v_add_co_u32 v30, vcc_lo, v28, s8
	v_add_co_ci_u32_e32 v31, vcc_lo, s9, v29, vcc_lo
	global_load_b64 v[22:23], v[22:23], off
	global_load_b64 v[24:25], v[24:25], off
	;; [unrolled: 1-line block ×5, first 2 shown]
	s_ashr_i32 s29, s28, 31
	v_add_co_ci_u32_e64 v35, null, 0, s39, s14
	s_add_u32 s14, s16, s36
	s_addc_u32 s16, s17, s37
	s_add_u32 s14, s14, s34
	s_addc_u32 s17, s16, s35
	;; [unrolled: 2-line block ×3, first 2 shown]
	v_mul_lo_u32 v36, v34, s27
	v_mad_u64_u32 v[32:33], null, v34, s26, s[16:17]
	v_mul_lo_u32 v37, v35, s26
	v_add_co_u32 v38, vcc_lo, 0x400, v34
	s_mul_hi_u32 s14, s4, s15
	s_mul_i32 s4, s4, s15
	s_add_i32 s5, s14, s5
	s_delay_alu instid0(VALU_DEP_1) | instskip(NEXT) | instid1(VALU_DEP_3)
	v_mad_u64_u32 v[64:65], null, v38, s26, s[16:17]
	v_add3_u32 v33, v37, v33, v36
	v_add_co_ci_u32_e32 v36, vcc_lo, 0, v35, vcc_lo
	v_mul_lo_u32 v37, v38, s27
	v_add_co_u32 v38, vcc_lo, 0x410, v34
	v_add_co_ci_u32_e32 v39, vcc_lo, 0, v35, vcc_lo
	v_add_co_u32 v40, vcc_lo, 0x418, v34
	v_add_co_ci_u32_e32 v41, vcc_lo, 0, v35, vcc_lo
	v_add_co_u32 v42, vcc_lo, 0x420, v34
	v_mul_lo_u32 v36, v36, s26
	v_add_co_ci_u32_e32 v43, vcc_lo, 0, v35, vcc_lo
	v_add_co_u32 v170, vcc_lo, 0x200, v32
	v_mad_u64_u32 v[66:67], null, v38, s26, s[16:17]
	v_mul_lo_u32 v38, v38, s27
	v_mul_lo_u32 v39, v39, s26
	v_add_co_ci_u32_e32 v171, vcc_lo, 0, v33, vcc_lo
	v_add_co_u32 v32, vcc_lo, 0x428, v34
	v_mad_u64_u32 v[68:69], null, v40, s26, s[16:17]
	v_mul_lo_u32 v40, v40, s27
	v_mul_lo_u32 v41, v41, s26
	v_add_co_ci_u32_e32 v33, vcc_lo, 0, v35, vcc_lo
	v_add3_u32 v65, v36, v65, v37
	v_add_co_u32 v36, vcc_lo, 0x430, v34
	v_mad_u64_u32 v[70:71], null, v42, s26, s[16:17]
	v_mul_lo_u32 v42, v42, s27
	v_mul_lo_u32 v43, v43, s26
	v_add_co_ci_u32_e32 v37, vcc_lo, 0, v35, vcc_lo
	v_add3_u32 v67, v39, v67, v38
	v_add_co_u32 v38, vcc_lo, 0x438, v34
	v_add_co_ci_u32_e32 v39, vcc_lo, 0, v35, vcc_lo
	v_add3_u32 v69, v41, v69, v40
	v_add_co_u32 v40, vcc_lo, 0x440, v34
	v_mad_u64_u32 v[72:73], null, v32, s26, s[16:17]
	v_mul_lo_u32 v32, v32, s27
	v_mul_lo_u32 v33, v33, s26
	v_add_co_ci_u32_e32 v41, vcc_lo, 0, v35, vcc_lo
	v_add3_u32 v71, v43, v71, v42
	v_add_co_u32 v42, vcc_lo, 0x448, v34
	v_mad_u64_u32 v[74:75], null, v36, s26, s[16:17]
	v_mul_lo_u32 v36, v36, s27
	v_mul_lo_u32 v37, v37, s26
	v_add_co_ci_u32_e32 v43, vcc_lo, 0, v35, vcc_lo
	v_add_co_u32 v44, vcc_lo, 0x450, v34
	v_mad_u64_u32 v[76:77], null, v38, s26, s[16:17]
	v_mul_lo_u32 v38, v38, s27
	v_mul_lo_u32 v39, v39, s26
	v_add_co_ci_u32_e32 v45, vcc_lo, 0, v35, vcc_lo
	v_add3_u32 v73, v33, v73, v32
	v_add_co_u32 v32, vcc_lo, 0x458, v34
	v_mad_u64_u32 v[78:79], null, v40, s26, s[16:17]
	v_mul_lo_u32 v40, v40, s27
	v_mul_lo_u32 v41, v41, s26
	v_add_co_ci_u32_e32 v33, vcc_lo, 0, v35, vcc_lo
	v_add3_u32 v75, v37, v75, v36
	;; [unrolled: 6-line block ×4, first 2 shown]
	v_add_co_u32 v40, vcc_lo, 0x470, v34
	v_add_co_ci_u32_e32 v41, vcc_lo, 0, v35, vcc_lo
	v_add3_u32 v81, v43, v81, v42
	v_add_co_u32 v42, vcc_lo, 0x478, v34
	v_add_co_ci_u32_e32 v43, vcc_lo, 0, v35, vcc_lo
	v_add3_u32 v83, v45, v83, v44
	v_add_co_u32 v44, vcc_lo, 0x408, v34
	v_mad_u64_u32 v[84:85], null, v32, s26, s[16:17]
	v_mad_u64_u32 v[86:87], null, v36, s26, s[16:17]
	;; [unrolled: 1-line block ×6, first 2 shown]
	s_lshl_b64 s[16:17], s[24:25], 3
	s_lshl_b64 s[4:5], s[4:5], 3
	v_add_co_ci_u32_e32 v45, vcc_lo, 0, v35, vcc_lo
	s_add_u32 s10, s10, s16
	s_addc_u32 s11, s11, s17
	s_add_u32 s4, s10, s4
	s_addc_u32 s5, s11, s5
	v_mul_lo_u32 v32, v32, s27
	v_mul_lo_u32 v33, v33, s26
	;; [unrolled: 1-line block ×12, first 2 shown]
	v_mad_u64_u32 v[96:97], null, v34, s22, s[4:5]
	v_mul_lo_u32 v34, v34, s23
	v_mul_lo_u32 v35, v35, s22
	v_add3_u32 v85, v33, v85, v32
	v_add3_u32 v87, v37, v87, v36
	;; [unrolled: 1-line block ×6, first 2 shown]
	s_mov_b32 s14, 0
	v_add3_u32 v97, v35, v97, v34
	s_lshl_b64 s[4:5], s[28:29], 3
	s_lshl_b64 s[10:11], s[22:23], 3
	s_waitcnt vmcnt(0)
	v_dual_mov_b32 v63, v31 :: v_dual_mov_b32 v62, v30
	v_dual_mov_b32 v61, v29 :: v_dual_mov_b32 v60, v28
	;; [unrolled: 1-line block ×16, first 2 shown]
.LBB59_4:                               ; =>This Inner Loop Header: Depth=1
	v_add_co_u32 v102, vcc_lo, v170, v169
	v_add_co_ci_u32_e32 v103, vcc_lo, 0, v171, vcc_lo
	s_cmp_eq_u32 s13, s14
	s_delay_alu instid0(VALU_DEP_2) | instskip(NEXT) | instid1(VALU_DEP_2)
	v_add_co_u32 v104, vcc_lo, v102, s8
	v_add_co_ci_u32_e32 v105, vcc_lo, s9, v103, vcc_lo
	global_load_b64 v[102:103], v[102:103], off
	v_add_co_u32 v106, vcc_lo, v104, s8
	v_add_co_ci_u32_e32 v107, vcc_lo, s9, v105, vcc_lo
	global_load_b64 v[104:105], v[104:105], off
	;; [unrolled: 3-line block ×10, first 2 shown]
	global_load_b64 v[120:121], v[124:125], off
	v_add_co_u32 v126, vcc_lo, v124, s8
	v_add_co_ci_u32_e32 v127, vcc_lo, s9, v125, vcc_lo
	global_load_b64 v[136:137], v[96:97], off
	v_add_co_u32 v130, vcc_lo, v126, s8
	v_add_co_ci_u32_e32 v131, vcc_lo, s9, v127, vcc_lo
	v_add_co_u32 v134, vcc_lo, v96, s10
	v_add_co_ci_u32_e32 v135, vcc_lo, s11, v97, vcc_lo
	global_load_b64 v[124:125], v[126:127], off
	v_add_co_u32 v138, vcc_lo, v134, s10
	v_add_co_ci_u32_e32 v139, vcc_lo, s11, v135, vcc_lo
	v_add_co_u32 v126, vcc_lo, v130, s8
	v_add_co_ci_u32_e32 v127, vcc_lo, s9, v131, vcc_lo
	s_delay_alu instid0(VALU_DEP_4) | instskip(NEXT) | instid1(VALU_DEP_4)
	v_add_co_u32 v140, vcc_lo, v138, s10
	v_add_co_ci_u32_e32 v141, vcc_lo, s11, v139, vcc_lo
	global_load_b64 v[128:129], v[130:131], off
	v_add_co_u32 v146, vcc_lo, v140, s10
	v_add_co_ci_u32_e32 v147, vcc_lo, s11, v141, vcc_lo
	global_load_b64 v[130:131], v[126:127], off
	v_add_co_u32 v126, vcc_lo, v126, s8
	v_add_co_ci_u32_e32 v127, vcc_lo, s9, v127, vcc_lo
	v_add_co_u32 v148, vcc_lo, v146, s10
	v_add_co_ci_u32_e32 v149, vcc_lo, s11, v147, vcc_lo
	global_load_b64 v[132:133], v[126:127], off
	v_add_co_u32 v150, vcc_lo, v148, s10
	v_add_co_ci_u32_e32 v151, vcc_lo, s11, v149, vcc_lo
	v_add_co_u32 v126, vcc_lo, v126, s8
	v_add_co_ci_u32_e32 v127, vcc_lo, s9, v127, vcc_lo
	s_delay_alu instid0(VALU_DEP_4) | instskip(NEXT) | instid1(VALU_DEP_4)
	v_add_co_u32 v152, vcc_lo, v150, s10
	v_add_co_ci_u32_e32 v153, vcc_lo, s11, v151, vcc_lo
	global_load_b64 v[126:127], v[126:127], off
	v_add_co_u32 v154, vcc_lo, v152, s10
	v_add_co_ci_u32_e32 v155, vcc_lo, s11, v153, vcc_lo
	s_clause 0x3
	global_load_b64 v[144:145], v[134:135], off
	global_load_b64 v[142:143], v[138:139], off
	;; [unrolled: 1-line block ×4, first 2 shown]
	v_add_co_u32 v156, vcc_lo, v154, s10
	v_add_co_ci_u32_e32 v157, vcc_lo, s11, v155, vcc_lo
	s_clause 0x1
	global_load_b64 v[148:149], v[148:149], off
	global_load_b64 v[146:147], v[150:151], off
	v_add_co_u32 v134, vcc_lo, v156, s10
	v_add_co_ci_u32_e32 v135, vcc_lo, s11, v157, vcc_lo
	global_load_b64 v[150:151], v[152:153], off
	v_add_co_u32 v160, vcc_lo, v134, s10
	v_add_co_ci_u32_e32 v161, vcc_lo, s11, v135, vcc_lo
	;; [unrolled: 3-line block ×5, first 2 shown]
	s_delay_alu instid0(VALU_DEP_2) | instskip(NEXT) | instid1(VALU_DEP_2)
	v_add_co_u32 v134, vcc_lo, v156, s10
	v_add_co_ci_u32_e32 v135, vcc_lo, s11, v157, vcc_lo
	global_load_b64 v[164:165], v[160:161], off
	global_load_b64 v[162:163], v[162:163], off
	;; [unrolled: 1-line block ×5, first 2 shown]
	s_cbranch_scc1 .LBB59_6
; %bb.5:                                ;   in Loop: Header=BB59_4 Depth=1
	v_add_co_u32 v32, vcc_lo, v64, v169
	v_add_co_ci_u32_e32 v33, vcc_lo, 0, v65, vcc_lo
	v_add_co_u32 v34, vcc_lo, v94, v169
	v_add_co_ci_u32_e32 v35, vcc_lo, 0, v95, vcc_lo
	;; [unrolled: 2-line block ×16, first 2 shown]
	global_load_b64 v[32:33], v[32:33], off
	global_load_b64 v[34:35], v[34:35], off
	;; [unrolled: 1-line block ×16, first 2 shown]
.LBB59_6:                               ;   in Loop: Header=BB59_4 Depth=1
	s_waitcnt vmcnt(20)
	v_fma_f64 v[0:1], v[0:1], v[136:137], v[100:101]
	v_fma_f64 v[98:99], v[102:103], v[136:137], v[98:99]
	v_add_co_u32 v170, vcc_lo, v170, s18
	v_add_co_ci_u32_e32 v171, vcc_lo, s19, v171, vcc_lo
	v_add_co_u32 v64, vcc_lo, v64, s18
	v_add_co_ci_u32_e32 v65, vcc_lo, s19, v65, vcc_lo
	;; [unrolled: 2-line block ×9, first 2 shown]
	s_waitcnt vmcnt(14)
	v_fma_f64 v[0:1], v[2:3], v[144:145], v[0:1]
	v_fma_f64 v[2:3], v[104:105], v[144:145], v[98:99]
	v_add_co_u32 v80, vcc_lo, v80, s18
	v_add_co_ci_u32_e32 v81, vcc_lo, s19, v81, vcc_lo
	v_add_co_u32 v82, vcc_lo, v82, s18
	v_add_co_ci_u32_e32 v83, vcc_lo, s19, v83, vcc_lo
	v_add_co_u32 v84, vcc_lo, v84, s18
	v_add_co_ci_u32_e32 v85, vcc_lo, s19, v85, vcc_lo
	v_add_co_u32 v86, vcc_lo, v86, s18
	v_add_co_ci_u32_e32 v87, vcc_lo, s19, v87, vcc_lo
	v_add_co_u32 v88, vcc_lo, v88, s18
	v_add_co_ci_u32_e32 v89, vcc_lo, s19, v89, vcc_lo
	v_add_co_u32 v90, vcc_lo, v90, s18
	v_add_co_ci_u32_e32 v91, vcc_lo, s19, v91, vcc_lo
	v_add_co_u32 v92, vcc_lo, v92, s18
	v_add_co_ci_u32_e32 v93, vcc_lo, s19, v93, vcc_lo
	v_add_co_u32 v94, vcc_lo, v94, s18
	v_add_co_ci_u32_e32 v95, vcc_lo, s19, v95, vcc_lo
	v_add_co_u32 v96, vcc_lo, v96, s4
	v_add_co_ci_u32_e32 v97, vcc_lo, s5, v97, vcc_lo
	s_waitcnt vmcnt(13)
	v_fma_f64 v[0:1], v[4:5], v[142:143], v[0:1]
	v_fma_f64 v[2:3], v[106:107], v[142:143], v[2:3]
	s_add_i32 s14, s14, 1
	s_delay_alu instid0(SALU_CYCLE_1) | instskip(SKIP_1) | instid1(VALU_DEP_2)
	s_cmp_lt_i32 s14, s33
	s_waitcnt vmcnt(12)
	v_fma_f64 v[0:1], v[6:7], v[140:141], v[0:1]
	s_delay_alu instid0(VALU_DEP_2) | instskip(SKIP_1) | instid1(VALU_DEP_2)
	v_fma_f64 v[2:3], v[108:109], v[140:141], v[2:3]
	s_waitcnt vmcnt(11)
	v_fma_f64 v[0:1], v[8:9], v[138:139], v[0:1]
	s_delay_alu instid0(VALU_DEP_2) | instskip(SKIP_1) | instid1(VALU_DEP_2)
	v_fma_f64 v[2:3], v[110:111], v[138:139], v[2:3]
	;; [unrolled: 4-line block ×12, first 2 shown]
	s_waitcnt vmcnt(0)
	v_fma_f64 v[100:101], v[30:31], v[134:135], v[0:1]
	s_delay_alu instid0(VALU_DEP_2)
	v_fma_f64 v[98:99], v[126:127], v[134:135], v[2:3]
	s_cbranch_scc0 .LBB59_8
; %bb.7:                                ;   in Loop: Header=BB59_4 Depth=1
	v_dual_mov_b32 v0, v32 :: v_dual_mov_b32 v1, v33
	v_dual_mov_b32 v2, v34 :: v_dual_mov_b32 v3, v35
	;; [unrolled: 1-line block ×16, first 2 shown]
	s_branch .LBB59_4
.LBB59_8:
	s_delay_alu instid0(VALU_DEP_1)
	v_lshl_or_b32 v0, v168, 10, v169
	s_waitcnt lgkmcnt(0)
	s_mov_b32 s4, 0
	s_mov_b32 s5, exec_lo
	ds_store_2addr_stride64_b64 v0, v[100:101], v[98:99] offset1:1
	s_waitcnt lgkmcnt(0)
	s_barrier
	buffer_gl0_inv
	v_cmpx_eq_u32_e32 0, v167
	s_cbranch_execz .LBB59_11
; %bb.9:
	v_lshlrev_b32_e32 v10, 3, v166
	s_clause 0x1
	s_load_b64 s[8:9], s[0:1], 0x70
	s_load_b32 s5, s[0:1], 0x68
	ds_load_2addr_stride64_b64 v[4:7], v10 offset1:2
	s_waitcnt lgkmcnt(0)
	s_mul_i32 s1, s15, s9
	s_mul_hi_u32 s9, s15, s8
	s_mul_i32 s0, s15, s8
	s_add_i32 s1, s9, s1
	v_add_f64 v[0:1], v[4:5], 0
	v_mad_i64_i32 v[2:3], null, s5, v166, 0
	s_lshl_b64 s[0:1], s[0:1], 3
	s_delay_alu instid0(SALU_CYCLE_1) | instskip(SKIP_2) | instid1(SALU_CYCLE_1)
	s_add_u32 s6, s6, s0
	s_addc_u32 s7, s7, s1
	s_lshl_b64 s[0:1], s[20:21], 3
	s_add_u32 s6, s6, s0
	s_addc_u32 s7, s7, s1
	s_mul_hi_i32 s1, s5, s12
	s_mul_i32 s0, s5, s12
	v_lshlrev_b64 v[2:3], 3, v[2:3]
	s_lshl_b64 s[0:1], s[0:1], 3
	s_delay_alu instid0(SALU_CYCLE_1) | instskip(SKIP_1) | instid1(VALU_DEP_1)
	s_add_u32 s0, s6, s0
	s_addc_u32 s1, s7, s1
	v_add_co_u32 v4, vcc_lo, s0, v2
	s_delay_alu instid0(VALU_DEP_2)
	v_add_co_ci_u32_e32 v5, vcc_lo, s1, v3, vcc_lo
	global_load_b64 v[2:3], v[4:5], off
	v_add_f64 v[0:1], v[0:1], v[6:7]
	ds_load_2addr_stride64_b64 v[6:9], v10 offset0:4 offset1:6
	s_waitcnt lgkmcnt(0)
	v_add_f64 v[0:1], v[0:1], v[6:7]
	s_delay_alu instid0(VALU_DEP_1) | instskip(SKIP_3) | instid1(VALU_DEP_1)
	v_add_f64 v[0:1], v[0:1], v[8:9]
	ds_load_2addr_stride64_b64 v[6:9], v10 offset0:8 offset1:10
	s_waitcnt lgkmcnt(0)
	v_add_f64 v[0:1], v[0:1], v[6:7]
	v_add_f64 v[0:1], v[0:1], v[8:9]
	ds_load_2addr_stride64_b64 v[6:9], v10 offset0:12 offset1:14
	s_waitcnt lgkmcnt(0)
	v_add_f64 v[0:1], v[0:1], v[6:7]
	s_delay_alu instid0(VALU_DEP_1) | instskip(NEXT) | instid1(VALU_DEP_1)
	v_add_f64 v[0:1], v[0:1], v[8:9]
	v_mul_f64 v[6:7], v[0:1], s[2:3]
.LBB59_10:                              ; =>This Inner Loop Header: Depth=1
	s_waitcnt vmcnt(0)
	s_delay_alu instid0(VALU_DEP_1)
	v_add_f64 v[0:1], v[2:3], v[6:7]
	global_atomic_cmpswap_b64 v[0:1], v[4:5], v[0:3], off glc
	s_waitcnt vmcnt(0)
	v_cmp_eq_u64_e32 vcc_lo, v[0:1], v[2:3]
	v_dual_mov_b32 v3, v1 :: v_dual_mov_b32 v2, v0
	s_or_b32 s4, vcc_lo, s4
	s_delay_alu instid0(SALU_CYCLE_1)
	s_and_not1_b32 exec_lo, exec_lo, s4
	s_cbranch_execnz .LBB59_10
.LBB59_11:
	s_endpgm
	.section	.rodata,"a",@progbits
	.p2align	6, 0x0
	.amdhsa_kernel _ZL36rocblas_gemvn_double_buffered_kernelILi128ELi4ELi16EdddEviiT3_lPKT2_lilS3_lilPT4_lili
		.amdhsa_group_segment_fixed_size 8192
		.amdhsa_private_segment_fixed_size 0
		.amdhsa_kernarg_size 384
		.amdhsa_user_sgpr_count 13
		.amdhsa_user_sgpr_dispatch_ptr 0
		.amdhsa_user_sgpr_queue_ptr 0
		.amdhsa_user_sgpr_kernarg_segment_ptr 1
		.amdhsa_user_sgpr_dispatch_id 0
		.amdhsa_user_sgpr_private_segment_size 0
		.amdhsa_wavefront_size32 1
		.amdhsa_uses_dynamic_stack 0
		.amdhsa_enable_private_segment 0
		.amdhsa_system_sgpr_workgroup_id_x 1
		.amdhsa_system_sgpr_workgroup_id_y 1
		.amdhsa_system_sgpr_workgroup_id_z 1
		.amdhsa_system_sgpr_workgroup_info 0
		.amdhsa_system_vgpr_workitem_id 1
		.amdhsa_next_free_vgpr 174
		.amdhsa_next_free_sgpr 40
		.amdhsa_reserve_vcc 1
		.amdhsa_float_round_mode_32 0
		.amdhsa_float_round_mode_16_64 0
		.amdhsa_float_denorm_mode_32 3
		.amdhsa_float_denorm_mode_16_64 3
		.amdhsa_dx10_clamp 1
		.amdhsa_ieee_mode 1
		.amdhsa_fp16_overflow 0
		.amdhsa_workgroup_processor_mode 1
		.amdhsa_memory_ordered 1
		.amdhsa_forward_progress 0
		.amdhsa_shared_vgpr_count 0
		.amdhsa_exception_fp_ieee_invalid_op 0
		.amdhsa_exception_fp_denorm_src 0
		.amdhsa_exception_fp_ieee_div_zero 0
		.amdhsa_exception_fp_ieee_overflow 0
		.amdhsa_exception_fp_ieee_underflow 0
		.amdhsa_exception_fp_ieee_inexact 0
		.amdhsa_exception_int_div_zero 0
	.end_amdhsa_kernel
	.section	.text._ZL36rocblas_gemvn_double_buffered_kernelILi128ELi4ELi16EdddEviiT3_lPKT2_lilS3_lilPT4_lili,"axG",@progbits,_ZL36rocblas_gemvn_double_buffered_kernelILi128ELi4ELi16EdddEviiT3_lPKT2_lilS3_lilPT4_lili,comdat
.Lfunc_end59:
	.size	_ZL36rocblas_gemvn_double_buffered_kernelILi128ELi4ELi16EdddEviiT3_lPKT2_lilS3_lilPT4_lili, .Lfunc_end59-_ZL36rocblas_gemvn_double_buffered_kernelILi128ELi4ELi16EdddEviiT3_lPKT2_lilS3_lilPT4_lili
                                        ; -- End function
	.section	.AMDGPU.csdata,"",@progbits
; Kernel info:
; codeLenInByte = 4108
; NumSgprs: 42
; NumVgprs: 174
; ScratchSize: 0
; MemoryBound: 1
; FloatMode: 240
; IeeeMode: 1
; LDSByteSize: 8192 bytes/workgroup (compile time only)
; SGPRBlocks: 5
; VGPRBlocks: 21
; NumSGPRsForWavesPerEU: 42
; NumVGPRsForWavesPerEU: 174
; Occupancy: 8
; WaveLimiterHint : 0
; COMPUTE_PGM_RSRC2:SCRATCH_EN: 0
; COMPUTE_PGM_RSRC2:USER_SGPR: 13
; COMPUTE_PGM_RSRC2:TRAP_HANDLER: 0
; COMPUTE_PGM_RSRC2:TGID_X_EN: 1
; COMPUTE_PGM_RSRC2:TGID_Y_EN: 1
; COMPUTE_PGM_RSRC2:TGID_Z_EN: 1
; COMPUTE_PGM_RSRC2:TIDIG_COMP_CNT: 1
	.section	.text._ZL20rocblas_gemvn_kernelILi32ELi16EidPKddEviiT3_lPKT2_lT1_lS5_lS6_lS2_lPT4_lS6_li,"axG",@progbits,_ZL20rocblas_gemvn_kernelILi32ELi16EidPKddEviiT3_lPKT2_lT1_lS5_lS6_lS2_lPT4_lS6_li,comdat
	.globl	_ZL20rocblas_gemvn_kernelILi32ELi16EidPKddEviiT3_lPKT2_lT1_lS5_lS6_lS2_lPT4_lS6_li ; -- Begin function _ZL20rocblas_gemvn_kernelILi32ELi16EidPKddEviiT3_lPKT2_lT1_lS5_lS6_lS2_lPT4_lS6_li
	.p2align	8
	.type	_ZL20rocblas_gemvn_kernelILi32ELi16EidPKddEviiT3_lPKT2_lT1_lS5_lS6_lS2_lPT4_lS6_li,@function
_ZL20rocblas_gemvn_kernelILi32ELi16EidPKddEviiT3_lPKT2_lT1_lS5_lS6_lS2_lPT4_lS6_li: ; @_ZL20rocblas_gemvn_kernelILi32ELi16EidPKddEviiT3_lPKT2_lT1_lS5_lS6_lS2_lPT4_lS6_li
; %bb.0:
	s_load_b64 s[2:3], s[0:1], 0x9c
	s_waitcnt lgkmcnt(0)
	s_lshr_b32 s4, s2, 16
	s_and_b32 s2, s2, 0xffff
	s_and_b32 s3, s3, 0xffff
	s_mul_i32 s2, s4, s2
	s_delay_alu instid0(SALU_CYCLE_1) | instskip(NEXT) | instid1(SALU_CYCLE_1)
	s_mul_i32 s2, s2, s3
	s_cmpk_lg_i32 s2, 0x200
	s_cbranch_scc1 .LBB60_50
; %bb.1:
	s_clause 0x1
	s_load_b256 s[16:23], s[0:1], 0x8
	s_load_b256 s[4:11], s[0:1], 0x50
	s_waitcnt lgkmcnt(0)
	s_mul_i32 s3, s15, s19
	s_mul_hi_u32 s12, s15, s18
	s_mul_i32 s2, s15, s18
	s_add_i32 s3, s12, s3
	s_mul_i32 s9, s15, s9
	s_lshl_b64 s[2:3], s[2:3], 3
	s_mul_hi_u32 s12, s15, s8
	s_add_u32 s2, s16, s2
	s_addc_u32 s3, s17, s3
	s_add_i32 s9, s12, s9
	s_mul_i32 s8, s15, s8
	s_delay_alu instid0(SALU_CYCLE_1) | instskip(NEXT) | instid1(SALU_CYCLE_1)
	s_lshl_b64 s[8:9], s[8:9], 3
	s_add_u32 s6, s6, s8
	s_addc_u32 s7, s7, s9
	s_load_b64 s[8:9], s[2:3], 0x0
	s_load_b64 s[6:7], s[6:7], 0x0
	s_waitcnt lgkmcnt(0)
	v_cmp_eq_f64_e64 s2, s[8:9], 0
	v_cmp_eq_f64_e64 s3, s[6:7], 1.0
	s_delay_alu instid0(VALU_DEP_1) | instskip(NEXT) | instid1(SALU_CYCLE_1)
	s_and_b32 s2, s2, s3
	s_and_b32 vcc_lo, exec_lo, s2
	s_cbranch_vccnz .LBB60_50
; %bb.2:
	v_cmp_neq_f64_e64 s17, s[8:9], 0
	s_clause 0x3
	s_load_b64 s[2:3], s[0:1], 0x80
	s_load_b64 s[18:19], s[0:1], 0x70
	s_load_b32 s16, s[0:1], 0x78
	s_load_b64 s[12:13], s[0:1], 0x0
	v_and_b32_e32 v1, 0x3ff, v0
	v_bfe_u32 v0, v0, 10, 10
	s_delay_alu instid0(VALU_DEP_1)
	v_lshl_add_u32 v53, v0, 5, v1
	s_waitcnt lgkmcnt(0)
	s_mul_i32 s3, s15, s3
	s_mul_hi_u32 s24, s15, s2
	s_mul_i32 s2, s15, s2
	s_add_i32 s3, s24, s3
	s_delay_alu instid0(SALU_CYCLE_1) | instskip(NEXT) | instid1(SALU_CYCLE_1)
	s_lshl_b64 s[2:3], s[2:3], 3
	s_add_u32 s10, s10, s2
	s_addc_u32 s11, s11, s3
	s_lshl_b64 s[2:3], s[18:19], 3
	s_delay_alu instid0(SALU_CYCLE_1)
	s_add_u32 s10, s10, s2
	v_cmp_gt_u32_e64 s2, 0x80, v53
	s_addc_u32 s11, s11, s3
	s_and_b32 vcc_lo, exec_lo, s17
	s_mov_b32 s17, 0
	s_cbranch_vccnz .LBB60_9
; %bb.3:
	s_mov_b32 s3, 0
                                        ; implicit-def: $vgpr4_vgpr5
                                        ; implicit-def: $vgpr2_vgpr3
	s_and_saveexec_b32 s18, s2
	s_cbranch_execz .LBB60_10
; %bb.4:
	v_lshl_or_b32 v6, s14, 7, v53
	v_mov_b32_e32 v7, 0
	s_ashr_i32 s25, s12, 31
	s_mov_b32 s24, s12
	s_mov_b32 s2, exec_lo
                                        ; implicit-def: $vgpr4_vgpr5
                                        ; implicit-def: $vgpr2_vgpr3
	s_delay_alu instid0(VALU_DEP_1)
	v_cmpx_gt_i64_e64 s[24:25], v[6:7]
	s_cbranch_execz .LBB60_8
; %bb.5:
	v_cmp_eq_f64_e64 s17, s[6:7], 0
	v_mad_u64_u32 v[2:3], null, s16, v6, 0
	s_ashr_i32 s19, s16, 31
	s_delay_alu instid0(VALU_DEP_1) | instid1(SALU_CYCLE_1)
	v_mad_u64_u32 v[4:5], null, s19, v6, v[3:4]
	s_delay_alu instid0(VALU_DEP_1)
	v_dual_mov_b32 v3, v4 :: v_dual_mov_b32 v4, 0
	v_mov_b32_e32 v5, 0
	s_and_b32 vcc_lo, exec_lo, s17
	s_cbranch_vccnz .LBB60_7
; %bb.6:
	s_delay_alu instid0(VALU_DEP_2) | instskip(NEXT) | instid1(VALU_DEP_1)
	v_lshlrev_b64 v[4:5], 3, v[2:3]
	v_add_co_u32 v4, vcc_lo, s10, v4
	s_delay_alu instid0(VALU_DEP_2)
	v_add_co_ci_u32_e32 v5, vcc_lo, s11, v5, vcc_lo
	global_load_b64 v[4:5], v[4:5], off
	s_waitcnt vmcnt(0)
	v_mul_f64 v[4:5], s[6:7], v[4:5]
.LBB60_7:
	s_mov_b32 s17, exec_lo
.LBB60_8:
	s_or_b32 exec_lo, exec_lo, s2
	s_delay_alu instid0(SALU_CYCLE_1) | instskip(SKIP_1) | instid1(SALU_CYCLE_1)
	s_and_b32 s17, s17, exec_lo
	s_or_b32 exec_lo, exec_lo, s18
	s_and_b32 vcc_lo, exec_lo, s3
	s_cbranch_vccnz .LBB60_11
	s_branch .LBB60_48
.LBB60_9:
                                        ; implicit-def: $vgpr4_vgpr5
                                        ; implicit-def: $vgpr2_vgpr3
	s_cbranch_execnz .LBB60_11
	s_branch .LBB60_48
.LBB60_10:
	s_or_b32 exec_lo, exec_lo, s18
	s_delay_alu instid0(SALU_CYCLE_1)
	s_and_b32 vcc_lo, exec_lo, s3
	s_cbranch_vccz .LBB60_48
.LBB60_11:
	s_clause 0x2
	s_load_b128 s[24:27], s[0:1], 0x30
	s_load_b32 s18, s[0:1], 0x28
	s_load_b64 s[2:3], s[0:1], 0x40
	s_mul_i32 s5, s15, s5
	s_mul_hi_u32 s28, s15, s4
	v_dual_mov_b32 v8, 0 :: v_dual_lshlrev_b32 v55, 2, v0
	s_waitcnt lgkmcnt(0)
	s_mul_i32 s19, s15, s25
	s_mul_hi_u32 s25, s15, s24
	s_mul_i32 s24, s15, s24
	s_add_i32 s25, s25, s19
	s_delay_alu instid0(SALU_CYCLE_1) | instskip(NEXT) | instid1(SALU_CYCLE_1)
	s_lshl_b64 s[24:25], s[24:25], 3
	s_add_u32 s19, s20, s24
	s_addc_u32 s24, s21, s25
	s_lshl_b64 s[20:21], s[22:23], 3
	s_mul_i32 s22, s15, s4
	s_load_b32 s4, s[0:1], 0x48
	s_add_u32 s15, s19, s20
	s_addc_u32 s19, s24, s21
	s_add_i32 s23, s28, s5
	s_delay_alu instid0(SALU_CYCLE_1) | instskip(SKIP_4) | instid1(SALU_CYCLE_1)
	s_lshl_b64 s[0:1], s[22:23], 3
	s_mov_b32 s22, exec_lo
	s_add_u32 s5, s26, s0
	s_addc_u32 s21, s27, s1
	s_lshl_b64 s[0:1], s[2:3], 3
	s_add_u32 s20, s5, s0
	s_addc_u32 s21, s21, s1
	s_lshl_b32 s5, s14, 7
	s_delay_alu instid0(SALU_CYCLE_1) | instskip(SKIP_3) | instid1(VALU_DEP_2)
	v_dual_mov_b32 v9, 0 :: v_dual_add_nc_u32 v54, s5, v1
	s_ashr_i32 s0, s13, 31
	v_mov_b32_e32 v6, v8
	s_lshr_b32 s0, s0, 26
	v_dual_mov_b32 v7, v9 :: v_dual_mov_b32 v4, v8
	v_dual_mov_b32 v5, v9 :: v_dual_mov_b32 v2, v8
	v_mov_b32_e32 v3, v9
	s_add_i32 s0, s13, s0
	s_delay_alu instid0(SALU_CYCLE_1) | instskip(NEXT) | instid1(SALU_CYCLE_1)
	s_and_b32 s14, s0, 0xffffffc0
	v_cmpx_gt_i32_e64 s14, v55
	s_cbranch_execz .LBB60_23
; %bb.12:
	v_mul_lo_u32 v3, s18, v55
	v_dual_mov_b32 v8, 0 :: v_dual_add_nc_u32 v5, 0x60, v54
	v_dual_mov_b32 v9, 0 :: v_dual_add_nc_u32 v2, 32, v54
	v_add_nc_u32_e32 v4, 64, v54
	s_delay_alu instid0(VALU_DEP_3)
	v_cmp_gt_i32_e64 s2, s12, v5
	s_waitcnt lgkmcnt(0)
	v_mul_lo_u32 v5, v0, s4
	v_cmp_gt_i32_e64 s0, s12, v2
	v_add_nc_u32_e32 v2, 2, v55
	v_mov_b32_e32 v6, v8
	v_add3_u32 v56, v3, s18, v1
	v_mul_lo_u32 v3, v0, s18
	v_mov_b32_e32 v7, v9
	v_cmp_gt_i32_e64 s1, s12, v4
	v_add_nc_u32_e32 v4, 3, v55
	v_mad_u64_u32 v[10:11], null, s18, v2, v[1:2]
	v_lshlrev_b32_e32 v60, 2, v5
	v_cmp_gt_i32_e32 vcc_lo, s12, v54
	s_delay_alu instid0(VALU_DEP_4)
	v_mad_u64_u32 v[11:12], null, s18, v4, v[1:2]
	v_mul_lo_u32 v59, s4, v4
	v_mov_b32_e32 v4, v8
	v_mad_u64_u32 v[12:13], null, s4, v55, s[4:5]
	v_mov_b32_e32 v5, v9
	v_mul_lo_u32 v58, s4, v2
	v_lshl_add_u32 v57, v3, 2, v1
	v_dual_mov_b32 v2, v8 :: v_dual_mov_b32 v3, v9
	s_lshl_b32 s23, s18, 6
	s_lshl_b32 s25, s4, 6
	s_mov_b32 s24, 0
	s_mov_b32 s26, 0
	s_branch .LBB60_17
.LBB60_13:                              ;   in Loop: Header=BB60_17 Depth=1
	s_or_b32 exec_lo, exec_lo, s29
	s_waitcnt vmcnt(3)
	v_fma_f64 v[4:5], v[13:14], v[45:46], v[4:5]
	s_waitcnt vmcnt(2)
	s_delay_alu instid0(VALU_DEP_1) | instskip(SKIP_1) | instid1(VALU_DEP_1)
	v_fma_f64 v[4:5], v[15:16], v[47:48], v[4:5]
	s_waitcnt vmcnt(1)
	v_fma_f64 v[4:5], v[17:18], v[49:50], v[4:5]
	s_waitcnt vmcnt(0)
	s_delay_alu instid0(VALU_DEP_1)
	v_fma_f64 v[4:5], v[19:20], v[51:52], v[4:5]
.LBB60_14:                              ;   in Loop: Header=BB60_17 Depth=1
	s_or_b32 exec_lo, exec_lo, s28
	s_waitcnt vmcnt(3)
	v_fma_f64 v[6:7], v[13:14], v[37:38], v[6:7]
	s_waitcnt vmcnt(2)
	s_delay_alu instid0(VALU_DEP_1) | instskip(SKIP_1) | instid1(VALU_DEP_1)
	v_fma_f64 v[6:7], v[15:16], v[39:40], v[6:7]
	s_waitcnt vmcnt(1)
	v_fma_f64 v[6:7], v[17:18], v[41:42], v[6:7]
	s_waitcnt vmcnt(0)
	s_delay_alu instid0(VALU_DEP_1)
	v_fma_f64 v[6:7], v[19:20], v[43:44], v[6:7]
.LBB60_15:                              ;   in Loop: Header=BB60_17 Depth=1
	s_or_b32 exec_lo, exec_lo, s3
	s_waitcnt vmcnt(3)
	v_fma_f64 v[8:9], v[13:14], v[21:22], v[8:9]
	s_waitcnt vmcnt(2)
	s_delay_alu instid0(VALU_DEP_1) | instskip(SKIP_1) | instid1(VALU_DEP_1)
	v_fma_f64 v[8:9], v[15:16], v[23:24], v[8:9]
	s_waitcnt vmcnt(1)
	v_fma_f64 v[8:9], v[17:18], v[25:26], v[8:9]
	s_waitcnt vmcnt(0)
	s_delay_alu instid0(VALU_DEP_1)
	v_fma_f64 v[8:9], v[19:20], v[27:28], v[8:9]
.LBB60_16:                              ;   in Loop: Header=BB60_17 Depth=1
	s_or_b32 exec_lo, exec_lo, s27
	v_add_nc_u32_e32 v55, 64, v55
	v_add_nc_u32_e32 v56, s23, v56
	;; [unrolled: 1-line block ×5, first 2 shown]
	v_cmp_le_i32_e64 s3, s14, v55
	s_add_i32 s26, s26, s25
	s_delay_alu instid0(VALU_DEP_1) | instskip(NEXT) | instid1(SALU_CYCLE_1)
	s_or_b32 s24, s3, s24
	s_and_not1_b32 exec_lo, exec_lo, s24
	s_cbranch_execz .LBB60_22
.LBB60_17:                              ; =>This Inner Loop Header: Depth=1
	s_and_saveexec_b32 s27, vcc_lo
	s_cbranch_execz .LBB60_16
; %bb.18:                               ;   in Loop: Header=BB60_17 Depth=1
	v_add_nc_u32_e32 v13, s26, v60
	v_add_nc_u32_e32 v15, s26, v12
	;; [unrolled: 1-line block ×5, first 2 shown]
	v_ashrrev_i32_e32 v14, 31, v13
	v_ashrrev_i32_e32 v16, 31, v15
	;; [unrolled: 1-line block ×4, first 2 shown]
	v_add_nc_u32_e32 v23, s5, v56
	v_lshlrev_b64 v[13:14], 3, v[13:14]
	v_lshlrev_b64 v[15:16], 3, v[15:16]
	;; [unrolled: 1-line block ×3, first 2 shown]
	v_ashrrev_i32_e32 v22, 31, v21
	v_lshlrev_b64 v[19:20], 3, v[19:20]
	v_ashrrev_i32_e32 v24, 31, v23
	v_add_co_u32 v13, s3, s20, v13
	s_delay_alu instid0(VALU_DEP_1)
	v_add_co_ci_u32_e64 v14, s3, s21, v14, s3
	v_add_co_u32 v15, s3, s20, v15
	v_add_nc_u32_e32 v25, s5, v10
	v_add_co_ci_u32_e64 v16, s3, s21, v16, s3
	v_add_co_u32 v17, s3, s20, v17
	v_lshlrev_b64 v[21:22], 3, v[21:22]
	v_add_nc_u32_e32 v27, s5, v11
	v_add_co_ci_u32_e64 v18, s3, s21, v18, s3
	v_add_co_u32 v19, s3, s20, v19
	v_lshlrev_b64 v[23:24], 3, v[23:24]
	v_ashrrev_i32_e32 v26, 31, v25
	v_add_co_ci_u32_e64 v20, s3, s21, v20, s3
	v_add_co_u32 v29, s3, s15, v21
	v_ashrrev_i32_e32 v28, 31, v27
	v_add_co_ci_u32_e64 v30, s3, s19, v22, s3
	v_lshlrev_b64 v[21:22], 3, v[25:26]
	v_add_co_u32 v31, s3, s15, v23
	s_delay_alu instid0(VALU_DEP_1) | instskip(SKIP_1) | instid1(VALU_DEP_4)
	v_add_co_ci_u32_e64 v32, s3, s19, v24, s3
	v_lshlrev_b64 v[23:24], 3, v[27:28]
	v_add_co_u32 v33, s3, s15, v21
	s_delay_alu instid0(VALU_DEP_1) | instskip(NEXT) | instid1(VALU_DEP_3)
	v_add_co_ci_u32_e64 v34, s3, s19, v22, s3
	v_add_co_u32 v35, s3, s15, v23
	s_delay_alu instid0(VALU_DEP_1)
	v_add_co_ci_u32_e64 v36, s3, s19, v24, s3
	s_clause 0x3
	global_load_b64 v[13:14], v[13:14], off
	global_load_b64 v[15:16], v[15:16], off
	;; [unrolled: 1-line block ×4, first 2 shown]
	s_clause 0x3
	global_load_b64 v[21:22], v[29:30], off
	global_load_b64 v[23:24], v[31:32], off
	;; [unrolled: 1-line block ×4, first 2 shown]
	s_and_saveexec_b32 s3, s0
	s_cbranch_execz .LBB60_15
; %bb.19:                               ;   in Loop: Header=BB60_17 Depth=1
	s_clause 0x3
	global_load_b64 v[37:38], v[29:30], off offset:256
	global_load_b64 v[39:40], v[31:32], off offset:256
	global_load_b64 v[41:42], v[33:34], off offset:256
	global_load_b64 v[43:44], v[35:36], off offset:256
	s_and_saveexec_b32 s28, s1
	s_cbranch_execz .LBB60_14
; %bb.20:                               ;   in Loop: Header=BB60_17 Depth=1
	s_clause 0x3
	global_load_b64 v[45:46], v[29:30], off offset:512
	global_load_b64 v[47:48], v[31:32], off offset:512
	global_load_b64 v[49:50], v[33:34], off offset:512
	global_load_b64 v[51:52], v[35:36], off offset:512
	;; [unrolled: 8-line block ×3, first 2 shown]
	s_waitcnt vmcnt(3)
	v_fma_f64 v[2:3], v[13:14], v[29:30], v[2:3]
	s_waitcnt vmcnt(2)
	s_delay_alu instid0(VALU_DEP_1) | instskip(SKIP_1) | instid1(VALU_DEP_1)
	v_fma_f64 v[2:3], v[15:16], v[31:32], v[2:3]
	s_waitcnt vmcnt(1)
	v_fma_f64 v[2:3], v[17:18], v[33:34], v[2:3]
	s_waitcnt vmcnt(0)
	s_delay_alu instid0(VALU_DEP_1)
	v_fma_f64 v[2:3], v[19:20], v[35:36], v[2:3]
	s_branch .LBB60_13
.LBB60_22:
	s_or_b32 exec_lo, exec_lo, s24
.LBB60_23:
	s_delay_alu instid0(SALU_CYCLE_1) | instskip(SKIP_1) | instid1(SALU_CYCLE_1)
	s_or_b32 exec_lo, exec_lo, s22
	s_sub_i32 s0, s13, s14
	s_cmp_lt_i32 s0, 1
	s_cbranch_scc1 .LBB60_41
; %bb.24:
	v_mov_b32_e32 v14, 0
	v_mov_b32_e32 v15, 0
	v_cmp_gt_i32_e32 vcc_lo, s13, v55
	v_or_b32_e32 v20, 1, v55
	s_delay_alu instid0(VALU_DEP_4) | instskip(NEXT) | instid1(VALU_DEP_4)
	v_mov_b32_e32 v12, v14
	v_dual_mov_b32 v10, v14 :: v_dual_mov_b32 v11, v15
	v_dual_mov_b32 v17, v15 :: v_dual_mov_b32 v16, v14
	v_mov_b32_e32 v13, v15
	s_and_saveexec_b32 s1, vcc_lo
	s_cbranch_execz .LBB60_32
; %bb.25:
	s_waitcnt lgkmcnt(0)
	v_mul_lo_u32 v10, v55, s4
	v_mov_b32_e32 v12, 0
	v_mov_b32_e32 v13, 0
	s_mov_b32 s2, exec_lo
	s_delay_alu instid0(VALU_DEP_1) | instskip(NEXT) | instid1(VALU_DEP_4)
	v_dual_mov_b32 v17, v13 :: v_dual_mov_b32 v16, v12
	v_ashrrev_i32_e32 v11, 31, v10
	v_dual_mov_b32 v15, v13 :: v_dual_mov_b32 v14, v12
	s_delay_alu instid0(VALU_DEP_2) | instskip(NEXT) | instid1(VALU_DEP_1)
	v_lshlrev_b64 v[10:11], 3, v[10:11]
	v_add_co_u32 v10, s0, s20, v10
	s_delay_alu instid0(VALU_DEP_1)
	v_add_co_ci_u32_e64 v11, s0, s21, v11, s0
	global_load_b64 v[10:11], v[10:11], off
	v_cmpx_gt_i32_e64 s13, v20
	s_cbranch_execz .LBB60_31
; %bb.26:
	v_mul_lo_u32 v12, v20, s4
	v_mov_b32_e32 v16, 0
	v_mov_b32_e32 v17, 0
	v_or_b32_e32 v18, 2, v55
	s_delay_alu instid0(VALU_DEP_3) | instskip(SKIP_1) | instid1(VALU_DEP_3)
	v_mov_b32_e32 v14, v16
	s_mov_b32 s3, exec_lo
	v_mov_b32_e32 v15, v17
	v_ashrrev_i32_e32 v13, 31, v12
	s_delay_alu instid0(VALU_DEP_1) | instskip(NEXT) | instid1(VALU_DEP_1)
	v_lshlrev_b64 v[12:13], 3, v[12:13]
	v_add_co_u32 v12, s0, s20, v12
	s_delay_alu instid0(VALU_DEP_1)
	v_add_co_ci_u32_e64 v13, s0, s21, v13, s0
	global_load_b64 v[12:13], v[12:13], off
	v_cmpx_gt_i32_e64 s13, v18
	s_cbranch_execz .LBB60_30
; %bb.27:
	v_mul_lo_u32 v14, v18, s4
	v_or_b32_e32 v18, 3, v55
	s_mov_b32 s14, exec_lo
	s_delay_alu instid0(VALU_DEP_2) | instskip(NEXT) | instid1(VALU_DEP_1)
	v_ashrrev_i32_e32 v15, 31, v14
	v_lshlrev_b64 v[14:15], 3, v[14:15]
	s_delay_alu instid0(VALU_DEP_1) | instskip(NEXT) | instid1(VALU_DEP_1)
	v_add_co_u32 v14, s0, s20, v14
	v_add_co_ci_u32_e64 v15, s0, s21, v15, s0
	global_load_b64 v[16:17], v[14:15], off
	v_mov_b32_e32 v14, 0
	v_mov_b32_e32 v15, 0
	v_cmpx_gt_i32_e64 s13, v18
	s_cbranch_execz .LBB60_29
; %bb.28:
	v_mul_lo_u32 v14, v18, s4
	s_delay_alu instid0(VALU_DEP_1) | instskip(NEXT) | instid1(VALU_DEP_1)
	v_ashrrev_i32_e32 v15, 31, v14
	v_lshlrev_b64 v[14:15], 3, v[14:15]
	s_delay_alu instid0(VALU_DEP_1) | instskip(NEXT) | instid1(VALU_DEP_1)
	v_add_co_u32 v14, s0, s20, v14
	v_add_co_ci_u32_e64 v15, s0, s21, v15, s0
	global_load_b64 v[14:15], v[14:15], off
.LBB60_29:
	s_or_b32 exec_lo, exec_lo, s14
.LBB60_30:
	s_delay_alu instid0(SALU_CYCLE_1)
	s_or_b32 exec_lo, exec_lo, s3
.LBB60_31:
	s_delay_alu instid0(SALU_CYCLE_1)
	s_or_b32 exec_lo, exec_lo, s2
.LBB60_32:
	s_delay_alu instid0(SALU_CYCLE_1) | instskip(NEXT) | instid1(SALU_CYCLE_1)
	s_or_b32 exec_lo, exec_lo, s1
	s_mov_b32 s1, exec_lo
	v_cmpx_gt_i32_e64 s12, v54
	s_cbranch_execz .LBB60_40
; %bb.33:
	v_mul_lo_u32 v18, v55, s18
	v_mul_lo_u32 v21, v20, s18
	v_or_b32_e32 v22, 2, v55
	s_mov_b32 s0, exec_lo
	s_delay_alu instid0(VALU_DEP_1) | instskip(NEXT) | instid1(VALU_DEP_4)
	v_mul_lo_u32 v23, v22, s18
	v_cndmask_b32_e32 v18, 0, v18, vcc_lo
	s_delay_alu instid0(VALU_DEP_1) | instskip(NEXT) | instid1(VALU_DEP_1)
	v_add_nc_u32_e32 v18, v18, v54
	v_ashrrev_i32_e32 v19, 31, v18
	s_delay_alu instid0(VALU_DEP_1) | instskip(NEXT) | instid1(VALU_DEP_1)
	v_lshlrev_b64 v[18:19], 3, v[18:19]
	v_add_co_u32 v18, vcc_lo, s15, v18
	s_delay_alu instid0(VALU_DEP_2) | instskip(SKIP_3) | instid1(VALU_DEP_1)
	v_add_co_ci_u32_e32 v19, vcc_lo, s19, v19, vcc_lo
	v_cmp_gt_i32_e32 vcc_lo, s13, v20
	global_load_b64 v[28:29], v[18:19], off
	v_cndmask_b32_e32 v20, 0, v21, vcc_lo
	v_add_nc_u32_e32 v20, v20, v54
	s_delay_alu instid0(VALU_DEP_1) | instskip(NEXT) | instid1(VALU_DEP_1)
	v_ashrrev_i32_e32 v21, 31, v20
	v_lshlrev_b64 v[20:21], 3, v[20:21]
	s_delay_alu instid0(VALU_DEP_1) | instskip(NEXT) | instid1(VALU_DEP_2)
	v_add_co_u32 v20, vcc_lo, s15, v20
	v_add_co_ci_u32_e32 v21, vcc_lo, s19, v21, vcc_lo
	v_cmp_gt_i32_e32 vcc_lo, s13, v22
	global_load_b64 v[30:31], v[20:21], off
	v_cndmask_b32_e32 v22, 0, v23, vcc_lo
	s_delay_alu instid0(VALU_DEP_1) | instskip(NEXT) | instid1(VALU_DEP_1)
	v_add_nc_u32_e32 v22, v22, v54
	v_ashrrev_i32_e32 v23, 31, v22
	s_delay_alu instid0(VALU_DEP_1) | instskip(NEXT) | instid1(VALU_DEP_1)
	v_lshlrev_b64 v[22:23], 3, v[22:23]
	v_add_co_u32 v24, vcc_lo, s15, v22
	s_delay_alu instid0(VALU_DEP_2) | instskip(SKIP_4) | instid1(VALU_DEP_2)
	v_add_co_ci_u32_e32 v25, vcc_lo, s19, v23, vcc_lo
	v_or_b32_e32 v22, 3, v55
	global_load_b64 v[32:33], v[24:25], off
	v_mul_lo_u32 v23, v22, s18
	v_cmp_gt_i32_e32 vcc_lo, s13, v22
	v_cndmask_b32_e32 v22, 0, v23, vcc_lo
	s_delay_alu instid0(VALU_DEP_1) | instskip(NEXT) | instid1(VALU_DEP_1)
	v_add_nc_u32_e32 v22, v22, v54
	v_ashrrev_i32_e32 v23, 31, v22
	s_delay_alu instid0(VALU_DEP_1) | instskip(NEXT) | instid1(VALU_DEP_1)
	v_lshlrev_b64 v[22:23], 3, v[22:23]
	v_add_co_u32 v26, vcc_lo, s15, v22
	s_delay_alu instid0(VALU_DEP_2)
	v_add_co_ci_u32_e32 v27, vcc_lo, s19, v23, vcc_lo
	global_load_b64 v[22:23], v[26:27], off
	s_waitcnt vmcnt(3)
	v_fma_f64 v[8:9], v[10:11], v[28:29], v[8:9]
	v_add_nc_u32_e32 v28, 32, v54
	s_waitcnt vmcnt(2)
	s_delay_alu instid0(VALU_DEP_2) | instskip(SKIP_1) | instid1(VALU_DEP_1)
	v_fma_f64 v[8:9], v[12:13], v[30:31], v[8:9]
	s_waitcnt vmcnt(1)
	v_fma_f64 v[8:9], v[16:17], v[32:33], v[8:9]
	v_cmpx_gt_i32_e64 s12, v28
	s_cbranch_execz .LBB60_39
; %bb.34:
	s_clause 0x3
	global_load_b64 v[30:31], v[18:19], off offset:256
	global_load_b64 v[32:33], v[20:21], off offset:256
	;; [unrolled: 1-line block ×4, first 2 shown]
	s_mov_b32 s2, exec_lo
	s_waitcnt vmcnt(3)
	v_fma_f64 v[6:7], v[10:11], v[30:31], v[6:7]
	v_add_nc_u32_e32 v30, 64, v54
	s_waitcnt vmcnt(2)
	s_delay_alu instid0(VALU_DEP_2) | instskip(SKIP_1) | instid1(VALU_DEP_1)
	v_fma_f64 v[6:7], v[12:13], v[32:33], v[6:7]
	s_waitcnt vmcnt(1)
	v_fma_f64 v[6:7], v[16:17], v[34:35], v[6:7]
	v_cmpx_gt_i32_e64 s12, v30
	s_cbranch_execz .LBB60_38
; %bb.35:
	s_clause 0x3
	global_load_b64 v[32:33], v[18:19], off offset:512
	global_load_b64 v[34:35], v[20:21], off offset:512
	;; [unrolled: 1-line block ×4, first 2 shown]
	s_mov_b32 s3, exec_lo
	s_waitcnt vmcnt(3)
	v_fma_f64 v[4:5], v[10:11], v[32:33], v[4:5]
	v_add_nc_u32_e32 v32, 0x60, v54
	s_waitcnt vmcnt(2)
	s_delay_alu instid0(VALU_DEP_2) | instskip(SKIP_1) | instid1(VALU_DEP_1)
	v_fma_f64 v[4:5], v[12:13], v[34:35], v[4:5]
	s_waitcnt vmcnt(1)
	v_fma_f64 v[4:5], v[16:17], v[36:37], v[4:5]
	v_cmpx_gt_i32_e64 s12, v32
	s_cbranch_execz .LBB60_37
; %bb.36:
	s_clause 0x3
	global_load_b64 v[18:19], v[18:19], off offset:768
	global_load_b64 v[20:21], v[20:21], off offset:768
	;; [unrolled: 1-line block ×4, first 2 shown]
	s_waitcnt vmcnt(3)
	v_fma_f64 v[2:3], v[10:11], v[18:19], v[2:3]
	s_waitcnt vmcnt(2)
	s_delay_alu instid0(VALU_DEP_1) | instskip(SKIP_1) | instid1(VALU_DEP_1)
	v_fma_f64 v[2:3], v[12:13], v[20:21], v[2:3]
	s_waitcnt vmcnt(1)
	v_fma_f64 v[2:3], v[16:17], v[24:25], v[2:3]
	s_waitcnt vmcnt(0)
	s_delay_alu instid0(VALU_DEP_1)
	v_fma_f64 v[2:3], v[14:15], v[26:27], v[2:3]
.LBB60_37:
	s_or_b32 exec_lo, exec_lo, s3
	s_waitcnt vmcnt(0)
	s_delay_alu instid0(VALU_DEP_2)
	v_fma_f64 v[4:5], v[14:15], v[30:31], v[4:5]
.LBB60_38:
	s_or_b32 exec_lo, exec_lo, s2
	s_waitcnt vmcnt(0)
	s_delay_alu instid0(VALU_DEP_2)
	v_fma_f64 v[6:7], v[14:15], v[28:29], v[6:7]
.LBB60_39:
	s_or_b32 exec_lo, exec_lo, s0
	s_waitcnt vmcnt(0)
	s_delay_alu instid0(VALU_DEP_2)
	v_fma_f64 v[8:9], v[14:15], v[22:23], v[8:9]
.LBB60_40:
	s_or_b32 exec_lo, exec_lo, s1
.LBB60_41:
	v_lshlrev_b32_e32 v0, 7, v0
	s_mov_b32 s0, exec_lo
	s_delay_alu instid0(VALU_DEP_1)
	v_add_lshl_u32 v0, v0, v1, 3
	ds_store_2addr_b64 v0, v[8:9], v[6:7] offset1:32
	ds_store_2addr_b64 v0, v[4:5], v[2:3] offset0:64 offset1:96
	s_waitcnt vmcnt(0) lgkmcnt(0)
	s_barrier
	buffer_gl0_inv
                                        ; implicit-def: $vgpr4_vgpr5
                                        ; implicit-def: $vgpr2_vgpr3
	v_cmpx_gt_u32_e32 0x80, v53
	s_cbranch_execz .LBB60_47
; %bb.42:
	v_lshlrev_b32_e32 v7, 3, v53
	v_or_b32_e32 v6, s5, v53
	s_mov_b32 s2, s17
	s_mov_b32 s1, exec_lo
	ds_load_2addr_stride64_b64 v[0:3], v7 offset1:2
	s_waitcnt lgkmcnt(0)
	v_add_f64 v[4:5], v[0:1], v[2:3]
	ds_load_2addr_stride64_b64 v[0:3], v7 offset0:4 offset1:6
	s_waitcnt lgkmcnt(0)
	v_add_f64 v[0:1], v[0:1], v[4:5]
	s_delay_alu instid0(VALU_DEP_1) | instskip(SKIP_3) | instid1(VALU_DEP_1)
	v_add_f64 v[4:5], v[2:3], v[0:1]
	ds_load_2addr_stride64_b64 v[0:3], v7 offset0:8 offset1:10
	s_waitcnt lgkmcnt(0)
	v_add_f64 v[0:1], v[0:1], v[4:5]
	v_add_f64 v[4:5], v[2:3], v[0:1]
	ds_load_2addr_stride64_b64 v[0:3], v7 offset0:12 offset1:14
	s_waitcnt lgkmcnt(0)
	v_add_f64 v[0:1], v[0:1], v[4:5]
	s_delay_alu instid0(VALU_DEP_1) | instskip(SKIP_3) | instid1(VALU_DEP_1)
	v_add_f64 v[4:5], v[2:3], v[0:1]
	ds_load_2addr_stride64_b64 v[0:3], v7 offset0:16 offset1:18
	s_waitcnt lgkmcnt(0)
	v_add_f64 v[0:1], v[0:1], v[4:5]
	;; [unrolled: 9-line block ×3, first 2 shown]
	v_add_f64 v[4:5], v[2:3], v[0:1]
	ds_load_2addr_stride64_b64 v[0:3], v7 offset0:28 offset1:30
	s_waitcnt lgkmcnt(0)
	v_add_f64 v[0:1], v[0:1], v[4:5]
                                        ; implicit-def: $vgpr4_vgpr5
	s_delay_alu instid0(VALU_DEP_1)
	v_add_f64 v[0:1], v[2:3], v[0:1]
                                        ; implicit-def: $vgpr2_vgpr3
	ds_store_b64 v7, v[0:1]
	v_cmpx_gt_i32_e64 s12, v6
	s_cbranch_execz .LBB60_46
; %bb.43:
	v_cmp_eq_f64_e64 s2, s[6:7], 0
	v_mul_f64 v[4:5], s[8:9], v[0:1]
	v_mul_lo_u32 v2, v6, s16
	s_delay_alu instid0(VALU_DEP_1) | instskip(NEXT) | instid1(VALU_DEP_4)
	v_ashrrev_i32_e32 v3, 31, v2
	s_and_b32 vcc_lo, exec_lo, s2
	s_cbranch_vccnz .LBB60_45
; %bb.44:
	s_delay_alu instid0(VALU_DEP_1) | instskip(NEXT) | instid1(VALU_DEP_1)
	v_lshlrev_b64 v[0:1], 3, v[2:3]
	v_add_co_u32 v0, vcc_lo, s10, v0
	s_delay_alu instid0(VALU_DEP_2)
	v_add_co_ci_u32_e32 v1, vcc_lo, s11, v1, vcc_lo
	global_load_b64 v[0:1], v[0:1], off
	s_waitcnt vmcnt(0)
	v_fma_f64 v[4:5], s[6:7], v[0:1], v[4:5]
.LBB60_45:
	s_or_b32 s2, s17, exec_lo
.LBB60_46:
	s_or_b32 exec_lo, exec_lo, s1
	s_delay_alu instid0(SALU_CYCLE_1) | instskip(SKIP_1) | instid1(SALU_CYCLE_1)
	s_and_not1_b32 s1, s17, exec_lo
	s_and_b32 s2, s2, exec_lo
	s_or_b32 s17, s1, s2
.LBB60_47:
	s_or_b32 exec_lo, exec_lo, s0
.LBB60_48:
	s_and_saveexec_b32 s0, s17
	s_cbranch_execz .LBB60_50
; %bb.49:
	v_lshlrev_b64 v[0:1], 3, v[2:3]
	s_delay_alu instid0(VALU_DEP_1) | instskip(NEXT) | instid1(VALU_DEP_2)
	v_add_co_u32 v0, vcc_lo, s10, v0
	v_add_co_ci_u32_e32 v1, vcc_lo, s11, v1, vcc_lo
	global_store_b64 v[0:1], v[4:5], off
.LBB60_50:
	s_nop 0
	s_sendmsg sendmsg(MSG_DEALLOC_VGPRS)
	s_endpgm
	.section	.rodata,"a",@progbits
	.p2align	6, 0x0
	.amdhsa_kernel _ZL20rocblas_gemvn_kernelILi32ELi16EidPKddEviiT3_lPKT2_lT1_lS5_lS6_lS2_lPT4_lS6_li
		.amdhsa_group_segment_fixed_size 16384
		.amdhsa_private_segment_fixed_size 0
		.amdhsa_kernarg_size 400
		.amdhsa_user_sgpr_count 14
		.amdhsa_user_sgpr_dispatch_ptr 0
		.amdhsa_user_sgpr_queue_ptr 0
		.amdhsa_user_sgpr_kernarg_segment_ptr 1
		.amdhsa_user_sgpr_dispatch_id 0
		.amdhsa_user_sgpr_private_segment_size 0
		.amdhsa_wavefront_size32 1
		.amdhsa_uses_dynamic_stack 0
		.amdhsa_enable_private_segment 0
		.amdhsa_system_sgpr_workgroup_id_x 1
		.amdhsa_system_sgpr_workgroup_id_y 0
		.amdhsa_system_sgpr_workgroup_id_z 1
		.amdhsa_system_sgpr_workgroup_info 0
		.amdhsa_system_vgpr_workitem_id 1
		.amdhsa_next_free_vgpr 61
		.amdhsa_next_free_sgpr 30
		.amdhsa_reserve_vcc 1
		.amdhsa_float_round_mode_32 0
		.amdhsa_float_round_mode_16_64 0
		.amdhsa_float_denorm_mode_32 3
		.amdhsa_float_denorm_mode_16_64 3
		.amdhsa_dx10_clamp 1
		.amdhsa_ieee_mode 1
		.amdhsa_fp16_overflow 0
		.amdhsa_workgroup_processor_mode 1
		.amdhsa_memory_ordered 1
		.amdhsa_forward_progress 0
		.amdhsa_shared_vgpr_count 0
		.amdhsa_exception_fp_ieee_invalid_op 0
		.amdhsa_exception_fp_denorm_src 0
		.amdhsa_exception_fp_ieee_div_zero 0
		.amdhsa_exception_fp_ieee_overflow 0
		.amdhsa_exception_fp_ieee_underflow 0
		.amdhsa_exception_fp_ieee_inexact 0
		.amdhsa_exception_int_div_zero 0
	.end_amdhsa_kernel
	.section	.text._ZL20rocblas_gemvn_kernelILi32ELi16EidPKddEviiT3_lPKT2_lT1_lS5_lS6_lS2_lPT4_lS6_li,"axG",@progbits,_ZL20rocblas_gemvn_kernelILi32ELi16EidPKddEviiT3_lPKT2_lT1_lS5_lS6_lS2_lPT4_lS6_li,comdat
.Lfunc_end60:
	.size	_ZL20rocblas_gemvn_kernelILi32ELi16EidPKddEviiT3_lPKT2_lT1_lS5_lS6_lS2_lPT4_lS6_li, .Lfunc_end60-_ZL20rocblas_gemvn_kernelILi32ELi16EidPKddEviiT3_lPKT2_lT1_lS5_lS6_lS2_lPT4_lS6_li
                                        ; -- End function
	.section	.AMDGPU.csdata,"",@progbits
; Kernel info:
; codeLenInByte = 3356
; NumSgprs: 32
; NumVgprs: 61
; ScratchSize: 0
; MemoryBound: 0
; FloatMode: 240
; IeeeMode: 1
; LDSByteSize: 16384 bytes/workgroup (compile time only)
; SGPRBlocks: 3
; VGPRBlocks: 7
; NumSGPRsForWavesPerEU: 32
; NumVGPRsForWavesPerEU: 61
; Occupancy: 16
; WaveLimiterHint : 1
; COMPUTE_PGM_RSRC2:SCRATCH_EN: 0
; COMPUTE_PGM_RSRC2:USER_SGPR: 14
; COMPUTE_PGM_RSRC2:TRAP_HANDLER: 0
; COMPUTE_PGM_RSRC2:TGID_X_EN: 1
; COMPUTE_PGM_RSRC2:TGID_Y_EN: 0
; COMPUTE_PGM_RSRC2:TGID_Z_EN: 1
; COMPUTE_PGM_RSRC2:TIDIG_COMP_CNT: 1
	.section	.text._ZL20rocblas_gemvn_kernelILi32ELi16EldPKddEviiT3_lPKT2_lT1_lS5_lS6_lS2_lPT4_lS6_li,"axG",@progbits,_ZL20rocblas_gemvn_kernelILi32ELi16EldPKddEviiT3_lPKT2_lT1_lS5_lS6_lS2_lPT4_lS6_li,comdat
	.globl	_ZL20rocblas_gemvn_kernelILi32ELi16EldPKddEviiT3_lPKT2_lT1_lS5_lS6_lS2_lPT4_lS6_li ; -- Begin function _ZL20rocblas_gemvn_kernelILi32ELi16EldPKddEviiT3_lPKT2_lT1_lS5_lS6_lS2_lPT4_lS6_li
	.p2align	8
	.type	_ZL20rocblas_gemvn_kernelILi32ELi16EldPKddEviiT3_lPKT2_lT1_lS5_lS6_lS2_lPT4_lS6_li,@function
_ZL20rocblas_gemvn_kernelILi32ELi16EldPKddEviiT3_lPKT2_lT1_lS5_lS6_lS2_lPT4_lS6_li: ; @_ZL20rocblas_gemvn_kernelILi32ELi16EldPKddEviiT3_lPKT2_lT1_lS5_lS6_lS2_lPT4_lS6_li
; %bb.0:
	s_load_b64 s[2:3], s[0:1], 0x9c
	s_waitcnt lgkmcnt(0)
	s_lshr_b32 s4, s2, 16
	s_and_b32 s2, s2, 0xffff
	s_and_b32 s3, s3, 0xffff
	s_mul_i32 s2, s4, s2
	s_delay_alu instid0(SALU_CYCLE_1) | instskip(NEXT) | instid1(SALU_CYCLE_1)
	s_mul_i32 s2, s2, s3
	s_cmpk_lg_i32 s2, 0x200
	s_cbranch_scc1 .LBB61_50
; %bb.1:
	s_clause 0x1
	s_load_b512 s[36:51], s[0:1], 0x8
	s_load_b512 s[16:31], s[0:1], 0x48
	s_waitcnt lgkmcnt(0)
	s_mul_i32 s3, s15, s39
	s_mul_hi_u32 s4, s15, s38
	s_mul_i32 s2, s15, s38
	s_add_i32 s3, s4, s3
	s_mul_i32 s4, s15, s23
	s_lshl_b64 s[2:3], s[2:3], 3
	s_mul_hi_u32 s5, s15, s22
	s_add_u32 s2, s36, s2
	s_addc_u32 s3, s37, s3
	s_add_i32 s5, s5, s4
	s_mul_i32 s4, s15, s22
	s_delay_alu instid0(SALU_CYCLE_1) | instskip(NEXT) | instid1(SALU_CYCLE_1)
	s_lshl_b64 s[4:5], s[4:5], 3
	s_add_u32 s4, s20, s4
	s_addc_u32 s5, s21, s5
	s_load_b64 s[8:9], s[2:3], 0x0
	s_load_b64 s[6:7], s[4:5], 0x0
	s_waitcnt lgkmcnt(0)
	v_cmp_eq_f64_e64 s2, s[8:9], 0
	v_cmp_eq_f64_e64 s3, s[6:7], 1.0
	s_delay_alu instid0(VALU_DEP_1) | instskip(NEXT) | instid1(SALU_CYCLE_1)
	s_and_b32 s2, s2, s3
	s_and_b32 vcc_lo, exec_lo, s2
	s_cbranch_vccnz .LBB61_50
; %bb.2:
	v_cmp_neq_f64_e64 s2, s[8:9], 0
	s_load_b64 s[10:11], s[0:1], 0x0
	v_and_b32_e32 v53, 0x3ff, v0
	v_bfe_u32 v54, v0, 10, 10
	s_mul_i32 s1, s15, s31
	s_mul_hi_u32 s3, s15, s30
	s_mul_i32 s0, s15, s30
	s_add_i32 s1, s3, s1
	v_lshl_add_u32 v52, v54, 5, v53
	s_lshl_b64 s[0:1], s[0:1], 3
	s_delay_alu instid0(SALU_CYCLE_1)
	s_add_u32 s3, s24, s0
	s_addc_u32 s4, s25, s1
	s_lshl_b64 s[0:1], s[26:27], 3
	s_mov_b32 s25, 0
	s_add_u32 s5, s3, s0
	v_cmp_gt_u32_e64 s0, 0x80, v52
	s_addc_u32 s24, s4, s1
	s_and_b32 vcc_lo, exec_lo, s2
	s_cbranch_vccnz .LBB61_9
; %bb.3:
	s_mov_b32 s1, 0
                                        ; implicit-def: $vgpr2_vgpr3
                                        ; implicit-def: $vgpr0_vgpr1
	s_and_saveexec_b32 s2, s0
	s_cbranch_execz .LBB61_10
; %bb.4:
	v_lshl_or_b32 v4, s14, 7, v52
	v_mov_b32_e32 v5, 0
	s_waitcnt lgkmcnt(0)
	s_ashr_i32 s13, s10, 31
	s_mov_b32 s12, s10
	s_mov_b32 s3, 0
	s_mov_b32 s0, exec_lo
                                        ; implicit-def: $vgpr2_vgpr3
                                        ; implicit-def: $vgpr0_vgpr1
	v_cmpx_gt_i64_e64 s[12:13], v[4:5]
	s_cbranch_execz .LBB61_8
; %bb.5:
	v_cmp_eq_f64_e64 s3, s[6:7], 0
	v_mad_u64_u32 v[0:1], null, v4, s28, 0
	s_delay_alu instid0(VALU_DEP_1) | instskip(NEXT) | instid1(VALU_DEP_1)
	v_mad_u64_u32 v[2:3], null, v4, s29, v[1:2]
	v_dual_mov_b32 v1, v2 :: v_dual_mov_b32 v2, 0
	v_mov_b32_e32 v3, 0
	s_and_b32 vcc_lo, exec_lo, s3
	s_cbranch_vccnz .LBB61_7
; %bb.6:
	s_delay_alu instid0(VALU_DEP_2) | instskip(NEXT) | instid1(VALU_DEP_1)
	v_lshlrev_b64 v[2:3], 3, v[0:1]
	v_add_co_u32 v2, vcc_lo, s5, v2
	s_delay_alu instid0(VALU_DEP_2)
	v_add_co_ci_u32_e32 v3, vcc_lo, s24, v3, vcc_lo
	global_load_b64 v[2:3], v[2:3], off
	s_waitcnt vmcnt(0)
	v_mul_f64 v[2:3], s[6:7], v[2:3]
.LBB61_7:
	s_mov_b32 s3, exec_lo
.LBB61_8:
	s_or_b32 exec_lo, exec_lo, s0
	s_delay_alu instid0(SALU_CYCLE_1) | instskip(SKIP_1) | instid1(SALU_CYCLE_1)
	s_and_b32 s25, s3, exec_lo
	s_or_b32 exec_lo, exec_lo, s2
	s_and_b32 vcc_lo, exec_lo, s1
	s_cbranch_vccnz .LBB61_11
	s_branch .LBB61_48
.LBB61_9:
                                        ; implicit-def: $vgpr2_vgpr3
                                        ; implicit-def: $vgpr0_vgpr1
	s_cbranch_execnz .LBB61_11
	s_branch .LBB61_48
.LBB61_10:
	s_or_b32 exec_lo, exec_lo, s2
	s_delay_alu instid0(SALU_CYCLE_1)
	s_and_b32 vcc_lo, exec_lo, s1
	s_cbranch_vccz .LBB61_48
.LBB61_11:
	v_dual_mov_b32 v8, 0 :: v_dual_lshlrev_b32 v55, 2, v54
	s_mul_i32 s0, s15, s47
	s_mul_hi_u32 s1, s15, s46
	s_lshl_b32 s26, s14, 7
	s_delay_alu instid0(SALU_CYCLE_1) | instskip(SKIP_3) | instid1(VALU_DEP_1)
	v_dual_mov_b32 v9, 0 :: v_dual_add_nc_u32 v0, s26, v53
	s_add_i32 s13, s1, s0
	s_waitcnt lgkmcnt(0)
	s_ashr_i32 s1, s11, 31
	v_dual_mov_b32 v6, v8 :: v_dual_mov_b32 v7, v9
	s_lshr_b32 s1, s1, 26
	v_dual_mov_b32 v4, v8 :: v_dual_mov_b32 v5, v9
	v_dual_mov_b32 v2, v8 :: v_dual_mov_b32 v3, v9
	s_mul_i32 s0, s15, s19
	s_mul_hi_u32 s2, s15, s18
	s_add_i32 s27, s11, s1
	s_mul_i32 s12, s15, s46
	s_and_not1_b32 s27, s27, 63
	s_add_i32 s19, s2, s0
	s_mul_i32 s18, s15, s18
	s_mov_b32 s30, exec_lo
	v_cmpx_gt_i32_e64 s27, v55
	s_cbranch_execz .LBB61_23
; %bb.12:
	v_lshlrev_b32_e32 v21, 2, v54
	v_mad_u64_u32 v[2:3], null, s16, v54, 0
	s_lshl_b64 s[0:1], s[18:19], 3
	s_lshl_b64 s[14:15], s[50:51], 3
	s_delay_alu instid0(VALU_DEP_2)
	v_or_b32_e32 v12, 3, v21
	s_add_u32 s4, s48, s0
	v_ashrrev_i32_e32 v1, 31, v0
	s_addc_u32 s31, s49, s1
	s_lshl_b64 s[22:23], s[42:43], 3
	v_mad_u64_u32 v[4:5], null, s44, v12, 0
	s_lshl_b64 s[20:21], s[16:17], 9
	s_lshl_b64 s[34:35], s[12:13], 3
	v_cmp_gt_i32_e32 vcc_lo, s10, v0
	s_delay_alu instid0(VALU_DEP_2) | instskip(SKIP_1) | instid1(VALU_DEP_2)
	v_mad_u64_u32 v[6:7], null, s17, v54, v[3:4]
	v_mad_u64_u32 v[7:8], null, s16, v12, 0
	v_dual_mov_b32 v3, v6 :: v_dual_add_nc_u32 v14, 0x60, v0
	v_mad_u64_u32 v[9:10], null, s45, v12, v[5:6]
	s_delay_alu instid0(VALU_DEP_3)
	v_mov_b32_e32 v6, v8
	v_or_b32_e32 v22, 2, v21
	v_mad_u64_u32 v[17:18], null, s16, v21, s[16:17]
	v_add_nc_u32_e32 v13, 64, v0
	v_lshlrev_b64 v[2:3], 5, v[2:3]
	v_mov_b32_e32 v5, v9
	v_mad_u64_u32 v[8:9], null, s17, v12, v[6:7]
	s_delay_alu instid0(VALU_DEP_4) | instskip(SKIP_3) | instid1(VALU_DEP_2)
	v_cmp_gt_i32_e64 s1, s10, v13
	v_mad_u64_u32 v[12:13], null, s44, v22, 0
	v_add_nc_u32_e32 v11, 32, v0
	v_cmp_gt_i32_e64 s2, s10, v14
	v_cmp_gt_i32_e64 s0, s10, v11
	v_lshlrev_b64 v[10:11], 3, v[0:1]
	v_add_co_u32 v1, s3, s4, v2
	s_delay_alu instid0(VALU_DEP_1)
	v_add_co_ci_u32_e64 v56, s3, s31, v3, s3
	v_lshlrev_b64 v[2:3], 3, v[4:5]
	v_mad_u64_u32 v[4:5], null, s44, v54, 0
	s_add_u32 s3, s40, s22
	s_addc_u32 s22, s41, s23
	s_add_u32 s23, s3, s34
	s_addc_u32 s22, s22, s35
	v_add_co_u32 v57, s3, s23, v2
	v_mov_b32_e32 v2, v13
	s_delay_alu instid0(VALU_DEP_3) | instskip(SKIP_3) | instid1(VALU_DEP_3)
	v_mad_u64_u32 v[14:15], null, s45, v54, v[5:6]
	v_mad_u64_u32 v[15:16], null, s16, v22, 0
	v_add_co_ci_u32_e64 v58, s3, s22, v3, s3
	v_lshlrev_b64 v[6:7], 3, v[7:8]
	v_mov_b32_e32 v3, v16
	s_delay_alu instid0(VALU_DEP_2) | instskip(SKIP_1) | instid1(VALU_DEP_3)
	v_add_co_u32 v59, s3, s4, v6
	v_mov_b32_e32 v6, v18
	v_mad_u64_u32 v[8:9], null, s45, v22, v[2:3]
	v_add_co_ci_u32_e64 v60, s3, s31, v7, s3
	v_mad_u64_u32 v[19:20], null, s17, v22, v[3:4]
	v_mad_u64_u32 v[2:3], null, s44, v21, s[44:45]
	s_delay_alu instid0(VALU_DEP_4) | instskip(SKIP_1) | instid1(VALU_DEP_4)
	v_mov_b32_e32 v13, v8
	v_mad_u64_u32 v[7:8], null, s17, v21, v[6:7]
	v_dual_mov_b32 v5, v14 :: v_dual_mov_b32 v16, v19
	s_delay_alu instid0(VALU_DEP_2) | instskip(NEXT) | instid1(VALU_DEP_2)
	v_mov_b32_e32 v18, v7
	v_lshlrev_b64 v[4:5], 5, v[4:5]
	s_delay_alu instid0(VALU_DEP_1) | instskip(NEXT) | instid1(VALU_DEP_1)
	v_add_co_u32 v61, s3, s23, v4
	v_add_co_ci_u32_e64 v62, s3, s22, v5, s3
	v_lshlrev_b64 v[4:5], 3, v[12:13]
	v_lshlrev_b64 v[12:13], 3, v[15:16]
	s_delay_alu instid0(VALU_DEP_2) | instskip(SKIP_1) | instid1(VALU_DEP_1)
	v_mad_u64_u32 v[8:9], null, s45, v21, v[3:4]
	v_add_co_u32 v63, s3, s23, v4
	v_add_co_ci_u32_e64 v64, s3, s22, v5, s3
	v_lshlrev_b64 v[4:5], 3, v[17:18]
	v_add_co_u32 v65, s3, s4, v12
	v_mov_b32_e32 v3, v8
	v_add_co_ci_u32_e64 v66, s3, s31, v13, s3
	v_mov_b32_e32 v8, 0
	v_mov_b32_e32 v9, 0
	s_delay_alu instid0(VALU_DEP_4) | instskip(SKIP_1) | instid1(VALU_DEP_1)
	v_lshlrev_b64 v[2:3], 3, v[2:3]
	v_add_co_u32 v67, s3, s4, v4
	v_add_co_ci_u32_e64 v68, s3, s31, v5, s3
	s_delay_alu instid0(VALU_DEP_4) | instskip(NEXT) | instid1(VALU_DEP_4)
	v_dual_mov_b32 v6, v8 :: v_dual_mov_b32 v7, v9
	v_add_co_u32 v69, s3, s23, v2
	s_delay_alu instid0(VALU_DEP_1)
	v_add_co_ci_u32_e64 v70, s3, s22, v3, s3
	v_dual_mov_b32 v4, v8 :: v_dual_mov_b32 v5, v9
	v_dual_mov_b32 v2, v8 :: v_dual_mov_b32 v3, v9
	s_lshl_b64 s[22:23], s[44:45], 9
	s_mov_b32 s31, 0
	s_branch .LBB61_17
.LBB61_13:                              ;   in Loop: Header=BB61_17 Depth=1
	s_or_b32 exec_lo, exec_lo, s34
	s_waitcnt vmcnt(3)
	v_fma_f64 v[4:5], v[12:13], v[44:45], v[4:5]
	s_waitcnt vmcnt(2)
	s_delay_alu instid0(VALU_DEP_1) | instskip(SKIP_1) | instid1(VALU_DEP_1)
	v_fma_f64 v[4:5], v[14:15], v[46:47], v[4:5]
	s_waitcnt vmcnt(1)
	v_fma_f64 v[4:5], v[16:17], v[48:49], v[4:5]
	s_waitcnt vmcnt(0)
	s_delay_alu instid0(VALU_DEP_1)
	v_fma_f64 v[4:5], v[18:19], v[50:51], v[4:5]
.LBB61_14:                              ;   in Loop: Header=BB61_17 Depth=1
	s_or_b32 exec_lo, exec_lo, s33
	s_waitcnt vmcnt(3)
	v_fma_f64 v[6:7], v[12:13], v[34:35], v[6:7]
	s_waitcnt vmcnt(2)
	s_delay_alu instid0(VALU_DEP_1) | instskip(SKIP_1) | instid1(VALU_DEP_1)
	v_fma_f64 v[6:7], v[14:15], v[36:37], v[6:7]
	s_waitcnt vmcnt(1)
	v_fma_f64 v[6:7], v[16:17], v[38:39], v[6:7]
	s_waitcnt vmcnt(0)
	s_delay_alu instid0(VALU_DEP_1)
	v_fma_f64 v[6:7], v[18:19], v[40:41], v[6:7]
.LBB61_15:                              ;   in Loop: Header=BB61_17 Depth=1
	s_or_b32 exec_lo, exec_lo, s3
	s_waitcnt vmcnt(3)
	v_fma_f64 v[8:9], v[12:13], v[20:21], v[8:9]
	s_waitcnt vmcnt(2)
	s_delay_alu instid0(VALU_DEP_1) | instskip(SKIP_1) | instid1(VALU_DEP_1)
	v_fma_f64 v[8:9], v[14:15], v[22:23], v[8:9]
	s_waitcnt vmcnt(1)
	v_fma_f64 v[8:9], v[16:17], v[24:25], v[8:9]
	s_waitcnt vmcnt(0)
	s_delay_alu instid0(VALU_DEP_1)
	v_fma_f64 v[8:9], v[18:19], v[26:27], v[8:9]
.LBB61_16:                              ;   in Loop: Header=BB61_17 Depth=1
	s_or_b32 exec_lo, exec_lo, s4
	v_add_co_u32 v1, s3, v1, s20
	s_delay_alu instid0(VALU_DEP_1) | instskip(SKIP_1) | instid1(VALU_DEP_1)
	v_add_co_ci_u32_e64 v56, s3, s21, v56, s3
	v_add_co_u32 v57, s3, v57, s22
	v_add_co_ci_u32_e64 v58, s3, s23, v58, s3
	v_add_co_u32 v59, s3, v59, s20
	s_delay_alu instid0(VALU_DEP_1) | instskip(SKIP_1) | instid1(VALU_DEP_1)
	v_add_co_ci_u32_e64 v60, s3, s21, v60, s3
	v_add_co_u32 v61, s3, v61, s22
	v_add_co_ci_u32_e64 v62, s3, s23, v62, s3
	v_add_co_u32 v63, s3, v63, s22
	s_delay_alu instid0(VALU_DEP_1) | instskip(SKIP_4) | instid1(VALU_DEP_1)
	v_add_co_ci_u32_e64 v64, s3, s23, v64, s3
	v_add_co_u32 v65, s3, v65, s20
	v_add_nc_u32_e32 v55, 64, v55
	v_add_co_ci_u32_e64 v66, s3, s21, v66, s3
	v_add_co_u32 v67, s3, v67, s20
	v_add_co_ci_u32_e64 v68, s3, s21, v68, s3
	s_delay_alu instid0(VALU_DEP_4) | instskip(SKIP_1) | instid1(VALU_DEP_1)
	v_cmp_le_i32_e64 s3, s27, v55
	v_add_co_u32 v69, s4, v69, s22
	v_add_co_ci_u32_e64 v70, s4, s23, v70, s4
	s_delay_alu instid0(VALU_DEP_3) | instskip(NEXT) | instid1(SALU_CYCLE_1)
	s_or_b32 s31, s3, s31
	s_and_not1_b32 exec_lo, exec_lo, s31
	s_cbranch_execz .LBB61_22
.LBB61_17:                              ; =>This Inner Loop Header: Depth=1
	s_and_saveexec_b32 s4, vcc_lo
	s_cbranch_execz .LBB61_16
; %bb.18:                               ;   in Loop: Header=BB61_17 Depth=1
	v_add_co_u32 v12, s3, v1, s14
	s_delay_alu instid0(VALU_DEP_1) | instskip(SKIP_1) | instid1(VALU_DEP_1)
	v_add_co_ci_u32_e64 v13, s3, s15, v56, s3
	v_add_co_u32 v14, s3, v67, s14
	v_add_co_ci_u32_e64 v15, s3, s15, v68, s3
	v_add_co_u32 v16, s3, v65, s14
	s_delay_alu instid0(VALU_DEP_1) | instskip(SKIP_1) | instid1(VALU_DEP_1)
	v_add_co_ci_u32_e64 v17, s3, s15, v66, s3
	v_add_co_u32 v18, s3, v59, s14
	v_add_co_ci_u32_e64 v19, s3, s15, v60, s3
	;; [unrolled: 5-line block ×4, first 2 shown]
	global_load_b64 v[12:13], v[12:13], off
	global_load_b64 v[14:15], v[14:15], off
	;; [unrolled: 1-line block ×8, first 2 shown]
	s_and_saveexec_b32 s3, s0
	s_cbranch_execz .LBB61_15
; %bb.19:                               ;   in Loop: Header=BB61_17 Depth=1
	global_load_b64 v[34:35], v[28:29], off offset:256
	global_load_b64 v[36:37], v[30:31], off offset:256
	global_load_b64 v[38:39], v[32:33], off offset:256
	global_load_b64 v[40:41], v[42:43], off offset:256
	s_and_saveexec_b32 s33, s1
	s_cbranch_execz .LBB61_14
; %bb.20:                               ;   in Loop: Header=BB61_17 Depth=1
	global_load_b64 v[44:45], v[28:29], off offset:512
	global_load_b64 v[46:47], v[30:31], off offset:512
	global_load_b64 v[48:49], v[32:33], off offset:512
	global_load_b64 v[50:51], v[42:43], off offset:512
	s_and_saveexec_b32 s34, s2
	s_cbranch_execz .LBB61_13
; %bb.21:                               ;   in Loop: Header=BB61_17 Depth=1
	global_load_b64 v[28:29], v[28:29], off offset:768
	global_load_b64 v[30:31], v[30:31], off offset:768
	global_load_b64 v[32:33], v[32:33], off offset:768
	global_load_b64 v[42:43], v[42:43], off offset:768
	s_waitcnt vmcnt(3)
	v_fma_f64 v[2:3], v[12:13], v[28:29], v[2:3]
	s_waitcnt vmcnt(2)
	s_delay_alu instid0(VALU_DEP_1) | instskip(SKIP_1) | instid1(VALU_DEP_1)
	v_fma_f64 v[2:3], v[14:15], v[30:31], v[2:3]
	s_waitcnt vmcnt(1)
	v_fma_f64 v[2:3], v[16:17], v[32:33], v[2:3]
	s_waitcnt vmcnt(0)
	s_delay_alu instid0(VALU_DEP_1)
	v_fma_f64 v[2:3], v[18:19], v[42:43], v[2:3]
	s_branch .LBB61_13
.LBB61_22:
	s_or_b32 exec_lo, exec_lo, s31
.LBB61_23:
	s_delay_alu instid0(SALU_CYCLE_1) | instskip(SKIP_1) | instid1(SALU_CYCLE_1)
	s_or_b32 exec_lo, exec_lo, s30
	s_sub_i32 s0, s11, s27
	s_cmp_lt_i32 s0, 1
	s_cbranch_scc1 .LBB61_41
; %bb.24:
	v_mov_b32_e32 v14, 0
	v_mov_b32_e32 v15, 0
	v_cmp_gt_i32_e32 vcc_lo, s11, v55
	v_or_b32_e32 v20, 1, v55
	s_delay_alu instid0(VALU_DEP_4) | instskip(NEXT) | instid1(VALU_DEP_4)
	v_mov_b32_e32 v12, v14
	v_dual_mov_b32 v10, v14 :: v_dual_mov_b32 v11, v15
	v_dual_mov_b32 v17, v15 :: v_dual_mov_b32 v16, v14
	v_mov_b32_e32 v13, v15
	s_and_saveexec_b32 s1, vcc_lo
	s_cbranch_execz .LBB61_32
; %bb.25:
	v_mad_u64_u32 v[10:11], null, v55, s16, 0
	s_lshl_b64 s[2:3], s[18:19], 3
	s_delay_alu instid0(SALU_CYCLE_1) | instskip(SKIP_2) | instid1(SALU_CYCLE_1)
	s_add_u32 s0, s48, s2
	s_addc_u32 s2, s49, s3
	s_lshl_b64 s[14:15], s[50:51], 3
	s_add_u32 s3, s0, s14
	s_delay_alu instid0(VALU_DEP_1) | instskip(SKIP_2) | instid1(VALU_DEP_1)
	v_mov_b32_e32 v1, v11
	s_addc_u32 s4, s2, s15
	s_mov_b32 s2, exec_lo
	v_mad_u64_u32 v[11:12], null, v55, s17, v[1:2]
	v_mov_b32_e32 v12, 0
	v_mov_b32_e32 v13, 0
	s_delay_alu instid0(VALU_DEP_1) | instskip(NEXT) | instid1(VALU_DEP_4)
	v_dual_mov_b32 v17, v13 :: v_dual_mov_b32 v16, v12
	v_lshlrev_b64 v[10:11], 3, v[10:11]
	v_dual_mov_b32 v15, v13 :: v_dual_mov_b32 v14, v12
	s_delay_alu instid0(VALU_DEP_2) | instskip(NEXT) | instid1(VALU_DEP_1)
	v_add_co_u32 v10, s0, s3, v10
	v_add_co_ci_u32_e64 v11, s0, s4, v11, s0
	global_load_b64 v[10:11], v[10:11], off
	v_cmpx_gt_i32_e64 s11, v20
	s_cbranch_execz .LBB61_31
; %bb.26:
	v_mad_u64_u32 v[12:13], null, v20, s16, 0
	s_mov_b32 s14, exec_lo
	v_mov_b32_e32 v16, 0
	v_mov_b32_e32 v17, 0
	s_delay_alu instid0(VALU_DEP_3) | instskip(NEXT) | instid1(VALU_DEP_1)
	v_mov_b32_e32 v1, v13
	v_mad_u64_u32 v[13:14], null, v20, s17, v[1:2]
	v_or_b32_e32 v1, 2, v55
	s_delay_alu instid0(VALU_DEP_4) | instskip(NEXT) | instid1(VALU_DEP_3)
	v_dual_mov_b32 v14, v16 :: v_dual_mov_b32 v15, v17
	v_lshlrev_b64 v[12:13], 3, v[12:13]
	s_delay_alu instid0(VALU_DEP_1) | instskip(NEXT) | instid1(VALU_DEP_1)
	v_add_co_u32 v12, s0, s3, v12
	v_add_co_ci_u32_e64 v13, s0, s4, v13, s0
	global_load_b64 v[12:13], v[12:13], off
	v_cmpx_gt_i32_e64 s11, v1
	s_cbranch_execz .LBB61_30
; %bb.27:
	v_mad_u64_u32 v[14:15], null, v1, s16, 0
	s_mov_b32 s15, exec_lo
	s_delay_alu instid0(VALU_DEP_1) | instskip(SKIP_1) | instid1(VALU_DEP_2)
	v_mad_u64_u32 v[16:17], null, v1, s17, v[15:16]
	v_or_b32_e32 v1, 3, v55
	v_mov_b32_e32 v15, v16
	s_delay_alu instid0(VALU_DEP_1) | instskip(NEXT) | instid1(VALU_DEP_1)
	v_lshlrev_b64 v[14:15], 3, v[14:15]
	v_add_co_u32 v14, s0, s3, v14
	s_delay_alu instid0(VALU_DEP_1)
	v_add_co_ci_u32_e64 v15, s0, s4, v15, s0
	global_load_b64 v[16:17], v[14:15], off
	v_mov_b32_e32 v14, 0
	v_mov_b32_e32 v15, 0
	v_cmpx_gt_i32_e64 s11, v1
	s_cbranch_execz .LBB61_29
; %bb.28:
	v_mad_u64_u32 v[14:15], null, v1, s16, 0
	s_waitcnt vmcnt(0)
	s_delay_alu instid0(VALU_DEP_1) | instskip(NEXT) | instid1(VALU_DEP_1)
	v_mad_u64_u32 v[18:19], null, v1, s17, v[15:16]
	v_mov_b32_e32 v15, v18
	s_delay_alu instid0(VALU_DEP_1) | instskip(NEXT) | instid1(VALU_DEP_1)
	v_lshlrev_b64 v[14:15], 3, v[14:15]
	v_add_co_u32 v14, s0, s3, v14
	s_delay_alu instid0(VALU_DEP_1)
	v_add_co_ci_u32_e64 v15, s0, s4, v15, s0
	global_load_b64 v[14:15], v[14:15], off
.LBB61_29:
	s_or_b32 exec_lo, exec_lo, s15
.LBB61_30:
	s_delay_alu instid0(SALU_CYCLE_1)
	s_or_b32 exec_lo, exec_lo, s14
.LBB61_31:
	s_delay_alu instid0(SALU_CYCLE_1)
	s_or_b32 exec_lo, exec_lo, s2
.LBB61_32:
	s_delay_alu instid0(SALU_CYCLE_1) | instskip(NEXT) | instid1(SALU_CYCLE_1)
	s_or_b32 exec_lo, exec_lo, s1
	s_mov_b32 s1, exec_lo
	v_cmpx_gt_i32_e64 s10, v0
	s_cbranch_execz .LBB61_40
; %bb.33:
	v_mad_u64_u32 v[18:19], null, v55, s44, 0
	v_mad_u64_u32 v[24:25], null, v20, s44, 0
	s_lshl_b64 s[2:3], s[12:13], 3
	v_or_b32_e32 v27, 2, v55
	s_add_u32 s0, s40, s2
	s_addc_u32 s4, s41, s3
	s_delay_alu instid0(VALU_DEP_3) | instskip(SKIP_3) | instid1(VALU_DEP_2)
	v_dual_mov_b32 v1, v19 :: v_dual_cndmask_b32 v18, 0, v18
	s_lshl_b64 s[2:3], s[42:43], 3
	v_or_b32_e32 v36, 3, v55
	s_add_u32 s0, s0, s2
	v_mad_u64_u32 v[21:22], null, v55, s45, v[1:2]
	v_ashrrev_i32_e32 v1, 31, v0
	s_addc_u32 s2, s4, s3
	s_delay_alu instid0(VALU_DEP_1) | instskip(NEXT) | instid1(VALU_DEP_3)
	v_lshlrev_b64 v[22:23], 3, v[0:1]
	v_cndmask_b32_e32 v19, 0, v21, vcc_lo
	s_delay_alu instid0(VALU_DEP_1) | instskip(NEXT) | instid1(VALU_DEP_1)
	v_lshlrev_b64 v[18:19], 3, v[18:19]
	v_add_co_u32 v1, vcc_lo, s0, v18
	s_delay_alu instid0(VALU_DEP_2) | instskip(NEXT) | instid1(VALU_DEP_2)
	v_add_co_ci_u32_e32 v19, vcc_lo, s2, v19, vcc_lo
	v_add_co_u32 v18, vcc_lo, v1, v22
	s_delay_alu instid0(VALU_DEP_2) | instskip(SKIP_4) | instid1(VALU_DEP_1)
	v_add_co_ci_u32_e32 v19, vcc_lo, v19, v23, vcc_lo
	v_mov_b32_e32 v1, v25
	v_cmp_gt_i32_e32 vcc_lo, s11, v20
	global_load_b64 v[28:29], v[18:19], off
	v_mad_u64_u32 v[25:26], null, v20, s45, v[1:2]
	v_dual_cndmask_b32 v20, 0, v24 :: v_dual_cndmask_b32 v21, 0, v25
	v_mad_u64_u32 v[24:25], null, v27, s44, 0
	s_delay_alu instid0(VALU_DEP_2) | instskip(NEXT) | instid1(VALU_DEP_1)
	v_lshlrev_b64 v[20:21], 3, v[20:21]
	v_add_co_u32 v1, vcc_lo, s0, v20
	s_delay_alu instid0(VALU_DEP_2) | instskip(NEXT) | instid1(VALU_DEP_2)
	v_add_co_ci_u32_e32 v21, vcc_lo, s2, v21, vcc_lo
	v_add_co_u32 v20, vcc_lo, v1, v22
	s_delay_alu instid0(VALU_DEP_2)
	v_add_co_ci_u32_e32 v21, vcc_lo, v21, v23, vcc_lo
	v_mov_b32_e32 v1, v25
	v_cmp_gt_i32_e32 vcc_lo, s11, v27
	global_load_b64 v[30:31], v[20:21], off
	v_mad_u64_u32 v[25:26], null, v27, s45, v[1:2]
	v_cndmask_b32_e32 v24, 0, v24, vcc_lo
	v_mad_u64_u32 v[26:27], null, v36, s44, 0
	s_delay_alu instid0(VALU_DEP_3) | instskip(NEXT) | instid1(VALU_DEP_1)
	v_cndmask_b32_e32 v25, 0, v25, vcc_lo
	v_lshlrev_b64 v[24:25], 3, v[24:25]
	s_delay_alu instid0(VALU_DEP_1) | instskip(NEXT) | instid1(VALU_DEP_2)
	v_add_co_u32 v1, vcc_lo, s0, v24
	v_add_co_ci_u32_e32 v25, vcc_lo, s2, v25, vcc_lo
	s_delay_alu instid0(VALU_DEP_2) | instskip(NEXT) | instid1(VALU_DEP_2)
	v_add_co_u32 v24, vcc_lo, v1, v22
	v_add_co_ci_u32_e32 v25, vcc_lo, v25, v23, vcc_lo
	v_mov_b32_e32 v1, v27
	v_cmp_gt_i32_e32 vcc_lo, s11, v36
	global_load_b64 v[32:33], v[24:25], off
	v_mad_u64_u32 v[34:35], null, v36, s45, v[1:2]
	v_cndmask_b32_e32 v26, 0, v26, vcc_lo
	s_delay_alu instid0(VALU_DEP_2) | instskip(NEXT) | instid1(VALU_DEP_1)
	v_cndmask_b32_e32 v27, 0, v34, vcc_lo
	v_lshlrev_b64 v[26:27], 3, v[26:27]
	s_delay_alu instid0(VALU_DEP_1) | instskip(NEXT) | instid1(VALU_DEP_2)
	v_add_co_u32 v1, vcc_lo, s0, v26
	v_add_co_ci_u32_e32 v27, vcc_lo, s2, v27, vcc_lo
	s_mov_b32 s0, exec_lo
	s_delay_alu instid0(VALU_DEP_2) | instskip(NEXT) | instid1(VALU_DEP_2)
	v_add_co_u32 v26, vcc_lo, v1, v22
	v_add_co_ci_u32_e32 v27, vcc_lo, v27, v23, vcc_lo
	v_add_nc_u32_e32 v1, 32, v0
	global_load_b64 v[22:23], v[26:27], off
	s_waitcnt vmcnt(3)
	v_fma_f64 v[8:9], v[10:11], v[28:29], v[8:9]
	s_waitcnt vmcnt(2)
	s_delay_alu instid0(VALU_DEP_1) | instskip(SKIP_1) | instid1(VALU_DEP_1)
	v_fma_f64 v[8:9], v[12:13], v[30:31], v[8:9]
	s_waitcnt vmcnt(1)
	v_fma_f64 v[8:9], v[16:17], v[32:33], v[8:9]
	v_cmpx_gt_i32_e64 s10, v1
	s_cbranch_execz .LBB61_39
; %bb.34:
	s_clause 0x3
	global_load_b64 v[30:31], v[18:19], off offset:256
	global_load_b64 v[32:33], v[20:21], off offset:256
	;; [unrolled: 1-line block ×4, first 2 shown]
	v_add_nc_u32_e32 v1, 64, v0
	s_mov_b32 s2, exec_lo
	s_waitcnt vmcnt(3)
	v_fma_f64 v[6:7], v[10:11], v[30:31], v[6:7]
	s_waitcnt vmcnt(2)
	s_delay_alu instid0(VALU_DEP_1) | instskip(SKIP_1) | instid1(VALU_DEP_1)
	v_fma_f64 v[6:7], v[12:13], v[32:33], v[6:7]
	s_waitcnt vmcnt(1)
	v_fma_f64 v[6:7], v[16:17], v[34:35], v[6:7]
	v_cmpx_gt_i32_e64 s10, v1
	s_cbranch_execz .LBB61_38
; %bb.35:
	s_clause 0x3
	global_load_b64 v[32:33], v[18:19], off offset:512
	global_load_b64 v[34:35], v[20:21], off offset:512
	;; [unrolled: 1-line block ×4, first 2 shown]
	v_add_nc_u32_e32 v0, 0x60, v0
	s_mov_b32 s3, exec_lo
	s_waitcnt vmcnt(3)
	v_fma_f64 v[4:5], v[10:11], v[32:33], v[4:5]
	s_waitcnt vmcnt(2)
	s_delay_alu instid0(VALU_DEP_1) | instskip(SKIP_1) | instid1(VALU_DEP_1)
	v_fma_f64 v[4:5], v[12:13], v[34:35], v[4:5]
	s_waitcnt vmcnt(1)
	v_fma_f64 v[4:5], v[16:17], v[36:37], v[4:5]
	v_cmpx_gt_i32_e64 s10, v0
	s_cbranch_execz .LBB61_37
; %bb.36:
	s_clause 0x3
	global_load_b64 v[0:1], v[18:19], off offset:768
	global_load_b64 v[18:19], v[20:21], off offset:768
	;; [unrolled: 1-line block ×4, first 2 shown]
	s_waitcnt vmcnt(3)
	v_fma_f64 v[0:1], v[10:11], v[0:1], v[2:3]
	s_waitcnt vmcnt(2)
	s_delay_alu instid0(VALU_DEP_1) | instskip(SKIP_1) | instid1(VALU_DEP_1)
	v_fma_f64 v[0:1], v[12:13], v[18:19], v[0:1]
	s_waitcnt vmcnt(1)
	v_fma_f64 v[0:1], v[16:17], v[20:21], v[0:1]
	s_waitcnt vmcnt(0)
	s_delay_alu instid0(VALU_DEP_1)
	v_fma_f64 v[2:3], v[14:15], v[24:25], v[0:1]
.LBB61_37:
	s_or_b32 exec_lo, exec_lo, s3
	s_waitcnt vmcnt(0)
	s_delay_alu instid0(VALU_DEP_2)
	v_fma_f64 v[4:5], v[14:15], v[30:31], v[4:5]
.LBB61_38:
	s_or_b32 exec_lo, exec_lo, s2
	s_waitcnt vmcnt(0)
	s_delay_alu instid0(VALU_DEP_2)
	v_fma_f64 v[6:7], v[14:15], v[28:29], v[6:7]
.LBB61_39:
	s_or_b32 exec_lo, exec_lo, s0
	s_waitcnt vmcnt(0)
	s_delay_alu instid0(VALU_DEP_2)
	v_fma_f64 v[8:9], v[14:15], v[22:23], v[8:9]
.LBB61_40:
	s_or_b32 exec_lo, exec_lo, s1
.LBB61_41:
	v_lshlrev_b32_e32 v0, 7, v54
	s_mov_b32 s0, exec_lo
	s_delay_alu instid0(VALU_DEP_1)
	v_add_lshl_u32 v0, v0, v53, 3
	ds_store_2addr_b64 v0, v[8:9], v[6:7] offset1:32
	ds_store_2addr_b64 v0, v[4:5], v[2:3] offset0:64 offset1:96
	s_waitcnt vmcnt(0) lgkmcnt(0)
	s_barrier
	buffer_gl0_inv
                                        ; implicit-def: $vgpr2_vgpr3
                                        ; implicit-def: $vgpr0_vgpr1
	v_cmpx_gt_u32_e32 0x80, v52
	s_cbranch_execz .LBB61_47
; %bb.42:
	v_lshlrev_b32_e32 v7, 3, v52
	v_or_b32_e32 v6, s26, v52
	s_mov_b32 s2, s25
	s_mov_b32 s1, exec_lo
	ds_load_2addr_stride64_b64 v[0:3], v7 offset1:2
	s_waitcnt lgkmcnt(0)
	v_add_f64 v[4:5], v[0:1], v[2:3]
	ds_load_2addr_stride64_b64 v[0:3], v7 offset0:4 offset1:6
	s_waitcnt lgkmcnt(0)
	v_add_f64 v[0:1], v[0:1], v[4:5]
	s_delay_alu instid0(VALU_DEP_1) | instskip(SKIP_3) | instid1(VALU_DEP_1)
	v_add_f64 v[4:5], v[2:3], v[0:1]
	ds_load_2addr_stride64_b64 v[0:3], v7 offset0:8 offset1:10
	s_waitcnt lgkmcnt(0)
	v_add_f64 v[0:1], v[0:1], v[4:5]
	v_add_f64 v[4:5], v[2:3], v[0:1]
	ds_load_2addr_stride64_b64 v[0:3], v7 offset0:12 offset1:14
	s_waitcnt lgkmcnt(0)
	v_add_f64 v[0:1], v[0:1], v[4:5]
	s_delay_alu instid0(VALU_DEP_1) | instskip(SKIP_3) | instid1(VALU_DEP_1)
	v_add_f64 v[4:5], v[2:3], v[0:1]
	ds_load_2addr_stride64_b64 v[0:3], v7 offset0:16 offset1:18
	s_waitcnt lgkmcnt(0)
	v_add_f64 v[0:1], v[0:1], v[4:5]
	;; [unrolled: 9-line block ×3, first 2 shown]
	v_add_f64 v[4:5], v[2:3], v[0:1]
	ds_load_2addr_stride64_b64 v[0:3], v7 offset0:28 offset1:30
	s_waitcnt lgkmcnt(0)
	v_add_f64 v[0:1], v[0:1], v[4:5]
	s_delay_alu instid0(VALU_DEP_1)
	v_add_f64 v[4:5], v[2:3], v[0:1]
                                        ; implicit-def: $vgpr2_vgpr3
                                        ; implicit-def: $vgpr0_vgpr1
	ds_store_b64 v7, v[4:5]
	v_cmpx_gt_i32_e64 s10, v6
	s_cbranch_execz .LBB61_46
; %bb.43:
	v_cmp_eq_f64_e64 s2, s[6:7], 0
	v_mul_f64 v[2:3], s[8:9], v[4:5]
	v_ashrrev_i32_e32 v0, 31, v6
	v_mul_lo_u32 v4, v6, s29
	s_delay_alu instid0(VALU_DEP_2) | instskip(SKIP_1) | instid1(VALU_DEP_1)
	v_mul_lo_u32 v5, v0, s28
	v_mad_u64_u32 v[0:1], null, v6, s28, 0
	v_add3_u32 v1, v1, v4, v5
	s_and_b32 vcc_lo, exec_lo, s2
	s_cbranch_vccnz .LBB61_45
; %bb.44:
	s_delay_alu instid0(VALU_DEP_1) | instskip(NEXT) | instid1(VALU_DEP_1)
	v_lshlrev_b64 v[4:5], 3, v[0:1]
	v_add_co_u32 v4, vcc_lo, s5, v4
	s_delay_alu instid0(VALU_DEP_2)
	v_add_co_ci_u32_e32 v5, vcc_lo, s24, v5, vcc_lo
	global_load_b64 v[4:5], v[4:5], off
	s_waitcnt vmcnt(0)
	v_fma_f64 v[2:3], s[6:7], v[4:5], v[2:3]
.LBB61_45:
	s_or_b32 s2, s25, exec_lo
.LBB61_46:
	s_or_b32 exec_lo, exec_lo, s1
	s_delay_alu instid0(SALU_CYCLE_1) | instskip(SKIP_1) | instid1(SALU_CYCLE_1)
	s_and_not1_b32 s1, s25, exec_lo
	s_and_b32 s2, s2, exec_lo
	s_or_b32 s25, s1, s2
.LBB61_47:
	s_or_b32 exec_lo, exec_lo, s0
.LBB61_48:
	s_and_saveexec_b32 s0, s25
	s_cbranch_execz .LBB61_50
; %bb.49:
	v_lshlrev_b64 v[0:1], 3, v[0:1]
	s_delay_alu instid0(VALU_DEP_1) | instskip(NEXT) | instid1(VALU_DEP_2)
	v_add_co_u32 v0, vcc_lo, s5, v0
	v_add_co_ci_u32_e32 v1, vcc_lo, s24, v1, vcc_lo
	global_store_b64 v[0:1], v[2:3], off
.LBB61_50:
	s_nop 0
	s_sendmsg sendmsg(MSG_DEALLOC_VGPRS)
	s_endpgm
	.section	.rodata,"a",@progbits
	.p2align	6, 0x0
	.amdhsa_kernel _ZL20rocblas_gemvn_kernelILi32ELi16EldPKddEviiT3_lPKT2_lT1_lS5_lS6_lS2_lPT4_lS6_li
		.amdhsa_group_segment_fixed_size 16384
		.amdhsa_private_segment_fixed_size 0
		.amdhsa_kernarg_size 400
		.amdhsa_user_sgpr_count 14
		.amdhsa_user_sgpr_dispatch_ptr 0
		.amdhsa_user_sgpr_queue_ptr 0
		.amdhsa_user_sgpr_kernarg_segment_ptr 1
		.amdhsa_user_sgpr_dispatch_id 0
		.amdhsa_user_sgpr_private_segment_size 0
		.amdhsa_wavefront_size32 1
		.amdhsa_uses_dynamic_stack 0
		.amdhsa_enable_private_segment 0
		.amdhsa_system_sgpr_workgroup_id_x 1
		.amdhsa_system_sgpr_workgroup_id_y 0
		.amdhsa_system_sgpr_workgroup_id_z 1
		.amdhsa_system_sgpr_workgroup_info 0
		.amdhsa_system_vgpr_workitem_id 1
		.amdhsa_next_free_vgpr 71
		.amdhsa_next_free_sgpr 52
		.amdhsa_reserve_vcc 1
		.amdhsa_float_round_mode_32 0
		.amdhsa_float_round_mode_16_64 0
		.amdhsa_float_denorm_mode_32 3
		.amdhsa_float_denorm_mode_16_64 3
		.amdhsa_dx10_clamp 1
		.amdhsa_ieee_mode 1
		.amdhsa_fp16_overflow 0
		.amdhsa_workgroup_processor_mode 1
		.amdhsa_memory_ordered 1
		.amdhsa_forward_progress 0
		.amdhsa_shared_vgpr_count 0
		.amdhsa_exception_fp_ieee_invalid_op 0
		.amdhsa_exception_fp_denorm_src 0
		.amdhsa_exception_fp_ieee_div_zero 0
		.amdhsa_exception_fp_ieee_overflow 0
		.amdhsa_exception_fp_ieee_underflow 0
		.amdhsa_exception_fp_ieee_inexact 0
		.amdhsa_exception_int_div_zero 0
	.end_amdhsa_kernel
	.section	.text._ZL20rocblas_gemvn_kernelILi32ELi16EldPKddEviiT3_lPKT2_lT1_lS5_lS6_lS2_lPT4_lS6_li,"axG",@progbits,_ZL20rocblas_gemvn_kernelILi32ELi16EldPKddEviiT3_lPKT2_lT1_lS5_lS6_lS2_lPT4_lS6_li,comdat
.Lfunc_end61:
	.size	_ZL20rocblas_gemvn_kernelILi32ELi16EldPKddEviiT3_lPKT2_lT1_lS5_lS6_lS2_lPT4_lS6_li, .Lfunc_end61-_ZL20rocblas_gemvn_kernelILi32ELi16EldPKddEviiT3_lPKT2_lT1_lS5_lS6_lS2_lPT4_lS6_li
                                        ; -- End function
	.section	.AMDGPU.csdata,"",@progbits
; Kernel info:
; codeLenInByte = 3780
; NumSgprs: 54
; NumVgprs: 71
; ScratchSize: 0
; MemoryBound: 1
; FloatMode: 240
; IeeeMode: 1
; LDSByteSize: 16384 bytes/workgroup (compile time only)
; SGPRBlocks: 6
; VGPRBlocks: 8
; NumSGPRsForWavesPerEU: 54
; NumVGPRsForWavesPerEU: 71
; Occupancy: 16
; WaveLimiterHint : 0
; COMPUTE_PGM_RSRC2:SCRATCH_EN: 0
; COMPUTE_PGM_RSRC2:USER_SGPR: 14
; COMPUTE_PGM_RSRC2:TRAP_HANDLER: 0
; COMPUTE_PGM_RSRC2:TGID_X_EN: 1
; COMPUTE_PGM_RSRC2:TGID_Y_EN: 0
; COMPUTE_PGM_RSRC2:TGID_Z_EN: 1
; COMPUTE_PGM_RSRC2:TIDIG_COMP_CNT: 1
	.section	.text._ZL20rocblas_gemvn_kernelILi32ELi16EidddEviiT3_lPKT2_lT1_lS3_lS4_lS0_lPT4_lS4_li,"axG",@progbits,_ZL20rocblas_gemvn_kernelILi32ELi16EidddEviiT3_lPKT2_lT1_lS3_lS4_lS0_lPT4_lS4_li,comdat
	.globl	_ZL20rocblas_gemvn_kernelILi32ELi16EidddEviiT3_lPKT2_lT1_lS3_lS4_lS0_lPT4_lS4_li ; -- Begin function _ZL20rocblas_gemvn_kernelILi32ELi16EidddEviiT3_lPKT2_lT1_lS3_lS4_lS0_lPT4_lS4_li
	.p2align	8
	.type	_ZL20rocblas_gemvn_kernelILi32ELi16EidddEviiT3_lPKT2_lT1_lS3_lS4_lS0_lPT4_lS4_li,@function
_ZL20rocblas_gemvn_kernelILi32ELi16EidddEviiT3_lPKT2_lT1_lS3_lS4_lS0_lPT4_lS4_li: ; @_ZL20rocblas_gemvn_kernelILi32ELi16EidddEviiT3_lPKT2_lT1_lS3_lS4_lS0_lPT4_lS4_li
; %bb.0:
	s_load_b64 s[2:3], s[0:1], 0x9c
	s_waitcnt lgkmcnt(0)
	s_lshr_b32 s4, s2, 16
	s_and_b32 s2, s2, 0xffff
	s_and_b32 s3, s3, 0xffff
	s_mul_i32 s2, s4, s2
	s_delay_alu instid0(SALU_CYCLE_1) | instskip(NEXT) | instid1(SALU_CYCLE_1)
	s_mul_i32 s2, s2, s3
	s_cmpk_lg_i32 s2, 0x200
	s_cbranch_scc1 .LBB62_50
; %bb.1:
	s_clause 0x1
	s_load_b64 s[12:13], s[0:1], 0x8
	s_load_b128 s[4:7], s[0:1], 0x50
	s_waitcnt lgkmcnt(0)
	v_cmp_eq_f64_e64 s2, s[12:13], 0
	v_cmp_eq_f64_e64 s3, s[6:7], 1.0
	s_delay_alu instid0(VALU_DEP_1) | instskip(NEXT) | instid1(SALU_CYCLE_1)
	s_and_b32 s2, s2, s3
	s_and_b32 vcc_lo, exec_lo, s2
	s_cbranch_vccnz .LBB62_50
; %bb.2:
	v_cmp_neq_f64_e64 s21, s[12:13], 0
	s_clause 0x3
	s_load_b64 s[2:3], s[0:1], 0x80
	s_load_b128 s[8:11], s[0:1], 0x68
	s_load_b32 s20, s[0:1], 0x78
	s_load_b64 s[16:17], s[0:1], 0x0
	v_and_b32_e32 v1, 0x3ff, v0
	v_bfe_u32 v0, v0, 10, 10
	s_delay_alu instid0(VALU_DEP_1)
	v_lshl_add_u32 v53, v0, 5, v1
	s_waitcnt lgkmcnt(0)
	s_mul_i32 s3, s15, s3
	s_mul_hi_u32 s18, s15, s2
	s_mul_i32 s2, s15, s2
	s_add_i32 s3, s18, s3
	s_delay_alu instid0(SALU_CYCLE_1) | instskip(NEXT) | instid1(SALU_CYCLE_1)
	s_lshl_b64 s[2:3], s[2:3], 3
	s_add_u32 s8, s8, s2
	s_addc_u32 s9, s9, s3
	s_lshl_b64 s[2:3], s[10:11], 3
	s_delay_alu instid0(SALU_CYCLE_1)
	s_add_u32 s18, s8, s2
	v_cmp_gt_u32_e64 s2, 0x80, v53
	s_addc_u32 s19, s9, s3
	s_and_b32 vcc_lo, exec_lo, s21
	s_mov_b32 s21, 0
	s_cbranch_vccnz .LBB62_9
; %bb.3:
	s_mov_b32 s3, 0
                                        ; implicit-def: $vgpr4_vgpr5
                                        ; implicit-def: $vgpr2_vgpr3
	s_and_saveexec_b32 s8, s2
	s_cbranch_execz .LBB62_10
; %bb.4:
	v_lshl_or_b32 v6, s14, 7, v53
	v_mov_b32_e32 v7, 0
	s_ashr_i32 s11, s16, 31
	s_mov_b32 s10, s16
	s_mov_b32 s9, 0
	s_mov_b32 s2, exec_lo
                                        ; implicit-def: $vgpr4_vgpr5
                                        ; implicit-def: $vgpr2_vgpr3
	v_cmpx_gt_i64_e64 s[10:11], v[6:7]
	s_cbranch_execz .LBB62_8
; %bb.5:
	v_cmp_eq_f64_e64 s9, s[6:7], 0
	v_mad_u64_u32 v[2:3], null, s20, v6, 0
	s_ashr_i32 s10, s20, 31
	s_delay_alu instid0(VALU_DEP_1) | instid1(SALU_CYCLE_1)
	v_mad_u64_u32 v[4:5], null, s10, v6, v[3:4]
	s_delay_alu instid0(VALU_DEP_1)
	v_dual_mov_b32 v3, v4 :: v_dual_mov_b32 v4, 0
	v_mov_b32_e32 v5, 0
	s_and_b32 vcc_lo, exec_lo, s9
	s_cbranch_vccnz .LBB62_7
; %bb.6:
	s_delay_alu instid0(VALU_DEP_2) | instskip(NEXT) | instid1(VALU_DEP_1)
	v_lshlrev_b64 v[4:5], 3, v[2:3]
	v_add_co_u32 v4, vcc_lo, s18, v4
	s_delay_alu instid0(VALU_DEP_2)
	v_add_co_ci_u32_e32 v5, vcc_lo, s19, v5, vcc_lo
	global_load_b64 v[4:5], v[4:5], off
	s_waitcnt vmcnt(0)
	v_mul_f64 v[4:5], v[4:5], s[6:7]
.LBB62_7:
	s_mov_b32 s9, exec_lo
.LBB62_8:
	s_or_b32 exec_lo, exec_lo, s2
	s_delay_alu instid0(SALU_CYCLE_1) | instskip(SKIP_1) | instid1(SALU_CYCLE_1)
	s_and_b32 s21, s9, exec_lo
	s_or_b32 exec_lo, exec_lo, s8
	s_and_b32 vcc_lo, exec_lo, s3
	s_cbranch_vccnz .LBB62_11
	s_branch .LBB62_48
.LBB62_9:
                                        ; implicit-def: $vgpr4_vgpr5
                                        ; implicit-def: $vgpr2_vgpr3
	s_cbranch_execnz .LBB62_11
	s_branch .LBB62_48
.LBB62_10:
	s_or_b32 exec_lo, exec_lo, s8
	s_delay_alu instid0(SALU_CYCLE_1)
	s_and_b32 vcc_lo, exec_lo, s3
	s_cbranch_vccz .LBB62_48
.LBB62_11:
	s_clause 0x3
	s_load_b128 s[8:11], s[0:1], 0x30
	s_load_b128 s[24:27], s[0:1], 0x18
	s_load_b32 s22, s[0:1], 0x28
	s_load_b64 s[2:3], s[0:1], 0x40
	s_mul_i32 s5, s15, s5
	v_dual_mov_b32 v8, 0 :: v_dual_lshlrev_b32 v55, 2, v0
	s_waitcnt lgkmcnt(0)
	s_mul_i32 s9, s15, s9
	s_mul_hi_u32 s23, s15, s8
	s_mul_i32 s8, s15, s8
	s_add_i32 s9, s23, s9
	s_mul_hi_u32 s23, s15, s4
	s_lshl_b64 s[8:9], s[8:9], 3
	s_delay_alu instid0(SALU_CYCLE_1)
	s_add_u32 s28, s24, s8
	s_addc_u32 s25, s25, s9
	s_lshl_b64 s[8:9], s[26:27], 3
	s_mul_i32 s24, s15, s4
	s_load_b32 s4, s[0:1], 0x48
	s_add_u32 s8, s28, s8
	s_addc_u32 s9, s25, s9
	s_add_i32 s25, s23, s5
	s_mov_b32 s15, exec_lo
	s_lshl_b64 s[0:1], s[24:25], 3
	s_delay_alu instid0(SALU_CYCLE_1) | instskip(SKIP_2) | instid1(SALU_CYCLE_1)
	s_add_u32 s5, s10, s0
	s_addc_u32 s11, s11, s1
	s_lshl_b64 s[0:1], s[2:3], 3
	s_add_u32 s10, s5, s0
	s_addc_u32 s11, s11, s1
	s_lshl_b32 s5, s14, 7
	s_delay_alu instid0(SALU_CYCLE_1) | instskip(SKIP_3) | instid1(VALU_DEP_2)
	v_dual_mov_b32 v9, 0 :: v_dual_add_nc_u32 v54, s5, v1
	s_ashr_i32 s0, s17, 31
	v_mov_b32_e32 v6, v8
	s_lshr_b32 s0, s0, 26
	v_dual_mov_b32 v7, v9 :: v_dual_mov_b32 v4, v8
	v_dual_mov_b32 v5, v9 :: v_dual_mov_b32 v2, v8
	v_mov_b32_e32 v3, v9
	s_add_i32 s0, s17, s0
	s_delay_alu instid0(SALU_CYCLE_1) | instskip(NEXT) | instid1(SALU_CYCLE_1)
	s_and_b32 s14, s0, 0xffffffc0
	v_cmpx_gt_i32_e64 s14, v55
	s_cbranch_execz .LBB62_23
; %bb.12:
	v_mul_lo_u32 v3, s22, v55
	v_dual_mov_b32 v8, 0 :: v_dual_add_nc_u32 v5, 0x60, v54
	v_dual_mov_b32 v9, 0 :: v_dual_add_nc_u32 v2, 32, v54
	v_add_nc_u32_e32 v4, 64, v54
	s_delay_alu instid0(VALU_DEP_3)
	v_cmp_gt_i32_e64 s2, s16, v5
	s_waitcnt lgkmcnt(0)
	v_mul_lo_u32 v5, v0, s4
	v_cmp_gt_i32_e64 s0, s16, v2
	v_add_nc_u32_e32 v2, 2, v55
	v_mov_b32_e32 v6, v8
	v_add3_u32 v56, v3, s22, v1
	v_mul_lo_u32 v3, v0, s22
	v_mov_b32_e32 v7, v9
	v_cmp_gt_i32_e64 s1, s16, v4
	v_add_nc_u32_e32 v4, 3, v55
	v_mad_u64_u32 v[10:11], null, s22, v2, v[1:2]
	v_lshlrev_b32_e32 v60, 2, v5
	v_cmp_gt_i32_e32 vcc_lo, s16, v54
	s_delay_alu instid0(VALU_DEP_4)
	v_mad_u64_u32 v[11:12], null, s22, v4, v[1:2]
	v_mul_lo_u32 v59, s4, v4
	v_mov_b32_e32 v4, v8
	v_mad_u64_u32 v[12:13], null, s4, v55, s[4:5]
	v_mov_b32_e32 v5, v9
	v_mul_lo_u32 v58, s4, v2
	v_lshl_add_u32 v57, v3, 2, v1
	v_dual_mov_b32 v2, v8 :: v_dual_mov_b32 v3, v9
	s_lshl_b32 s23, s22, 6
	s_lshl_b32 s25, s4, 6
	s_mov_b32 s24, 0
	s_mov_b32 s26, 0
	s_branch .LBB62_17
.LBB62_13:                              ;   in Loop: Header=BB62_17 Depth=1
	s_or_b32 exec_lo, exec_lo, s29
	s_waitcnt vmcnt(3)
	v_fma_f64 v[4:5], v[13:14], v[45:46], v[4:5]
	s_waitcnt vmcnt(2)
	s_delay_alu instid0(VALU_DEP_1) | instskip(SKIP_1) | instid1(VALU_DEP_1)
	v_fma_f64 v[4:5], v[15:16], v[47:48], v[4:5]
	s_waitcnt vmcnt(1)
	v_fma_f64 v[4:5], v[17:18], v[49:50], v[4:5]
	s_waitcnt vmcnt(0)
	s_delay_alu instid0(VALU_DEP_1)
	v_fma_f64 v[4:5], v[19:20], v[51:52], v[4:5]
.LBB62_14:                              ;   in Loop: Header=BB62_17 Depth=1
	s_or_b32 exec_lo, exec_lo, s28
	s_waitcnt vmcnt(3)
	v_fma_f64 v[6:7], v[13:14], v[37:38], v[6:7]
	s_waitcnt vmcnt(2)
	s_delay_alu instid0(VALU_DEP_1) | instskip(SKIP_1) | instid1(VALU_DEP_1)
	v_fma_f64 v[6:7], v[15:16], v[39:40], v[6:7]
	s_waitcnt vmcnt(1)
	v_fma_f64 v[6:7], v[17:18], v[41:42], v[6:7]
	s_waitcnt vmcnt(0)
	s_delay_alu instid0(VALU_DEP_1)
	v_fma_f64 v[6:7], v[19:20], v[43:44], v[6:7]
.LBB62_15:                              ;   in Loop: Header=BB62_17 Depth=1
	s_or_b32 exec_lo, exec_lo, s3
	s_waitcnt vmcnt(3)
	v_fma_f64 v[8:9], v[13:14], v[21:22], v[8:9]
	s_waitcnt vmcnt(2)
	s_delay_alu instid0(VALU_DEP_1) | instskip(SKIP_1) | instid1(VALU_DEP_1)
	v_fma_f64 v[8:9], v[15:16], v[23:24], v[8:9]
	s_waitcnt vmcnt(1)
	v_fma_f64 v[8:9], v[17:18], v[25:26], v[8:9]
	s_waitcnt vmcnt(0)
	s_delay_alu instid0(VALU_DEP_1)
	v_fma_f64 v[8:9], v[19:20], v[27:28], v[8:9]
.LBB62_16:                              ;   in Loop: Header=BB62_17 Depth=1
	s_or_b32 exec_lo, exec_lo, s27
	v_add_nc_u32_e32 v55, 64, v55
	v_add_nc_u32_e32 v56, s23, v56
	;; [unrolled: 1-line block ×5, first 2 shown]
	v_cmp_le_i32_e64 s3, s14, v55
	s_add_i32 s26, s26, s25
	s_delay_alu instid0(VALU_DEP_1) | instskip(NEXT) | instid1(SALU_CYCLE_1)
	s_or_b32 s24, s3, s24
	s_and_not1_b32 exec_lo, exec_lo, s24
	s_cbranch_execz .LBB62_22
.LBB62_17:                              ; =>This Inner Loop Header: Depth=1
	s_and_saveexec_b32 s27, vcc_lo
	s_cbranch_execz .LBB62_16
; %bb.18:                               ;   in Loop: Header=BB62_17 Depth=1
	v_add_nc_u32_e32 v13, s26, v60
	v_add_nc_u32_e32 v15, s26, v12
	;; [unrolled: 1-line block ×5, first 2 shown]
	v_ashrrev_i32_e32 v14, 31, v13
	v_ashrrev_i32_e32 v16, 31, v15
	;; [unrolled: 1-line block ×4, first 2 shown]
	v_add_nc_u32_e32 v23, s5, v56
	v_lshlrev_b64 v[13:14], 3, v[13:14]
	v_lshlrev_b64 v[15:16], 3, v[15:16]
	;; [unrolled: 1-line block ×3, first 2 shown]
	v_ashrrev_i32_e32 v22, 31, v21
	v_lshlrev_b64 v[19:20], 3, v[19:20]
	v_ashrrev_i32_e32 v24, 31, v23
	v_add_co_u32 v13, s3, s10, v13
	s_delay_alu instid0(VALU_DEP_1)
	v_add_co_ci_u32_e64 v14, s3, s11, v14, s3
	v_add_co_u32 v15, s3, s10, v15
	v_add_nc_u32_e32 v25, s5, v10
	v_add_co_ci_u32_e64 v16, s3, s11, v16, s3
	v_add_co_u32 v17, s3, s10, v17
	v_lshlrev_b64 v[21:22], 3, v[21:22]
	v_add_nc_u32_e32 v27, s5, v11
	v_add_co_ci_u32_e64 v18, s3, s11, v18, s3
	v_add_co_u32 v19, s3, s10, v19
	v_lshlrev_b64 v[23:24], 3, v[23:24]
	v_ashrrev_i32_e32 v26, 31, v25
	v_add_co_ci_u32_e64 v20, s3, s11, v20, s3
	v_add_co_u32 v29, s3, s8, v21
	v_ashrrev_i32_e32 v28, 31, v27
	v_add_co_ci_u32_e64 v30, s3, s9, v22, s3
	v_lshlrev_b64 v[21:22], 3, v[25:26]
	v_add_co_u32 v31, s3, s8, v23
	s_delay_alu instid0(VALU_DEP_1) | instskip(SKIP_1) | instid1(VALU_DEP_4)
	v_add_co_ci_u32_e64 v32, s3, s9, v24, s3
	v_lshlrev_b64 v[23:24], 3, v[27:28]
	v_add_co_u32 v33, s3, s8, v21
	s_delay_alu instid0(VALU_DEP_1) | instskip(NEXT) | instid1(VALU_DEP_3)
	v_add_co_ci_u32_e64 v34, s3, s9, v22, s3
	v_add_co_u32 v35, s3, s8, v23
	s_delay_alu instid0(VALU_DEP_1)
	v_add_co_ci_u32_e64 v36, s3, s9, v24, s3
	s_clause 0x3
	global_load_b64 v[13:14], v[13:14], off
	global_load_b64 v[15:16], v[15:16], off
	;; [unrolled: 1-line block ×4, first 2 shown]
	s_clause 0x3
	global_load_b64 v[21:22], v[29:30], off
	global_load_b64 v[23:24], v[31:32], off
	;; [unrolled: 1-line block ×4, first 2 shown]
	s_and_saveexec_b32 s3, s0
	s_cbranch_execz .LBB62_15
; %bb.19:                               ;   in Loop: Header=BB62_17 Depth=1
	s_clause 0x3
	global_load_b64 v[37:38], v[29:30], off offset:256
	global_load_b64 v[39:40], v[31:32], off offset:256
	global_load_b64 v[41:42], v[33:34], off offset:256
	global_load_b64 v[43:44], v[35:36], off offset:256
	s_and_saveexec_b32 s28, s1
	s_cbranch_execz .LBB62_14
; %bb.20:                               ;   in Loop: Header=BB62_17 Depth=1
	s_clause 0x3
	global_load_b64 v[45:46], v[29:30], off offset:512
	global_load_b64 v[47:48], v[31:32], off offset:512
	global_load_b64 v[49:50], v[33:34], off offset:512
	global_load_b64 v[51:52], v[35:36], off offset:512
	s_and_saveexec_b32 s29, s2
	s_cbranch_execz .LBB62_13
; %bb.21:                               ;   in Loop: Header=BB62_17 Depth=1
	s_clause 0x3
	global_load_b64 v[29:30], v[29:30], off offset:768
	global_load_b64 v[31:32], v[31:32], off offset:768
	global_load_b64 v[33:34], v[33:34], off offset:768
	global_load_b64 v[35:36], v[35:36], off offset:768
	s_waitcnt vmcnt(3)
	v_fma_f64 v[2:3], v[13:14], v[29:30], v[2:3]
	s_waitcnt vmcnt(2)
	s_delay_alu instid0(VALU_DEP_1) | instskip(SKIP_1) | instid1(VALU_DEP_1)
	v_fma_f64 v[2:3], v[15:16], v[31:32], v[2:3]
	s_waitcnt vmcnt(1)
	v_fma_f64 v[2:3], v[17:18], v[33:34], v[2:3]
	s_waitcnt vmcnt(0)
	s_delay_alu instid0(VALU_DEP_1)
	v_fma_f64 v[2:3], v[19:20], v[35:36], v[2:3]
	s_branch .LBB62_13
.LBB62_22:
	s_or_b32 exec_lo, exec_lo, s24
.LBB62_23:
	s_delay_alu instid0(SALU_CYCLE_1) | instskip(SKIP_1) | instid1(SALU_CYCLE_1)
	s_or_b32 exec_lo, exec_lo, s15
	s_sub_i32 s0, s17, s14
	s_cmp_lt_i32 s0, 1
	s_cbranch_scc1 .LBB62_41
; %bb.24:
	v_mov_b32_e32 v14, 0
	v_mov_b32_e32 v15, 0
	v_cmp_gt_i32_e32 vcc_lo, s17, v55
	v_or_b32_e32 v20, 1, v55
	s_delay_alu instid0(VALU_DEP_4) | instskip(NEXT) | instid1(VALU_DEP_4)
	v_mov_b32_e32 v12, v14
	v_dual_mov_b32 v10, v14 :: v_dual_mov_b32 v11, v15
	v_dual_mov_b32 v17, v15 :: v_dual_mov_b32 v16, v14
	v_mov_b32_e32 v13, v15
	s_and_saveexec_b32 s1, vcc_lo
	s_cbranch_execz .LBB62_32
; %bb.25:
	s_waitcnt lgkmcnt(0)
	v_mul_lo_u32 v10, v55, s4
	v_mov_b32_e32 v12, 0
	v_mov_b32_e32 v13, 0
	s_mov_b32 s2, exec_lo
	s_delay_alu instid0(VALU_DEP_1) | instskip(NEXT) | instid1(VALU_DEP_4)
	v_dual_mov_b32 v17, v13 :: v_dual_mov_b32 v16, v12
	v_ashrrev_i32_e32 v11, 31, v10
	v_dual_mov_b32 v15, v13 :: v_dual_mov_b32 v14, v12
	s_delay_alu instid0(VALU_DEP_2) | instskip(NEXT) | instid1(VALU_DEP_1)
	v_lshlrev_b64 v[10:11], 3, v[10:11]
	v_add_co_u32 v10, s0, s10, v10
	s_delay_alu instid0(VALU_DEP_1)
	v_add_co_ci_u32_e64 v11, s0, s11, v11, s0
	global_load_b64 v[10:11], v[10:11], off
	v_cmpx_gt_i32_e64 s17, v20
	s_cbranch_execz .LBB62_31
; %bb.26:
	v_mul_lo_u32 v12, v20, s4
	v_mov_b32_e32 v16, 0
	v_mov_b32_e32 v17, 0
	v_or_b32_e32 v18, 2, v55
	s_delay_alu instid0(VALU_DEP_3) | instskip(SKIP_1) | instid1(VALU_DEP_3)
	v_mov_b32_e32 v14, v16
	s_mov_b32 s3, exec_lo
	v_mov_b32_e32 v15, v17
	v_ashrrev_i32_e32 v13, 31, v12
	s_delay_alu instid0(VALU_DEP_1) | instskip(NEXT) | instid1(VALU_DEP_1)
	v_lshlrev_b64 v[12:13], 3, v[12:13]
	v_add_co_u32 v12, s0, s10, v12
	s_delay_alu instid0(VALU_DEP_1)
	v_add_co_ci_u32_e64 v13, s0, s11, v13, s0
	global_load_b64 v[12:13], v[12:13], off
	v_cmpx_gt_i32_e64 s17, v18
	s_cbranch_execz .LBB62_30
; %bb.27:
	v_mul_lo_u32 v14, v18, s4
	v_or_b32_e32 v18, 3, v55
	s_mov_b32 s14, exec_lo
	s_delay_alu instid0(VALU_DEP_2) | instskip(NEXT) | instid1(VALU_DEP_1)
	v_ashrrev_i32_e32 v15, 31, v14
	v_lshlrev_b64 v[14:15], 3, v[14:15]
	s_delay_alu instid0(VALU_DEP_1) | instskip(NEXT) | instid1(VALU_DEP_1)
	v_add_co_u32 v14, s0, s10, v14
	v_add_co_ci_u32_e64 v15, s0, s11, v15, s0
	global_load_b64 v[16:17], v[14:15], off
	v_mov_b32_e32 v14, 0
	v_mov_b32_e32 v15, 0
	v_cmpx_gt_i32_e64 s17, v18
	s_cbranch_execz .LBB62_29
; %bb.28:
	v_mul_lo_u32 v14, v18, s4
	s_delay_alu instid0(VALU_DEP_1) | instskip(NEXT) | instid1(VALU_DEP_1)
	v_ashrrev_i32_e32 v15, 31, v14
	v_lshlrev_b64 v[14:15], 3, v[14:15]
	s_delay_alu instid0(VALU_DEP_1) | instskip(NEXT) | instid1(VALU_DEP_1)
	v_add_co_u32 v14, s0, s10, v14
	v_add_co_ci_u32_e64 v15, s0, s11, v15, s0
	global_load_b64 v[14:15], v[14:15], off
.LBB62_29:
	s_or_b32 exec_lo, exec_lo, s14
.LBB62_30:
	s_delay_alu instid0(SALU_CYCLE_1)
	s_or_b32 exec_lo, exec_lo, s3
.LBB62_31:
	s_delay_alu instid0(SALU_CYCLE_1)
	s_or_b32 exec_lo, exec_lo, s2
.LBB62_32:
	s_delay_alu instid0(SALU_CYCLE_1) | instskip(NEXT) | instid1(SALU_CYCLE_1)
	s_or_b32 exec_lo, exec_lo, s1
	s_mov_b32 s1, exec_lo
	v_cmpx_gt_i32_e64 s16, v54
	s_cbranch_execz .LBB62_40
; %bb.33:
	v_mul_lo_u32 v18, v55, s22
	v_mul_lo_u32 v21, v20, s22
	v_or_b32_e32 v22, 2, v55
	s_mov_b32 s0, exec_lo
	s_delay_alu instid0(VALU_DEP_1) | instskip(NEXT) | instid1(VALU_DEP_4)
	v_mul_lo_u32 v23, v22, s22
	v_cndmask_b32_e32 v18, 0, v18, vcc_lo
	s_delay_alu instid0(VALU_DEP_1) | instskip(NEXT) | instid1(VALU_DEP_1)
	v_add_nc_u32_e32 v18, v18, v54
	v_ashrrev_i32_e32 v19, 31, v18
	s_delay_alu instid0(VALU_DEP_1) | instskip(NEXT) | instid1(VALU_DEP_1)
	v_lshlrev_b64 v[18:19], 3, v[18:19]
	v_add_co_u32 v18, vcc_lo, s8, v18
	s_delay_alu instid0(VALU_DEP_2) | instskip(SKIP_3) | instid1(VALU_DEP_1)
	v_add_co_ci_u32_e32 v19, vcc_lo, s9, v19, vcc_lo
	v_cmp_gt_i32_e32 vcc_lo, s17, v20
	global_load_b64 v[28:29], v[18:19], off
	v_cndmask_b32_e32 v20, 0, v21, vcc_lo
	v_add_nc_u32_e32 v20, v20, v54
	s_delay_alu instid0(VALU_DEP_1) | instskip(NEXT) | instid1(VALU_DEP_1)
	v_ashrrev_i32_e32 v21, 31, v20
	v_lshlrev_b64 v[20:21], 3, v[20:21]
	s_delay_alu instid0(VALU_DEP_1) | instskip(NEXT) | instid1(VALU_DEP_2)
	v_add_co_u32 v20, vcc_lo, s8, v20
	v_add_co_ci_u32_e32 v21, vcc_lo, s9, v21, vcc_lo
	v_cmp_gt_i32_e32 vcc_lo, s17, v22
	global_load_b64 v[30:31], v[20:21], off
	v_cndmask_b32_e32 v22, 0, v23, vcc_lo
	s_delay_alu instid0(VALU_DEP_1) | instskip(NEXT) | instid1(VALU_DEP_1)
	v_add_nc_u32_e32 v22, v22, v54
	v_ashrrev_i32_e32 v23, 31, v22
	s_delay_alu instid0(VALU_DEP_1) | instskip(NEXT) | instid1(VALU_DEP_1)
	v_lshlrev_b64 v[22:23], 3, v[22:23]
	v_add_co_u32 v24, vcc_lo, s8, v22
	s_delay_alu instid0(VALU_DEP_2) | instskip(SKIP_4) | instid1(VALU_DEP_2)
	v_add_co_ci_u32_e32 v25, vcc_lo, s9, v23, vcc_lo
	v_or_b32_e32 v22, 3, v55
	global_load_b64 v[32:33], v[24:25], off
	v_mul_lo_u32 v23, v22, s22
	v_cmp_gt_i32_e32 vcc_lo, s17, v22
	v_cndmask_b32_e32 v22, 0, v23, vcc_lo
	s_delay_alu instid0(VALU_DEP_1) | instskip(NEXT) | instid1(VALU_DEP_1)
	v_add_nc_u32_e32 v22, v22, v54
	v_ashrrev_i32_e32 v23, 31, v22
	s_delay_alu instid0(VALU_DEP_1) | instskip(NEXT) | instid1(VALU_DEP_1)
	v_lshlrev_b64 v[22:23], 3, v[22:23]
	v_add_co_u32 v26, vcc_lo, s8, v22
	s_delay_alu instid0(VALU_DEP_2)
	v_add_co_ci_u32_e32 v27, vcc_lo, s9, v23, vcc_lo
	global_load_b64 v[22:23], v[26:27], off
	s_waitcnt vmcnt(3)
	v_fma_f64 v[8:9], v[10:11], v[28:29], v[8:9]
	v_add_nc_u32_e32 v28, 32, v54
	s_waitcnt vmcnt(2)
	s_delay_alu instid0(VALU_DEP_2) | instskip(SKIP_1) | instid1(VALU_DEP_1)
	v_fma_f64 v[8:9], v[12:13], v[30:31], v[8:9]
	s_waitcnt vmcnt(1)
	v_fma_f64 v[8:9], v[16:17], v[32:33], v[8:9]
	v_cmpx_gt_i32_e64 s16, v28
	s_cbranch_execz .LBB62_39
; %bb.34:
	s_clause 0x3
	global_load_b64 v[30:31], v[18:19], off offset:256
	global_load_b64 v[32:33], v[20:21], off offset:256
	;; [unrolled: 1-line block ×4, first 2 shown]
	s_mov_b32 s2, exec_lo
	s_waitcnt vmcnt(3)
	v_fma_f64 v[6:7], v[10:11], v[30:31], v[6:7]
	v_add_nc_u32_e32 v30, 64, v54
	s_waitcnt vmcnt(2)
	s_delay_alu instid0(VALU_DEP_2) | instskip(SKIP_1) | instid1(VALU_DEP_1)
	v_fma_f64 v[6:7], v[12:13], v[32:33], v[6:7]
	s_waitcnt vmcnt(1)
	v_fma_f64 v[6:7], v[16:17], v[34:35], v[6:7]
	v_cmpx_gt_i32_e64 s16, v30
	s_cbranch_execz .LBB62_38
; %bb.35:
	s_clause 0x3
	global_load_b64 v[32:33], v[18:19], off offset:512
	global_load_b64 v[34:35], v[20:21], off offset:512
	;; [unrolled: 1-line block ×4, first 2 shown]
	s_mov_b32 s3, exec_lo
	s_waitcnt vmcnt(3)
	v_fma_f64 v[4:5], v[10:11], v[32:33], v[4:5]
	v_add_nc_u32_e32 v32, 0x60, v54
	s_waitcnt vmcnt(2)
	s_delay_alu instid0(VALU_DEP_2) | instskip(SKIP_1) | instid1(VALU_DEP_1)
	v_fma_f64 v[4:5], v[12:13], v[34:35], v[4:5]
	s_waitcnt vmcnt(1)
	v_fma_f64 v[4:5], v[16:17], v[36:37], v[4:5]
	v_cmpx_gt_i32_e64 s16, v32
	s_cbranch_execz .LBB62_37
; %bb.36:
	s_clause 0x3
	global_load_b64 v[18:19], v[18:19], off offset:768
	global_load_b64 v[20:21], v[20:21], off offset:768
	;; [unrolled: 1-line block ×4, first 2 shown]
	s_waitcnt vmcnt(3)
	v_fma_f64 v[2:3], v[10:11], v[18:19], v[2:3]
	s_waitcnt vmcnt(2)
	s_delay_alu instid0(VALU_DEP_1) | instskip(SKIP_1) | instid1(VALU_DEP_1)
	v_fma_f64 v[2:3], v[12:13], v[20:21], v[2:3]
	s_waitcnt vmcnt(1)
	v_fma_f64 v[2:3], v[16:17], v[24:25], v[2:3]
	s_waitcnt vmcnt(0)
	s_delay_alu instid0(VALU_DEP_1)
	v_fma_f64 v[2:3], v[14:15], v[26:27], v[2:3]
.LBB62_37:
	s_or_b32 exec_lo, exec_lo, s3
	s_waitcnt vmcnt(0)
	s_delay_alu instid0(VALU_DEP_2)
	v_fma_f64 v[4:5], v[14:15], v[30:31], v[4:5]
.LBB62_38:
	s_or_b32 exec_lo, exec_lo, s2
	s_waitcnt vmcnt(0)
	s_delay_alu instid0(VALU_DEP_2)
	v_fma_f64 v[6:7], v[14:15], v[28:29], v[6:7]
.LBB62_39:
	s_or_b32 exec_lo, exec_lo, s0
	s_waitcnt vmcnt(0)
	s_delay_alu instid0(VALU_DEP_2)
	v_fma_f64 v[8:9], v[14:15], v[22:23], v[8:9]
.LBB62_40:
	s_or_b32 exec_lo, exec_lo, s1
.LBB62_41:
	v_lshlrev_b32_e32 v0, 7, v0
	s_mov_b32 s0, exec_lo
	s_delay_alu instid0(VALU_DEP_1)
	v_add_lshl_u32 v0, v0, v1, 3
	ds_store_2addr_b64 v0, v[8:9], v[6:7] offset1:32
	ds_store_2addr_b64 v0, v[4:5], v[2:3] offset0:64 offset1:96
	s_waitcnt vmcnt(0) lgkmcnt(0)
	s_barrier
	buffer_gl0_inv
                                        ; implicit-def: $vgpr4_vgpr5
                                        ; implicit-def: $vgpr2_vgpr3
	v_cmpx_gt_u32_e32 0x80, v53
	s_cbranch_execz .LBB62_47
; %bb.42:
	v_lshlrev_b32_e32 v7, 3, v53
	v_or_b32_e32 v6, s5, v53
	s_mov_b32 s2, s21
	s_mov_b32 s1, exec_lo
	ds_load_2addr_stride64_b64 v[0:3], v7 offset1:2
	s_waitcnt lgkmcnt(0)
	v_add_f64 v[4:5], v[0:1], v[2:3]
	ds_load_2addr_stride64_b64 v[0:3], v7 offset0:4 offset1:6
	s_waitcnt lgkmcnt(0)
	v_add_f64 v[0:1], v[0:1], v[4:5]
	s_delay_alu instid0(VALU_DEP_1) | instskip(SKIP_3) | instid1(VALU_DEP_1)
	v_add_f64 v[4:5], v[2:3], v[0:1]
	ds_load_2addr_stride64_b64 v[0:3], v7 offset0:8 offset1:10
	s_waitcnt lgkmcnt(0)
	v_add_f64 v[0:1], v[0:1], v[4:5]
	v_add_f64 v[4:5], v[2:3], v[0:1]
	ds_load_2addr_stride64_b64 v[0:3], v7 offset0:12 offset1:14
	s_waitcnt lgkmcnt(0)
	v_add_f64 v[0:1], v[0:1], v[4:5]
	s_delay_alu instid0(VALU_DEP_1) | instskip(SKIP_3) | instid1(VALU_DEP_1)
	v_add_f64 v[4:5], v[2:3], v[0:1]
	ds_load_2addr_stride64_b64 v[0:3], v7 offset0:16 offset1:18
	s_waitcnt lgkmcnt(0)
	v_add_f64 v[0:1], v[0:1], v[4:5]
	;; [unrolled: 9-line block ×3, first 2 shown]
	v_add_f64 v[4:5], v[2:3], v[0:1]
	ds_load_2addr_stride64_b64 v[0:3], v7 offset0:28 offset1:30
	s_waitcnt lgkmcnt(0)
	v_add_f64 v[0:1], v[0:1], v[4:5]
                                        ; implicit-def: $vgpr4_vgpr5
	s_delay_alu instid0(VALU_DEP_1)
	v_add_f64 v[0:1], v[2:3], v[0:1]
                                        ; implicit-def: $vgpr2_vgpr3
	ds_store_b64 v7, v[0:1]
	v_cmpx_gt_i32_e64 s16, v6
	s_cbranch_execz .LBB62_46
; %bb.43:
	v_cmp_eq_f64_e64 s2, s[6:7], 0
	v_mul_f64 v[4:5], v[0:1], s[12:13]
	v_mul_lo_u32 v2, v6, s20
	s_delay_alu instid0(VALU_DEP_1) | instskip(NEXT) | instid1(VALU_DEP_4)
	v_ashrrev_i32_e32 v3, 31, v2
	s_and_b32 vcc_lo, exec_lo, s2
	s_cbranch_vccnz .LBB62_45
; %bb.44:
	s_delay_alu instid0(VALU_DEP_1) | instskip(NEXT) | instid1(VALU_DEP_1)
	v_lshlrev_b64 v[0:1], 3, v[2:3]
	v_add_co_u32 v0, vcc_lo, s18, v0
	s_delay_alu instid0(VALU_DEP_2)
	v_add_co_ci_u32_e32 v1, vcc_lo, s19, v1, vcc_lo
	global_load_b64 v[0:1], v[0:1], off
	s_waitcnt vmcnt(0)
	v_fma_f64 v[4:5], v[0:1], s[6:7], v[4:5]
.LBB62_45:
	s_or_b32 s2, s21, exec_lo
.LBB62_46:
	s_or_b32 exec_lo, exec_lo, s1
	s_delay_alu instid0(SALU_CYCLE_1) | instskip(SKIP_1) | instid1(SALU_CYCLE_1)
	s_and_not1_b32 s1, s21, exec_lo
	s_and_b32 s2, s2, exec_lo
	s_or_b32 s21, s1, s2
.LBB62_47:
	s_or_b32 exec_lo, exec_lo, s0
.LBB62_48:
	s_and_saveexec_b32 s0, s21
	s_cbranch_execz .LBB62_50
; %bb.49:
	v_lshlrev_b64 v[0:1], 3, v[2:3]
	s_delay_alu instid0(VALU_DEP_1) | instskip(NEXT) | instid1(VALU_DEP_2)
	v_add_co_u32 v0, vcc_lo, s18, v0
	v_add_co_ci_u32_e32 v1, vcc_lo, s19, v1, vcc_lo
	global_store_b64 v[0:1], v[4:5], off
.LBB62_50:
	s_nop 0
	s_sendmsg sendmsg(MSG_DEALLOC_VGPRS)
	s_endpgm
	.section	.rodata,"a",@progbits
	.p2align	6, 0x0
	.amdhsa_kernel _ZL20rocblas_gemvn_kernelILi32ELi16EidddEviiT3_lPKT2_lT1_lS3_lS4_lS0_lPT4_lS4_li
		.amdhsa_group_segment_fixed_size 16384
		.amdhsa_private_segment_fixed_size 0
		.amdhsa_kernarg_size 400
		.amdhsa_user_sgpr_count 14
		.amdhsa_user_sgpr_dispatch_ptr 0
		.amdhsa_user_sgpr_queue_ptr 0
		.amdhsa_user_sgpr_kernarg_segment_ptr 1
		.amdhsa_user_sgpr_dispatch_id 0
		.amdhsa_user_sgpr_private_segment_size 0
		.amdhsa_wavefront_size32 1
		.amdhsa_uses_dynamic_stack 0
		.amdhsa_enable_private_segment 0
		.amdhsa_system_sgpr_workgroup_id_x 1
		.amdhsa_system_sgpr_workgroup_id_y 0
		.amdhsa_system_sgpr_workgroup_id_z 1
		.amdhsa_system_sgpr_workgroup_info 0
		.amdhsa_system_vgpr_workitem_id 1
		.amdhsa_next_free_vgpr 61
		.amdhsa_next_free_sgpr 30
		.amdhsa_reserve_vcc 1
		.amdhsa_float_round_mode_32 0
		.amdhsa_float_round_mode_16_64 0
		.amdhsa_float_denorm_mode_32 3
		.amdhsa_float_denorm_mode_16_64 3
		.amdhsa_dx10_clamp 1
		.amdhsa_ieee_mode 1
		.amdhsa_fp16_overflow 0
		.amdhsa_workgroup_processor_mode 1
		.amdhsa_memory_ordered 1
		.amdhsa_forward_progress 0
		.amdhsa_shared_vgpr_count 0
		.amdhsa_exception_fp_ieee_invalid_op 0
		.amdhsa_exception_fp_denorm_src 0
		.amdhsa_exception_fp_ieee_div_zero 0
		.amdhsa_exception_fp_ieee_overflow 0
		.amdhsa_exception_fp_ieee_underflow 0
		.amdhsa_exception_fp_ieee_inexact 0
		.amdhsa_exception_int_div_zero 0
	.end_amdhsa_kernel
	.section	.text._ZL20rocblas_gemvn_kernelILi32ELi16EidddEviiT3_lPKT2_lT1_lS3_lS4_lS0_lPT4_lS4_li,"axG",@progbits,_ZL20rocblas_gemvn_kernelILi32ELi16EidddEviiT3_lPKT2_lT1_lS3_lS4_lS0_lPT4_lS4_li,comdat
.Lfunc_end62:
	.size	_ZL20rocblas_gemvn_kernelILi32ELi16EidddEviiT3_lPKT2_lT1_lS3_lS4_lS0_lPT4_lS4_li, .Lfunc_end62-_ZL20rocblas_gemvn_kernelILi32ELi16EidddEviiT3_lPKT2_lT1_lS3_lS4_lS0_lPT4_lS4_li
                                        ; -- End function
	.section	.AMDGPU.csdata,"",@progbits
; Kernel info:
; codeLenInByte = 3284
; NumSgprs: 32
; NumVgprs: 61
; ScratchSize: 0
; MemoryBound: 0
; FloatMode: 240
; IeeeMode: 1
; LDSByteSize: 16384 bytes/workgroup (compile time only)
; SGPRBlocks: 3
; VGPRBlocks: 7
; NumSGPRsForWavesPerEU: 32
; NumVGPRsForWavesPerEU: 61
; Occupancy: 16
; WaveLimiterHint : 1
; COMPUTE_PGM_RSRC2:SCRATCH_EN: 0
; COMPUTE_PGM_RSRC2:USER_SGPR: 14
; COMPUTE_PGM_RSRC2:TRAP_HANDLER: 0
; COMPUTE_PGM_RSRC2:TGID_X_EN: 1
; COMPUTE_PGM_RSRC2:TGID_Y_EN: 0
; COMPUTE_PGM_RSRC2:TGID_Z_EN: 1
; COMPUTE_PGM_RSRC2:TIDIG_COMP_CNT: 1
	.section	.text._ZL20rocblas_gemvn_kernelILi32ELi16EldddEviiT3_lPKT2_lT1_lS3_lS4_lS0_lPT4_lS4_li,"axG",@progbits,_ZL20rocblas_gemvn_kernelILi32ELi16EldddEviiT3_lPKT2_lT1_lS3_lS4_lS0_lPT4_lS4_li,comdat
	.globl	_ZL20rocblas_gemvn_kernelILi32ELi16EldddEviiT3_lPKT2_lT1_lS3_lS4_lS0_lPT4_lS4_li ; -- Begin function _ZL20rocblas_gemvn_kernelILi32ELi16EldddEviiT3_lPKT2_lT1_lS3_lS4_lS0_lPT4_lS4_li
	.p2align	8
	.type	_ZL20rocblas_gemvn_kernelILi32ELi16EldddEviiT3_lPKT2_lT1_lS3_lS4_lS0_lPT4_lS4_li,@function
_ZL20rocblas_gemvn_kernelILi32ELi16EldddEviiT3_lPKT2_lT1_lS3_lS4_lS0_lPT4_lS4_li: ; @_ZL20rocblas_gemvn_kernelILi32ELi16EldddEviiT3_lPKT2_lT1_lS3_lS4_lS0_lPT4_lS4_li
; %bb.0:
	s_load_b64 s[2:3], s[0:1], 0x9c
	s_waitcnt lgkmcnt(0)
	s_lshr_b32 s4, s2, 16
	s_and_b32 s2, s2, 0xffff
	s_and_b32 s3, s3, 0xffff
	s_mul_i32 s2, s4, s2
	s_delay_alu instid0(SALU_CYCLE_1) | instskip(NEXT) | instid1(SALU_CYCLE_1)
	s_mul_i32 s2, s2, s3
	s_cmpk_lg_i32 s2, 0x200
	s_cbranch_scc1 .LBB63_50
; %bb.1:
	s_clause 0x1
	s_load_b64 s[34:35], s[0:1], 0x8
	s_load_b64 s[12:13], s[0:1], 0x58
	s_waitcnt lgkmcnt(0)
	v_cmp_eq_f64_e64 s2, s[34:35], 0
	v_cmp_eq_f64_e64 s3, s[12:13], 1.0
	s_delay_alu instid0(VALU_DEP_1) | instskip(NEXT) | instid1(SALU_CYCLE_1)
	s_and_b32 s2, s2, s3
	s_and_b32 vcc_lo, exec_lo, s2
	s_cbranch_vccnz .LBB63_50
; %bb.2:
	v_cmp_neq_f64_e64 s16, s[34:35], 0
	s_clause 0x1
	s_load_b256 s[4:11], s[0:1], 0x68
	s_load_b64 s[36:37], s[0:1], 0x0
	v_and_b32_e32 v53, 0x3ff, v0
	v_bfe_u32 v54, v0, 10, 10
	s_mov_b32 s38, 0
	s_delay_alu instid0(VALU_DEP_1)
	v_lshl_add_u32 v52, v54, 5, v53
	s_waitcnt lgkmcnt(0)
	s_mul_i32 s3, s15, s11
	s_mul_hi_u32 s11, s15, s10
	s_mul_i32 s2, s15, s10
	s_add_i32 s3, s11, s3
	s_delay_alu instid0(SALU_CYCLE_1) | instskip(NEXT) | instid1(SALU_CYCLE_1)
	s_lshl_b64 s[2:3], s[2:3], 3
	s_add_u32 s4, s4, s2
	s_addc_u32 s10, s5, s3
	s_lshl_b64 s[2:3], s[6:7], 3
	s_delay_alu instid0(SALU_CYCLE_1)
	s_add_u32 s5, s4, s2
	v_cmp_gt_u32_e64 s2, 0x80, v52
	s_addc_u32 s33, s10, s3
	s_and_b32 vcc_lo, exec_lo, s16
	s_cbranch_vccnz .LBB63_9
; %bb.3:
	s_mov_b32 s3, 0
                                        ; implicit-def: $vgpr2_vgpr3
                                        ; implicit-def: $vgpr0_vgpr1
	s_and_saveexec_b32 s4, s2
	s_cbranch_execz .LBB63_10
; %bb.4:
	v_lshl_or_b32 v4, s14, 7, v52
	v_mov_b32_e32 v5, 0
	s_ashr_i32 s7, s36, 31
	s_mov_b32 s6, s36
                                        ; implicit-def: $vgpr2_vgpr3
                                        ; implicit-def: $vgpr0_vgpr1
	s_delay_alu instid0(VALU_DEP_1) | instid1(SALU_CYCLE_1)
	v_cmp_gt_i64_e32 vcc_lo, s[6:7], v[4:5]
	s_mov_b32 s6, 0
	s_and_saveexec_b32 s2, vcc_lo
	s_cbranch_execz .LBB63_8
; %bb.5:
	v_cmp_eq_f64_e64 s6, s[12:13], 0
	v_mad_u64_u32 v[0:1], null, v4, s8, 0
	s_delay_alu instid0(VALU_DEP_1) | instskip(NEXT) | instid1(VALU_DEP_1)
	v_mad_u64_u32 v[2:3], null, v4, s9, v[1:2]
	v_dual_mov_b32 v1, v2 :: v_dual_mov_b32 v2, 0
	v_mov_b32_e32 v3, 0
	s_and_b32 vcc_lo, exec_lo, s6
	s_cbranch_vccnz .LBB63_7
; %bb.6:
	s_delay_alu instid0(VALU_DEP_2) | instskip(NEXT) | instid1(VALU_DEP_1)
	v_lshlrev_b64 v[2:3], 3, v[0:1]
	v_add_co_u32 v2, vcc_lo, s5, v2
	s_delay_alu instid0(VALU_DEP_2)
	v_add_co_ci_u32_e32 v3, vcc_lo, s33, v3, vcc_lo
	global_load_b64 v[2:3], v[2:3], off
	s_waitcnt vmcnt(0)
	v_mul_f64 v[2:3], v[2:3], s[12:13]
.LBB63_7:
	s_mov_b32 s6, exec_lo
.LBB63_8:
	s_or_b32 exec_lo, exec_lo, s2
	s_delay_alu instid0(SALU_CYCLE_1) | instskip(SKIP_1) | instid1(SALU_CYCLE_1)
	s_and_b32 s38, s6, exec_lo
	s_or_b32 exec_lo, exec_lo, s4
	s_and_b32 vcc_lo, exec_lo, s3
	s_cbranch_vccnz .LBB63_11
	s_branch .LBB63_48
.LBB63_9:
                                        ; implicit-def: $vgpr2_vgpr3
                                        ; implicit-def: $vgpr0_vgpr1
	s_cbranch_execnz .LBB63_11
	s_branch .LBB63_48
.LBB63_10:
	s_or_b32 exec_lo, exec_lo, s4
	s_delay_alu instid0(SALU_CYCLE_1)
	s_and_b32 vcc_lo, exec_lo, s3
	s_cbranch_vccz .LBB63_48
.LBB63_11:
	s_load_b512 s[16:31], s[0:1], 0x18
	v_dual_mov_b32 v8, 0 :: v_dual_lshlrev_b32 v55, 2, v54
	s_lshl_b32 s39, s14, 7
	s_delay_alu instid0(SALU_CYCLE_1) | instskip(SKIP_1) | instid1(VALU_DEP_2)
	v_dual_mov_b32 v9, 0 :: v_dual_add_nc_u32 v0, s39, v53
	s_ashr_i32 s0, s37, 31
	v_mov_b32_e32 v6, v8
	s_lshr_b32 s0, s0, 26
	s_delay_alu instid0(VALU_DEP_2)
	v_dual_mov_b32 v7, v9 :: v_dual_mov_b32 v4, v8
	v_dual_mov_b32 v5, v9 :: v_dual_mov_b32 v2, v8
	v_mov_b32_e32 v3, v9
	s_add_i32 s40, s37, s0
	s_mov_b32 s41, exec_lo
	s_and_not1_b32 s40, s40, 63
	s_waitcnt lgkmcnt(0)
	s_mul_i32 s0, s15, s23
	s_mul_hi_u32 s1, s15, s22
	s_mul_i32 s2, s15, s31
	s_mul_hi_u32 s3, s15, s30
	s_mul_i32 s6, s15, s22
	s_add_i32 s7, s1, s0
	s_add_i32 s11, s3, s2
	s_mul_i32 s10, s15, s30
	v_cmpx_gt_i32_e64 s40, v55
	s_cbranch_execz .LBB63_23
; %bb.12:
	v_lshlrev_b32_e32 v21, 2, v54
	v_mad_u64_u32 v[2:3], null, s28, v54, 0
	s_lshl_b64 s[0:1], s[10:11], 3
	s_lshl_b64 s[14:15], s[26:27], 3
	s_delay_alu instid0(VALU_DEP_2)
	v_or_b32_e32 v12, 3, v21
	s_add_u32 s4, s24, s0
	v_ashrrev_i32_e32 v1, 31, v0
	s_addc_u32 s44, s25, s1
	s_lshl_b64 s[30:31], s[18:19], 3
	v_mad_u64_u32 v[4:5], null, s20, v12, 0
	s_lshl_b64 s[22:23], s[28:29], 9
	s_lshl_b64 s[42:43], s[6:7], 3
	v_cmp_gt_i32_e32 vcc_lo, s36, v0
	s_delay_alu instid0(VALU_DEP_2) | instskip(SKIP_1) | instid1(VALU_DEP_2)
	v_mad_u64_u32 v[6:7], null, s29, v54, v[3:4]
	v_mad_u64_u32 v[7:8], null, s28, v12, 0
	v_dual_mov_b32 v3, v6 :: v_dual_add_nc_u32 v14, 0x60, v0
	v_mad_u64_u32 v[9:10], null, s21, v12, v[5:6]
	s_delay_alu instid0(VALU_DEP_3)
	v_mov_b32_e32 v6, v8
	v_or_b32_e32 v22, 2, v21
	v_mad_u64_u32 v[17:18], null, s28, v21, s[28:29]
	v_add_nc_u32_e32 v13, 64, v0
	v_lshlrev_b64 v[2:3], 5, v[2:3]
	v_mov_b32_e32 v5, v9
	v_mad_u64_u32 v[8:9], null, s29, v12, v[6:7]
	s_delay_alu instid0(VALU_DEP_4) | instskip(SKIP_3) | instid1(VALU_DEP_2)
	v_cmp_gt_i32_e64 s1, s36, v13
	v_mad_u64_u32 v[12:13], null, s20, v22, 0
	v_add_nc_u32_e32 v11, 32, v0
	v_cmp_gt_i32_e64 s2, s36, v14
	v_cmp_gt_i32_e64 s0, s36, v11
	v_lshlrev_b64 v[10:11], 3, v[0:1]
	v_add_co_u32 v1, s3, s4, v2
	s_delay_alu instid0(VALU_DEP_1)
	v_add_co_ci_u32_e64 v56, s3, s44, v3, s3
	v_lshlrev_b64 v[2:3], 3, v[4:5]
	v_mad_u64_u32 v[4:5], null, s20, v54, 0
	s_add_u32 s3, s16, s30
	s_addc_u32 s30, s17, s31
	s_add_u32 s31, s3, s42
	s_addc_u32 s30, s30, s43
	v_add_co_u32 v57, s3, s31, v2
	v_mov_b32_e32 v2, v13
	s_delay_alu instid0(VALU_DEP_3) | instskip(SKIP_4) | instid1(VALU_DEP_3)
	v_mad_u64_u32 v[14:15], null, s21, v54, v[5:6]
	v_mad_u64_u32 v[15:16], null, s28, v22, 0
	v_add_co_ci_u32_e64 v58, s3, s30, v3, s3
	v_lshlrev_b64 v[6:7], 3, v[7:8]
	s_mov_b32 s42, 0
	v_mov_b32_e32 v3, v16
	s_delay_alu instid0(VALU_DEP_2) | instskip(SKIP_1) | instid1(VALU_DEP_3)
	v_add_co_u32 v59, s3, s4, v6
	v_mov_b32_e32 v6, v18
	v_mad_u64_u32 v[8:9], null, s21, v22, v[2:3]
	v_add_co_ci_u32_e64 v60, s3, s44, v7, s3
	v_mad_u64_u32 v[19:20], null, s29, v22, v[3:4]
	v_mad_u64_u32 v[2:3], null, s20, v21, s[20:21]
	s_delay_alu instid0(VALU_DEP_4) | instskip(SKIP_1) | instid1(VALU_DEP_4)
	v_mov_b32_e32 v13, v8
	v_mad_u64_u32 v[7:8], null, s29, v21, v[6:7]
	v_dual_mov_b32 v5, v14 :: v_dual_mov_b32 v16, v19
	s_delay_alu instid0(VALU_DEP_2) | instskip(NEXT) | instid1(VALU_DEP_2)
	v_mov_b32_e32 v18, v7
	v_lshlrev_b64 v[4:5], 5, v[4:5]
	s_delay_alu instid0(VALU_DEP_1) | instskip(NEXT) | instid1(VALU_DEP_1)
	v_add_co_u32 v61, s3, s31, v4
	v_add_co_ci_u32_e64 v62, s3, s30, v5, s3
	v_lshlrev_b64 v[4:5], 3, v[12:13]
	v_lshlrev_b64 v[12:13], 3, v[15:16]
	s_delay_alu instid0(VALU_DEP_2) | instskip(SKIP_1) | instid1(VALU_DEP_1)
	v_mad_u64_u32 v[8:9], null, s21, v21, v[3:4]
	v_add_co_u32 v63, s3, s31, v4
	v_add_co_ci_u32_e64 v64, s3, s30, v5, s3
	v_lshlrev_b64 v[4:5], 3, v[17:18]
	v_add_co_u32 v65, s3, s4, v12
	v_mov_b32_e32 v3, v8
	v_add_co_ci_u32_e64 v66, s3, s44, v13, s3
	v_mov_b32_e32 v8, 0
	v_mov_b32_e32 v9, 0
	s_delay_alu instid0(VALU_DEP_4) | instskip(SKIP_1) | instid1(VALU_DEP_1)
	v_lshlrev_b64 v[2:3], 3, v[2:3]
	v_add_co_u32 v67, s3, s4, v4
	v_add_co_ci_u32_e64 v68, s3, s44, v5, s3
	s_delay_alu instid0(VALU_DEP_4) | instskip(NEXT) | instid1(VALU_DEP_4)
	v_dual_mov_b32 v6, v8 :: v_dual_mov_b32 v7, v9
	v_add_co_u32 v69, s3, s31, v2
	s_delay_alu instid0(VALU_DEP_1)
	v_add_co_ci_u32_e64 v70, s3, s30, v3, s3
	v_dual_mov_b32 v4, v8 :: v_dual_mov_b32 v5, v9
	v_dual_mov_b32 v2, v8 :: v_dual_mov_b32 v3, v9
	s_lshl_b64 s[30:31], s[20:21], 9
	s_branch .LBB63_17
.LBB63_13:                              ;   in Loop: Header=BB63_17 Depth=1
	s_or_b32 exec_lo, exec_lo, s44
	s_waitcnt vmcnt(3)
	v_fma_f64 v[4:5], v[12:13], v[44:45], v[4:5]
	s_waitcnt vmcnt(2)
	s_delay_alu instid0(VALU_DEP_1) | instskip(SKIP_1) | instid1(VALU_DEP_1)
	v_fma_f64 v[4:5], v[14:15], v[46:47], v[4:5]
	s_waitcnt vmcnt(1)
	v_fma_f64 v[4:5], v[16:17], v[48:49], v[4:5]
	s_waitcnt vmcnt(0)
	s_delay_alu instid0(VALU_DEP_1)
	v_fma_f64 v[4:5], v[18:19], v[50:51], v[4:5]
.LBB63_14:                              ;   in Loop: Header=BB63_17 Depth=1
	s_or_b32 exec_lo, exec_lo, s43
	s_waitcnt vmcnt(3)
	v_fma_f64 v[6:7], v[12:13], v[34:35], v[6:7]
	s_waitcnt vmcnt(2)
	s_delay_alu instid0(VALU_DEP_1) | instskip(SKIP_1) | instid1(VALU_DEP_1)
	v_fma_f64 v[6:7], v[14:15], v[36:37], v[6:7]
	s_waitcnt vmcnt(1)
	v_fma_f64 v[6:7], v[16:17], v[38:39], v[6:7]
	s_waitcnt vmcnt(0)
	s_delay_alu instid0(VALU_DEP_1)
	v_fma_f64 v[6:7], v[18:19], v[40:41], v[6:7]
.LBB63_15:                              ;   in Loop: Header=BB63_17 Depth=1
	s_or_b32 exec_lo, exec_lo, s3
	s_waitcnt vmcnt(3)
	v_fma_f64 v[8:9], v[12:13], v[20:21], v[8:9]
	s_waitcnt vmcnt(2)
	s_delay_alu instid0(VALU_DEP_1) | instskip(SKIP_1) | instid1(VALU_DEP_1)
	v_fma_f64 v[8:9], v[14:15], v[22:23], v[8:9]
	s_waitcnt vmcnt(1)
	v_fma_f64 v[8:9], v[16:17], v[24:25], v[8:9]
	s_waitcnt vmcnt(0)
	s_delay_alu instid0(VALU_DEP_1)
	v_fma_f64 v[8:9], v[18:19], v[26:27], v[8:9]
.LBB63_16:                              ;   in Loop: Header=BB63_17 Depth=1
	s_or_b32 exec_lo, exec_lo, s4
	v_add_co_u32 v1, s3, v1, s22
	s_delay_alu instid0(VALU_DEP_1) | instskip(SKIP_1) | instid1(VALU_DEP_1)
	v_add_co_ci_u32_e64 v56, s3, s23, v56, s3
	v_add_co_u32 v57, s3, v57, s30
	v_add_co_ci_u32_e64 v58, s3, s31, v58, s3
	v_add_co_u32 v59, s3, v59, s22
	s_delay_alu instid0(VALU_DEP_1) | instskip(SKIP_1) | instid1(VALU_DEP_1)
	v_add_co_ci_u32_e64 v60, s3, s23, v60, s3
	v_add_co_u32 v61, s3, v61, s30
	v_add_co_ci_u32_e64 v62, s3, s31, v62, s3
	v_add_co_u32 v63, s3, v63, s30
	s_delay_alu instid0(VALU_DEP_1) | instskip(SKIP_4) | instid1(VALU_DEP_1)
	v_add_co_ci_u32_e64 v64, s3, s31, v64, s3
	v_add_co_u32 v65, s3, v65, s22
	v_add_nc_u32_e32 v55, 64, v55
	v_add_co_ci_u32_e64 v66, s3, s23, v66, s3
	v_add_co_u32 v67, s3, v67, s22
	v_add_co_ci_u32_e64 v68, s3, s23, v68, s3
	s_delay_alu instid0(VALU_DEP_4) | instskip(SKIP_1) | instid1(VALU_DEP_1)
	v_cmp_le_i32_e64 s3, s40, v55
	v_add_co_u32 v69, s4, v69, s30
	v_add_co_ci_u32_e64 v70, s4, s31, v70, s4
	s_delay_alu instid0(VALU_DEP_3) | instskip(NEXT) | instid1(SALU_CYCLE_1)
	s_or_b32 s42, s3, s42
	s_and_not1_b32 exec_lo, exec_lo, s42
	s_cbranch_execz .LBB63_22
.LBB63_17:                              ; =>This Inner Loop Header: Depth=1
	s_and_saveexec_b32 s4, vcc_lo
	s_cbranch_execz .LBB63_16
; %bb.18:                               ;   in Loop: Header=BB63_17 Depth=1
	v_add_co_u32 v12, s3, v1, s14
	s_delay_alu instid0(VALU_DEP_1) | instskip(SKIP_1) | instid1(VALU_DEP_1)
	v_add_co_ci_u32_e64 v13, s3, s15, v56, s3
	v_add_co_u32 v14, s3, v67, s14
	v_add_co_ci_u32_e64 v15, s3, s15, v68, s3
	v_add_co_u32 v16, s3, v65, s14
	s_delay_alu instid0(VALU_DEP_1) | instskip(SKIP_1) | instid1(VALU_DEP_1)
	v_add_co_ci_u32_e64 v17, s3, s15, v66, s3
	v_add_co_u32 v18, s3, v59, s14
	v_add_co_ci_u32_e64 v19, s3, s15, v60, s3
	;; [unrolled: 5-line block ×4, first 2 shown]
	global_load_b64 v[12:13], v[12:13], off
	global_load_b64 v[14:15], v[14:15], off
	;; [unrolled: 1-line block ×8, first 2 shown]
	s_and_saveexec_b32 s3, s0
	s_cbranch_execz .LBB63_15
; %bb.19:                               ;   in Loop: Header=BB63_17 Depth=1
	global_load_b64 v[34:35], v[28:29], off offset:256
	global_load_b64 v[36:37], v[30:31], off offset:256
	global_load_b64 v[38:39], v[32:33], off offset:256
	global_load_b64 v[40:41], v[42:43], off offset:256
	s_and_saveexec_b32 s43, s1
	s_cbranch_execz .LBB63_14
; %bb.20:                               ;   in Loop: Header=BB63_17 Depth=1
	global_load_b64 v[44:45], v[28:29], off offset:512
	global_load_b64 v[46:47], v[30:31], off offset:512
	global_load_b64 v[48:49], v[32:33], off offset:512
	global_load_b64 v[50:51], v[42:43], off offset:512
	;; [unrolled: 7-line block ×3, first 2 shown]
	s_waitcnt vmcnt(3)
	v_fma_f64 v[2:3], v[12:13], v[28:29], v[2:3]
	s_waitcnt vmcnt(2)
	s_delay_alu instid0(VALU_DEP_1) | instskip(SKIP_1) | instid1(VALU_DEP_1)
	v_fma_f64 v[2:3], v[14:15], v[30:31], v[2:3]
	s_waitcnt vmcnt(1)
	v_fma_f64 v[2:3], v[16:17], v[32:33], v[2:3]
	s_waitcnt vmcnt(0)
	s_delay_alu instid0(VALU_DEP_1)
	v_fma_f64 v[2:3], v[18:19], v[42:43], v[2:3]
	s_branch .LBB63_13
.LBB63_22:
	s_or_b32 exec_lo, exec_lo, s42
.LBB63_23:
	s_delay_alu instid0(SALU_CYCLE_1) | instskip(SKIP_1) | instid1(SALU_CYCLE_1)
	s_or_b32 exec_lo, exec_lo, s41
	s_sub_i32 s0, s37, s40
	s_cmp_lt_i32 s0, 1
	s_cbranch_scc1 .LBB63_41
; %bb.24:
	v_mov_b32_e32 v14, 0
	v_mov_b32_e32 v15, 0
	v_cmp_gt_i32_e32 vcc_lo, s37, v55
	v_or_b32_e32 v20, 1, v55
	s_delay_alu instid0(VALU_DEP_4) | instskip(NEXT) | instid1(VALU_DEP_4)
	v_mov_b32_e32 v12, v14
	v_dual_mov_b32 v10, v14 :: v_dual_mov_b32 v11, v15
	v_dual_mov_b32 v17, v15 :: v_dual_mov_b32 v16, v14
	v_mov_b32_e32 v13, v15
	s_and_saveexec_b32 s1, vcc_lo
	s_cbranch_execz .LBB63_32
; %bb.25:
	v_mad_u64_u32 v[10:11], null, v55, s28, 0
	s_lshl_b64 s[2:3], s[10:11], 3
	s_delay_alu instid0(SALU_CYCLE_1) | instskip(SKIP_2) | instid1(SALU_CYCLE_1)
	s_add_u32 s0, s24, s2
	s_addc_u32 s2, s25, s3
	s_lshl_b64 s[10:11], s[26:27], 3
	s_add_u32 s3, s0, s10
	s_delay_alu instid0(VALU_DEP_1) | instskip(SKIP_2) | instid1(VALU_DEP_1)
	v_mov_b32_e32 v1, v11
	s_addc_u32 s4, s2, s11
	s_mov_b32 s2, exec_lo
	v_mad_u64_u32 v[11:12], null, v55, s29, v[1:2]
	v_mov_b32_e32 v12, 0
	v_mov_b32_e32 v13, 0
	s_delay_alu instid0(VALU_DEP_1) | instskip(NEXT) | instid1(VALU_DEP_4)
	v_dual_mov_b32 v17, v13 :: v_dual_mov_b32 v16, v12
	v_lshlrev_b64 v[10:11], 3, v[10:11]
	v_dual_mov_b32 v15, v13 :: v_dual_mov_b32 v14, v12
	s_delay_alu instid0(VALU_DEP_2) | instskip(NEXT) | instid1(VALU_DEP_1)
	v_add_co_u32 v10, s0, s3, v10
	v_add_co_ci_u32_e64 v11, s0, s4, v11, s0
	global_load_b64 v[10:11], v[10:11], off
	v_cmpx_gt_i32_e64 s37, v20
	s_cbranch_execz .LBB63_31
; %bb.26:
	v_mad_u64_u32 v[12:13], null, v20, s28, 0
	s_mov_b32 s10, exec_lo
	v_mov_b32_e32 v16, 0
	v_mov_b32_e32 v17, 0
	s_delay_alu instid0(VALU_DEP_3) | instskip(NEXT) | instid1(VALU_DEP_1)
	v_mov_b32_e32 v1, v13
	v_mad_u64_u32 v[13:14], null, v20, s29, v[1:2]
	v_or_b32_e32 v1, 2, v55
	s_delay_alu instid0(VALU_DEP_4) | instskip(NEXT) | instid1(VALU_DEP_3)
	v_dual_mov_b32 v14, v16 :: v_dual_mov_b32 v15, v17
	v_lshlrev_b64 v[12:13], 3, v[12:13]
	s_delay_alu instid0(VALU_DEP_1) | instskip(NEXT) | instid1(VALU_DEP_1)
	v_add_co_u32 v12, s0, s3, v12
	v_add_co_ci_u32_e64 v13, s0, s4, v13, s0
	global_load_b64 v[12:13], v[12:13], off
	v_cmpx_gt_i32_e64 s37, v1
	s_cbranch_execz .LBB63_30
; %bb.27:
	v_mad_u64_u32 v[14:15], null, v1, s28, 0
	s_mov_b32 s11, exec_lo
	s_delay_alu instid0(VALU_DEP_1) | instskip(SKIP_1) | instid1(VALU_DEP_2)
	v_mad_u64_u32 v[16:17], null, v1, s29, v[15:16]
	v_or_b32_e32 v1, 3, v55
	v_mov_b32_e32 v15, v16
	s_delay_alu instid0(VALU_DEP_1) | instskip(NEXT) | instid1(VALU_DEP_1)
	v_lshlrev_b64 v[14:15], 3, v[14:15]
	v_add_co_u32 v14, s0, s3, v14
	s_delay_alu instid0(VALU_DEP_1)
	v_add_co_ci_u32_e64 v15, s0, s4, v15, s0
	global_load_b64 v[16:17], v[14:15], off
	v_mov_b32_e32 v14, 0
	v_mov_b32_e32 v15, 0
	v_cmpx_gt_i32_e64 s37, v1
	s_cbranch_execz .LBB63_29
; %bb.28:
	v_mad_u64_u32 v[14:15], null, v1, s28, 0
	s_waitcnt vmcnt(0)
	s_delay_alu instid0(VALU_DEP_1) | instskip(NEXT) | instid1(VALU_DEP_1)
	v_mad_u64_u32 v[18:19], null, v1, s29, v[15:16]
	v_mov_b32_e32 v15, v18
	s_delay_alu instid0(VALU_DEP_1) | instskip(NEXT) | instid1(VALU_DEP_1)
	v_lshlrev_b64 v[14:15], 3, v[14:15]
	v_add_co_u32 v14, s0, s3, v14
	s_delay_alu instid0(VALU_DEP_1)
	v_add_co_ci_u32_e64 v15, s0, s4, v15, s0
	global_load_b64 v[14:15], v[14:15], off
.LBB63_29:
	s_or_b32 exec_lo, exec_lo, s11
.LBB63_30:
	s_delay_alu instid0(SALU_CYCLE_1)
	s_or_b32 exec_lo, exec_lo, s10
.LBB63_31:
	s_delay_alu instid0(SALU_CYCLE_1)
	s_or_b32 exec_lo, exec_lo, s2
.LBB63_32:
	s_delay_alu instid0(SALU_CYCLE_1) | instskip(NEXT) | instid1(SALU_CYCLE_1)
	s_or_b32 exec_lo, exec_lo, s1
	s_mov_b32 s1, exec_lo
	v_cmpx_gt_i32_e64 s36, v0
	s_cbranch_execz .LBB63_40
; %bb.33:
	v_mad_u64_u32 v[18:19], null, v55, s20, 0
	v_mad_u64_u32 v[24:25], null, v20, s20, 0
	s_lshl_b64 s[2:3], s[6:7], 3
	v_or_b32_e32 v27, 2, v55
	s_add_u32 s0, s16, s2
	s_addc_u32 s4, s17, s3
	s_delay_alu instid0(VALU_DEP_3) | instskip(SKIP_3) | instid1(VALU_DEP_2)
	v_dual_mov_b32 v1, v19 :: v_dual_cndmask_b32 v18, 0, v18
	s_lshl_b64 s[2:3], s[18:19], 3
	v_or_b32_e32 v36, 3, v55
	s_add_u32 s0, s0, s2
	v_mad_u64_u32 v[21:22], null, v55, s21, v[1:2]
	v_ashrrev_i32_e32 v1, 31, v0
	s_addc_u32 s2, s4, s3
	s_delay_alu instid0(VALU_DEP_1) | instskip(NEXT) | instid1(VALU_DEP_3)
	v_lshlrev_b64 v[22:23], 3, v[0:1]
	v_cndmask_b32_e32 v19, 0, v21, vcc_lo
	s_delay_alu instid0(VALU_DEP_1) | instskip(NEXT) | instid1(VALU_DEP_1)
	v_lshlrev_b64 v[18:19], 3, v[18:19]
	v_add_co_u32 v1, vcc_lo, s0, v18
	s_delay_alu instid0(VALU_DEP_2) | instskip(NEXT) | instid1(VALU_DEP_2)
	v_add_co_ci_u32_e32 v19, vcc_lo, s2, v19, vcc_lo
	v_add_co_u32 v18, vcc_lo, v1, v22
	s_delay_alu instid0(VALU_DEP_2) | instskip(SKIP_4) | instid1(VALU_DEP_1)
	v_add_co_ci_u32_e32 v19, vcc_lo, v19, v23, vcc_lo
	v_mov_b32_e32 v1, v25
	v_cmp_gt_i32_e32 vcc_lo, s37, v20
	global_load_b64 v[28:29], v[18:19], off
	v_mad_u64_u32 v[25:26], null, v20, s21, v[1:2]
	v_dual_cndmask_b32 v20, 0, v24 :: v_dual_cndmask_b32 v21, 0, v25
	v_mad_u64_u32 v[24:25], null, v27, s20, 0
	s_delay_alu instid0(VALU_DEP_2) | instskip(NEXT) | instid1(VALU_DEP_1)
	v_lshlrev_b64 v[20:21], 3, v[20:21]
	v_add_co_u32 v1, vcc_lo, s0, v20
	s_delay_alu instid0(VALU_DEP_2) | instskip(NEXT) | instid1(VALU_DEP_2)
	v_add_co_ci_u32_e32 v21, vcc_lo, s2, v21, vcc_lo
	v_add_co_u32 v20, vcc_lo, v1, v22
	s_delay_alu instid0(VALU_DEP_2)
	v_add_co_ci_u32_e32 v21, vcc_lo, v21, v23, vcc_lo
	v_mov_b32_e32 v1, v25
	v_cmp_gt_i32_e32 vcc_lo, s37, v27
	global_load_b64 v[30:31], v[20:21], off
	v_mad_u64_u32 v[25:26], null, v27, s21, v[1:2]
	v_cndmask_b32_e32 v24, 0, v24, vcc_lo
	v_mad_u64_u32 v[26:27], null, v36, s20, 0
	s_delay_alu instid0(VALU_DEP_3) | instskip(NEXT) | instid1(VALU_DEP_1)
	v_cndmask_b32_e32 v25, 0, v25, vcc_lo
	v_lshlrev_b64 v[24:25], 3, v[24:25]
	s_delay_alu instid0(VALU_DEP_1) | instskip(NEXT) | instid1(VALU_DEP_2)
	v_add_co_u32 v1, vcc_lo, s0, v24
	v_add_co_ci_u32_e32 v25, vcc_lo, s2, v25, vcc_lo
	s_delay_alu instid0(VALU_DEP_2) | instskip(NEXT) | instid1(VALU_DEP_2)
	v_add_co_u32 v24, vcc_lo, v1, v22
	v_add_co_ci_u32_e32 v25, vcc_lo, v25, v23, vcc_lo
	v_mov_b32_e32 v1, v27
	v_cmp_gt_i32_e32 vcc_lo, s37, v36
	global_load_b64 v[32:33], v[24:25], off
	v_mad_u64_u32 v[34:35], null, v36, s21, v[1:2]
	v_cndmask_b32_e32 v26, 0, v26, vcc_lo
	s_delay_alu instid0(VALU_DEP_2) | instskip(NEXT) | instid1(VALU_DEP_1)
	v_cndmask_b32_e32 v27, 0, v34, vcc_lo
	v_lshlrev_b64 v[26:27], 3, v[26:27]
	s_delay_alu instid0(VALU_DEP_1) | instskip(NEXT) | instid1(VALU_DEP_2)
	v_add_co_u32 v1, vcc_lo, s0, v26
	v_add_co_ci_u32_e32 v27, vcc_lo, s2, v27, vcc_lo
	s_mov_b32 s0, exec_lo
	s_delay_alu instid0(VALU_DEP_2) | instskip(NEXT) | instid1(VALU_DEP_2)
	v_add_co_u32 v26, vcc_lo, v1, v22
	v_add_co_ci_u32_e32 v27, vcc_lo, v27, v23, vcc_lo
	v_add_nc_u32_e32 v1, 32, v0
	global_load_b64 v[22:23], v[26:27], off
	s_waitcnt vmcnt(3)
	v_fma_f64 v[8:9], v[10:11], v[28:29], v[8:9]
	s_waitcnt vmcnt(2)
	s_delay_alu instid0(VALU_DEP_1) | instskip(SKIP_1) | instid1(VALU_DEP_1)
	v_fma_f64 v[8:9], v[12:13], v[30:31], v[8:9]
	s_waitcnt vmcnt(1)
	v_fma_f64 v[8:9], v[16:17], v[32:33], v[8:9]
	v_cmpx_gt_i32_e64 s36, v1
	s_cbranch_execz .LBB63_39
; %bb.34:
	s_clause 0x3
	global_load_b64 v[30:31], v[18:19], off offset:256
	global_load_b64 v[32:33], v[20:21], off offset:256
	;; [unrolled: 1-line block ×4, first 2 shown]
	v_add_nc_u32_e32 v1, 64, v0
	s_mov_b32 s2, exec_lo
	s_waitcnt vmcnt(3)
	v_fma_f64 v[6:7], v[10:11], v[30:31], v[6:7]
	s_waitcnt vmcnt(2)
	s_delay_alu instid0(VALU_DEP_1) | instskip(SKIP_1) | instid1(VALU_DEP_1)
	v_fma_f64 v[6:7], v[12:13], v[32:33], v[6:7]
	s_waitcnt vmcnt(1)
	v_fma_f64 v[6:7], v[16:17], v[34:35], v[6:7]
	v_cmpx_gt_i32_e64 s36, v1
	s_cbranch_execz .LBB63_38
; %bb.35:
	s_clause 0x3
	global_load_b64 v[32:33], v[18:19], off offset:512
	global_load_b64 v[34:35], v[20:21], off offset:512
	;; [unrolled: 1-line block ×4, first 2 shown]
	v_add_nc_u32_e32 v0, 0x60, v0
	s_mov_b32 s3, exec_lo
	s_waitcnt vmcnt(3)
	v_fma_f64 v[4:5], v[10:11], v[32:33], v[4:5]
	s_waitcnt vmcnt(2)
	s_delay_alu instid0(VALU_DEP_1) | instskip(SKIP_1) | instid1(VALU_DEP_1)
	v_fma_f64 v[4:5], v[12:13], v[34:35], v[4:5]
	s_waitcnt vmcnt(1)
	v_fma_f64 v[4:5], v[16:17], v[36:37], v[4:5]
	v_cmpx_gt_i32_e64 s36, v0
	s_cbranch_execz .LBB63_37
; %bb.36:
	s_clause 0x3
	global_load_b64 v[0:1], v[18:19], off offset:768
	global_load_b64 v[18:19], v[20:21], off offset:768
	;; [unrolled: 1-line block ×4, first 2 shown]
	s_waitcnt vmcnt(3)
	v_fma_f64 v[0:1], v[10:11], v[0:1], v[2:3]
	s_waitcnt vmcnt(2)
	s_delay_alu instid0(VALU_DEP_1) | instskip(SKIP_1) | instid1(VALU_DEP_1)
	v_fma_f64 v[0:1], v[12:13], v[18:19], v[0:1]
	s_waitcnt vmcnt(1)
	v_fma_f64 v[0:1], v[16:17], v[20:21], v[0:1]
	s_waitcnt vmcnt(0)
	s_delay_alu instid0(VALU_DEP_1)
	v_fma_f64 v[2:3], v[14:15], v[24:25], v[0:1]
.LBB63_37:
	s_or_b32 exec_lo, exec_lo, s3
	s_waitcnt vmcnt(0)
	s_delay_alu instid0(VALU_DEP_2)
	v_fma_f64 v[4:5], v[14:15], v[30:31], v[4:5]
.LBB63_38:
	s_or_b32 exec_lo, exec_lo, s2
	s_waitcnt vmcnt(0)
	s_delay_alu instid0(VALU_DEP_2)
	v_fma_f64 v[6:7], v[14:15], v[28:29], v[6:7]
.LBB63_39:
	s_or_b32 exec_lo, exec_lo, s0
	s_waitcnt vmcnt(0)
	s_delay_alu instid0(VALU_DEP_2)
	v_fma_f64 v[8:9], v[14:15], v[22:23], v[8:9]
.LBB63_40:
	s_or_b32 exec_lo, exec_lo, s1
.LBB63_41:
	v_lshlrev_b32_e32 v0, 7, v54
	s_mov_b32 s0, exec_lo
	s_delay_alu instid0(VALU_DEP_1)
	v_add_lshl_u32 v0, v0, v53, 3
	ds_store_2addr_b64 v0, v[8:9], v[6:7] offset1:32
	ds_store_2addr_b64 v0, v[4:5], v[2:3] offset0:64 offset1:96
	s_waitcnt vmcnt(0) lgkmcnt(0)
	s_barrier
	buffer_gl0_inv
                                        ; implicit-def: $vgpr2_vgpr3
                                        ; implicit-def: $vgpr0_vgpr1
	v_cmpx_gt_u32_e32 0x80, v52
	s_cbranch_execz .LBB63_47
; %bb.42:
	v_lshlrev_b32_e32 v7, 3, v52
	v_or_b32_e32 v6, s39, v52
	s_mov_b32 s2, s38
	s_mov_b32 s1, exec_lo
	ds_load_2addr_stride64_b64 v[0:3], v7 offset1:2
	s_waitcnt lgkmcnt(0)
	v_add_f64 v[4:5], v[0:1], v[2:3]
	ds_load_2addr_stride64_b64 v[0:3], v7 offset0:4 offset1:6
	s_waitcnt lgkmcnt(0)
	v_add_f64 v[0:1], v[0:1], v[4:5]
	s_delay_alu instid0(VALU_DEP_1) | instskip(SKIP_3) | instid1(VALU_DEP_1)
	v_add_f64 v[4:5], v[2:3], v[0:1]
	ds_load_2addr_stride64_b64 v[0:3], v7 offset0:8 offset1:10
	s_waitcnt lgkmcnt(0)
	v_add_f64 v[0:1], v[0:1], v[4:5]
	v_add_f64 v[4:5], v[2:3], v[0:1]
	ds_load_2addr_stride64_b64 v[0:3], v7 offset0:12 offset1:14
	s_waitcnt lgkmcnt(0)
	v_add_f64 v[0:1], v[0:1], v[4:5]
	s_delay_alu instid0(VALU_DEP_1) | instskip(SKIP_3) | instid1(VALU_DEP_1)
	v_add_f64 v[4:5], v[2:3], v[0:1]
	ds_load_2addr_stride64_b64 v[0:3], v7 offset0:16 offset1:18
	s_waitcnt lgkmcnt(0)
	v_add_f64 v[0:1], v[0:1], v[4:5]
	v_add_f64 v[4:5], v[2:3], v[0:1]
	ds_load_2addr_stride64_b64 v[0:3], v7 offset0:20 offset1:22
	s_waitcnt lgkmcnt(0)
	v_add_f64 v[0:1], v[0:1], v[4:5]
	s_delay_alu instid0(VALU_DEP_1) | instskip(SKIP_3) | instid1(VALU_DEP_1)
	v_add_f64 v[4:5], v[2:3], v[0:1]
	ds_load_2addr_stride64_b64 v[0:3], v7 offset0:24 offset1:26
	s_waitcnt lgkmcnt(0)
	v_add_f64 v[0:1], v[0:1], v[4:5]
	v_add_f64 v[4:5], v[2:3], v[0:1]
	ds_load_2addr_stride64_b64 v[0:3], v7 offset0:28 offset1:30
	s_waitcnt lgkmcnt(0)
	v_add_f64 v[0:1], v[0:1], v[4:5]
	s_delay_alu instid0(VALU_DEP_1)
	v_add_f64 v[4:5], v[2:3], v[0:1]
                                        ; implicit-def: $vgpr2_vgpr3
                                        ; implicit-def: $vgpr0_vgpr1
	ds_store_b64 v7, v[4:5]
	v_cmpx_gt_i32_e64 s36, v6
	s_cbranch_execz .LBB63_46
; %bb.43:
	v_cmp_eq_f64_e64 s2, s[12:13], 0
	v_mul_f64 v[2:3], v[4:5], s[34:35]
	v_ashrrev_i32_e32 v0, 31, v6
	v_mul_lo_u32 v4, v6, s9
	s_delay_alu instid0(VALU_DEP_2) | instskip(SKIP_1) | instid1(VALU_DEP_1)
	v_mul_lo_u32 v5, v0, s8
	v_mad_u64_u32 v[0:1], null, v6, s8, 0
	v_add3_u32 v1, v1, v4, v5
	s_and_b32 vcc_lo, exec_lo, s2
	s_cbranch_vccnz .LBB63_45
; %bb.44:
	s_delay_alu instid0(VALU_DEP_1) | instskip(NEXT) | instid1(VALU_DEP_1)
	v_lshlrev_b64 v[4:5], 3, v[0:1]
	v_add_co_u32 v4, vcc_lo, s5, v4
	s_delay_alu instid0(VALU_DEP_2)
	v_add_co_ci_u32_e32 v5, vcc_lo, s33, v5, vcc_lo
	global_load_b64 v[4:5], v[4:5], off
	s_waitcnt vmcnt(0)
	v_fma_f64 v[2:3], v[4:5], s[12:13], v[2:3]
.LBB63_45:
	s_or_b32 s2, s38, exec_lo
.LBB63_46:
	s_or_b32 exec_lo, exec_lo, s1
	s_delay_alu instid0(SALU_CYCLE_1) | instskip(SKIP_1) | instid1(SALU_CYCLE_1)
	s_and_not1_b32 s1, s38, exec_lo
	s_and_b32 s2, s2, exec_lo
	s_or_b32 s38, s1, s2
.LBB63_47:
	s_or_b32 exec_lo, exec_lo, s0
.LBB63_48:
	s_and_saveexec_b32 s0, s38
	s_cbranch_execz .LBB63_50
; %bb.49:
	v_lshlrev_b64 v[0:1], 3, v[0:1]
	s_delay_alu instid0(VALU_DEP_1) | instskip(NEXT) | instid1(VALU_DEP_2)
	v_add_co_u32 v0, vcc_lo, s5, v0
	v_add_co_ci_u32_e32 v1, vcc_lo, s33, v1, vcc_lo
	global_store_b64 v[0:1], v[2:3], off
.LBB63_50:
	s_nop 0
	s_sendmsg sendmsg(MSG_DEALLOC_VGPRS)
	s_endpgm
	.section	.rodata,"a",@progbits
	.p2align	6, 0x0
	.amdhsa_kernel _ZL20rocblas_gemvn_kernelILi32ELi16EldddEviiT3_lPKT2_lT1_lS3_lS4_lS0_lPT4_lS4_li
		.amdhsa_group_segment_fixed_size 16384
		.amdhsa_private_segment_fixed_size 0
		.amdhsa_kernarg_size 400
		.amdhsa_user_sgpr_count 14
		.amdhsa_user_sgpr_dispatch_ptr 0
		.amdhsa_user_sgpr_queue_ptr 0
		.amdhsa_user_sgpr_kernarg_segment_ptr 1
		.amdhsa_user_sgpr_dispatch_id 0
		.amdhsa_user_sgpr_private_segment_size 0
		.amdhsa_wavefront_size32 1
		.amdhsa_uses_dynamic_stack 0
		.amdhsa_enable_private_segment 0
		.amdhsa_system_sgpr_workgroup_id_x 1
		.amdhsa_system_sgpr_workgroup_id_y 0
		.amdhsa_system_sgpr_workgroup_id_z 1
		.amdhsa_system_sgpr_workgroup_info 0
		.amdhsa_system_vgpr_workitem_id 1
		.amdhsa_next_free_vgpr 71
		.amdhsa_next_free_sgpr 45
		.amdhsa_reserve_vcc 1
		.amdhsa_float_round_mode_32 0
		.amdhsa_float_round_mode_16_64 0
		.amdhsa_float_denorm_mode_32 3
		.amdhsa_float_denorm_mode_16_64 3
		.amdhsa_dx10_clamp 1
		.amdhsa_ieee_mode 1
		.amdhsa_fp16_overflow 0
		.amdhsa_workgroup_processor_mode 1
		.amdhsa_memory_ordered 1
		.amdhsa_forward_progress 0
		.amdhsa_shared_vgpr_count 0
		.amdhsa_exception_fp_ieee_invalid_op 0
		.amdhsa_exception_fp_denorm_src 0
		.amdhsa_exception_fp_ieee_div_zero 0
		.amdhsa_exception_fp_ieee_overflow 0
		.amdhsa_exception_fp_ieee_underflow 0
		.amdhsa_exception_fp_ieee_inexact 0
		.amdhsa_exception_int_div_zero 0
	.end_amdhsa_kernel
	.section	.text._ZL20rocblas_gemvn_kernelILi32ELi16EldddEviiT3_lPKT2_lT1_lS3_lS4_lS0_lPT4_lS4_li,"axG",@progbits,_ZL20rocblas_gemvn_kernelILi32ELi16EldddEviiT3_lPKT2_lT1_lS3_lS4_lS0_lPT4_lS4_li,comdat
.Lfunc_end63:
	.size	_ZL20rocblas_gemvn_kernelILi32ELi16EldddEviiT3_lPKT2_lT1_lS3_lS4_lS0_lPT4_lS4_li, .Lfunc_end63-_ZL20rocblas_gemvn_kernelILi32ELi16EldddEviiT3_lPKT2_lT1_lS3_lS4_lS0_lPT4_lS4_li
                                        ; -- End function
	.section	.AMDGPU.csdata,"",@progbits
; Kernel info:
; codeLenInByte = 3732
; NumSgprs: 47
; NumVgprs: 71
; ScratchSize: 0
; MemoryBound: 1
; FloatMode: 240
; IeeeMode: 1
; LDSByteSize: 16384 bytes/workgroup (compile time only)
; SGPRBlocks: 5
; VGPRBlocks: 8
; NumSGPRsForWavesPerEU: 47
; NumVGPRsForWavesPerEU: 71
; Occupancy: 16
; WaveLimiterHint : 1
; COMPUTE_PGM_RSRC2:SCRATCH_EN: 0
; COMPUTE_PGM_RSRC2:USER_SGPR: 14
; COMPUTE_PGM_RSRC2:TRAP_HANDLER: 0
; COMPUTE_PGM_RSRC2:TGID_X_EN: 1
; COMPUTE_PGM_RSRC2:TGID_Y_EN: 0
; COMPUTE_PGM_RSRC2:TGID_Z_EN: 1
; COMPUTE_PGM_RSRC2:TIDIG_COMP_CNT: 1
	.section	.text._ZL20rocblas_gemvn_kernelILi64ELi16EidPKddEviiT3_lPKT2_lT1_lS5_lS6_lS2_lPT4_lS6_li,"axG",@progbits,_ZL20rocblas_gemvn_kernelILi64ELi16EidPKddEviiT3_lPKT2_lT1_lS5_lS6_lS2_lPT4_lS6_li,comdat
	.globl	_ZL20rocblas_gemvn_kernelILi64ELi16EidPKddEviiT3_lPKT2_lT1_lS5_lS6_lS2_lPT4_lS6_li ; -- Begin function _ZL20rocblas_gemvn_kernelILi64ELi16EidPKddEviiT3_lPKT2_lT1_lS5_lS6_lS2_lPT4_lS6_li
	.p2align	8
	.type	_ZL20rocblas_gemvn_kernelILi64ELi16EidPKddEviiT3_lPKT2_lT1_lS5_lS6_lS2_lPT4_lS6_li,@function
_ZL20rocblas_gemvn_kernelILi64ELi16EidPKddEviiT3_lPKT2_lT1_lS5_lS6_lS2_lPT4_lS6_li: ; @_ZL20rocblas_gemvn_kernelILi64ELi16EidPKddEviiT3_lPKT2_lT1_lS5_lS6_lS2_lPT4_lS6_li
; %bb.0:
	s_load_b64 s[2:3], s[0:1], 0x9c
	s_waitcnt lgkmcnt(0)
	s_lshr_b32 s4, s2, 16
	s_and_b32 s2, s2, 0xffff
	s_and_b32 s3, s3, 0xffff
	s_mul_i32 s2, s4, s2
	s_delay_alu instid0(SALU_CYCLE_1) | instskip(NEXT) | instid1(SALU_CYCLE_1)
	s_mul_i32 s2, s2, s3
	s_cmpk_lg_i32 s2, 0x400
	s_cbranch_scc1 .LBB64_50
; %bb.1:
	s_clause 0x1
	s_load_b256 s[16:23], s[0:1], 0x8
	s_load_b256 s[4:11], s[0:1], 0x50
	s_waitcnt lgkmcnt(0)
	s_mul_i32 s3, s15, s19
	s_mul_hi_u32 s12, s15, s18
	s_mul_i32 s2, s15, s18
	s_add_i32 s3, s12, s3
	s_mul_i32 s9, s15, s9
	s_lshl_b64 s[2:3], s[2:3], 3
	s_mul_hi_u32 s12, s15, s8
	s_add_u32 s2, s16, s2
	s_addc_u32 s3, s17, s3
	s_add_i32 s9, s12, s9
	s_mul_i32 s8, s15, s8
	s_delay_alu instid0(SALU_CYCLE_1) | instskip(NEXT) | instid1(SALU_CYCLE_1)
	s_lshl_b64 s[8:9], s[8:9], 3
	s_add_u32 s6, s6, s8
	s_addc_u32 s7, s7, s9
	s_load_b64 s[8:9], s[2:3], 0x0
	s_load_b64 s[6:7], s[6:7], 0x0
	s_waitcnt lgkmcnt(0)
	v_cmp_eq_f64_e64 s2, s[8:9], 0
	v_cmp_eq_f64_e64 s3, s[6:7], 1.0
	s_delay_alu instid0(VALU_DEP_1) | instskip(NEXT) | instid1(SALU_CYCLE_1)
	s_and_b32 s2, s2, s3
	s_and_b32 vcc_lo, exec_lo, s2
	s_cbranch_vccnz .LBB64_50
; %bb.2:
	v_cmp_neq_f64_e64 s17, s[8:9], 0
	s_clause 0x3
	s_load_b64 s[2:3], s[0:1], 0x80
	s_load_b64 s[18:19], s[0:1], 0x70
	s_load_b32 s16, s[0:1], 0x78
	s_load_b64 s[12:13], s[0:1], 0x0
	v_and_b32_e32 v1, 0x3ff, v0
	v_bfe_u32 v0, v0, 10, 10
	s_delay_alu instid0(VALU_DEP_1)
	v_lshl_add_u32 v53, v0, 6, v1
	s_waitcnt lgkmcnt(0)
	s_mul_i32 s3, s15, s3
	s_mul_hi_u32 s24, s15, s2
	s_mul_i32 s2, s15, s2
	s_add_i32 s3, s24, s3
	s_delay_alu instid0(SALU_CYCLE_1) | instskip(NEXT) | instid1(SALU_CYCLE_1)
	s_lshl_b64 s[2:3], s[2:3], 3
	s_add_u32 s10, s10, s2
	s_addc_u32 s11, s11, s3
	s_lshl_b64 s[2:3], s[18:19], 3
	s_delay_alu instid0(SALU_CYCLE_1)
	s_add_u32 s10, s10, s2
	v_cmp_gt_u32_e64 s2, 0x100, v53
	s_addc_u32 s11, s11, s3
	s_and_b32 vcc_lo, exec_lo, s17
	s_mov_b32 s17, 0
	s_cbranch_vccnz .LBB64_9
; %bb.3:
	s_mov_b32 s3, 0
                                        ; implicit-def: $vgpr4_vgpr5
                                        ; implicit-def: $vgpr2_vgpr3
	s_and_saveexec_b32 s18, s2
	s_cbranch_execz .LBB64_10
; %bb.4:
	v_lshl_or_b32 v6, s14, 8, v53
	v_mov_b32_e32 v7, 0
	s_ashr_i32 s25, s12, 31
	s_mov_b32 s24, s12
	s_mov_b32 s2, exec_lo
                                        ; implicit-def: $vgpr4_vgpr5
                                        ; implicit-def: $vgpr2_vgpr3
	s_delay_alu instid0(VALU_DEP_1)
	v_cmpx_gt_i64_e64 s[24:25], v[6:7]
	s_cbranch_execz .LBB64_8
; %bb.5:
	v_cmp_eq_f64_e64 s17, s[6:7], 0
	v_mad_u64_u32 v[2:3], null, s16, v6, 0
	s_ashr_i32 s19, s16, 31
	s_delay_alu instid0(VALU_DEP_1) | instid1(SALU_CYCLE_1)
	v_mad_u64_u32 v[4:5], null, s19, v6, v[3:4]
	s_delay_alu instid0(VALU_DEP_1)
	v_dual_mov_b32 v3, v4 :: v_dual_mov_b32 v4, 0
	v_mov_b32_e32 v5, 0
	s_and_b32 vcc_lo, exec_lo, s17
	s_cbranch_vccnz .LBB64_7
; %bb.6:
	s_delay_alu instid0(VALU_DEP_2) | instskip(NEXT) | instid1(VALU_DEP_1)
	v_lshlrev_b64 v[4:5], 3, v[2:3]
	v_add_co_u32 v4, vcc_lo, s10, v4
	s_delay_alu instid0(VALU_DEP_2)
	v_add_co_ci_u32_e32 v5, vcc_lo, s11, v5, vcc_lo
	global_load_b64 v[4:5], v[4:5], off
	s_waitcnt vmcnt(0)
	v_mul_f64 v[4:5], s[6:7], v[4:5]
.LBB64_7:
	s_mov_b32 s17, exec_lo
.LBB64_8:
	s_or_b32 exec_lo, exec_lo, s2
	s_delay_alu instid0(SALU_CYCLE_1) | instskip(SKIP_1) | instid1(SALU_CYCLE_1)
	s_and_b32 s17, s17, exec_lo
	s_or_b32 exec_lo, exec_lo, s18
	s_and_b32 vcc_lo, exec_lo, s3
	s_cbranch_vccnz .LBB64_11
	s_branch .LBB64_48
.LBB64_9:
                                        ; implicit-def: $vgpr4_vgpr5
                                        ; implicit-def: $vgpr2_vgpr3
	s_cbranch_execnz .LBB64_11
	s_branch .LBB64_48
.LBB64_10:
	s_or_b32 exec_lo, exec_lo, s18
	s_delay_alu instid0(SALU_CYCLE_1)
	s_and_b32 vcc_lo, exec_lo, s3
	s_cbranch_vccz .LBB64_48
.LBB64_11:
	s_clause 0x2
	s_load_b128 s[24:27], s[0:1], 0x30
	s_load_b32 s18, s[0:1], 0x28
	s_load_b64 s[2:3], s[0:1], 0x40
	s_mul_i32 s5, s15, s5
	s_mul_hi_u32 s28, s15, s4
	v_dual_mov_b32 v8, 0 :: v_dual_lshlrev_b32 v55, 2, v0
	s_waitcnt lgkmcnt(0)
	s_mul_i32 s19, s15, s25
	s_mul_hi_u32 s25, s15, s24
	s_mul_i32 s24, s15, s24
	s_add_i32 s25, s25, s19
	s_delay_alu instid0(SALU_CYCLE_1) | instskip(NEXT) | instid1(SALU_CYCLE_1)
	s_lshl_b64 s[24:25], s[24:25], 3
	s_add_u32 s19, s20, s24
	s_addc_u32 s24, s21, s25
	s_lshl_b64 s[20:21], s[22:23], 3
	s_mul_i32 s22, s15, s4
	s_load_b32 s4, s[0:1], 0x48
	s_add_u32 s15, s19, s20
	s_addc_u32 s19, s24, s21
	s_add_i32 s23, s28, s5
	s_delay_alu instid0(SALU_CYCLE_1) | instskip(SKIP_4) | instid1(SALU_CYCLE_1)
	s_lshl_b64 s[0:1], s[22:23], 3
	s_mov_b32 s22, exec_lo
	s_add_u32 s5, s26, s0
	s_addc_u32 s21, s27, s1
	s_lshl_b64 s[0:1], s[2:3], 3
	s_add_u32 s20, s5, s0
	s_addc_u32 s21, s21, s1
	s_lshl_b32 s5, s14, 8
	s_delay_alu instid0(SALU_CYCLE_1) | instskip(SKIP_3) | instid1(VALU_DEP_2)
	v_dual_mov_b32 v9, 0 :: v_dual_add_nc_u32 v54, s5, v1
	s_ashr_i32 s0, s13, 31
	v_mov_b32_e32 v6, v8
	s_lshr_b32 s0, s0, 26
	v_dual_mov_b32 v7, v9 :: v_dual_mov_b32 v4, v8
	v_dual_mov_b32 v5, v9 :: v_dual_mov_b32 v2, v8
	v_mov_b32_e32 v3, v9
	s_add_i32 s0, s13, s0
	s_delay_alu instid0(SALU_CYCLE_1) | instskip(NEXT) | instid1(SALU_CYCLE_1)
	s_and_b32 s14, s0, 0xffffffc0
	v_cmpx_gt_i32_e64 s14, v55
	s_cbranch_execz .LBB64_23
; %bb.12:
	v_mul_lo_u32 v3, s18, v55
	v_dual_mov_b32 v8, 0 :: v_dual_add_nc_u32 v5, 0xc0, v54
	v_dual_mov_b32 v9, 0 :: v_dual_add_nc_u32 v2, 64, v54
	v_add_nc_u32_e32 v4, 0x80, v54
	s_delay_alu instid0(VALU_DEP_3)
	v_cmp_gt_i32_e64 s2, s12, v5
	s_waitcnt lgkmcnt(0)
	v_mul_lo_u32 v5, v0, s4
	v_cmp_gt_i32_e64 s0, s12, v2
	v_add_nc_u32_e32 v2, 2, v55
	v_mov_b32_e32 v6, v8
	v_add3_u32 v56, v3, s18, v1
	v_mul_lo_u32 v3, v0, s18
	v_mov_b32_e32 v7, v9
	v_cmp_gt_i32_e64 s1, s12, v4
	v_add_nc_u32_e32 v4, 3, v55
	v_mad_u64_u32 v[10:11], null, s18, v2, v[1:2]
	v_lshlrev_b32_e32 v60, 2, v5
	v_cmp_gt_i32_e32 vcc_lo, s12, v54
	s_delay_alu instid0(VALU_DEP_4)
	v_mad_u64_u32 v[11:12], null, s18, v4, v[1:2]
	v_mul_lo_u32 v59, s4, v4
	v_mov_b32_e32 v4, v8
	v_mad_u64_u32 v[12:13], null, s4, v55, s[4:5]
	v_mov_b32_e32 v5, v9
	v_mul_lo_u32 v58, s4, v2
	v_lshl_add_u32 v57, v3, 2, v1
	v_dual_mov_b32 v2, v8 :: v_dual_mov_b32 v3, v9
	s_lshl_b32 s23, s18, 6
	s_lshl_b32 s25, s4, 6
	s_mov_b32 s24, 0
	s_mov_b32 s26, 0
	s_branch .LBB64_17
.LBB64_13:                              ;   in Loop: Header=BB64_17 Depth=1
	s_or_b32 exec_lo, exec_lo, s29
	s_waitcnt vmcnt(3)
	v_fma_f64 v[4:5], v[13:14], v[45:46], v[4:5]
	s_waitcnt vmcnt(2)
	s_delay_alu instid0(VALU_DEP_1) | instskip(SKIP_1) | instid1(VALU_DEP_1)
	v_fma_f64 v[4:5], v[15:16], v[47:48], v[4:5]
	s_waitcnt vmcnt(1)
	v_fma_f64 v[4:5], v[17:18], v[49:50], v[4:5]
	s_waitcnt vmcnt(0)
	s_delay_alu instid0(VALU_DEP_1)
	v_fma_f64 v[4:5], v[19:20], v[51:52], v[4:5]
.LBB64_14:                              ;   in Loop: Header=BB64_17 Depth=1
	s_or_b32 exec_lo, exec_lo, s28
	s_waitcnt vmcnt(3)
	v_fma_f64 v[6:7], v[13:14], v[37:38], v[6:7]
	s_waitcnt vmcnt(2)
	s_delay_alu instid0(VALU_DEP_1) | instskip(SKIP_1) | instid1(VALU_DEP_1)
	v_fma_f64 v[6:7], v[15:16], v[39:40], v[6:7]
	s_waitcnt vmcnt(1)
	v_fma_f64 v[6:7], v[17:18], v[41:42], v[6:7]
	s_waitcnt vmcnt(0)
	s_delay_alu instid0(VALU_DEP_1)
	v_fma_f64 v[6:7], v[19:20], v[43:44], v[6:7]
.LBB64_15:                              ;   in Loop: Header=BB64_17 Depth=1
	s_or_b32 exec_lo, exec_lo, s3
	s_waitcnt vmcnt(3)
	v_fma_f64 v[8:9], v[13:14], v[21:22], v[8:9]
	s_waitcnt vmcnt(2)
	s_delay_alu instid0(VALU_DEP_1) | instskip(SKIP_1) | instid1(VALU_DEP_1)
	v_fma_f64 v[8:9], v[15:16], v[23:24], v[8:9]
	s_waitcnt vmcnt(1)
	v_fma_f64 v[8:9], v[17:18], v[25:26], v[8:9]
	s_waitcnt vmcnt(0)
	s_delay_alu instid0(VALU_DEP_1)
	v_fma_f64 v[8:9], v[19:20], v[27:28], v[8:9]
.LBB64_16:                              ;   in Loop: Header=BB64_17 Depth=1
	s_or_b32 exec_lo, exec_lo, s27
	v_add_nc_u32_e32 v55, 64, v55
	v_add_nc_u32_e32 v56, s23, v56
	v_add_nc_u32_e32 v10, s23, v10
	v_add_nc_u32_e32 v11, s23, v11
	v_add_nc_u32_e32 v57, s23, v57
	v_cmp_le_i32_e64 s3, s14, v55
	s_add_i32 s26, s26, s25
	s_delay_alu instid0(VALU_DEP_1) | instskip(NEXT) | instid1(SALU_CYCLE_1)
	s_or_b32 s24, s3, s24
	s_and_not1_b32 exec_lo, exec_lo, s24
	s_cbranch_execz .LBB64_22
.LBB64_17:                              ; =>This Inner Loop Header: Depth=1
	s_and_saveexec_b32 s27, vcc_lo
	s_cbranch_execz .LBB64_16
; %bb.18:                               ;   in Loop: Header=BB64_17 Depth=1
	v_add_nc_u32_e32 v13, s26, v60
	v_add_nc_u32_e32 v15, s26, v12
	;; [unrolled: 1-line block ×5, first 2 shown]
	v_ashrrev_i32_e32 v14, 31, v13
	v_ashrrev_i32_e32 v16, 31, v15
	;; [unrolled: 1-line block ×4, first 2 shown]
	v_add_nc_u32_e32 v23, s5, v56
	v_lshlrev_b64 v[13:14], 3, v[13:14]
	v_lshlrev_b64 v[15:16], 3, v[15:16]
	;; [unrolled: 1-line block ×3, first 2 shown]
	v_ashrrev_i32_e32 v22, 31, v21
	v_lshlrev_b64 v[19:20], 3, v[19:20]
	v_ashrrev_i32_e32 v24, 31, v23
	v_add_co_u32 v13, s3, s20, v13
	s_delay_alu instid0(VALU_DEP_1)
	v_add_co_ci_u32_e64 v14, s3, s21, v14, s3
	v_add_co_u32 v15, s3, s20, v15
	v_add_nc_u32_e32 v25, s5, v10
	v_add_co_ci_u32_e64 v16, s3, s21, v16, s3
	v_add_co_u32 v17, s3, s20, v17
	v_lshlrev_b64 v[21:22], 3, v[21:22]
	v_add_nc_u32_e32 v27, s5, v11
	v_add_co_ci_u32_e64 v18, s3, s21, v18, s3
	v_add_co_u32 v19, s3, s20, v19
	v_lshlrev_b64 v[23:24], 3, v[23:24]
	v_ashrrev_i32_e32 v26, 31, v25
	v_add_co_ci_u32_e64 v20, s3, s21, v20, s3
	v_add_co_u32 v29, s3, s15, v21
	v_ashrrev_i32_e32 v28, 31, v27
	v_add_co_ci_u32_e64 v30, s3, s19, v22, s3
	v_lshlrev_b64 v[21:22], 3, v[25:26]
	v_add_co_u32 v31, s3, s15, v23
	s_delay_alu instid0(VALU_DEP_1) | instskip(SKIP_1) | instid1(VALU_DEP_4)
	v_add_co_ci_u32_e64 v32, s3, s19, v24, s3
	v_lshlrev_b64 v[23:24], 3, v[27:28]
	v_add_co_u32 v33, s3, s15, v21
	s_delay_alu instid0(VALU_DEP_1) | instskip(NEXT) | instid1(VALU_DEP_3)
	v_add_co_ci_u32_e64 v34, s3, s19, v22, s3
	v_add_co_u32 v35, s3, s15, v23
	s_delay_alu instid0(VALU_DEP_1)
	v_add_co_ci_u32_e64 v36, s3, s19, v24, s3
	s_clause 0x3
	global_load_b64 v[13:14], v[13:14], off
	global_load_b64 v[15:16], v[15:16], off
	;; [unrolled: 1-line block ×4, first 2 shown]
	s_clause 0x3
	global_load_b64 v[21:22], v[29:30], off
	global_load_b64 v[23:24], v[31:32], off
	;; [unrolled: 1-line block ×4, first 2 shown]
	s_and_saveexec_b32 s3, s0
	s_cbranch_execz .LBB64_15
; %bb.19:                               ;   in Loop: Header=BB64_17 Depth=1
	s_clause 0x3
	global_load_b64 v[37:38], v[29:30], off offset:512
	global_load_b64 v[39:40], v[31:32], off offset:512
	global_load_b64 v[41:42], v[33:34], off offset:512
	global_load_b64 v[43:44], v[35:36], off offset:512
	s_and_saveexec_b32 s28, s1
	s_cbranch_execz .LBB64_14
; %bb.20:                               ;   in Loop: Header=BB64_17 Depth=1
	s_clause 0x3
	global_load_b64 v[45:46], v[29:30], off offset:1024
	global_load_b64 v[47:48], v[31:32], off offset:1024
	global_load_b64 v[49:50], v[33:34], off offset:1024
	global_load_b64 v[51:52], v[35:36], off offset:1024
	;; [unrolled: 8-line block ×3, first 2 shown]
	s_waitcnt vmcnt(3)
	v_fma_f64 v[2:3], v[13:14], v[29:30], v[2:3]
	s_waitcnt vmcnt(2)
	s_delay_alu instid0(VALU_DEP_1) | instskip(SKIP_1) | instid1(VALU_DEP_1)
	v_fma_f64 v[2:3], v[15:16], v[31:32], v[2:3]
	s_waitcnt vmcnt(1)
	v_fma_f64 v[2:3], v[17:18], v[33:34], v[2:3]
	s_waitcnt vmcnt(0)
	s_delay_alu instid0(VALU_DEP_1)
	v_fma_f64 v[2:3], v[19:20], v[35:36], v[2:3]
	s_branch .LBB64_13
.LBB64_22:
	s_or_b32 exec_lo, exec_lo, s24
.LBB64_23:
	s_delay_alu instid0(SALU_CYCLE_1) | instskip(SKIP_1) | instid1(SALU_CYCLE_1)
	s_or_b32 exec_lo, exec_lo, s22
	s_sub_i32 s0, s13, s14
	s_cmp_lt_i32 s0, 1
	s_cbranch_scc1 .LBB64_41
; %bb.24:
	v_mov_b32_e32 v14, 0
	v_mov_b32_e32 v15, 0
	v_cmp_gt_i32_e32 vcc_lo, s13, v55
	v_or_b32_e32 v20, 1, v55
	s_delay_alu instid0(VALU_DEP_4) | instskip(NEXT) | instid1(VALU_DEP_4)
	v_mov_b32_e32 v12, v14
	v_dual_mov_b32 v10, v14 :: v_dual_mov_b32 v11, v15
	v_dual_mov_b32 v17, v15 :: v_dual_mov_b32 v16, v14
	v_mov_b32_e32 v13, v15
	s_and_saveexec_b32 s1, vcc_lo
	s_cbranch_execz .LBB64_32
; %bb.25:
	s_waitcnt lgkmcnt(0)
	v_mul_lo_u32 v10, v55, s4
	v_mov_b32_e32 v12, 0
	v_mov_b32_e32 v13, 0
	s_mov_b32 s2, exec_lo
	s_delay_alu instid0(VALU_DEP_1) | instskip(NEXT) | instid1(VALU_DEP_4)
	v_dual_mov_b32 v17, v13 :: v_dual_mov_b32 v16, v12
	v_ashrrev_i32_e32 v11, 31, v10
	v_dual_mov_b32 v15, v13 :: v_dual_mov_b32 v14, v12
	s_delay_alu instid0(VALU_DEP_2) | instskip(NEXT) | instid1(VALU_DEP_1)
	v_lshlrev_b64 v[10:11], 3, v[10:11]
	v_add_co_u32 v10, s0, s20, v10
	s_delay_alu instid0(VALU_DEP_1)
	v_add_co_ci_u32_e64 v11, s0, s21, v11, s0
	global_load_b64 v[10:11], v[10:11], off
	v_cmpx_gt_i32_e64 s13, v20
	s_cbranch_execz .LBB64_31
; %bb.26:
	v_mul_lo_u32 v12, v20, s4
	v_mov_b32_e32 v16, 0
	v_mov_b32_e32 v17, 0
	v_or_b32_e32 v18, 2, v55
	s_delay_alu instid0(VALU_DEP_3) | instskip(SKIP_1) | instid1(VALU_DEP_3)
	v_mov_b32_e32 v14, v16
	s_mov_b32 s3, exec_lo
	v_mov_b32_e32 v15, v17
	v_ashrrev_i32_e32 v13, 31, v12
	s_delay_alu instid0(VALU_DEP_1) | instskip(NEXT) | instid1(VALU_DEP_1)
	v_lshlrev_b64 v[12:13], 3, v[12:13]
	v_add_co_u32 v12, s0, s20, v12
	s_delay_alu instid0(VALU_DEP_1)
	v_add_co_ci_u32_e64 v13, s0, s21, v13, s0
	global_load_b64 v[12:13], v[12:13], off
	v_cmpx_gt_i32_e64 s13, v18
	s_cbranch_execz .LBB64_30
; %bb.27:
	v_mul_lo_u32 v14, v18, s4
	v_or_b32_e32 v18, 3, v55
	s_mov_b32 s14, exec_lo
	s_delay_alu instid0(VALU_DEP_2) | instskip(NEXT) | instid1(VALU_DEP_1)
	v_ashrrev_i32_e32 v15, 31, v14
	v_lshlrev_b64 v[14:15], 3, v[14:15]
	s_delay_alu instid0(VALU_DEP_1) | instskip(NEXT) | instid1(VALU_DEP_1)
	v_add_co_u32 v14, s0, s20, v14
	v_add_co_ci_u32_e64 v15, s0, s21, v15, s0
	global_load_b64 v[16:17], v[14:15], off
	v_mov_b32_e32 v14, 0
	v_mov_b32_e32 v15, 0
	v_cmpx_gt_i32_e64 s13, v18
	s_cbranch_execz .LBB64_29
; %bb.28:
	v_mul_lo_u32 v14, v18, s4
	s_delay_alu instid0(VALU_DEP_1) | instskip(NEXT) | instid1(VALU_DEP_1)
	v_ashrrev_i32_e32 v15, 31, v14
	v_lshlrev_b64 v[14:15], 3, v[14:15]
	s_delay_alu instid0(VALU_DEP_1) | instskip(NEXT) | instid1(VALU_DEP_1)
	v_add_co_u32 v14, s0, s20, v14
	v_add_co_ci_u32_e64 v15, s0, s21, v15, s0
	global_load_b64 v[14:15], v[14:15], off
.LBB64_29:
	s_or_b32 exec_lo, exec_lo, s14
.LBB64_30:
	s_delay_alu instid0(SALU_CYCLE_1)
	s_or_b32 exec_lo, exec_lo, s3
.LBB64_31:
	s_delay_alu instid0(SALU_CYCLE_1)
	s_or_b32 exec_lo, exec_lo, s2
.LBB64_32:
	s_delay_alu instid0(SALU_CYCLE_1) | instskip(NEXT) | instid1(SALU_CYCLE_1)
	s_or_b32 exec_lo, exec_lo, s1
	s_mov_b32 s1, exec_lo
	v_cmpx_gt_i32_e64 s12, v54
	s_cbranch_execz .LBB64_40
; %bb.33:
	v_mul_lo_u32 v18, v55, s18
	v_mul_lo_u32 v21, v20, s18
	v_or_b32_e32 v22, 2, v55
	s_mov_b32 s0, exec_lo
	s_delay_alu instid0(VALU_DEP_1) | instskip(NEXT) | instid1(VALU_DEP_4)
	v_mul_lo_u32 v23, v22, s18
	v_cndmask_b32_e32 v18, 0, v18, vcc_lo
	s_delay_alu instid0(VALU_DEP_1) | instskip(NEXT) | instid1(VALU_DEP_1)
	v_add_nc_u32_e32 v18, v18, v54
	v_ashrrev_i32_e32 v19, 31, v18
	s_delay_alu instid0(VALU_DEP_1) | instskip(NEXT) | instid1(VALU_DEP_1)
	v_lshlrev_b64 v[18:19], 3, v[18:19]
	v_add_co_u32 v18, vcc_lo, s15, v18
	s_delay_alu instid0(VALU_DEP_2) | instskip(SKIP_3) | instid1(VALU_DEP_1)
	v_add_co_ci_u32_e32 v19, vcc_lo, s19, v19, vcc_lo
	v_cmp_gt_i32_e32 vcc_lo, s13, v20
	global_load_b64 v[28:29], v[18:19], off
	v_cndmask_b32_e32 v20, 0, v21, vcc_lo
	v_add_nc_u32_e32 v20, v20, v54
	s_delay_alu instid0(VALU_DEP_1) | instskip(NEXT) | instid1(VALU_DEP_1)
	v_ashrrev_i32_e32 v21, 31, v20
	v_lshlrev_b64 v[20:21], 3, v[20:21]
	s_delay_alu instid0(VALU_DEP_1) | instskip(NEXT) | instid1(VALU_DEP_2)
	v_add_co_u32 v20, vcc_lo, s15, v20
	v_add_co_ci_u32_e32 v21, vcc_lo, s19, v21, vcc_lo
	v_cmp_gt_i32_e32 vcc_lo, s13, v22
	global_load_b64 v[30:31], v[20:21], off
	v_cndmask_b32_e32 v22, 0, v23, vcc_lo
	s_delay_alu instid0(VALU_DEP_1) | instskip(NEXT) | instid1(VALU_DEP_1)
	v_add_nc_u32_e32 v22, v22, v54
	v_ashrrev_i32_e32 v23, 31, v22
	s_delay_alu instid0(VALU_DEP_1) | instskip(NEXT) | instid1(VALU_DEP_1)
	v_lshlrev_b64 v[22:23], 3, v[22:23]
	v_add_co_u32 v24, vcc_lo, s15, v22
	s_delay_alu instid0(VALU_DEP_2) | instskip(SKIP_4) | instid1(VALU_DEP_2)
	v_add_co_ci_u32_e32 v25, vcc_lo, s19, v23, vcc_lo
	v_or_b32_e32 v22, 3, v55
	global_load_b64 v[32:33], v[24:25], off
	v_mul_lo_u32 v23, v22, s18
	v_cmp_gt_i32_e32 vcc_lo, s13, v22
	v_cndmask_b32_e32 v22, 0, v23, vcc_lo
	s_delay_alu instid0(VALU_DEP_1) | instskip(NEXT) | instid1(VALU_DEP_1)
	v_add_nc_u32_e32 v22, v22, v54
	v_ashrrev_i32_e32 v23, 31, v22
	s_delay_alu instid0(VALU_DEP_1) | instskip(NEXT) | instid1(VALU_DEP_1)
	v_lshlrev_b64 v[22:23], 3, v[22:23]
	v_add_co_u32 v26, vcc_lo, s15, v22
	s_delay_alu instid0(VALU_DEP_2)
	v_add_co_ci_u32_e32 v27, vcc_lo, s19, v23, vcc_lo
	global_load_b64 v[22:23], v[26:27], off
	s_waitcnt vmcnt(3)
	v_fma_f64 v[8:9], v[10:11], v[28:29], v[8:9]
	v_add_nc_u32_e32 v28, 64, v54
	s_waitcnt vmcnt(2)
	s_delay_alu instid0(VALU_DEP_2) | instskip(SKIP_1) | instid1(VALU_DEP_1)
	v_fma_f64 v[8:9], v[12:13], v[30:31], v[8:9]
	s_waitcnt vmcnt(1)
	v_fma_f64 v[8:9], v[16:17], v[32:33], v[8:9]
	v_cmpx_gt_i32_e64 s12, v28
	s_cbranch_execz .LBB64_39
; %bb.34:
	s_clause 0x3
	global_load_b64 v[30:31], v[18:19], off offset:512
	global_load_b64 v[32:33], v[20:21], off offset:512
	;; [unrolled: 1-line block ×4, first 2 shown]
	s_mov_b32 s2, exec_lo
	s_waitcnt vmcnt(3)
	v_fma_f64 v[6:7], v[10:11], v[30:31], v[6:7]
	v_add_nc_u32_e32 v30, 0x80, v54
	s_waitcnt vmcnt(2)
	s_delay_alu instid0(VALU_DEP_2) | instskip(SKIP_1) | instid1(VALU_DEP_1)
	v_fma_f64 v[6:7], v[12:13], v[32:33], v[6:7]
	s_waitcnt vmcnt(1)
	v_fma_f64 v[6:7], v[16:17], v[34:35], v[6:7]
	v_cmpx_gt_i32_e64 s12, v30
	s_cbranch_execz .LBB64_38
; %bb.35:
	s_clause 0x3
	global_load_b64 v[32:33], v[18:19], off offset:1024
	global_load_b64 v[34:35], v[20:21], off offset:1024
	;; [unrolled: 1-line block ×4, first 2 shown]
	s_mov_b32 s3, exec_lo
	s_waitcnt vmcnt(3)
	v_fma_f64 v[4:5], v[10:11], v[32:33], v[4:5]
	v_add_nc_u32_e32 v32, 0xc0, v54
	s_waitcnt vmcnt(2)
	s_delay_alu instid0(VALU_DEP_2) | instskip(SKIP_1) | instid1(VALU_DEP_1)
	v_fma_f64 v[4:5], v[12:13], v[34:35], v[4:5]
	s_waitcnt vmcnt(1)
	v_fma_f64 v[4:5], v[16:17], v[36:37], v[4:5]
	v_cmpx_gt_i32_e64 s12, v32
	s_cbranch_execz .LBB64_37
; %bb.36:
	s_clause 0x3
	global_load_b64 v[18:19], v[18:19], off offset:1536
	global_load_b64 v[20:21], v[20:21], off offset:1536
	;; [unrolled: 1-line block ×4, first 2 shown]
	s_waitcnt vmcnt(3)
	v_fma_f64 v[2:3], v[10:11], v[18:19], v[2:3]
	s_waitcnt vmcnt(2)
	s_delay_alu instid0(VALU_DEP_1) | instskip(SKIP_1) | instid1(VALU_DEP_1)
	v_fma_f64 v[2:3], v[12:13], v[20:21], v[2:3]
	s_waitcnt vmcnt(1)
	v_fma_f64 v[2:3], v[16:17], v[24:25], v[2:3]
	s_waitcnt vmcnt(0)
	s_delay_alu instid0(VALU_DEP_1)
	v_fma_f64 v[2:3], v[14:15], v[26:27], v[2:3]
.LBB64_37:
	s_or_b32 exec_lo, exec_lo, s3
	s_waitcnt vmcnt(0)
	s_delay_alu instid0(VALU_DEP_2)
	v_fma_f64 v[4:5], v[14:15], v[30:31], v[4:5]
.LBB64_38:
	s_or_b32 exec_lo, exec_lo, s2
	s_waitcnt vmcnt(0)
	s_delay_alu instid0(VALU_DEP_2)
	v_fma_f64 v[6:7], v[14:15], v[28:29], v[6:7]
.LBB64_39:
	s_or_b32 exec_lo, exec_lo, s0
	s_waitcnt vmcnt(0)
	s_delay_alu instid0(VALU_DEP_2)
	v_fma_f64 v[8:9], v[14:15], v[22:23], v[8:9]
.LBB64_40:
	s_or_b32 exec_lo, exec_lo, s1
.LBB64_41:
	v_lshlrev_b32_e32 v0, 8, v0
	s_mov_b32 s0, exec_lo
	s_delay_alu instid0(VALU_DEP_1)
	v_add_lshl_u32 v0, v0, v1, 3
	ds_store_2addr_stride64_b64 v0, v[8:9], v[6:7] offset1:1
	ds_store_2addr_stride64_b64 v0, v[4:5], v[2:3] offset0:2 offset1:3
	s_waitcnt vmcnt(0) lgkmcnt(0)
	s_barrier
	buffer_gl0_inv
                                        ; implicit-def: $vgpr4_vgpr5
                                        ; implicit-def: $vgpr2_vgpr3
	v_cmpx_gt_u32_e32 0x100, v53
	s_cbranch_execz .LBB64_47
; %bb.42:
	v_lshlrev_b32_e32 v7, 3, v53
	v_or_b32_e32 v6, s5, v53
	s_mov_b32 s2, s17
	s_mov_b32 s1, exec_lo
	ds_load_2addr_stride64_b64 v[0:3], v7 offset1:4
	s_waitcnt lgkmcnt(0)
	v_add_f64 v[4:5], v[0:1], v[2:3]
	ds_load_2addr_stride64_b64 v[0:3], v7 offset0:8 offset1:12
	s_waitcnt lgkmcnt(0)
	v_add_f64 v[0:1], v[0:1], v[4:5]
	s_delay_alu instid0(VALU_DEP_1) | instskip(SKIP_3) | instid1(VALU_DEP_1)
	v_add_f64 v[4:5], v[2:3], v[0:1]
	ds_load_2addr_stride64_b64 v[0:3], v7 offset0:16 offset1:20
	s_waitcnt lgkmcnt(0)
	v_add_f64 v[0:1], v[0:1], v[4:5]
	v_add_f64 v[4:5], v[2:3], v[0:1]
	ds_load_2addr_stride64_b64 v[0:3], v7 offset0:24 offset1:28
	s_waitcnt lgkmcnt(0)
	v_add_f64 v[0:1], v[0:1], v[4:5]
	s_delay_alu instid0(VALU_DEP_1) | instskip(SKIP_3) | instid1(VALU_DEP_1)
	v_add_f64 v[4:5], v[2:3], v[0:1]
	ds_load_2addr_stride64_b64 v[0:3], v7 offset0:32 offset1:36
	s_waitcnt lgkmcnt(0)
	v_add_f64 v[0:1], v[0:1], v[4:5]
	;; [unrolled: 9-line block ×3, first 2 shown]
	v_add_f64 v[4:5], v[2:3], v[0:1]
	ds_load_2addr_stride64_b64 v[0:3], v7 offset0:56 offset1:60
	s_waitcnt lgkmcnt(0)
	v_add_f64 v[0:1], v[0:1], v[4:5]
                                        ; implicit-def: $vgpr4_vgpr5
	s_delay_alu instid0(VALU_DEP_1)
	v_add_f64 v[0:1], v[2:3], v[0:1]
                                        ; implicit-def: $vgpr2_vgpr3
	ds_store_b64 v7, v[0:1]
	v_cmpx_gt_i32_e64 s12, v6
	s_cbranch_execz .LBB64_46
; %bb.43:
	v_cmp_eq_f64_e64 s2, s[6:7], 0
	v_mul_f64 v[4:5], s[8:9], v[0:1]
	v_mul_lo_u32 v2, v6, s16
	s_delay_alu instid0(VALU_DEP_1) | instskip(NEXT) | instid1(VALU_DEP_4)
	v_ashrrev_i32_e32 v3, 31, v2
	s_and_b32 vcc_lo, exec_lo, s2
	s_cbranch_vccnz .LBB64_45
; %bb.44:
	s_delay_alu instid0(VALU_DEP_1) | instskip(NEXT) | instid1(VALU_DEP_1)
	v_lshlrev_b64 v[0:1], 3, v[2:3]
	v_add_co_u32 v0, vcc_lo, s10, v0
	s_delay_alu instid0(VALU_DEP_2)
	v_add_co_ci_u32_e32 v1, vcc_lo, s11, v1, vcc_lo
	global_load_b64 v[0:1], v[0:1], off
	s_waitcnt vmcnt(0)
	v_fma_f64 v[4:5], s[6:7], v[0:1], v[4:5]
.LBB64_45:
	s_or_b32 s2, s17, exec_lo
.LBB64_46:
	s_or_b32 exec_lo, exec_lo, s1
	s_delay_alu instid0(SALU_CYCLE_1) | instskip(SKIP_1) | instid1(SALU_CYCLE_1)
	s_and_not1_b32 s1, s17, exec_lo
	s_and_b32 s2, s2, exec_lo
	s_or_b32 s17, s1, s2
.LBB64_47:
	s_or_b32 exec_lo, exec_lo, s0
.LBB64_48:
	s_and_saveexec_b32 s0, s17
	s_cbranch_execz .LBB64_50
; %bb.49:
	v_lshlrev_b64 v[0:1], 3, v[2:3]
	s_delay_alu instid0(VALU_DEP_1) | instskip(NEXT) | instid1(VALU_DEP_2)
	v_add_co_u32 v0, vcc_lo, s10, v0
	v_add_co_ci_u32_e32 v1, vcc_lo, s11, v1, vcc_lo
	global_store_b64 v[0:1], v[4:5], off
.LBB64_50:
	s_nop 0
	s_sendmsg sendmsg(MSG_DEALLOC_VGPRS)
	s_endpgm
	.section	.rodata,"a",@progbits
	.p2align	6, 0x0
	.amdhsa_kernel _ZL20rocblas_gemvn_kernelILi64ELi16EidPKddEviiT3_lPKT2_lT1_lS5_lS6_lS2_lPT4_lS6_li
		.amdhsa_group_segment_fixed_size 32768
		.amdhsa_private_segment_fixed_size 0
		.amdhsa_kernarg_size 400
		.amdhsa_user_sgpr_count 14
		.amdhsa_user_sgpr_dispatch_ptr 0
		.amdhsa_user_sgpr_queue_ptr 0
		.amdhsa_user_sgpr_kernarg_segment_ptr 1
		.amdhsa_user_sgpr_dispatch_id 0
		.amdhsa_user_sgpr_private_segment_size 0
		.amdhsa_wavefront_size32 1
		.amdhsa_uses_dynamic_stack 0
		.amdhsa_enable_private_segment 0
		.amdhsa_system_sgpr_workgroup_id_x 1
		.amdhsa_system_sgpr_workgroup_id_y 0
		.amdhsa_system_sgpr_workgroup_id_z 1
		.amdhsa_system_sgpr_workgroup_info 0
		.amdhsa_system_vgpr_workitem_id 1
		.amdhsa_next_free_vgpr 61
		.amdhsa_next_free_sgpr 30
		.amdhsa_reserve_vcc 1
		.amdhsa_float_round_mode_32 0
		.amdhsa_float_round_mode_16_64 0
		.amdhsa_float_denorm_mode_32 3
		.amdhsa_float_denorm_mode_16_64 3
		.amdhsa_dx10_clamp 1
		.amdhsa_ieee_mode 1
		.amdhsa_fp16_overflow 0
		.amdhsa_workgroup_processor_mode 1
		.amdhsa_memory_ordered 1
		.amdhsa_forward_progress 0
		.amdhsa_shared_vgpr_count 0
		.amdhsa_exception_fp_ieee_invalid_op 0
		.amdhsa_exception_fp_denorm_src 0
		.amdhsa_exception_fp_ieee_div_zero 0
		.amdhsa_exception_fp_ieee_overflow 0
		.amdhsa_exception_fp_ieee_underflow 0
		.amdhsa_exception_fp_ieee_inexact 0
		.amdhsa_exception_int_div_zero 0
	.end_amdhsa_kernel
	.section	.text._ZL20rocblas_gemvn_kernelILi64ELi16EidPKddEviiT3_lPKT2_lT1_lS5_lS6_lS2_lPT4_lS6_li,"axG",@progbits,_ZL20rocblas_gemvn_kernelILi64ELi16EidPKddEviiT3_lPKT2_lT1_lS5_lS6_lS2_lPT4_lS6_li,comdat
.Lfunc_end64:
	.size	_ZL20rocblas_gemvn_kernelILi64ELi16EidPKddEviiT3_lPKT2_lT1_lS5_lS6_lS2_lPT4_lS6_li, .Lfunc_end64-_ZL20rocblas_gemvn_kernelILi64ELi16EidPKddEviiT3_lPKT2_lT1_lS5_lS6_lS2_lPT4_lS6_li
                                        ; -- End function
	.section	.AMDGPU.csdata,"",@progbits
; Kernel info:
; codeLenInByte = 3364
; NumSgprs: 32
; NumVgprs: 61
; ScratchSize: 0
; MemoryBound: 0
; FloatMode: 240
; IeeeMode: 1
; LDSByteSize: 32768 bytes/workgroup (compile time only)
; SGPRBlocks: 3
; VGPRBlocks: 7
; NumSGPRsForWavesPerEU: 32
; NumVGPRsForWavesPerEU: 61
; Occupancy: 16
; WaveLimiterHint : 1
; COMPUTE_PGM_RSRC2:SCRATCH_EN: 0
; COMPUTE_PGM_RSRC2:USER_SGPR: 14
; COMPUTE_PGM_RSRC2:TRAP_HANDLER: 0
; COMPUTE_PGM_RSRC2:TGID_X_EN: 1
; COMPUTE_PGM_RSRC2:TGID_Y_EN: 0
; COMPUTE_PGM_RSRC2:TGID_Z_EN: 1
; COMPUTE_PGM_RSRC2:TIDIG_COMP_CNT: 1
	.section	.text._ZL20rocblas_gemvn_kernelILi64ELi16EldPKddEviiT3_lPKT2_lT1_lS5_lS6_lS2_lPT4_lS6_li,"axG",@progbits,_ZL20rocblas_gemvn_kernelILi64ELi16EldPKddEviiT3_lPKT2_lT1_lS5_lS6_lS2_lPT4_lS6_li,comdat
	.globl	_ZL20rocblas_gemvn_kernelILi64ELi16EldPKddEviiT3_lPKT2_lT1_lS5_lS6_lS2_lPT4_lS6_li ; -- Begin function _ZL20rocblas_gemvn_kernelILi64ELi16EldPKddEviiT3_lPKT2_lT1_lS5_lS6_lS2_lPT4_lS6_li
	.p2align	8
	.type	_ZL20rocblas_gemvn_kernelILi64ELi16EldPKddEviiT3_lPKT2_lT1_lS5_lS6_lS2_lPT4_lS6_li,@function
_ZL20rocblas_gemvn_kernelILi64ELi16EldPKddEviiT3_lPKT2_lT1_lS5_lS6_lS2_lPT4_lS6_li: ; @_ZL20rocblas_gemvn_kernelILi64ELi16EldPKddEviiT3_lPKT2_lT1_lS5_lS6_lS2_lPT4_lS6_li
; %bb.0:
	s_load_b64 s[2:3], s[0:1], 0x9c
	s_waitcnt lgkmcnt(0)
	s_lshr_b32 s4, s2, 16
	s_and_b32 s2, s2, 0xffff
	s_and_b32 s3, s3, 0xffff
	s_mul_i32 s2, s4, s2
	s_delay_alu instid0(SALU_CYCLE_1) | instskip(NEXT) | instid1(SALU_CYCLE_1)
	s_mul_i32 s2, s2, s3
	s_cmpk_lg_i32 s2, 0x400
	s_cbranch_scc1 .LBB65_50
; %bb.1:
	s_clause 0x1
	s_load_b512 s[36:51], s[0:1], 0x8
	s_load_b512 s[16:31], s[0:1], 0x48
	s_waitcnt lgkmcnt(0)
	s_mul_i32 s3, s15, s39
	s_mul_hi_u32 s4, s15, s38
	s_mul_i32 s2, s15, s38
	s_add_i32 s3, s4, s3
	s_mul_i32 s4, s15, s23
	s_lshl_b64 s[2:3], s[2:3], 3
	s_mul_hi_u32 s5, s15, s22
	s_add_u32 s2, s36, s2
	s_addc_u32 s3, s37, s3
	s_add_i32 s5, s5, s4
	s_mul_i32 s4, s15, s22
	s_delay_alu instid0(SALU_CYCLE_1) | instskip(NEXT) | instid1(SALU_CYCLE_1)
	s_lshl_b64 s[4:5], s[4:5], 3
	s_add_u32 s4, s20, s4
	s_addc_u32 s5, s21, s5
	s_load_b64 s[8:9], s[2:3], 0x0
	s_load_b64 s[6:7], s[4:5], 0x0
	s_waitcnt lgkmcnt(0)
	v_cmp_eq_f64_e64 s2, s[8:9], 0
	v_cmp_eq_f64_e64 s3, s[6:7], 1.0
	s_delay_alu instid0(VALU_DEP_1) | instskip(NEXT) | instid1(SALU_CYCLE_1)
	s_and_b32 s2, s2, s3
	s_and_b32 vcc_lo, exec_lo, s2
	s_cbranch_vccnz .LBB65_50
; %bb.2:
	v_cmp_neq_f64_e64 s2, s[8:9], 0
	s_load_b64 s[10:11], s[0:1], 0x0
	v_and_b32_e32 v53, 0x3ff, v0
	v_bfe_u32 v54, v0, 10, 10
	s_mul_i32 s1, s15, s31
	s_mul_hi_u32 s3, s15, s30
	s_mul_i32 s0, s15, s30
	s_add_i32 s1, s3, s1
	v_lshl_add_u32 v52, v54, 6, v53
	s_lshl_b64 s[0:1], s[0:1], 3
	s_delay_alu instid0(SALU_CYCLE_1)
	s_add_u32 s3, s24, s0
	s_addc_u32 s4, s25, s1
	s_lshl_b64 s[0:1], s[26:27], 3
	s_mov_b32 s25, 0
	s_add_u32 s5, s3, s0
	v_cmp_gt_u32_e64 s0, 0x100, v52
	s_addc_u32 s24, s4, s1
	s_and_b32 vcc_lo, exec_lo, s2
	s_cbranch_vccnz .LBB65_9
; %bb.3:
	s_mov_b32 s1, 0
                                        ; implicit-def: $vgpr2_vgpr3
                                        ; implicit-def: $vgpr0_vgpr1
	s_and_saveexec_b32 s2, s0
	s_cbranch_execz .LBB65_10
; %bb.4:
	v_lshl_or_b32 v4, s14, 8, v52
	v_mov_b32_e32 v5, 0
	s_waitcnt lgkmcnt(0)
	s_ashr_i32 s13, s10, 31
	s_mov_b32 s12, s10
	s_mov_b32 s3, 0
	s_mov_b32 s0, exec_lo
                                        ; implicit-def: $vgpr2_vgpr3
                                        ; implicit-def: $vgpr0_vgpr1
	v_cmpx_gt_i64_e64 s[12:13], v[4:5]
	s_cbranch_execz .LBB65_8
; %bb.5:
	v_cmp_eq_f64_e64 s3, s[6:7], 0
	v_mad_u64_u32 v[0:1], null, v4, s28, 0
	s_delay_alu instid0(VALU_DEP_1) | instskip(NEXT) | instid1(VALU_DEP_1)
	v_mad_u64_u32 v[2:3], null, v4, s29, v[1:2]
	v_dual_mov_b32 v1, v2 :: v_dual_mov_b32 v2, 0
	v_mov_b32_e32 v3, 0
	s_and_b32 vcc_lo, exec_lo, s3
	s_cbranch_vccnz .LBB65_7
; %bb.6:
	s_delay_alu instid0(VALU_DEP_2) | instskip(NEXT) | instid1(VALU_DEP_1)
	v_lshlrev_b64 v[2:3], 3, v[0:1]
	v_add_co_u32 v2, vcc_lo, s5, v2
	s_delay_alu instid0(VALU_DEP_2)
	v_add_co_ci_u32_e32 v3, vcc_lo, s24, v3, vcc_lo
	global_load_b64 v[2:3], v[2:3], off
	s_waitcnt vmcnt(0)
	v_mul_f64 v[2:3], s[6:7], v[2:3]
.LBB65_7:
	s_mov_b32 s3, exec_lo
.LBB65_8:
	s_or_b32 exec_lo, exec_lo, s0
	s_delay_alu instid0(SALU_CYCLE_1) | instskip(SKIP_1) | instid1(SALU_CYCLE_1)
	s_and_b32 s25, s3, exec_lo
	s_or_b32 exec_lo, exec_lo, s2
	s_and_b32 vcc_lo, exec_lo, s1
	s_cbranch_vccnz .LBB65_11
	s_branch .LBB65_48
.LBB65_9:
                                        ; implicit-def: $vgpr2_vgpr3
                                        ; implicit-def: $vgpr0_vgpr1
	s_cbranch_execnz .LBB65_11
	s_branch .LBB65_48
.LBB65_10:
	s_or_b32 exec_lo, exec_lo, s2
	s_delay_alu instid0(SALU_CYCLE_1)
	s_and_b32 vcc_lo, exec_lo, s1
	s_cbranch_vccz .LBB65_48
.LBB65_11:
	v_dual_mov_b32 v8, 0 :: v_dual_lshlrev_b32 v55, 2, v54
	s_mul_i32 s0, s15, s47
	s_mul_hi_u32 s1, s15, s46
	s_lshl_b32 s26, s14, 8
	s_delay_alu instid0(SALU_CYCLE_1) | instskip(SKIP_3) | instid1(VALU_DEP_1)
	v_dual_mov_b32 v9, 0 :: v_dual_add_nc_u32 v0, s26, v53
	s_add_i32 s13, s1, s0
	s_waitcnt lgkmcnt(0)
	s_ashr_i32 s1, s11, 31
	v_dual_mov_b32 v6, v8 :: v_dual_mov_b32 v7, v9
	s_lshr_b32 s1, s1, 26
	v_dual_mov_b32 v4, v8 :: v_dual_mov_b32 v5, v9
	v_dual_mov_b32 v2, v8 :: v_dual_mov_b32 v3, v9
	s_mul_i32 s0, s15, s19
	s_mul_hi_u32 s2, s15, s18
	s_add_i32 s27, s11, s1
	s_mul_i32 s12, s15, s46
	s_and_not1_b32 s27, s27, 63
	s_add_i32 s19, s2, s0
	s_mul_i32 s18, s15, s18
	s_mov_b32 s30, exec_lo
	v_cmpx_gt_i32_e64 s27, v55
	s_cbranch_execz .LBB65_23
; %bb.12:
	v_lshlrev_b32_e32 v21, 2, v54
	v_mad_u64_u32 v[2:3], null, s16, v54, 0
	s_lshl_b64 s[0:1], s[18:19], 3
	s_lshl_b64 s[14:15], s[50:51], 3
	s_delay_alu instid0(VALU_DEP_2)
	v_or_b32_e32 v12, 3, v21
	s_add_u32 s4, s48, s0
	v_ashrrev_i32_e32 v1, 31, v0
	s_addc_u32 s31, s49, s1
	s_lshl_b64 s[22:23], s[42:43], 3
	v_mad_u64_u32 v[4:5], null, s44, v12, 0
	s_lshl_b64 s[20:21], s[16:17], 9
	s_lshl_b64 s[34:35], s[12:13], 3
	v_cmp_gt_i32_e32 vcc_lo, s10, v0
	s_delay_alu instid0(VALU_DEP_2) | instskip(SKIP_1) | instid1(VALU_DEP_2)
	v_mad_u64_u32 v[6:7], null, s17, v54, v[3:4]
	v_mad_u64_u32 v[7:8], null, s16, v12, 0
	v_dual_mov_b32 v3, v6 :: v_dual_add_nc_u32 v14, 0xc0, v0
	v_mad_u64_u32 v[9:10], null, s45, v12, v[5:6]
	s_delay_alu instid0(VALU_DEP_3)
	v_mov_b32_e32 v6, v8
	v_or_b32_e32 v22, 2, v21
	v_mad_u64_u32 v[17:18], null, s16, v21, s[16:17]
	v_add_nc_u32_e32 v13, 0x80, v0
	v_lshlrev_b64 v[2:3], 5, v[2:3]
	v_mov_b32_e32 v5, v9
	v_mad_u64_u32 v[8:9], null, s17, v12, v[6:7]
	s_delay_alu instid0(VALU_DEP_4) | instskip(SKIP_3) | instid1(VALU_DEP_2)
	v_cmp_gt_i32_e64 s1, s10, v13
	v_mad_u64_u32 v[12:13], null, s44, v22, 0
	v_add_nc_u32_e32 v11, 64, v0
	v_cmp_gt_i32_e64 s2, s10, v14
	v_cmp_gt_i32_e64 s0, s10, v11
	v_lshlrev_b64 v[10:11], 3, v[0:1]
	v_add_co_u32 v1, s3, s4, v2
	s_delay_alu instid0(VALU_DEP_1)
	v_add_co_ci_u32_e64 v56, s3, s31, v3, s3
	v_lshlrev_b64 v[2:3], 3, v[4:5]
	v_mad_u64_u32 v[4:5], null, s44, v54, 0
	s_add_u32 s3, s40, s22
	s_addc_u32 s22, s41, s23
	s_add_u32 s23, s3, s34
	s_addc_u32 s22, s22, s35
	v_add_co_u32 v57, s3, s23, v2
	v_mov_b32_e32 v2, v13
	s_delay_alu instid0(VALU_DEP_3) | instskip(SKIP_3) | instid1(VALU_DEP_3)
	v_mad_u64_u32 v[14:15], null, s45, v54, v[5:6]
	v_mad_u64_u32 v[15:16], null, s16, v22, 0
	v_add_co_ci_u32_e64 v58, s3, s22, v3, s3
	v_lshlrev_b64 v[6:7], 3, v[7:8]
	v_mov_b32_e32 v3, v16
	s_delay_alu instid0(VALU_DEP_2) | instskip(SKIP_1) | instid1(VALU_DEP_3)
	v_add_co_u32 v59, s3, s4, v6
	v_mov_b32_e32 v6, v18
	v_mad_u64_u32 v[8:9], null, s45, v22, v[2:3]
	v_add_co_ci_u32_e64 v60, s3, s31, v7, s3
	v_mad_u64_u32 v[19:20], null, s17, v22, v[3:4]
	v_mad_u64_u32 v[2:3], null, s44, v21, s[44:45]
	s_delay_alu instid0(VALU_DEP_4) | instskip(SKIP_1) | instid1(VALU_DEP_4)
	v_mov_b32_e32 v13, v8
	v_mad_u64_u32 v[7:8], null, s17, v21, v[6:7]
	v_dual_mov_b32 v5, v14 :: v_dual_mov_b32 v16, v19
	s_delay_alu instid0(VALU_DEP_2) | instskip(NEXT) | instid1(VALU_DEP_2)
	v_mov_b32_e32 v18, v7
	v_lshlrev_b64 v[4:5], 5, v[4:5]
	s_delay_alu instid0(VALU_DEP_1) | instskip(NEXT) | instid1(VALU_DEP_1)
	v_add_co_u32 v61, s3, s23, v4
	v_add_co_ci_u32_e64 v62, s3, s22, v5, s3
	v_lshlrev_b64 v[4:5], 3, v[12:13]
	v_lshlrev_b64 v[12:13], 3, v[15:16]
	s_delay_alu instid0(VALU_DEP_2) | instskip(SKIP_1) | instid1(VALU_DEP_1)
	v_mad_u64_u32 v[8:9], null, s45, v21, v[3:4]
	v_add_co_u32 v63, s3, s23, v4
	v_add_co_ci_u32_e64 v64, s3, s22, v5, s3
	v_lshlrev_b64 v[4:5], 3, v[17:18]
	v_add_co_u32 v65, s3, s4, v12
	v_mov_b32_e32 v3, v8
	v_add_co_ci_u32_e64 v66, s3, s31, v13, s3
	v_mov_b32_e32 v8, 0
	v_mov_b32_e32 v9, 0
	s_delay_alu instid0(VALU_DEP_4) | instskip(SKIP_1) | instid1(VALU_DEP_1)
	v_lshlrev_b64 v[2:3], 3, v[2:3]
	v_add_co_u32 v67, s3, s4, v4
	v_add_co_ci_u32_e64 v68, s3, s31, v5, s3
	s_delay_alu instid0(VALU_DEP_4) | instskip(NEXT) | instid1(VALU_DEP_4)
	v_dual_mov_b32 v6, v8 :: v_dual_mov_b32 v7, v9
	v_add_co_u32 v69, s3, s23, v2
	s_delay_alu instid0(VALU_DEP_1)
	v_add_co_ci_u32_e64 v70, s3, s22, v3, s3
	v_dual_mov_b32 v4, v8 :: v_dual_mov_b32 v5, v9
	v_dual_mov_b32 v2, v8 :: v_dual_mov_b32 v3, v9
	s_lshl_b64 s[22:23], s[44:45], 9
	s_mov_b32 s31, 0
	s_branch .LBB65_17
.LBB65_13:                              ;   in Loop: Header=BB65_17 Depth=1
	s_or_b32 exec_lo, exec_lo, s34
	s_waitcnt vmcnt(3)
	v_fma_f64 v[4:5], v[12:13], v[44:45], v[4:5]
	s_waitcnt vmcnt(2)
	s_delay_alu instid0(VALU_DEP_1) | instskip(SKIP_1) | instid1(VALU_DEP_1)
	v_fma_f64 v[4:5], v[14:15], v[46:47], v[4:5]
	s_waitcnt vmcnt(1)
	v_fma_f64 v[4:5], v[16:17], v[48:49], v[4:5]
	s_waitcnt vmcnt(0)
	s_delay_alu instid0(VALU_DEP_1)
	v_fma_f64 v[4:5], v[18:19], v[50:51], v[4:5]
.LBB65_14:                              ;   in Loop: Header=BB65_17 Depth=1
	s_or_b32 exec_lo, exec_lo, s33
	s_waitcnt vmcnt(3)
	v_fma_f64 v[6:7], v[12:13], v[34:35], v[6:7]
	s_waitcnt vmcnt(2)
	s_delay_alu instid0(VALU_DEP_1) | instskip(SKIP_1) | instid1(VALU_DEP_1)
	v_fma_f64 v[6:7], v[14:15], v[36:37], v[6:7]
	s_waitcnt vmcnt(1)
	v_fma_f64 v[6:7], v[16:17], v[38:39], v[6:7]
	s_waitcnt vmcnt(0)
	s_delay_alu instid0(VALU_DEP_1)
	v_fma_f64 v[6:7], v[18:19], v[40:41], v[6:7]
.LBB65_15:                              ;   in Loop: Header=BB65_17 Depth=1
	s_or_b32 exec_lo, exec_lo, s3
	s_waitcnt vmcnt(3)
	v_fma_f64 v[8:9], v[12:13], v[20:21], v[8:9]
	s_waitcnt vmcnt(2)
	s_delay_alu instid0(VALU_DEP_1) | instskip(SKIP_1) | instid1(VALU_DEP_1)
	v_fma_f64 v[8:9], v[14:15], v[22:23], v[8:9]
	s_waitcnt vmcnt(1)
	v_fma_f64 v[8:9], v[16:17], v[24:25], v[8:9]
	s_waitcnt vmcnt(0)
	s_delay_alu instid0(VALU_DEP_1)
	v_fma_f64 v[8:9], v[18:19], v[26:27], v[8:9]
.LBB65_16:                              ;   in Loop: Header=BB65_17 Depth=1
	s_or_b32 exec_lo, exec_lo, s4
	v_add_co_u32 v1, s3, v1, s20
	s_delay_alu instid0(VALU_DEP_1) | instskip(SKIP_1) | instid1(VALU_DEP_1)
	v_add_co_ci_u32_e64 v56, s3, s21, v56, s3
	v_add_co_u32 v57, s3, v57, s22
	v_add_co_ci_u32_e64 v58, s3, s23, v58, s3
	v_add_co_u32 v59, s3, v59, s20
	s_delay_alu instid0(VALU_DEP_1) | instskip(SKIP_1) | instid1(VALU_DEP_1)
	v_add_co_ci_u32_e64 v60, s3, s21, v60, s3
	v_add_co_u32 v61, s3, v61, s22
	v_add_co_ci_u32_e64 v62, s3, s23, v62, s3
	v_add_co_u32 v63, s3, v63, s22
	s_delay_alu instid0(VALU_DEP_1) | instskip(SKIP_4) | instid1(VALU_DEP_1)
	v_add_co_ci_u32_e64 v64, s3, s23, v64, s3
	v_add_co_u32 v65, s3, v65, s20
	v_add_nc_u32_e32 v55, 64, v55
	v_add_co_ci_u32_e64 v66, s3, s21, v66, s3
	v_add_co_u32 v67, s3, v67, s20
	v_add_co_ci_u32_e64 v68, s3, s21, v68, s3
	s_delay_alu instid0(VALU_DEP_4) | instskip(SKIP_1) | instid1(VALU_DEP_1)
	v_cmp_le_i32_e64 s3, s27, v55
	v_add_co_u32 v69, s4, v69, s22
	v_add_co_ci_u32_e64 v70, s4, s23, v70, s4
	s_delay_alu instid0(VALU_DEP_3) | instskip(NEXT) | instid1(SALU_CYCLE_1)
	s_or_b32 s31, s3, s31
	s_and_not1_b32 exec_lo, exec_lo, s31
	s_cbranch_execz .LBB65_22
.LBB65_17:                              ; =>This Inner Loop Header: Depth=1
	s_and_saveexec_b32 s4, vcc_lo
	s_cbranch_execz .LBB65_16
; %bb.18:                               ;   in Loop: Header=BB65_17 Depth=1
	v_add_co_u32 v12, s3, v1, s14
	s_delay_alu instid0(VALU_DEP_1) | instskip(SKIP_1) | instid1(VALU_DEP_1)
	v_add_co_ci_u32_e64 v13, s3, s15, v56, s3
	v_add_co_u32 v14, s3, v67, s14
	v_add_co_ci_u32_e64 v15, s3, s15, v68, s3
	v_add_co_u32 v16, s3, v65, s14
	s_delay_alu instid0(VALU_DEP_1) | instskip(SKIP_1) | instid1(VALU_DEP_1)
	v_add_co_ci_u32_e64 v17, s3, s15, v66, s3
	v_add_co_u32 v18, s3, v59, s14
	v_add_co_ci_u32_e64 v19, s3, s15, v60, s3
	;; [unrolled: 5-line block ×4, first 2 shown]
	global_load_b64 v[12:13], v[12:13], off
	global_load_b64 v[14:15], v[14:15], off
	;; [unrolled: 1-line block ×8, first 2 shown]
	s_and_saveexec_b32 s3, s0
	s_cbranch_execz .LBB65_15
; %bb.19:                               ;   in Loop: Header=BB65_17 Depth=1
	global_load_b64 v[34:35], v[28:29], off offset:512
	global_load_b64 v[36:37], v[30:31], off offset:512
	global_load_b64 v[38:39], v[32:33], off offset:512
	global_load_b64 v[40:41], v[42:43], off offset:512
	s_and_saveexec_b32 s33, s1
	s_cbranch_execz .LBB65_14
; %bb.20:                               ;   in Loop: Header=BB65_17 Depth=1
	global_load_b64 v[44:45], v[28:29], off offset:1024
	global_load_b64 v[46:47], v[30:31], off offset:1024
	global_load_b64 v[48:49], v[32:33], off offset:1024
	global_load_b64 v[50:51], v[42:43], off offset:1024
	;; [unrolled: 7-line block ×3, first 2 shown]
	s_waitcnt vmcnt(3)
	v_fma_f64 v[2:3], v[12:13], v[28:29], v[2:3]
	s_waitcnt vmcnt(2)
	s_delay_alu instid0(VALU_DEP_1) | instskip(SKIP_1) | instid1(VALU_DEP_1)
	v_fma_f64 v[2:3], v[14:15], v[30:31], v[2:3]
	s_waitcnt vmcnt(1)
	v_fma_f64 v[2:3], v[16:17], v[32:33], v[2:3]
	s_waitcnt vmcnt(0)
	s_delay_alu instid0(VALU_DEP_1)
	v_fma_f64 v[2:3], v[18:19], v[42:43], v[2:3]
	s_branch .LBB65_13
.LBB65_22:
	s_or_b32 exec_lo, exec_lo, s31
.LBB65_23:
	s_delay_alu instid0(SALU_CYCLE_1) | instskip(SKIP_1) | instid1(SALU_CYCLE_1)
	s_or_b32 exec_lo, exec_lo, s30
	s_sub_i32 s0, s11, s27
	s_cmp_lt_i32 s0, 1
	s_cbranch_scc1 .LBB65_41
; %bb.24:
	v_mov_b32_e32 v14, 0
	v_mov_b32_e32 v15, 0
	v_cmp_gt_i32_e32 vcc_lo, s11, v55
	v_or_b32_e32 v20, 1, v55
	s_delay_alu instid0(VALU_DEP_4) | instskip(NEXT) | instid1(VALU_DEP_4)
	v_mov_b32_e32 v12, v14
	v_dual_mov_b32 v10, v14 :: v_dual_mov_b32 v11, v15
	v_dual_mov_b32 v17, v15 :: v_dual_mov_b32 v16, v14
	v_mov_b32_e32 v13, v15
	s_and_saveexec_b32 s1, vcc_lo
	s_cbranch_execz .LBB65_32
; %bb.25:
	v_mad_u64_u32 v[10:11], null, v55, s16, 0
	s_lshl_b64 s[2:3], s[18:19], 3
	s_delay_alu instid0(SALU_CYCLE_1) | instskip(SKIP_2) | instid1(SALU_CYCLE_1)
	s_add_u32 s0, s48, s2
	s_addc_u32 s2, s49, s3
	s_lshl_b64 s[14:15], s[50:51], 3
	s_add_u32 s3, s0, s14
	s_delay_alu instid0(VALU_DEP_1) | instskip(SKIP_2) | instid1(VALU_DEP_1)
	v_mov_b32_e32 v1, v11
	s_addc_u32 s4, s2, s15
	s_mov_b32 s2, exec_lo
	v_mad_u64_u32 v[11:12], null, v55, s17, v[1:2]
	v_mov_b32_e32 v12, 0
	v_mov_b32_e32 v13, 0
	s_delay_alu instid0(VALU_DEP_1) | instskip(NEXT) | instid1(VALU_DEP_4)
	v_dual_mov_b32 v17, v13 :: v_dual_mov_b32 v16, v12
	v_lshlrev_b64 v[10:11], 3, v[10:11]
	v_dual_mov_b32 v15, v13 :: v_dual_mov_b32 v14, v12
	s_delay_alu instid0(VALU_DEP_2) | instskip(NEXT) | instid1(VALU_DEP_1)
	v_add_co_u32 v10, s0, s3, v10
	v_add_co_ci_u32_e64 v11, s0, s4, v11, s0
	global_load_b64 v[10:11], v[10:11], off
	v_cmpx_gt_i32_e64 s11, v20
	s_cbranch_execz .LBB65_31
; %bb.26:
	v_mad_u64_u32 v[12:13], null, v20, s16, 0
	s_mov_b32 s14, exec_lo
	v_mov_b32_e32 v16, 0
	v_mov_b32_e32 v17, 0
	s_delay_alu instid0(VALU_DEP_3) | instskip(NEXT) | instid1(VALU_DEP_1)
	v_mov_b32_e32 v1, v13
	v_mad_u64_u32 v[13:14], null, v20, s17, v[1:2]
	v_or_b32_e32 v1, 2, v55
	s_delay_alu instid0(VALU_DEP_4) | instskip(NEXT) | instid1(VALU_DEP_3)
	v_dual_mov_b32 v14, v16 :: v_dual_mov_b32 v15, v17
	v_lshlrev_b64 v[12:13], 3, v[12:13]
	s_delay_alu instid0(VALU_DEP_1) | instskip(NEXT) | instid1(VALU_DEP_1)
	v_add_co_u32 v12, s0, s3, v12
	v_add_co_ci_u32_e64 v13, s0, s4, v13, s0
	global_load_b64 v[12:13], v[12:13], off
	v_cmpx_gt_i32_e64 s11, v1
	s_cbranch_execz .LBB65_30
; %bb.27:
	v_mad_u64_u32 v[14:15], null, v1, s16, 0
	s_mov_b32 s15, exec_lo
	s_delay_alu instid0(VALU_DEP_1) | instskip(SKIP_1) | instid1(VALU_DEP_2)
	v_mad_u64_u32 v[16:17], null, v1, s17, v[15:16]
	v_or_b32_e32 v1, 3, v55
	v_mov_b32_e32 v15, v16
	s_delay_alu instid0(VALU_DEP_1) | instskip(NEXT) | instid1(VALU_DEP_1)
	v_lshlrev_b64 v[14:15], 3, v[14:15]
	v_add_co_u32 v14, s0, s3, v14
	s_delay_alu instid0(VALU_DEP_1)
	v_add_co_ci_u32_e64 v15, s0, s4, v15, s0
	global_load_b64 v[16:17], v[14:15], off
	v_mov_b32_e32 v14, 0
	v_mov_b32_e32 v15, 0
	v_cmpx_gt_i32_e64 s11, v1
	s_cbranch_execz .LBB65_29
; %bb.28:
	v_mad_u64_u32 v[14:15], null, v1, s16, 0
	s_waitcnt vmcnt(0)
	s_delay_alu instid0(VALU_DEP_1) | instskip(NEXT) | instid1(VALU_DEP_1)
	v_mad_u64_u32 v[18:19], null, v1, s17, v[15:16]
	v_mov_b32_e32 v15, v18
	s_delay_alu instid0(VALU_DEP_1) | instskip(NEXT) | instid1(VALU_DEP_1)
	v_lshlrev_b64 v[14:15], 3, v[14:15]
	v_add_co_u32 v14, s0, s3, v14
	s_delay_alu instid0(VALU_DEP_1)
	v_add_co_ci_u32_e64 v15, s0, s4, v15, s0
	global_load_b64 v[14:15], v[14:15], off
.LBB65_29:
	s_or_b32 exec_lo, exec_lo, s15
.LBB65_30:
	s_delay_alu instid0(SALU_CYCLE_1)
	s_or_b32 exec_lo, exec_lo, s14
.LBB65_31:
	s_delay_alu instid0(SALU_CYCLE_1)
	s_or_b32 exec_lo, exec_lo, s2
.LBB65_32:
	s_delay_alu instid0(SALU_CYCLE_1) | instskip(NEXT) | instid1(SALU_CYCLE_1)
	s_or_b32 exec_lo, exec_lo, s1
	s_mov_b32 s1, exec_lo
	v_cmpx_gt_i32_e64 s10, v0
	s_cbranch_execz .LBB65_40
; %bb.33:
	v_mad_u64_u32 v[18:19], null, v55, s44, 0
	v_mad_u64_u32 v[24:25], null, v20, s44, 0
	s_lshl_b64 s[2:3], s[12:13], 3
	v_or_b32_e32 v27, 2, v55
	s_add_u32 s0, s40, s2
	s_addc_u32 s4, s41, s3
	s_delay_alu instid0(VALU_DEP_3) | instskip(SKIP_3) | instid1(VALU_DEP_2)
	v_dual_mov_b32 v1, v19 :: v_dual_cndmask_b32 v18, 0, v18
	s_lshl_b64 s[2:3], s[42:43], 3
	v_or_b32_e32 v36, 3, v55
	s_add_u32 s0, s0, s2
	v_mad_u64_u32 v[21:22], null, v55, s45, v[1:2]
	v_ashrrev_i32_e32 v1, 31, v0
	s_addc_u32 s2, s4, s3
	s_delay_alu instid0(VALU_DEP_1) | instskip(NEXT) | instid1(VALU_DEP_3)
	v_lshlrev_b64 v[22:23], 3, v[0:1]
	v_cndmask_b32_e32 v19, 0, v21, vcc_lo
	s_delay_alu instid0(VALU_DEP_1) | instskip(NEXT) | instid1(VALU_DEP_1)
	v_lshlrev_b64 v[18:19], 3, v[18:19]
	v_add_co_u32 v1, vcc_lo, s0, v18
	s_delay_alu instid0(VALU_DEP_2) | instskip(NEXT) | instid1(VALU_DEP_2)
	v_add_co_ci_u32_e32 v19, vcc_lo, s2, v19, vcc_lo
	v_add_co_u32 v18, vcc_lo, v1, v22
	s_delay_alu instid0(VALU_DEP_2) | instskip(SKIP_4) | instid1(VALU_DEP_1)
	v_add_co_ci_u32_e32 v19, vcc_lo, v19, v23, vcc_lo
	v_mov_b32_e32 v1, v25
	v_cmp_gt_i32_e32 vcc_lo, s11, v20
	global_load_b64 v[28:29], v[18:19], off
	v_mad_u64_u32 v[25:26], null, v20, s45, v[1:2]
	v_dual_cndmask_b32 v20, 0, v24 :: v_dual_cndmask_b32 v21, 0, v25
	v_mad_u64_u32 v[24:25], null, v27, s44, 0
	s_delay_alu instid0(VALU_DEP_2) | instskip(NEXT) | instid1(VALU_DEP_1)
	v_lshlrev_b64 v[20:21], 3, v[20:21]
	v_add_co_u32 v1, vcc_lo, s0, v20
	s_delay_alu instid0(VALU_DEP_2) | instskip(NEXT) | instid1(VALU_DEP_2)
	v_add_co_ci_u32_e32 v21, vcc_lo, s2, v21, vcc_lo
	v_add_co_u32 v20, vcc_lo, v1, v22
	s_delay_alu instid0(VALU_DEP_2)
	v_add_co_ci_u32_e32 v21, vcc_lo, v21, v23, vcc_lo
	v_mov_b32_e32 v1, v25
	v_cmp_gt_i32_e32 vcc_lo, s11, v27
	global_load_b64 v[30:31], v[20:21], off
	v_mad_u64_u32 v[25:26], null, v27, s45, v[1:2]
	v_cndmask_b32_e32 v24, 0, v24, vcc_lo
	v_mad_u64_u32 v[26:27], null, v36, s44, 0
	s_delay_alu instid0(VALU_DEP_3) | instskip(NEXT) | instid1(VALU_DEP_1)
	v_cndmask_b32_e32 v25, 0, v25, vcc_lo
	v_lshlrev_b64 v[24:25], 3, v[24:25]
	s_delay_alu instid0(VALU_DEP_1) | instskip(NEXT) | instid1(VALU_DEP_2)
	v_add_co_u32 v1, vcc_lo, s0, v24
	v_add_co_ci_u32_e32 v25, vcc_lo, s2, v25, vcc_lo
	s_delay_alu instid0(VALU_DEP_2) | instskip(NEXT) | instid1(VALU_DEP_2)
	v_add_co_u32 v24, vcc_lo, v1, v22
	v_add_co_ci_u32_e32 v25, vcc_lo, v25, v23, vcc_lo
	v_mov_b32_e32 v1, v27
	v_cmp_gt_i32_e32 vcc_lo, s11, v36
	global_load_b64 v[32:33], v[24:25], off
	v_mad_u64_u32 v[34:35], null, v36, s45, v[1:2]
	v_cndmask_b32_e32 v26, 0, v26, vcc_lo
	s_delay_alu instid0(VALU_DEP_2) | instskip(NEXT) | instid1(VALU_DEP_1)
	v_cndmask_b32_e32 v27, 0, v34, vcc_lo
	v_lshlrev_b64 v[26:27], 3, v[26:27]
	s_delay_alu instid0(VALU_DEP_1) | instskip(NEXT) | instid1(VALU_DEP_2)
	v_add_co_u32 v1, vcc_lo, s0, v26
	v_add_co_ci_u32_e32 v27, vcc_lo, s2, v27, vcc_lo
	s_mov_b32 s0, exec_lo
	s_delay_alu instid0(VALU_DEP_2) | instskip(NEXT) | instid1(VALU_DEP_2)
	v_add_co_u32 v26, vcc_lo, v1, v22
	v_add_co_ci_u32_e32 v27, vcc_lo, v27, v23, vcc_lo
	v_add_nc_u32_e32 v1, 64, v0
	global_load_b64 v[22:23], v[26:27], off
	s_waitcnt vmcnt(3)
	v_fma_f64 v[8:9], v[10:11], v[28:29], v[8:9]
	s_waitcnt vmcnt(2)
	s_delay_alu instid0(VALU_DEP_1) | instskip(SKIP_1) | instid1(VALU_DEP_1)
	v_fma_f64 v[8:9], v[12:13], v[30:31], v[8:9]
	s_waitcnt vmcnt(1)
	v_fma_f64 v[8:9], v[16:17], v[32:33], v[8:9]
	v_cmpx_gt_i32_e64 s10, v1
	s_cbranch_execz .LBB65_39
; %bb.34:
	s_clause 0x3
	global_load_b64 v[30:31], v[18:19], off offset:512
	global_load_b64 v[32:33], v[20:21], off offset:512
	;; [unrolled: 1-line block ×4, first 2 shown]
	v_add_nc_u32_e32 v1, 0x80, v0
	s_mov_b32 s2, exec_lo
	s_waitcnt vmcnt(3)
	v_fma_f64 v[6:7], v[10:11], v[30:31], v[6:7]
	s_waitcnt vmcnt(2)
	s_delay_alu instid0(VALU_DEP_1) | instskip(SKIP_1) | instid1(VALU_DEP_1)
	v_fma_f64 v[6:7], v[12:13], v[32:33], v[6:7]
	s_waitcnt vmcnt(1)
	v_fma_f64 v[6:7], v[16:17], v[34:35], v[6:7]
	v_cmpx_gt_i32_e64 s10, v1
	s_cbranch_execz .LBB65_38
; %bb.35:
	s_clause 0x3
	global_load_b64 v[32:33], v[18:19], off offset:1024
	global_load_b64 v[34:35], v[20:21], off offset:1024
	global_load_b64 v[36:37], v[24:25], off offset:1024
	global_load_b64 v[30:31], v[26:27], off offset:1024
	v_add_nc_u32_e32 v0, 0xc0, v0
	s_mov_b32 s3, exec_lo
	s_waitcnt vmcnt(3)
	v_fma_f64 v[4:5], v[10:11], v[32:33], v[4:5]
	s_waitcnt vmcnt(2)
	s_delay_alu instid0(VALU_DEP_1) | instskip(SKIP_1) | instid1(VALU_DEP_1)
	v_fma_f64 v[4:5], v[12:13], v[34:35], v[4:5]
	s_waitcnt vmcnt(1)
	v_fma_f64 v[4:5], v[16:17], v[36:37], v[4:5]
	v_cmpx_gt_i32_e64 s10, v0
	s_cbranch_execz .LBB65_37
; %bb.36:
	s_clause 0x3
	global_load_b64 v[0:1], v[18:19], off offset:1536
	global_load_b64 v[18:19], v[20:21], off offset:1536
	;; [unrolled: 1-line block ×4, first 2 shown]
	s_waitcnt vmcnt(3)
	v_fma_f64 v[0:1], v[10:11], v[0:1], v[2:3]
	s_waitcnt vmcnt(2)
	s_delay_alu instid0(VALU_DEP_1) | instskip(SKIP_1) | instid1(VALU_DEP_1)
	v_fma_f64 v[0:1], v[12:13], v[18:19], v[0:1]
	s_waitcnt vmcnt(1)
	v_fma_f64 v[0:1], v[16:17], v[20:21], v[0:1]
	s_waitcnt vmcnt(0)
	s_delay_alu instid0(VALU_DEP_1)
	v_fma_f64 v[2:3], v[14:15], v[24:25], v[0:1]
.LBB65_37:
	s_or_b32 exec_lo, exec_lo, s3
	s_waitcnt vmcnt(0)
	s_delay_alu instid0(VALU_DEP_2)
	v_fma_f64 v[4:5], v[14:15], v[30:31], v[4:5]
.LBB65_38:
	s_or_b32 exec_lo, exec_lo, s2
	s_waitcnt vmcnt(0)
	s_delay_alu instid0(VALU_DEP_2)
	v_fma_f64 v[6:7], v[14:15], v[28:29], v[6:7]
.LBB65_39:
	s_or_b32 exec_lo, exec_lo, s0
	s_waitcnt vmcnt(0)
	s_delay_alu instid0(VALU_DEP_2)
	v_fma_f64 v[8:9], v[14:15], v[22:23], v[8:9]
.LBB65_40:
	s_or_b32 exec_lo, exec_lo, s1
.LBB65_41:
	v_lshlrev_b32_e32 v0, 8, v54
	s_mov_b32 s0, exec_lo
	s_delay_alu instid0(VALU_DEP_1)
	v_add_lshl_u32 v0, v0, v53, 3
	ds_store_2addr_stride64_b64 v0, v[8:9], v[6:7] offset1:1
	ds_store_2addr_stride64_b64 v0, v[4:5], v[2:3] offset0:2 offset1:3
	s_waitcnt vmcnt(0) lgkmcnt(0)
	s_barrier
	buffer_gl0_inv
                                        ; implicit-def: $vgpr2_vgpr3
                                        ; implicit-def: $vgpr0_vgpr1
	v_cmpx_gt_u32_e32 0x100, v52
	s_cbranch_execz .LBB65_47
; %bb.42:
	v_lshlrev_b32_e32 v7, 3, v52
	v_or_b32_e32 v6, s26, v52
	s_mov_b32 s2, s25
	s_mov_b32 s1, exec_lo
	ds_load_2addr_stride64_b64 v[0:3], v7 offset1:4
	s_waitcnt lgkmcnt(0)
	v_add_f64 v[4:5], v[0:1], v[2:3]
	ds_load_2addr_stride64_b64 v[0:3], v7 offset0:8 offset1:12
	s_waitcnt lgkmcnt(0)
	v_add_f64 v[0:1], v[0:1], v[4:5]
	s_delay_alu instid0(VALU_DEP_1) | instskip(SKIP_3) | instid1(VALU_DEP_1)
	v_add_f64 v[4:5], v[2:3], v[0:1]
	ds_load_2addr_stride64_b64 v[0:3], v7 offset0:16 offset1:20
	s_waitcnt lgkmcnt(0)
	v_add_f64 v[0:1], v[0:1], v[4:5]
	v_add_f64 v[4:5], v[2:3], v[0:1]
	ds_load_2addr_stride64_b64 v[0:3], v7 offset0:24 offset1:28
	s_waitcnt lgkmcnt(0)
	v_add_f64 v[0:1], v[0:1], v[4:5]
	s_delay_alu instid0(VALU_DEP_1) | instskip(SKIP_3) | instid1(VALU_DEP_1)
	v_add_f64 v[4:5], v[2:3], v[0:1]
	ds_load_2addr_stride64_b64 v[0:3], v7 offset0:32 offset1:36
	s_waitcnt lgkmcnt(0)
	v_add_f64 v[0:1], v[0:1], v[4:5]
	;; [unrolled: 9-line block ×3, first 2 shown]
	v_add_f64 v[4:5], v[2:3], v[0:1]
	ds_load_2addr_stride64_b64 v[0:3], v7 offset0:56 offset1:60
	s_waitcnt lgkmcnt(0)
	v_add_f64 v[0:1], v[0:1], v[4:5]
	s_delay_alu instid0(VALU_DEP_1)
	v_add_f64 v[4:5], v[2:3], v[0:1]
                                        ; implicit-def: $vgpr2_vgpr3
                                        ; implicit-def: $vgpr0_vgpr1
	ds_store_b64 v7, v[4:5]
	v_cmpx_gt_i32_e64 s10, v6
	s_cbranch_execz .LBB65_46
; %bb.43:
	v_cmp_eq_f64_e64 s2, s[6:7], 0
	v_mul_f64 v[2:3], s[8:9], v[4:5]
	v_ashrrev_i32_e32 v0, 31, v6
	v_mul_lo_u32 v4, v6, s29
	s_delay_alu instid0(VALU_DEP_2) | instskip(SKIP_1) | instid1(VALU_DEP_1)
	v_mul_lo_u32 v5, v0, s28
	v_mad_u64_u32 v[0:1], null, v6, s28, 0
	v_add3_u32 v1, v1, v4, v5
	s_and_b32 vcc_lo, exec_lo, s2
	s_cbranch_vccnz .LBB65_45
; %bb.44:
	s_delay_alu instid0(VALU_DEP_1) | instskip(NEXT) | instid1(VALU_DEP_1)
	v_lshlrev_b64 v[4:5], 3, v[0:1]
	v_add_co_u32 v4, vcc_lo, s5, v4
	s_delay_alu instid0(VALU_DEP_2)
	v_add_co_ci_u32_e32 v5, vcc_lo, s24, v5, vcc_lo
	global_load_b64 v[4:5], v[4:5], off
	s_waitcnt vmcnt(0)
	v_fma_f64 v[2:3], s[6:7], v[4:5], v[2:3]
.LBB65_45:
	s_or_b32 s2, s25, exec_lo
.LBB65_46:
	s_or_b32 exec_lo, exec_lo, s1
	s_delay_alu instid0(SALU_CYCLE_1) | instskip(SKIP_1) | instid1(SALU_CYCLE_1)
	s_and_not1_b32 s1, s25, exec_lo
	s_and_b32 s2, s2, exec_lo
	s_or_b32 s25, s1, s2
.LBB65_47:
	s_or_b32 exec_lo, exec_lo, s0
.LBB65_48:
	s_and_saveexec_b32 s0, s25
	s_cbranch_execz .LBB65_50
; %bb.49:
	v_lshlrev_b64 v[0:1], 3, v[0:1]
	s_delay_alu instid0(VALU_DEP_1) | instskip(NEXT) | instid1(VALU_DEP_2)
	v_add_co_u32 v0, vcc_lo, s5, v0
	v_add_co_ci_u32_e32 v1, vcc_lo, s24, v1, vcc_lo
	global_store_b64 v[0:1], v[2:3], off
.LBB65_50:
	s_nop 0
	s_sendmsg sendmsg(MSG_DEALLOC_VGPRS)
	s_endpgm
	.section	.rodata,"a",@progbits
	.p2align	6, 0x0
	.amdhsa_kernel _ZL20rocblas_gemvn_kernelILi64ELi16EldPKddEviiT3_lPKT2_lT1_lS5_lS6_lS2_lPT4_lS6_li
		.amdhsa_group_segment_fixed_size 32768
		.amdhsa_private_segment_fixed_size 0
		.amdhsa_kernarg_size 400
		.amdhsa_user_sgpr_count 14
		.amdhsa_user_sgpr_dispatch_ptr 0
		.amdhsa_user_sgpr_queue_ptr 0
		.amdhsa_user_sgpr_kernarg_segment_ptr 1
		.amdhsa_user_sgpr_dispatch_id 0
		.amdhsa_user_sgpr_private_segment_size 0
		.amdhsa_wavefront_size32 1
		.amdhsa_uses_dynamic_stack 0
		.amdhsa_enable_private_segment 0
		.amdhsa_system_sgpr_workgroup_id_x 1
		.amdhsa_system_sgpr_workgroup_id_y 0
		.amdhsa_system_sgpr_workgroup_id_z 1
		.amdhsa_system_sgpr_workgroup_info 0
		.amdhsa_system_vgpr_workitem_id 1
		.amdhsa_next_free_vgpr 71
		.amdhsa_next_free_sgpr 52
		.amdhsa_reserve_vcc 1
		.amdhsa_float_round_mode_32 0
		.amdhsa_float_round_mode_16_64 0
		.amdhsa_float_denorm_mode_32 3
		.amdhsa_float_denorm_mode_16_64 3
		.amdhsa_dx10_clamp 1
		.amdhsa_ieee_mode 1
		.amdhsa_fp16_overflow 0
		.amdhsa_workgroup_processor_mode 1
		.amdhsa_memory_ordered 1
		.amdhsa_forward_progress 0
		.amdhsa_shared_vgpr_count 0
		.amdhsa_exception_fp_ieee_invalid_op 0
		.amdhsa_exception_fp_denorm_src 0
		.amdhsa_exception_fp_ieee_div_zero 0
		.amdhsa_exception_fp_ieee_overflow 0
		.amdhsa_exception_fp_ieee_underflow 0
		.amdhsa_exception_fp_ieee_inexact 0
		.amdhsa_exception_int_div_zero 0
	.end_amdhsa_kernel
	.section	.text._ZL20rocblas_gemvn_kernelILi64ELi16EldPKddEviiT3_lPKT2_lT1_lS5_lS6_lS2_lPT4_lS6_li,"axG",@progbits,_ZL20rocblas_gemvn_kernelILi64ELi16EldPKddEviiT3_lPKT2_lT1_lS5_lS6_lS2_lPT4_lS6_li,comdat
.Lfunc_end65:
	.size	_ZL20rocblas_gemvn_kernelILi64ELi16EldPKddEviiT3_lPKT2_lT1_lS5_lS6_lS2_lPT4_lS6_li, .Lfunc_end65-_ZL20rocblas_gemvn_kernelILi64ELi16EldPKddEviiT3_lPKT2_lT1_lS5_lS6_lS2_lPT4_lS6_li
                                        ; -- End function
	.section	.AMDGPU.csdata,"",@progbits
; Kernel info:
; codeLenInByte = 3788
; NumSgprs: 54
; NumVgprs: 71
; ScratchSize: 0
; MemoryBound: 1
; FloatMode: 240
; IeeeMode: 1
; LDSByteSize: 32768 bytes/workgroup (compile time only)
; SGPRBlocks: 6
; VGPRBlocks: 8
; NumSGPRsForWavesPerEU: 54
; NumVGPRsForWavesPerEU: 71
; Occupancy: 16
; WaveLimiterHint : 0
; COMPUTE_PGM_RSRC2:SCRATCH_EN: 0
; COMPUTE_PGM_RSRC2:USER_SGPR: 14
; COMPUTE_PGM_RSRC2:TRAP_HANDLER: 0
; COMPUTE_PGM_RSRC2:TGID_X_EN: 1
; COMPUTE_PGM_RSRC2:TGID_Y_EN: 0
; COMPUTE_PGM_RSRC2:TGID_Z_EN: 1
; COMPUTE_PGM_RSRC2:TIDIG_COMP_CNT: 1
	.section	.text._ZL20rocblas_gemvn_kernelILi64ELi16EidddEviiT3_lPKT2_lT1_lS3_lS4_lS0_lPT4_lS4_li,"axG",@progbits,_ZL20rocblas_gemvn_kernelILi64ELi16EidddEviiT3_lPKT2_lT1_lS3_lS4_lS0_lPT4_lS4_li,comdat
	.globl	_ZL20rocblas_gemvn_kernelILi64ELi16EidddEviiT3_lPKT2_lT1_lS3_lS4_lS0_lPT4_lS4_li ; -- Begin function _ZL20rocblas_gemvn_kernelILi64ELi16EidddEviiT3_lPKT2_lT1_lS3_lS4_lS0_lPT4_lS4_li
	.p2align	8
	.type	_ZL20rocblas_gemvn_kernelILi64ELi16EidddEviiT3_lPKT2_lT1_lS3_lS4_lS0_lPT4_lS4_li,@function
_ZL20rocblas_gemvn_kernelILi64ELi16EidddEviiT3_lPKT2_lT1_lS3_lS4_lS0_lPT4_lS4_li: ; @_ZL20rocblas_gemvn_kernelILi64ELi16EidddEviiT3_lPKT2_lT1_lS3_lS4_lS0_lPT4_lS4_li
; %bb.0:
	s_load_b64 s[2:3], s[0:1], 0x9c
	s_waitcnt lgkmcnt(0)
	s_lshr_b32 s4, s2, 16
	s_and_b32 s2, s2, 0xffff
	s_and_b32 s3, s3, 0xffff
	s_mul_i32 s2, s4, s2
	s_delay_alu instid0(SALU_CYCLE_1) | instskip(NEXT) | instid1(SALU_CYCLE_1)
	s_mul_i32 s2, s2, s3
	s_cmpk_lg_i32 s2, 0x400
	s_cbranch_scc1 .LBB66_50
; %bb.1:
	s_clause 0x1
	s_load_b64 s[12:13], s[0:1], 0x8
	s_load_b128 s[4:7], s[0:1], 0x50
	s_waitcnt lgkmcnt(0)
	v_cmp_eq_f64_e64 s2, s[12:13], 0
	v_cmp_eq_f64_e64 s3, s[6:7], 1.0
	s_delay_alu instid0(VALU_DEP_1) | instskip(NEXT) | instid1(SALU_CYCLE_1)
	s_and_b32 s2, s2, s3
	s_and_b32 vcc_lo, exec_lo, s2
	s_cbranch_vccnz .LBB66_50
; %bb.2:
	v_cmp_neq_f64_e64 s21, s[12:13], 0
	s_clause 0x3
	s_load_b64 s[2:3], s[0:1], 0x80
	s_load_b128 s[8:11], s[0:1], 0x68
	s_load_b32 s20, s[0:1], 0x78
	s_load_b64 s[16:17], s[0:1], 0x0
	v_and_b32_e32 v1, 0x3ff, v0
	v_bfe_u32 v0, v0, 10, 10
	s_delay_alu instid0(VALU_DEP_1)
	v_lshl_add_u32 v53, v0, 6, v1
	s_waitcnt lgkmcnt(0)
	s_mul_i32 s3, s15, s3
	s_mul_hi_u32 s18, s15, s2
	s_mul_i32 s2, s15, s2
	s_add_i32 s3, s18, s3
	s_delay_alu instid0(SALU_CYCLE_1) | instskip(NEXT) | instid1(SALU_CYCLE_1)
	s_lshl_b64 s[2:3], s[2:3], 3
	s_add_u32 s8, s8, s2
	s_addc_u32 s9, s9, s3
	s_lshl_b64 s[2:3], s[10:11], 3
	s_delay_alu instid0(SALU_CYCLE_1)
	s_add_u32 s18, s8, s2
	v_cmp_gt_u32_e64 s2, 0x100, v53
	s_addc_u32 s19, s9, s3
	s_and_b32 vcc_lo, exec_lo, s21
	s_mov_b32 s21, 0
	s_cbranch_vccnz .LBB66_9
; %bb.3:
	s_mov_b32 s3, 0
                                        ; implicit-def: $vgpr4_vgpr5
                                        ; implicit-def: $vgpr2_vgpr3
	s_and_saveexec_b32 s8, s2
	s_cbranch_execz .LBB66_10
; %bb.4:
	v_lshl_or_b32 v6, s14, 8, v53
	v_mov_b32_e32 v7, 0
	s_ashr_i32 s11, s16, 31
	s_mov_b32 s10, s16
	s_mov_b32 s9, 0
	s_mov_b32 s2, exec_lo
                                        ; implicit-def: $vgpr4_vgpr5
                                        ; implicit-def: $vgpr2_vgpr3
	v_cmpx_gt_i64_e64 s[10:11], v[6:7]
	s_cbranch_execz .LBB66_8
; %bb.5:
	v_cmp_eq_f64_e64 s9, s[6:7], 0
	v_mad_u64_u32 v[2:3], null, s20, v6, 0
	s_ashr_i32 s10, s20, 31
	s_delay_alu instid0(VALU_DEP_1) | instid1(SALU_CYCLE_1)
	v_mad_u64_u32 v[4:5], null, s10, v6, v[3:4]
	s_delay_alu instid0(VALU_DEP_1)
	v_dual_mov_b32 v3, v4 :: v_dual_mov_b32 v4, 0
	v_mov_b32_e32 v5, 0
	s_and_b32 vcc_lo, exec_lo, s9
	s_cbranch_vccnz .LBB66_7
; %bb.6:
	s_delay_alu instid0(VALU_DEP_2) | instskip(NEXT) | instid1(VALU_DEP_1)
	v_lshlrev_b64 v[4:5], 3, v[2:3]
	v_add_co_u32 v4, vcc_lo, s18, v4
	s_delay_alu instid0(VALU_DEP_2)
	v_add_co_ci_u32_e32 v5, vcc_lo, s19, v5, vcc_lo
	global_load_b64 v[4:5], v[4:5], off
	s_waitcnt vmcnt(0)
	v_mul_f64 v[4:5], v[4:5], s[6:7]
.LBB66_7:
	s_mov_b32 s9, exec_lo
.LBB66_8:
	s_or_b32 exec_lo, exec_lo, s2
	s_delay_alu instid0(SALU_CYCLE_1) | instskip(SKIP_1) | instid1(SALU_CYCLE_1)
	s_and_b32 s21, s9, exec_lo
	s_or_b32 exec_lo, exec_lo, s8
	s_and_b32 vcc_lo, exec_lo, s3
	s_cbranch_vccnz .LBB66_11
	s_branch .LBB66_48
.LBB66_9:
                                        ; implicit-def: $vgpr4_vgpr5
                                        ; implicit-def: $vgpr2_vgpr3
	s_cbranch_execnz .LBB66_11
	s_branch .LBB66_48
.LBB66_10:
	s_or_b32 exec_lo, exec_lo, s8
	s_delay_alu instid0(SALU_CYCLE_1)
	s_and_b32 vcc_lo, exec_lo, s3
	s_cbranch_vccz .LBB66_48
.LBB66_11:
	s_clause 0x3
	s_load_b128 s[8:11], s[0:1], 0x30
	s_load_b128 s[24:27], s[0:1], 0x18
	s_load_b32 s22, s[0:1], 0x28
	s_load_b64 s[2:3], s[0:1], 0x40
	s_mul_i32 s5, s15, s5
	v_dual_mov_b32 v8, 0 :: v_dual_lshlrev_b32 v55, 2, v0
	s_waitcnt lgkmcnt(0)
	s_mul_i32 s9, s15, s9
	s_mul_hi_u32 s23, s15, s8
	s_mul_i32 s8, s15, s8
	s_add_i32 s9, s23, s9
	s_mul_hi_u32 s23, s15, s4
	s_lshl_b64 s[8:9], s[8:9], 3
	s_delay_alu instid0(SALU_CYCLE_1)
	s_add_u32 s28, s24, s8
	s_addc_u32 s25, s25, s9
	s_lshl_b64 s[8:9], s[26:27], 3
	s_mul_i32 s24, s15, s4
	s_load_b32 s4, s[0:1], 0x48
	s_add_u32 s8, s28, s8
	s_addc_u32 s9, s25, s9
	s_add_i32 s25, s23, s5
	s_mov_b32 s15, exec_lo
	s_lshl_b64 s[0:1], s[24:25], 3
	s_delay_alu instid0(SALU_CYCLE_1) | instskip(SKIP_2) | instid1(SALU_CYCLE_1)
	s_add_u32 s5, s10, s0
	s_addc_u32 s11, s11, s1
	s_lshl_b64 s[0:1], s[2:3], 3
	s_add_u32 s10, s5, s0
	s_addc_u32 s11, s11, s1
	s_lshl_b32 s5, s14, 8
	s_delay_alu instid0(SALU_CYCLE_1) | instskip(SKIP_3) | instid1(VALU_DEP_2)
	v_dual_mov_b32 v9, 0 :: v_dual_add_nc_u32 v54, s5, v1
	s_ashr_i32 s0, s17, 31
	v_mov_b32_e32 v6, v8
	s_lshr_b32 s0, s0, 26
	v_dual_mov_b32 v7, v9 :: v_dual_mov_b32 v4, v8
	v_dual_mov_b32 v5, v9 :: v_dual_mov_b32 v2, v8
	v_mov_b32_e32 v3, v9
	s_add_i32 s0, s17, s0
	s_delay_alu instid0(SALU_CYCLE_1) | instskip(NEXT) | instid1(SALU_CYCLE_1)
	s_and_b32 s14, s0, 0xffffffc0
	v_cmpx_gt_i32_e64 s14, v55
	s_cbranch_execz .LBB66_23
; %bb.12:
	v_mul_lo_u32 v3, s22, v55
	v_dual_mov_b32 v8, 0 :: v_dual_add_nc_u32 v5, 0xc0, v54
	v_dual_mov_b32 v9, 0 :: v_dual_add_nc_u32 v2, 64, v54
	v_add_nc_u32_e32 v4, 0x80, v54
	s_delay_alu instid0(VALU_DEP_3)
	v_cmp_gt_i32_e64 s2, s16, v5
	s_waitcnt lgkmcnt(0)
	v_mul_lo_u32 v5, v0, s4
	v_cmp_gt_i32_e64 s0, s16, v2
	v_add_nc_u32_e32 v2, 2, v55
	v_mov_b32_e32 v6, v8
	v_add3_u32 v56, v3, s22, v1
	v_mul_lo_u32 v3, v0, s22
	v_mov_b32_e32 v7, v9
	v_cmp_gt_i32_e64 s1, s16, v4
	v_add_nc_u32_e32 v4, 3, v55
	v_mad_u64_u32 v[10:11], null, s22, v2, v[1:2]
	v_lshlrev_b32_e32 v60, 2, v5
	v_cmp_gt_i32_e32 vcc_lo, s16, v54
	s_delay_alu instid0(VALU_DEP_4)
	v_mad_u64_u32 v[11:12], null, s22, v4, v[1:2]
	v_mul_lo_u32 v59, s4, v4
	v_mov_b32_e32 v4, v8
	v_mad_u64_u32 v[12:13], null, s4, v55, s[4:5]
	v_mov_b32_e32 v5, v9
	v_mul_lo_u32 v58, s4, v2
	v_lshl_add_u32 v57, v3, 2, v1
	v_dual_mov_b32 v2, v8 :: v_dual_mov_b32 v3, v9
	s_lshl_b32 s23, s22, 6
	s_lshl_b32 s25, s4, 6
	s_mov_b32 s24, 0
	s_mov_b32 s26, 0
	s_branch .LBB66_17
.LBB66_13:                              ;   in Loop: Header=BB66_17 Depth=1
	s_or_b32 exec_lo, exec_lo, s29
	s_waitcnt vmcnt(3)
	v_fma_f64 v[4:5], v[13:14], v[45:46], v[4:5]
	s_waitcnt vmcnt(2)
	s_delay_alu instid0(VALU_DEP_1) | instskip(SKIP_1) | instid1(VALU_DEP_1)
	v_fma_f64 v[4:5], v[15:16], v[47:48], v[4:5]
	s_waitcnt vmcnt(1)
	v_fma_f64 v[4:5], v[17:18], v[49:50], v[4:5]
	s_waitcnt vmcnt(0)
	s_delay_alu instid0(VALU_DEP_1)
	v_fma_f64 v[4:5], v[19:20], v[51:52], v[4:5]
.LBB66_14:                              ;   in Loop: Header=BB66_17 Depth=1
	s_or_b32 exec_lo, exec_lo, s28
	s_waitcnt vmcnt(3)
	v_fma_f64 v[6:7], v[13:14], v[37:38], v[6:7]
	s_waitcnt vmcnt(2)
	s_delay_alu instid0(VALU_DEP_1) | instskip(SKIP_1) | instid1(VALU_DEP_1)
	v_fma_f64 v[6:7], v[15:16], v[39:40], v[6:7]
	s_waitcnt vmcnt(1)
	v_fma_f64 v[6:7], v[17:18], v[41:42], v[6:7]
	s_waitcnt vmcnt(0)
	s_delay_alu instid0(VALU_DEP_1)
	v_fma_f64 v[6:7], v[19:20], v[43:44], v[6:7]
.LBB66_15:                              ;   in Loop: Header=BB66_17 Depth=1
	s_or_b32 exec_lo, exec_lo, s3
	s_waitcnt vmcnt(3)
	v_fma_f64 v[8:9], v[13:14], v[21:22], v[8:9]
	s_waitcnt vmcnt(2)
	s_delay_alu instid0(VALU_DEP_1) | instskip(SKIP_1) | instid1(VALU_DEP_1)
	v_fma_f64 v[8:9], v[15:16], v[23:24], v[8:9]
	s_waitcnt vmcnt(1)
	v_fma_f64 v[8:9], v[17:18], v[25:26], v[8:9]
	s_waitcnt vmcnt(0)
	s_delay_alu instid0(VALU_DEP_1)
	v_fma_f64 v[8:9], v[19:20], v[27:28], v[8:9]
.LBB66_16:                              ;   in Loop: Header=BB66_17 Depth=1
	s_or_b32 exec_lo, exec_lo, s27
	v_add_nc_u32_e32 v55, 64, v55
	v_add_nc_u32_e32 v56, s23, v56
	;; [unrolled: 1-line block ×5, first 2 shown]
	v_cmp_le_i32_e64 s3, s14, v55
	s_add_i32 s26, s26, s25
	s_delay_alu instid0(VALU_DEP_1) | instskip(NEXT) | instid1(SALU_CYCLE_1)
	s_or_b32 s24, s3, s24
	s_and_not1_b32 exec_lo, exec_lo, s24
	s_cbranch_execz .LBB66_22
.LBB66_17:                              ; =>This Inner Loop Header: Depth=1
	s_and_saveexec_b32 s27, vcc_lo
	s_cbranch_execz .LBB66_16
; %bb.18:                               ;   in Loop: Header=BB66_17 Depth=1
	v_add_nc_u32_e32 v13, s26, v60
	v_add_nc_u32_e32 v15, s26, v12
	;; [unrolled: 1-line block ×5, first 2 shown]
	v_ashrrev_i32_e32 v14, 31, v13
	v_ashrrev_i32_e32 v16, 31, v15
	;; [unrolled: 1-line block ×4, first 2 shown]
	v_add_nc_u32_e32 v23, s5, v56
	v_lshlrev_b64 v[13:14], 3, v[13:14]
	v_lshlrev_b64 v[15:16], 3, v[15:16]
	;; [unrolled: 1-line block ×3, first 2 shown]
	v_ashrrev_i32_e32 v22, 31, v21
	v_lshlrev_b64 v[19:20], 3, v[19:20]
	v_ashrrev_i32_e32 v24, 31, v23
	v_add_co_u32 v13, s3, s10, v13
	s_delay_alu instid0(VALU_DEP_1)
	v_add_co_ci_u32_e64 v14, s3, s11, v14, s3
	v_add_co_u32 v15, s3, s10, v15
	v_add_nc_u32_e32 v25, s5, v10
	v_add_co_ci_u32_e64 v16, s3, s11, v16, s3
	v_add_co_u32 v17, s3, s10, v17
	v_lshlrev_b64 v[21:22], 3, v[21:22]
	v_add_nc_u32_e32 v27, s5, v11
	v_add_co_ci_u32_e64 v18, s3, s11, v18, s3
	v_add_co_u32 v19, s3, s10, v19
	v_lshlrev_b64 v[23:24], 3, v[23:24]
	v_ashrrev_i32_e32 v26, 31, v25
	v_add_co_ci_u32_e64 v20, s3, s11, v20, s3
	v_add_co_u32 v29, s3, s8, v21
	v_ashrrev_i32_e32 v28, 31, v27
	v_add_co_ci_u32_e64 v30, s3, s9, v22, s3
	v_lshlrev_b64 v[21:22], 3, v[25:26]
	v_add_co_u32 v31, s3, s8, v23
	s_delay_alu instid0(VALU_DEP_1) | instskip(SKIP_1) | instid1(VALU_DEP_4)
	v_add_co_ci_u32_e64 v32, s3, s9, v24, s3
	v_lshlrev_b64 v[23:24], 3, v[27:28]
	v_add_co_u32 v33, s3, s8, v21
	s_delay_alu instid0(VALU_DEP_1) | instskip(NEXT) | instid1(VALU_DEP_3)
	v_add_co_ci_u32_e64 v34, s3, s9, v22, s3
	v_add_co_u32 v35, s3, s8, v23
	s_delay_alu instid0(VALU_DEP_1)
	v_add_co_ci_u32_e64 v36, s3, s9, v24, s3
	s_clause 0x3
	global_load_b64 v[13:14], v[13:14], off
	global_load_b64 v[15:16], v[15:16], off
	;; [unrolled: 1-line block ×4, first 2 shown]
	s_clause 0x3
	global_load_b64 v[21:22], v[29:30], off
	global_load_b64 v[23:24], v[31:32], off
	;; [unrolled: 1-line block ×4, first 2 shown]
	s_and_saveexec_b32 s3, s0
	s_cbranch_execz .LBB66_15
; %bb.19:                               ;   in Loop: Header=BB66_17 Depth=1
	s_clause 0x3
	global_load_b64 v[37:38], v[29:30], off offset:512
	global_load_b64 v[39:40], v[31:32], off offset:512
	global_load_b64 v[41:42], v[33:34], off offset:512
	global_load_b64 v[43:44], v[35:36], off offset:512
	s_and_saveexec_b32 s28, s1
	s_cbranch_execz .LBB66_14
; %bb.20:                               ;   in Loop: Header=BB66_17 Depth=1
	s_clause 0x3
	global_load_b64 v[45:46], v[29:30], off offset:1024
	global_load_b64 v[47:48], v[31:32], off offset:1024
	global_load_b64 v[49:50], v[33:34], off offset:1024
	global_load_b64 v[51:52], v[35:36], off offset:1024
	;; [unrolled: 8-line block ×3, first 2 shown]
	s_waitcnt vmcnt(3)
	v_fma_f64 v[2:3], v[13:14], v[29:30], v[2:3]
	s_waitcnt vmcnt(2)
	s_delay_alu instid0(VALU_DEP_1) | instskip(SKIP_1) | instid1(VALU_DEP_1)
	v_fma_f64 v[2:3], v[15:16], v[31:32], v[2:3]
	s_waitcnt vmcnt(1)
	v_fma_f64 v[2:3], v[17:18], v[33:34], v[2:3]
	s_waitcnt vmcnt(0)
	s_delay_alu instid0(VALU_DEP_1)
	v_fma_f64 v[2:3], v[19:20], v[35:36], v[2:3]
	s_branch .LBB66_13
.LBB66_22:
	s_or_b32 exec_lo, exec_lo, s24
.LBB66_23:
	s_delay_alu instid0(SALU_CYCLE_1) | instskip(SKIP_1) | instid1(SALU_CYCLE_1)
	s_or_b32 exec_lo, exec_lo, s15
	s_sub_i32 s0, s17, s14
	s_cmp_lt_i32 s0, 1
	s_cbranch_scc1 .LBB66_41
; %bb.24:
	v_mov_b32_e32 v14, 0
	v_mov_b32_e32 v15, 0
	v_cmp_gt_i32_e32 vcc_lo, s17, v55
	v_or_b32_e32 v20, 1, v55
	s_delay_alu instid0(VALU_DEP_4) | instskip(NEXT) | instid1(VALU_DEP_4)
	v_mov_b32_e32 v12, v14
	v_dual_mov_b32 v10, v14 :: v_dual_mov_b32 v11, v15
	v_dual_mov_b32 v17, v15 :: v_dual_mov_b32 v16, v14
	v_mov_b32_e32 v13, v15
	s_and_saveexec_b32 s1, vcc_lo
	s_cbranch_execz .LBB66_32
; %bb.25:
	s_waitcnt lgkmcnt(0)
	v_mul_lo_u32 v10, v55, s4
	v_mov_b32_e32 v12, 0
	v_mov_b32_e32 v13, 0
	s_mov_b32 s2, exec_lo
	s_delay_alu instid0(VALU_DEP_1) | instskip(NEXT) | instid1(VALU_DEP_4)
	v_dual_mov_b32 v17, v13 :: v_dual_mov_b32 v16, v12
	v_ashrrev_i32_e32 v11, 31, v10
	v_dual_mov_b32 v15, v13 :: v_dual_mov_b32 v14, v12
	s_delay_alu instid0(VALU_DEP_2) | instskip(NEXT) | instid1(VALU_DEP_1)
	v_lshlrev_b64 v[10:11], 3, v[10:11]
	v_add_co_u32 v10, s0, s10, v10
	s_delay_alu instid0(VALU_DEP_1)
	v_add_co_ci_u32_e64 v11, s0, s11, v11, s0
	global_load_b64 v[10:11], v[10:11], off
	v_cmpx_gt_i32_e64 s17, v20
	s_cbranch_execz .LBB66_31
; %bb.26:
	v_mul_lo_u32 v12, v20, s4
	v_mov_b32_e32 v16, 0
	v_mov_b32_e32 v17, 0
	v_or_b32_e32 v18, 2, v55
	s_delay_alu instid0(VALU_DEP_3) | instskip(SKIP_1) | instid1(VALU_DEP_3)
	v_mov_b32_e32 v14, v16
	s_mov_b32 s3, exec_lo
	v_mov_b32_e32 v15, v17
	v_ashrrev_i32_e32 v13, 31, v12
	s_delay_alu instid0(VALU_DEP_1) | instskip(NEXT) | instid1(VALU_DEP_1)
	v_lshlrev_b64 v[12:13], 3, v[12:13]
	v_add_co_u32 v12, s0, s10, v12
	s_delay_alu instid0(VALU_DEP_1)
	v_add_co_ci_u32_e64 v13, s0, s11, v13, s0
	global_load_b64 v[12:13], v[12:13], off
	v_cmpx_gt_i32_e64 s17, v18
	s_cbranch_execz .LBB66_30
; %bb.27:
	v_mul_lo_u32 v14, v18, s4
	v_or_b32_e32 v18, 3, v55
	s_mov_b32 s14, exec_lo
	s_delay_alu instid0(VALU_DEP_2) | instskip(NEXT) | instid1(VALU_DEP_1)
	v_ashrrev_i32_e32 v15, 31, v14
	v_lshlrev_b64 v[14:15], 3, v[14:15]
	s_delay_alu instid0(VALU_DEP_1) | instskip(NEXT) | instid1(VALU_DEP_1)
	v_add_co_u32 v14, s0, s10, v14
	v_add_co_ci_u32_e64 v15, s0, s11, v15, s0
	global_load_b64 v[16:17], v[14:15], off
	v_mov_b32_e32 v14, 0
	v_mov_b32_e32 v15, 0
	v_cmpx_gt_i32_e64 s17, v18
	s_cbranch_execz .LBB66_29
; %bb.28:
	v_mul_lo_u32 v14, v18, s4
	s_delay_alu instid0(VALU_DEP_1) | instskip(NEXT) | instid1(VALU_DEP_1)
	v_ashrrev_i32_e32 v15, 31, v14
	v_lshlrev_b64 v[14:15], 3, v[14:15]
	s_delay_alu instid0(VALU_DEP_1) | instskip(NEXT) | instid1(VALU_DEP_1)
	v_add_co_u32 v14, s0, s10, v14
	v_add_co_ci_u32_e64 v15, s0, s11, v15, s0
	global_load_b64 v[14:15], v[14:15], off
.LBB66_29:
	s_or_b32 exec_lo, exec_lo, s14
.LBB66_30:
	s_delay_alu instid0(SALU_CYCLE_1)
	s_or_b32 exec_lo, exec_lo, s3
.LBB66_31:
	s_delay_alu instid0(SALU_CYCLE_1)
	s_or_b32 exec_lo, exec_lo, s2
.LBB66_32:
	s_delay_alu instid0(SALU_CYCLE_1) | instskip(NEXT) | instid1(SALU_CYCLE_1)
	s_or_b32 exec_lo, exec_lo, s1
	s_mov_b32 s1, exec_lo
	v_cmpx_gt_i32_e64 s16, v54
	s_cbranch_execz .LBB66_40
; %bb.33:
	v_mul_lo_u32 v18, v55, s22
	v_mul_lo_u32 v21, v20, s22
	v_or_b32_e32 v22, 2, v55
	s_mov_b32 s0, exec_lo
	s_delay_alu instid0(VALU_DEP_1) | instskip(NEXT) | instid1(VALU_DEP_4)
	v_mul_lo_u32 v23, v22, s22
	v_cndmask_b32_e32 v18, 0, v18, vcc_lo
	s_delay_alu instid0(VALU_DEP_1) | instskip(NEXT) | instid1(VALU_DEP_1)
	v_add_nc_u32_e32 v18, v18, v54
	v_ashrrev_i32_e32 v19, 31, v18
	s_delay_alu instid0(VALU_DEP_1) | instskip(NEXT) | instid1(VALU_DEP_1)
	v_lshlrev_b64 v[18:19], 3, v[18:19]
	v_add_co_u32 v18, vcc_lo, s8, v18
	s_delay_alu instid0(VALU_DEP_2) | instskip(SKIP_3) | instid1(VALU_DEP_1)
	v_add_co_ci_u32_e32 v19, vcc_lo, s9, v19, vcc_lo
	v_cmp_gt_i32_e32 vcc_lo, s17, v20
	global_load_b64 v[28:29], v[18:19], off
	v_cndmask_b32_e32 v20, 0, v21, vcc_lo
	v_add_nc_u32_e32 v20, v20, v54
	s_delay_alu instid0(VALU_DEP_1) | instskip(NEXT) | instid1(VALU_DEP_1)
	v_ashrrev_i32_e32 v21, 31, v20
	v_lshlrev_b64 v[20:21], 3, v[20:21]
	s_delay_alu instid0(VALU_DEP_1) | instskip(NEXT) | instid1(VALU_DEP_2)
	v_add_co_u32 v20, vcc_lo, s8, v20
	v_add_co_ci_u32_e32 v21, vcc_lo, s9, v21, vcc_lo
	v_cmp_gt_i32_e32 vcc_lo, s17, v22
	global_load_b64 v[30:31], v[20:21], off
	v_cndmask_b32_e32 v22, 0, v23, vcc_lo
	s_delay_alu instid0(VALU_DEP_1) | instskip(NEXT) | instid1(VALU_DEP_1)
	v_add_nc_u32_e32 v22, v22, v54
	v_ashrrev_i32_e32 v23, 31, v22
	s_delay_alu instid0(VALU_DEP_1) | instskip(NEXT) | instid1(VALU_DEP_1)
	v_lshlrev_b64 v[22:23], 3, v[22:23]
	v_add_co_u32 v24, vcc_lo, s8, v22
	s_delay_alu instid0(VALU_DEP_2) | instskip(SKIP_4) | instid1(VALU_DEP_2)
	v_add_co_ci_u32_e32 v25, vcc_lo, s9, v23, vcc_lo
	v_or_b32_e32 v22, 3, v55
	global_load_b64 v[32:33], v[24:25], off
	v_mul_lo_u32 v23, v22, s22
	v_cmp_gt_i32_e32 vcc_lo, s17, v22
	v_cndmask_b32_e32 v22, 0, v23, vcc_lo
	s_delay_alu instid0(VALU_DEP_1) | instskip(NEXT) | instid1(VALU_DEP_1)
	v_add_nc_u32_e32 v22, v22, v54
	v_ashrrev_i32_e32 v23, 31, v22
	s_delay_alu instid0(VALU_DEP_1) | instskip(NEXT) | instid1(VALU_DEP_1)
	v_lshlrev_b64 v[22:23], 3, v[22:23]
	v_add_co_u32 v26, vcc_lo, s8, v22
	s_delay_alu instid0(VALU_DEP_2)
	v_add_co_ci_u32_e32 v27, vcc_lo, s9, v23, vcc_lo
	global_load_b64 v[22:23], v[26:27], off
	s_waitcnt vmcnt(3)
	v_fma_f64 v[8:9], v[10:11], v[28:29], v[8:9]
	v_add_nc_u32_e32 v28, 64, v54
	s_waitcnt vmcnt(2)
	s_delay_alu instid0(VALU_DEP_2) | instskip(SKIP_1) | instid1(VALU_DEP_1)
	v_fma_f64 v[8:9], v[12:13], v[30:31], v[8:9]
	s_waitcnt vmcnt(1)
	v_fma_f64 v[8:9], v[16:17], v[32:33], v[8:9]
	v_cmpx_gt_i32_e64 s16, v28
	s_cbranch_execz .LBB66_39
; %bb.34:
	s_clause 0x3
	global_load_b64 v[30:31], v[18:19], off offset:512
	global_load_b64 v[32:33], v[20:21], off offset:512
	;; [unrolled: 1-line block ×4, first 2 shown]
	s_mov_b32 s2, exec_lo
	s_waitcnt vmcnt(3)
	v_fma_f64 v[6:7], v[10:11], v[30:31], v[6:7]
	v_add_nc_u32_e32 v30, 0x80, v54
	s_waitcnt vmcnt(2)
	s_delay_alu instid0(VALU_DEP_2) | instskip(SKIP_1) | instid1(VALU_DEP_1)
	v_fma_f64 v[6:7], v[12:13], v[32:33], v[6:7]
	s_waitcnt vmcnt(1)
	v_fma_f64 v[6:7], v[16:17], v[34:35], v[6:7]
	v_cmpx_gt_i32_e64 s16, v30
	s_cbranch_execz .LBB66_38
; %bb.35:
	s_clause 0x3
	global_load_b64 v[32:33], v[18:19], off offset:1024
	global_load_b64 v[34:35], v[20:21], off offset:1024
	;; [unrolled: 1-line block ×4, first 2 shown]
	s_mov_b32 s3, exec_lo
	s_waitcnt vmcnt(3)
	v_fma_f64 v[4:5], v[10:11], v[32:33], v[4:5]
	v_add_nc_u32_e32 v32, 0xc0, v54
	s_waitcnt vmcnt(2)
	s_delay_alu instid0(VALU_DEP_2) | instskip(SKIP_1) | instid1(VALU_DEP_1)
	v_fma_f64 v[4:5], v[12:13], v[34:35], v[4:5]
	s_waitcnt vmcnt(1)
	v_fma_f64 v[4:5], v[16:17], v[36:37], v[4:5]
	v_cmpx_gt_i32_e64 s16, v32
	s_cbranch_execz .LBB66_37
; %bb.36:
	s_clause 0x3
	global_load_b64 v[18:19], v[18:19], off offset:1536
	global_load_b64 v[20:21], v[20:21], off offset:1536
	;; [unrolled: 1-line block ×4, first 2 shown]
	s_waitcnt vmcnt(3)
	v_fma_f64 v[2:3], v[10:11], v[18:19], v[2:3]
	s_waitcnt vmcnt(2)
	s_delay_alu instid0(VALU_DEP_1) | instskip(SKIP_1) | instid1(VALU_DEP_1)
	v_fma_f64 v[2:3], v[12:13], v[20:21], v[2:3]
	s_waitcnt vmcnt(1)
	v_fma_f64 v[2:3], v[16:17], v[24:25], v[2:3]
	s_waitcnt vmcnt(0)
	s_delay_alu instid0(VALU_DEP_1)
	v_fma_f64 v[2:3], v[14:15], v[26:27], v[2:3]
.LBB66_37:
	s_or_b32 exec_lo, exec_lo, s3
	s_waitcnt vmcnt(0)
	s_delay_alu instid0(VALU_DEP_2)
	v_fma_f64 v[4:5], v[14:15], v[30:31], v[4:5]
.LBB66_38:
	s_or_b32 exec_lo, exec_lo, s2
	s_waitcnt vmcnt(0)
	s_delay_alu instid0(VALU_DEP_2)
	v_fma_f64 v[6:7], v[14:15], v[28:29], v[6:7]
.LBB66_39:
	s_or_b32 exec_lo, exec_lo, s0
	s_waitcnt vmcnt(0)
	s_delay_alu instid0(VALU_DEP_2)
	v_fma_f64 v[8:9], v[14:15], v[22:23], v[8:9]
.LBB66_40:
	s_or_b32 exec_lo, exec_lo, s1
.LBB66_41:
	v_lshlrev_b32_e32 v0, 8, v0
	s_mov_b32 s0, exec_lo
	s_delay_alu instid0(VALU_DEP_1)
	v_add_lshl_u32 v0, v0, v1, 3
	ds_store_2addr_stride64_b64 v0, v[8:9], v[6:7] offset1:1
	ds_store_2addr_stride64_b64 v0, v[4:5], v[2:3] offset0:2 offset1:3
	s_waitcnt vmcnt(0) lgkmcnt(0)
	s_barrier
	buffer_gl0_inv
                                        ; implicit-def: $vgpr4_vgpr5
                                        ; implicit-def: $vgpr2_vgpr3
	v_cmpx_gt_u32_e32 0x100, v53
	s_cbranch_execz .LBB66_47
; %bb.42:
	v_lshlrev_b32_e32 v7, 3, v53
	v_or_b32_e32 v6, s5, v53
	s_mov_b32 s2, s21
	s_mov_b32 s1, exec_lo
	ds_load_2addr_stride64_b64 v[0:3], v7 offset1:4
	s_waitcnt lgkmcnt(0)
	v_add_f64 v[4:5], v[0:1], v[2:3]
	ds_load_2addr_stride64_b64 v[0:3], v7 offset0:8 offset1:12
	s_waitcnt lgkmcnt(0)
	v_add_f64 v[0:1], v[0:1], v[4:5]
	s_delay_alu instid0(VALU_DEP_1) | instskip(SKIP_3) | instid1(VALU_DEP_1)
	v_add_f64 v[4:5], v[2:3], v[0:1]
	ds_load_2addr_stride64_b64 v[0:3], v7 offset0:16 offset1:20
	s_waitcnt lgkmcnt(0)
	v_add_f64 v[0:1], v[0:1], v[4:5]
	v_add_f64 v[4:5], v[2:3], v[0:1]
	ds_load_2addr_stride64_b64 v[0:3], v7 offset0:24 offset1:28
	s_waitcnt lgkmcnt(0)
	v_add_f64 v[0:1], v[0:1], v[4:5]
	s_delay_alu instid0(VALU_DEP_1) | instskip(SKIP_3) | instid1(VALU_DEP_1)
	v_add_f64 v[4:5], v[2:3], v[0:1]
	ds_load_2addr_stride64_b64 v[0:3], v7 offset0:32 offset1:36
	s_waitcnt lgkmcnt(0)
	v_add_f64 v[0:1], v[0:1], v[4:5]
	;; [unrolled: 9-line block ×3, first 2 shown]
	v_add_f64 v[4:5], v[2:3], v[0:1]
	ds_load_2addr_stride64_b64 v[0:3], v7 offset0:56 offset1:60
	s_waitcnt lgkmcnt(0)
	v_add_f64 v[0:1], v[0:1], v[4:5]
                                        ; implicit-def: $vgpr4_vgpr5
	s_delay_alu instid0(VALU_DEP_1)
	v_add_f64 v[0:1], v[2:3], v[0:1]
                                        ; implicit-def: $vgpr2_vgpr3
	ds_store_b64 v7, v[0:1]
	v_cmpx_gt_i32_e64 s16, v6
	s_cbranch_execz .LBB66_46
; %bb.43:
	v_cmp_eq_f64_e64 s2, s[6:7], 0
	v_mul_f64 v[4:5], v[0:1], s[12:13]
	v_mul_lo_u32 v2, v6, s20
	s_delay_alu instid0(VALU_DEP_1) | instskip(NEXT) | instid1(VALU_DEP_4)
	v_ashrrev_i32_e32 v3, 31, v2
	s_and_b32 vcc_lo, exec_lo, s2
	s_cbranch_vccnz .LBB66_45
; %bb.44:
	s_delay_alu instid0(VALU_DEP_1) | instskip(NEXT) | instid1(VALU_DEP_1)
	v_lshlrev_b64 v[0:1], 3, v[2:3]
	v_add_co_u32 v0, vcc_lo, s18, v0
	s_delay_alu instid0(VALU_DEP_2)
	v_add_co_ci_u32_e32 v1, vcc_lo, s19, v1, vcc_lo
	global_load_b64 v[0:1], v[0:1], off
	s_waitcnt vmcnt(0)
	v_fma_f64 v[4:5], v[0:1], s[6:7], v[4:5]
.LBB66_45:
	s_or_b32 s2, s21, exec_lo
.LBB66_46:
	s_or_b32 exec_lo, exec_lo, s1
	s_delay_alu instid0(SALU_CYCLE_1) | instskip(SKIP_1) | instid1(SALU_CYCLE_1)
	s_and_not1_b32 s1, s21, exec_lo
	s_and_b32 s2, s2, exec_lo
	s_or_b32 s21, s1, s2
.LBB66_47:
	s_or_b32 exec_lo, exec_lo, s0
.LBB66_48:
	s_and_saveexec_b32 s0, s21
	s_cbranch_execz .LBB66_50
; %bb.49:
	v_lshlrev_b64 v[0:1], 3, v[2:3]
	s_delay_alu instid0(VALU_DEP_1) | instskip(NEXT) | instid1(VALU_DEP_2)
	v_add_co_u32 v0, vcc_lo, s18, v0
	v_add_co_ci_u32_e32 v1, vcc_lo, s19, v1, vcc_lo
	global_store_b64 v[0:1], v[4:5], off
.LBB66_50:
	s_nop 0
	s_sendmsg sendmsg(MSG_DEALLOC_VGPRS)
	s_endpgm
	.section	.rodata,"a",@progbits
	.p2align	6, 0x0
	.amdhsa_kernel _ZL20rocblas_gemvn_kernelILi64ELi16EidddEviiT3_lPKT2_lT1_lS3_lS4_lS0_lPT4_lS4_li
		.amdhsa_group_segment_fixed_size 32768
		.amdhsa_private_segment_fixed_size 0
		.amdhsa_kernarg_size 400
		.amdhsa_user_sgpr_count 14
		.amdhsa_user_sgpr_dispatch_ptr 0
		.amdhsa_user_sgpr_queue_ptr 0
		.amdhsa_user_sgpr_kernarg_segment_ptr 1
		.amdhsa_user_sgpr_dispatch_id 0
		.amdhsa_user_sgpr_private_segment_size 0
		.amdhsa_wavefront_size32 1
		.amdhsa_uses_dynamic_stack 0
		.amdhsa_enable_private_segment 0
		.amdhsa_system_sgpr_workgroup_id_x 1
		.amdhsa_system_sgpr_workgroup_id_y 0
		.amdhsa_system_sgpr_workgroup_id_z 1
		.amdhsa_system_sgpr_workgroup_info 0
		.amdhsa_system_vgpr_workitem_id 1
		.amdhsa_next_free_vgpr 61
		.amdhsa_next_free_sgpr 30
		.amdhsa_reserve_vcc 1
		.amdhsa_float_round_mode_32 0
		.amdhsa_float_round_mode_16_64 0
		.amdhsa_float_denorm_mode_32 3
		.amdhsa_float_denorm_mode_16_64 3
		.amdhsa_dx10_clamp 1
		.amdhsa_ieee_mode 1
		.amdhsa_fp16_overflow 0
		.amdhsa_workgroup_processor_mode 1
		.amdhsa_memory_ordered 1
		.amdhsa_forward_progress 0
		.amdhsa_shared_vgpr_count 0
		.amdhsa_exception_fp_ieee_invalid_op 0
		.amdhsa_exception_fp_denorm_src 0
		.amdhsa_exception_fp_ieee_div_zero 0
		.amdhsa_exception_fp_ieee_overflow 0
		.amdhsa_exception_fp_ieee_underflow 0
		.amdhsa_exception_fp_ieee_inexact 0
		.amdhsa_exception_int_div_zero 0
	.end_amdhsa_kernel
	.section	.text._ZL20rocblas_gemvn_kernelILi64ELi16EidddEviiT3_lPKT2_lT1_lS3_lS4_lS0_lPT4_lS4_li,"axG",@progbits,_ZL20rocblas_gemvn_kernelILi64ELi16EidddEviiT3_lPKT2_lT1_lS3_lS4_lS0_lPT4_lS4_li,comdat
.Lfunc_end66:
	.size	_ZL20rocblas_gemvn_kernelILi64ELi16EidddEviiT3_lPKT2_lT1_lS3_lS4_lS0_lPT4_lS4_li, .Lfunc_end66-_ZL20rocblas_gemvn_kernelILi64ELi16EidddEviiT3_lPKT2_lT1_lS3_lS4_lS0_lPT4_lS4_li
                                        ; -- End function
	.section	.AMDGPU.csdata,"",@progbits
; Kernel info:
; codeLenInByte = 3292
; NumSgprs: 32
; NumVgprs: 61
; ScratchSize: 0
; MemoryBound: 0
; FloatMode: 240
; IeeeMode: 1
; LDSByteSize: 32768 bytes/workgroup (compile time only)
; SGPRBlocks: 3
; VGPRBlocks: 7
; NumSGPRsForWavesPerEU: 32
; NumVGPRsForWavesPerEU: 61
; Occupancy: 16
; WaveLimiterHint : 1
; COMPUTE_PGM_RSRC2:SCRATCH_EN: 0
; COMPUTE_PGM_RSRC2:USER_SGPR: 14
; COMPUTE_PGM_RSRC2:TRAP_HANDLER: 0
; COMPUTE_PGM_RSRC2:TGID_X_EN: 1
; COMPUTE_PGM_RSRC2:TGID_Y_EN: 0
; COMPUTE_PGM_RSRC2:TGID_Z_EN: 1
; COMPUTE_PGM_RSRC2:TIDIG_COMP_CNT: 1
	.section	.text._ZL20rocblas_gemvn_kernelILi64ELi16EldddEviiT3_lPKT2_lT1_lS3_lS4_lS0_lPT4_lS4_li,"axG",@progbits,_ZL20rocblas_gemvn_kernelILi64ELi16EldddEviiT3_lPKT2_lT1_lS3_lS4_lS0_lPT4_lS4_li,comdat
	.globl	_ZL20rocblas_gemvn_kernelILi64ELi16EldddEviiT3_lPKT2_lT1_lS3_lS4_lS0_lPT4_lS4_li ; -- Begin function _ZL20rocblas_gemvn_kernelILi64ELi16EldddEviiT3_lPKT2_lT1_lS3_lS4_lS0_lPT4_lS4_li
	.p2align	8
	.type	_ZL20rocblas_gemvn_kernelILi64ELi16EldddEviiT3_lPKT2_lT1_lS3_lS4_lS0_lPT4_lS4_li,@function
_ZL20rocblas_gemvn_kernelILi64ELi16EldddEviiT3_lPKT2_lT1_lS3_lS4_lS0_lPT4_lS4_li: ; @_ZL20rocblas_gemvn_kernelILi64ELi16EldddEviiT3_lPKT2_lT1_lS3_lS4_lS0_lPT4_lS4_li
; %bb.0:
	s_load_b64 s[2:3], s[0:1], 0x9c
	s_waitcnt lgkmcnt(0)
	s_lshr_b32 s4, s2, 16
	s_and_b32 s2, s2, 0xffff
	s_and_b32 s3, s3, 0xffff
	s_mul_i32 s2, s4, s2
	s_delay_alu instid0(SALU_CYCLE_1) | instskip(NEXT) | instid1(SALU_CYCLE_1)
	s_mul_i32 s2, s2, s3
	s_cmpk_lg_i32 s2, 0x400
	s_cbranch_scc1 .LBB67_50
; %bb.1:
	s_clause 0x1
	s_load_b64 s[34:35], s[0:1], 0x8
	s_load_b64 s[12:13], s[0:1], 0x58
	s_waitcnt lgkmcnt(0)
	v_cmp_eq_f64_e64 s2, s[34:35], 0
	v_cmp_eq_f64_e64 s3, s[12:13], 1.0
	s_delay_alu instid0(VALU_DEP_1) | instskip(NEXT) | instid1(SALU_CYCLE_1)
	s_and_b32 s2, s2, s3
	s_and_b32 vcc_lo, exec_lo, s2
	s_cbranch_vccnz .LBB67_50
; %bb.2:
	v_cmp_neq_f64_e64 s16, s[34:35], 0
	s_clause 0x1
	s_load_b256 s[4:11], s[0:1], 0x68
	s_load_b64 s[36:37], s[0:1], 0x0
	v_and_b32_e32 v53, 0x3ff, v0
	v_bfe_u32 v54, v0, 10, 10
	s_mov_b32 s38, 0
	s_delay_alu instid0(VALU_DEP_1)
	v_lshl_add_u32 v52, v54, 6, v53
	s_waitcnt lgkmcnt(0)
	s_mul_i32 s3, s15, s11
	s_mul_hi_u32 s11, s15, s10
	s_mul_i32 s2, s15, s10
	s_add_i32 s3, s11, s3
	s_delay_alu instid0(SALU_CYCLE_1) | instskip(NEXT) | instid1(SALU_CYCLE_1)
	s_lshl_b64 s[2:3], s[2:3], 3
	s_add_u32 s4, s4, s2
	s_addc_u32 s10, s5, s3
	s_lshl_b64 s[2:3], s[6:7], 3
	s_delay_alu instid0(SALU_CYCLE_1)
	s_add_u32 s5, s4, s2
	v_cmp_gt_u32_e64 s2, 0x100, v52
	s_addc_u32 s33, s10, s3
	s_and_b32 vcc_lo, exec_lo, s16
	s_cbranch_vccnz .LBB67_9
; %bb.3:
	s_mov_b32 s3, 0
                                        ; implicit-def: $vgpr2_vgpr3
                                        ; implicit-def: $vgpr0_vgpr1
	s_and_saveexec_b32 s4, s2
	s_cbranch_execz .LBB67_10
; %bb.4:
	v_lshl_or_b32 v4, s14, 8, v52
	v_mov_b32_e32 v5, 0
	s_ashr_i32 s7, s36, 31
	s_mov_b32 s6, s36
                                        ; implicit-def: $vgpr2_vgpr3
                                        ; implicit-def: $vgpr0_vgpr1
	s_delay_alu instid0(VALU_DEP_1) | instid1(SALU_CYCLE_1)
	v_cmp_gt_i64_e32 vcc_lo, s[6:7], v[4:5]
	s_mov_b32 s6, 0
	s_and_saveexec_b32 s2, vcc_lo
	s_cbranch_execz .LBB67_8
; %bb.5:
	v_cmp_eq_f64_e64 s6, s[12:13], 0
	v_mad_u64_u32 v[0:1], null, v4, s8, 0
	s_delay_alu instid0(VALU_DEP_1) | instskip(NEXT) | instid1(VALU_DEP_1)
	v_mad_u64_u32 v[2:3], null, v4, s9, v[1:2]
	v_dual_mov_b32 v1, v2 :: v_dual_mov_b32 v2, 0
	v_mov_b32_e32 v3, 0
	s_and_b32 vcc_lo, exec_lo, s6
	s_cbranch_vccnz .LBB67_7
; %bb.6:
	s_delay_alu instid0(VALU_DEP_2) | instskip(NEXT) | instid1(VALU_DEP_1)
	v_lshlrev_b64 v[2:3], 3, v[0:1]
	v_add_co_u32 v2, vcc_lo, s5, v2
	s_delay_alu instid0(VALU_DEP_2)
	v_add_co_ci_u32_e32 v3, vcc_lo, s33, v3, vcc_lo
	global_load_b64 v[2:3], v[2:3], off
	s_waitcnt vmcnt(0)
	v_mul_f64 v[2:3], v[2:3], s[12:13]
.LBB67_7:
	s_mov_b32 s6, exec_lo
.LBB67_8:
	s_or_b32 exec_lo, exec_lo, s2
	s_delay_alu instid0(SALU_CYCLE_1) | instskip(SKIP_1) | instid1(SALU_CYCLE_1)
	s_and_b32 s38, s6, exec_lo
	s_or_b32 exec_lo, exec_lo, s4
	s_and_b32 vcc_lo, exec_lo, s3
	s_cbranch_vccnz .LBB67_11
	s_branch .LBB67_48
.LBB67_9:
                                        ; implicit-def: $vgpr2_vgpr3
                                        ; implicit-def: $vgpr0_vgpr1
	s_cbranch_execnz .LBB67_11
	s_branch .LBB67_48
.LBB67_10:
	s_or_b32 exec_lo, exec_lo, s4
	s_delay_alu instid0(SALU_CYCLE_1)
	s_and_b32 vcc_lo, exec_lo, s3
	s_cbranch_vccz .LBB67_48
.LBB67_11:
	s_load_b512 s[16:31], s[0:1], 0x18
	v_dual_mov_b32 v8, 0 :: v_dual_lshlrev_b32 v55, 2, v54
	s_lshl_b32 s39, s14, 8
	s_delay_alu instid0(SALU_CYCLE_1) | instskip(SKIP_1) | instid1(VALU_DEP_2)
	v_dual_mov_b32 v9, 0 :: v_dual_add_nc_u32 v0, s39, v53
	s_ashr_i32 s0, s37, 31
	v_mov_b32_e32 v6, v8
	s_lshr_b32 s0, s0, 26
	s_delay_alu instid0(VALU_DEP_2)
	v_dual_mov_b32 v7, v9 :: v_dual_mov_b32 v4, v8
	v_dual_mov_b32 v5, v9 :: v_dual_mov_b32 v2, v8
	v_mov_b32_e32 v3, v9
	s_add_i32 s40, s37, s0
	s_mov_b32 s41, exec_lo
	s_and_not1_b32 s40, s40, 63
	s_waitcnt lgkmcnt(0)
	s_mul_i32 s0, s15, s23
	s_mul_hi_u32 s1, s15, s22
	s_mul_i32 s2, s15, s31
	s_mul_hi_u32 s3, s15, s30
	s_mul_i32 s6, s15, s22
	s_add_i32 s7, s1, s0
	s_add_i32 s11, s3, s2
	s_mul_i32 s10, s15, s30
	v_cmpx_gt_i32_e64 s40, v55
	s_cbranch_execz .LBB67_23
; %bb.12:
	v_lshlrev_b32_e32 v21, 2, v54
	v_mad_u64_u32 v[2:3], null, s28, v54, 0
	s_lshl_b64 s[0:1], s[10:11], 3
	s_lshl_b64 s[14:15], s[26:27], 3
	s_delay_alu instid0(VALU_DEP_2)
	v_or_b32_e32 v12, 3, v21
	s_add_u32 s4, s24, s0
	v_ashrrev_i32_e32 v1, 31, v0
	s_addc_u32 s44, s25, s1
	s_lshl_b64 s[30:31], s[18:19], 3
	v_mad_u64_u32 v[4:5], null, s20, v12, 0
	s_lshl_b64 s[22:23], s[28:29], 9
	s_lshl_b64 s[42:43], s[6:7], 3
	v_cmp_gt_i32_e32 vcc_lo, s36, v0
	s_delay_alu instid0(VALU_DEP_2) | instskip(SKIP_1) | instid1(VALU_DEP_2)
	v_mad_u64_u32 v[6:7], null, s29, v54, v[3:4]
	v_mad_u64_u32 v[7:8], null, s28, v12, 0
	v_dual_mov_b32 v3, v6 :: v_dual_add_nc_u32 v14, 0xc0, v0
	v_mad_u64_u32 v[9:10], null, s21, v12, v[5:6]
	s_delay_alu instid0(VALU_DEP_3)
	v_mov_b32_e32 v6, v8
	v_or_b32_e32 v22, 2, v21
	v_mad_u64_u32 v[17:18], null, s28, v21, s[28:29]
	v_add_nc_u32_e32 v13, 0x80, v0
	v_lshlrev_b64 v[2:3], 5, v[2:3]
	v_mov_b32_e32 v5, v9
	v_mad_u64_u32 v[8:9], null, s29, v12, v[6:7]
	s_delay_alu instid0(VALU_DEP_4) | instskip(SKIP_3) | instid1(VALU_DEP_2)
	v_cmp_gt_i32_e64 s1, s36, v13
	v_mad_u64_u32 v[12:13], null, s20, v22, 0
	v_add_nc_u32_e32 v11, 64, v0
	v_cmp_gt_i32_e64 s2, s36, v14
	v_cmp_gt_i32_e64 s0, s36, v11
	v_lshlrev_b64 v[10:11], 3, v[0:1]
	v_add_co_u32 v1, s3, s4, v2
	s_delay_alu instid0(VALU_DEP_1)
	v_add_co_ci_u32_e64 v56, s3, s44, v3, s3
	v_lshlrev_b64 v[2:3], 3, v[4:5]
	v_mad_u64_u32 v[4:5], null, s20, v54, 0
	s_add_u32 s3, s16, s30
	s_addc_u32 s30, s17, s31
	s_add_u32 s31, s3, s42
	s_addc_u32 s30, s30, s43
	v_add_co_u32 v57, s3, s31, v2
	v_mov_b32_e32 v2, v13
	s_delay_alu instid0(VALU_DEP_3) | instskip(SKIP_4) | instid1(VALU_DEP_3)
	v_mad_u64_u32 v[14:15], null, s21, v54, v[5:6]
	v_mad_u64_u32 v[15:16], null, s28, v22, 0
	v_add_co_ci_u32_e64 v58, s3, s30, v3, s3
	v_lshlrev_b64 v[6:7], 3, v[7:8]
	s_mov_b32 s42, 0
	v_mov_b32_e32 v3, v16
	s_delay_alu instid0(VALU_DEP_2) | instskip(SKIP_1) | instid1(VALU_DEP_3)
	v_add_co_u32 v59, s3, s4, v6
	v_mov_b32_e32 v6, v18
	v_mad_u64_u32 v[8:9], null, s21, v22, v[2:3]
	v_add_co_ci_u32_e64 v60, s3, s44, v7, s3
	v_mad_u64_u32 v[19:20], null, s29, v22, v[3:4]
	v_mad_u64_u32 v[2:3], null, s20, v21, s[20:21]
	s_delay_alu instid0(VALU_DEP_4) | instskip(SKIP_1) | instid1(VALU_DEP_4)
	v_mov_b32_e32 v13, v8
	v_mad_u64_u32 v[7:8], null, s29, v21, v[6:7]
	v_dual_mov_b32 v5, v14 :: v_dual_mov_b32 v16, v19
	s_delay_alu instid0(VALU_DEP_2) | instskip(NEXT) | instid1(VALU_DEP_2)
	v_mov_b32_e32 v18, v7
	v_lshlrev_b64 v[4:5], 5, v[4:5]
	s_delay_alu instid0(VALU_DEP_1) | instskip(NEXT) | instid1(VALU_DEP_1)
	v_add_co_u32 v61, s3, s31, v4
	v_add_co_ci_u32_e64 v62, s3, s30, v5, s3
	v_lshlrev_b64 v[4:5], 3, v[12:13]
	v_lshlrev_b64 v[12:13], 3, v[15:16]
	s_delay_alu instid0(VALU_DEP_2) | instskip(SKIP_1) | instid1(VALU_DEP_1)
	v_mad_u64_u32 v[8:9], null, s21, v21, v[3:4]
	v_add_co_u32 v63, s3, s31, v4
	v_add_co_ci_u32_e64 v64, s3, s30, v5, s3
	v_lshlrev_b64 v[4:5], 3, v[17:18]
	v_add_co_u32 v65, s3, s4, v12
	v_mov_b32_e32 v3, v8
	v_add_co_ci_u32_e64 v66, s3, s44, v13, s3
	v_mov_b32_e32 v8, 0
	v_mov_b32_e32 v9, 0
	s_delay_alu instid0(VALU_DEP_4) | instskip(SKIP_1) | instid1(VALU_DEP_1)
	v_lshlrev_b64 v[2:3], 3, v[2:3]
	v_add_co_u32 v67, s3, s4, v4
	v_add_co_ci_u32_e64 v68, s3, s44, v5, s3
	s_delay_alu instid0(VALU_DEP_4) | instskip(NEXT) | instid1(VALU_DEP_4)
	v_dual_mov_b32 v6, v8 :: v_dual_mov_b32 v7, v9
	v_add_co_u32 v69, s3, s31, v2
	s_delay_alu instid0(VALU_DEP_1)
	v_add_co_ci_u32_e64 v70, s3, s30, v3, s3
	v_dual_mov_b32 v4, v8 :: v_dual_mov_b32 v5, v9
	v_dual_mov_b32 v2, v8 :: v_dual_mov_b32 v3, v9
	s_lshl_b64 s[30:31], s[20:21], 9
	s_branch .LBB67_17
.LBB67_13:                              ;   in Loop: Header=BB67_17 Depth=1
	s_or_b32 exec_lo, exec_lo, s44
	s_waitcnt vmcnt(3)
	v_fma_f64 v[4:5], v[12:13], v[44:45], v[4:5]
	s_waitcnt vmcnt(2)
	s_delay_alu instid0(VALU_DEP_1) | instskip(SKIP_1) | instid1(VALU_DEP_1)
	v_fma_f64 v[4:5], v[14:15], v[46:47], v[4:5]
	s_waitcnt vmcnt(1)
	v_fma_f64 v[4:5], v[16:17], v[48:49], v[4:5]
	s_waitcnt vmcnt(0)
	s_delay_alu instid0(VALU_DEP_1)
	v_fma_f64 v[4:5], v[18:19], v[50:51], v[4:5]
.LBB67_14:                              ;   in Loop: Header=BB67_17 Depth=1
	s_or_b32 exec_lo, exec_lo, s43
	s_waitcnt vmcnt(3)
	v_fma_f64 v[6:7], v[12:13], v[34:35], v[6:7]
	s_waitcnt vmcnt(2)
	s_delay_alu instid0(VALU_DEP_1) | instskip(SKIP_1) | instid1(VALU_DEP_1)
	v_fma_f64 v[6:7], v[14:15], v[36:37], v[6:7]
	s_waitcnt vmcnt(1)
	v_fma_f64 v[6:7], v[16:17], v[38:39], v[6:7]
	s_waitcnt vmcnt(0)
	s_delay_alu instid0(VALU_DEP_1)
	v_fma_f64 v[6:7], v[18:19], v[40:41], v[6:7]
.LBB67_15:                              ;   in Loop: Header=BB67_17 Depth=1
	s_or_b32 exec_lo, exec_lo, s3
	s_waitcnt vmcnt(3)
	v_fma_f64 v[8:9], v[12:13], v[20:21], v[8:9]
	s_waitcnt vmcnt(2)
	s_delay_alu instid0(VALU_DEP_1) | instskip(SKIP_1) | instid1(VALU_DEP_1)
	v_fma_f64 v[8:9], v[14:15], v[22:23], v[8:9]
	s_waitcnt vmcnt(1)
	v_fma_f64 v[8:9], v[16:17], v[24:25], v[8:9]
	s_waitcnt vmcnt(0)
	s_delay_alu instid0(VALU_DEP_1)
	v_fma_f64 v[8:9], v[18:19], v[26:27], v[8:9]
.LBB67_16:                              ;   in Loop: Header=BB67_17 Depth=1
	s_or_b32 exec_lo, exec_lo, s4
	v_add_co_u32 v1, s3, v1, s22
	s_delay_alu instid0(VALU_DEP_1) | instskip(SKIP_1) | instid1(VALU_DEP_1)
	v_add_co_ci_u32_e64 v56, s3, s23, v56, s3
	v_add_co_u32 v57, s3, v57, s30
	v_add_co_ci_u32_e64 v58, s3, s31, v58, s3
	v_add_co_u32 v59, s3, v59, s22
	s_delay_alu instid0(VALU_DEP_1) | instskip(SKIP_1) | instid1(VALU_DEP_1)
	v_add_co_ci_u32_e64 v60, s3, s23, v60, s3
	v_add_co_u32 v61, s3, v61, s30
	v_add_co_ci_u32_e64 v62, s3, s31, v62, s3
	v_add_co_u32 v63, s3, v63, s30
	s_delay_alu instid0(VALU_DEP_1) | instskip(SKIP_4) | instid1(VALU_DEP_1)
	v_add_co_ci_u32_e64 v64, s3, s31, v64, s3
	v_add_co_u32 v65, s3, v65, s22
	v_add_nc_u32_e32 v55, 64, v55
	v_add_co_ci_u32_e64 v66, s3, s23, v66, s3
	v_add_co_u32 v67, s3, v67, s22
	v_add_co_ci_u32_e64 v68, s3, s23, v68, s3
	s_delay_alu instid0(VALU_DEP_4) | instskip(SKIP_1) | instid1(VALU_DEP_1)
	v_cmp_le_i32_e64 s3, s40, v55
	v_add_co_u32 v69, s4, v69, s30
	v_add_co_ci_u32_e64 v70, s4, s31, v70, s4
	s_delay_alu instid0(VALU_DEP_3) | instskip(NEXT) | instid1(SALU_CYCLE_1)
	s_or_b32 s42, s3, s42
	s_and_not1_b32 exec_lo, exec_lo, s42
	s_cbranch_execz .LBB67_22
.LBB67_17:                              ; =>This Inner Loop Header: Depth=1
	s_and_saveexec_b32 s4, vcc_lo
	s_cbranch_execz .LBB67_16
; %bb.18:                               ;   in Loop: Header=BB67_17 Depth=1
	v_add_co_u32 v12, s3, v1, s14
	s_delay_alu instid0(VALU_DEP_1) | instskip(SKIP_1) | instid1(VALU_DEP_1)
	v_add_co_ci_u32_e64 v13, s3, s15, v56, s3
	v_add_co_u32 v14, s3, v67, s14
	v_add_co_ci_u32_e64 v15, s3, s15, v68, s3
	v_add_co_u32 v16, s3, v65, s14
	s_delay_alu instid0(VALU_DEP_1) | instskip(SKIP_1) | instid1(VALU_DEP_1)
	v_add_co_ci_u32_e64 v17, s3, s15, v66, s3
	v_add_co_u32 v18, s3, v59, s14
	v_add_co_ci_u32_e64 v19, s3, s15, v60, s3
	;; [unrolled: 5-line block ×4, first 2 shown]
	global_load_b64 v[12:13], v[12:13], off
	global_load_b64 v[14:15], v[14:15], off
	global_load_b64 v[16:17], v[16:17], off
	global_load_b64 v[18:19], v[18:19], off
	global_load_b64 v[20:21], v[28:29], off
	global_load_b64 v[22:23], v[30:31], off
	global_load_b64 v[24:25], v[32:33], off
	global_load_b64 v[26:27], v[42:43], off
	s_and_saveexec_b32 s3, s0
	s_cbranch_execz .LBB67_15
; %bb.19:                               ;   in Loop: Header=BB67_17 Depth=1
	global_load_b64 v[34:35], v[28:29], off offset:512
	global_load_b64 v[36:37], v[30:31], off offset:512
	global_load_b64 v[38:39], v[32:33], off offset:512
	global_load_b64 v[40:41], v[42:43], off offset:512
	s_and_saveexec_b32 s43, s1
	s_cbranch_execz .LBB67_14
; %bb.20:                               ;   in Loop: Header=BB67_17 Depth=1
	global_load_b64 v[44:45], v[28:29], off offset:1024
	global_load_b64 v[46:47], v[30:31], off offset:1024
	global_load_b64 v[48:49], v[32:33], off offset:1024
	global_load_b64 v[50:51], v[42:43], off offset:1024
	;; [unrolled: 7-line block ×3, first 2 shown]
	s_waitcnt vmcnt(3)
	v_fma_f64 v[2:3], v[12:13], v[28:29], v[2:3]
	s_waitcnt vmcnt(2)
	s_delay_alu instid0(VALU_DEP_1) | instskip(SKIP_1) | instid1(VALU_DEP_1)
	v_fma_f64 v[2:3], v[14:15], v[30:31], v[2:3]
	s_waitcnt vmcnt(1)
	v_fma_f64 v[2:3], v[16:17], v[32:33], v[2:3]
	s_waitcnt vmcnt(0)
	s_delay_alu instid0(VALU_DEP_1)
	v_fma_f64 v[2:3], v[18:19], v[42:43], v[2:3]
	s_branch .LBB67_13
.LBB67_22:
	s_or_b32 exec_lo, exec_lo, s42
.LBB67_23:
	s_delay_alu instid0(SALU_CYCLE_1) | instskip(SKIP_1) | instid1(SALU_CYCLE_1)
	s_or_b32 exec_lo, exec_lo, s41
	s_sub_i32 s0, s37, s40
	s_cmp_lt_i32 s0, 1
	s_cbranch_scc1 .LBB67_41
; %bb.24:
	v_mov_b32_e32 v14, 0
	v_mov_b32_e32 v15, 0
	v_cmp_gt_i32_e32 vcc_lo, s37, v55
	v_or_b32_e32 v20, 1, v55
	s_delay_alu instid0(VALU_DEP_4) | instskip(NEXT) | instid1(VALU_DEP_4)
	v_mov_b32_e32 v12, v14
	v_dual_mov_b32 v10, v14 :: v_dual_mov_b32 v11, v15
	v_dual_mov_b32 v17, v15 :: v_dual_mov_b32 v16, v14
	v_mov_b32_e32 v13, v15
	s_and_saveexec_b32 s1, vcc_lo
	s_cbranch_execz .LBB67_32
; %bb.25:
	v_mad_u64_u32 v[10:11], null, v55, s28, 0
	s_lshl_b64 s[2:3], s[10:11], 3
	s_delay_alu instid0(SALU_CYCLE_1) | instskip(SKIP_2) | instid1(SALU_CYCLE_1)
	s_add_u32 s0, s24, s2
	s_addc_u32 s2, s25, s3
	s_lshl_b64 s[10:11], s[26:27], 3
	s_add_u32 s3, s0, s10
	s_delay_alu instid0(VALU_DEP_1) | instskip(SKIP_2) | instid1(VALU_DEP_1)
	v_mov_b32_e32 v1, v11
	s_addc_u32 s4, s2, s11
	s_mov_b32 s2, exec_lo
	v_mad_u64_u32 v[11:12], null, v55, s29, v[1:2]
	v_mov_b32_e32 v12, 0
	v_mov_b32_e32 v13, 0
	s_delay_alu instid0(VALU_DEP_1) | instskip(NEXT) | instid1(VALU_DEP_4)
	v_dual_mov_b32 v17, v13 :: v_dual_mov_b32 v16, v12
	v_lshlrev_b64 v[10:11], 3, v[10:11]
	v_dual_mov_b32 v15, v13 :: v_dual_mov_b32 v14, v12
	s_delay_alu instid0(VALU_DEP_2) | instskip(NEXT) | instid1(VALU_DEP_1)
	v_add_co_u32 v10, s0, s3, v10
	v_add_co_ci_u32_e64 v11, s0, s4, v11, s0
	global_load_b64 v[10:11], v[10:11], off
	v_cmpx_gt_i32_e64 s37, v20
	s_cbranch_execz .LBB67_31
; %bb.26:
	v_mad_u64_u32 v[12:13], null, v20, s28, 0
	s_mov_b32 s10, exec_lo
	v_mov_b32_e32 v16, 0
	v_mov_b32_e32 v17, 0
	s_delay_alu instid0(VALU_DEP_3) | instskip(NEXT) | instid1(VALU_DEP_1)
	v_mov_b32_e32 v1, v13
	v_mad_u64_u32 v[13:14], null, v20, s29, v[1:2]
	v_or_b32_e32 v1, 2, v55
	s_delay_alu instid0(VALU_DEP_4) | instskip(NEXT) | instid1(VALU_DEP_3)
	v_dual_mov_b32 v14, v16 :: v_dual_mov_b32 v15, v17
	v_lshlrev_b64 v[12:13], 3, v[12:13]
	s_delay_alu instid0(VALU_DEP_1) | instskip(NEXT) | instid1(VALU_DEP_1)
	v_add_co_u32 v12, s0, s3, v12
	v_add_co_ci_u32_e64 v13, s0, s4, v13, s0
	global_load_b64 v[12:13], v[12:13], off
	v_cmpx_gt_i32_e64 s37, v1
	s_cbranch_execz .LBB67_30
; %bb.27:
	v_mad_u64_u32 v[14:15], null, v1, s28, 0
	s_mov_b32 s11, exec_lo
	s_delay_alu instid0(VALU_DEP_1) | instskip(SKIP_1) | instid1(VALU_DEP_2)
	v_mad_u64_u32 v[16:17], null, v1, s29, v[15:16]
	v_or_b32_e32 v1, 3, v55
	v_mov_b32_e32 v15, v16
	s_delay_alu instid0(VALU_DEP_1) | instskip(NEXT) | instid1(VALU_DEP_1)
	v_lshlrev_b64 v[14:15], 3, v[14:15]
	v_add_co_u32 v14, s0, s3, v14
	s_delay_alu instid0(VALU_DEP_1)
	v_add_co_ci_u32_e64 v15, s0, s4, v15, s0
	global_load_b64 v[16:17], v[14:15], off
	v_mov_b32_e32 v14, 0
	v_mov_b32_e32 v15, 0
	v_cmpx_gt_i32_e64 s37, v1
	s_cbranch_execz .LBB67_29
; %bb.28:
	v_mad_u64_u32 v[14:15], null, v1, s28, 0
	s_waitcnt vmcnt(0)
	s_delay_alu instid0(VALU_DEP_1) | instskip(NEXT) | instid1(VALU_DEP_1)
	v_mad_u64_u32 v[18:19], null, v1, s29, v[15:16]
	v_mov_b32_e32 v15, v18
	s_delay_alu instid0(VALU_DEP_1) | instskip(NEXT) | instid1(VALU_DEP_1)
	v_lshlrev_b64 v[14:15], 3, v[14:15]
	v_add_co_u32 v14, s0, s3, v14
	s_delay_alu instid0(VALU_DEP_1)
	v_add_co_ci_u32_e64 v15, s0, s4, v15, s0
	global_load_b64 v[14:15], v[14:15], off
.LBB67_29:
	s_or_b32 exec_lo, exec_lo, s11
.LBB67_30:
	s_delay_alu instid0(SALU_CYCLE_1)
	s_or_b32 exec_lo, exec_lo, s10
.LBB67_31:
	s_delay_alu instid0(SALU_CYCLE_1)
	s_or_b32 exec_lo, exec_lo, s2
.LBB67_32:
	s_delay_alu instid0(SALU_CYCLE_1) | instskip(NEXT) | instid1(SALU_CYCLE_1)
	s_or_b32 exec_lo, exec_lo, s1
	s_mov_b32 s1, exec_lo
	v_cmpx_gt_i32_e64 s36, v0
	s_cbranch_execz .LBB67_40
; %bb.33:
	v_mad_u64_u32 v[18:19], null, v55, s20, 0
	v_mad_u64_u32 v[24:25], null, v20, s20, 0
	s_lshl_b64 s[2:3], s[6:7], 3
	v_or_b32_e32 v27, 2, v55
	s_add_u32 s0, s16, s2
	s_addc_u32 s4, s17, s3
	s_delay_alu instid0(VALU_DEP_3) | instskip(SKIP_3) | instid1(VALU_DEP_2)
	v_dual_mov_b32 v1, v19 :: v_dual_cndmask_b32 v18, 0, v18
	s_lshl_b64 s[2:3], s[18:19], 3
	v_or_b32_e32 v36, 3, v55
	s_add_u32 s0, s0, s2
	v_mad_u64_u32 v[21:22], null, v55, s21, v[1:2]
	v_ashrrev_i32_e32 v1, 31, v0
	s_addc_u32 s2, s4, s3
	s_delay_alu instid0(VALU_DEP_1) | instskip(NEXT) | instid1(VALU_DEP_3)
	v_lshlrev_b64 v[22:23], 3, v[0:1]
	v_cndmask_b32_e32 v19, 0, v21, vcc_lo
	s_delay_alu instid0(VALU_DEP_1) | instskip(NEXT) | instid1(VALU_DEP_1)
	v_lshlrev_b64 v[18:19], 3, v[18:19]
	v_add_co_u32 v1, vcc_lo, s0, v18
	s_delay_alu instid0(VALU_DEP_2) | instskip(NEXT) | instid1(VALU_DEP_2)
	v_add_co_ci_u32_e32 v19, vcc_lo, s2, v19, vcc_lo
	v_add_co_u32 v18, vcc_lo, v1, v22
	s_delay_alu instid0(VALU_DEP_2) | instskip(SKIP_4) | instid1(VALU_DEP_1)
	v_add_co_ci_u32_e32 v19, vcc_lo, v19, v23, vcc_lo
	v_mov_b32_e32 v1, v25
	v_cmp_gt_i32_e32 vcc_lo, s37, v20
	global_load_b64 v[28:29], v[18:19], off
	v_mad_u64_u32 v[25:26], null, v20, s21, v[1:2]
	v_dual_cndmask_b32 v20, 0, v24 :: v_dual_cndmask_b32 v21, 0, v25
	v_mad_u64_u32 v[24:25], null, v27, s20, 0
	s_delay_alu instid0(VALU_DEP_2) | instskip(NEXT) | instid1(VALU_DEP_1)
	v_lshlrev_b64 v[20:21], 3, v[20:21]
	v_add_co_u32 v1, vcc_lo, s0, v20
	s_delay_alu instid0(VALU_DEP_2) | instskip(NEXT) | instid1(VALU_DEP_2)
	v_add_co_ci_u32_e32 v21, vcc_lo, s2, v21, vcc_lo
	v_add_co_u32 v20, vcc_lo, v1, v22
	s_delay_alu instid0(VALU_DEP_2)
	v_add_co_ci_u32_e32 v21, vcc_lo, v21, v23, vcc_lo
	v_mov_b32_e32 v1, v25
	v_cmp_gt_i32_e32 vcc_lo, s37, v27
	global_load_b64 v[30:31], v[20:21], off
	v_mad_u64_u32 v[25:26], null, v27, s21, v[1:2]
	v_cndmask_b32_e32 v24, 0, v24, vcc_lo
	v_mad_u64_u32 v[26:27], null, v36, s20, 0
	s_delay_alu instid0(VALU_DEP_3) | instskip(NEXT) | instid1(VALU_DEP_1)
	v_cndmask_b32_e32 v25, 0, v25, vcc_lo
	v_lshlrev_b64 v[24:25], 3, v[24:25]
	s_delay_alu instid0(VALU_DEP_1) | instskip(NEXT) | instid1(VALU_DEP_2)
	v_add_co_u32 v1, vcc_lo, s0, v24
	v_add_co_ci_u32_e32 v25, vcc_lo, s2, v25, vcc_lo
	s_delay_alu instid0(VALU_DEP_2) | instskip(NEXT) | instid1(VALU_DEP_2)
	v_add_co_u32 v24, vcc_lo, v1, v22
	v_add_co_ci_u32_e32 v25, vcc_lo, v25, v23, vcc_lo
	v_mov_b32_e32 v1, v27
	v_cmp_gt_i32_e32 vcc_lo, s37, v36
	global_load_b64 v[32:33], v[24:25], off
	v_mad_u64_u32 v[34:35], null, v36, s21, v[1:2]
	v_cndmask_b32_e32 v26, 0, v26, vcc_lo
	s_delay_alu instid0(VALU_DEP_2) | instskip(NEXT) | instid1(VALU_DEP_1)
	v_cndmask_b32_e32 v27, 0, v34, vcc_lo
	v_lshlrev_b64 v[26:27], 3, v[26:27]
	s_delay_alu instid0(VALU_DEP_1) | instskip(NEXT) | instid1(VALU_DEP_2)
	v_add_co_u32 v1, vcc_lo, s0, v26
	v_add_co_ci_u32_e32 v27, vcc_lo, s2, v27, vcc_lo
	s_mov_b32 s0, exec_lo
	s_delay_alu instid0(VALU_DEP_2) | instskip(NEXT) | instid1(VALU_DEP_2)
	v_add_co_u32 v26, vcc_lo, v1, v22
	v_add_co_ci_u32_e32 v27, vcc_lo, v27, v23, vcc_lo
	v_add_nc_u32_e32 v1, 64, v0
	global_load_b64 v[22:23], v[26:27], off
	s_waitcnt vmcnt(3)
	v_fma_f64 v[8:9], v[10:11], v[28:29], v[8:9]
	s_waitcnt vmcnt(2)
	s_delay_alu instid0(VALU_DEP_1) | instskip(SKIP_1) | instid1(VALU_DEP_1)
	v_fma_f64 v[8:9], v[12:13], v[30:31], v[8:9]
	s_waitcnt vmcnt(1)
	v_fma_f64 v[8:9], v[16:17], v[32:33], v[8:9]
	v_cmpx_gt_i32_e64 s36, v1
	s_cbranch_execz .LBB67_39
; %bb.34:
	s_clause 0x3
	global_load_b64 v[30:31], v[18:19], off offset:512
	global_load_b64 v[32:33], v[20:21], off offset:512
	global_load_b64 v[34:35], v[24:25], off offset:512
	global_load_b64 v[28:29], v[26:27], off offset:512
	v_add_nc_u32_e32 v1, 0x80, v0
	s_mov_b32 s2, exec_lo
	s_waitcnt vmcnt(3)
	v_fma_f64 v[6:7], v[10:11], v[30:31], v[6:7]
	s_waitcnt vmcnt(2)
	s_delay_alu instid0(VALU_DEP_1) | instskip(SKIP_1) | instid1(VALU_DEP_1)
	v_fma_f64 v[6:7], v[12:13], v[32:33], v[6:7]
	s_waitcnt vmcnt(1)
	v_fma_f64 v[6:7], v[16:17], v[34:35], v[6:7]
	v_cmpx_gt_i32_e64 s36, v1
	s_cbranch_execz .LBB67_38
; %bb.35:
	s_clause 0x3
	global_load_b64 v[32:33], v[18:19], off offset:1024
	global_load_b64 v[34:35], v[20:21], off offset:1024
	;; [unrolled: 1-line block ×4, first 2 shown]
	v_add_nc_u32_e32 v0, 0xc0, v0
	s_mov_b32 s3, exec_lo
	s_waitcnt vmcnt(3)
	v_fma_f64 v[4:5], v[10:11], v[32:33], v[4:5]
	s_waitcnt vmcnt(2)
	s_delay_alu instid0(VALU_DEP_1) | instskip(SKIP_1) | instid1(VALU_DEP_1)
	v_fma_f64 v[4:5], v[12:13], v[34:35], v[4:5]
	s_waitcnt vmcnt(1)
	v_fma_f64 v[4:5], v[16:17], v[36:37], v[4:5]
	v_cmpx_gt_i32_e64 s36, v0
	s_cbranch_execz .LBB67_37
; %bb.36:
	s_clause 0x3
	global_load_b64 v[0:1], v[18:19], off offset:1536
	global_load_b64 v[18:19], v[20:21], off offset:1536
	;; [unrolled: 1-line block ×4, first 2 shown]
	s_waitcnt vmcnt(3)
	v_fma_f64 v[0:1], v[10:11], v[0:1], v[2:3]
	s_waitcnt vmcnt(2)
	s_delay_alu instid0(VALU_DEP_1) | instskip(SKIP_1) | instid1(VALU_DEP_1)
	v_fma_f64 v[0:1], v[12:13], v[18:19], v[0:1]
	s_waitcnt vmcnt(1)
	v_fma_f64 v[0:1], v[16:17], v[20:21], v[0:1]
	s_waitcnt vmcnt(0)
	s_delay_alu instid0(VALU_DEP_1)
	v_fma_f64 v[2:3], v[14:15], v[24:25], v[0:1]
.LBB67_37:
	s_or_b32 exec_lo, exec_lo, s3
	s_waitcnt vmcnt(0)
	s_delay_alu instid0(VALU_DEP_2)
	v_fma_f64 v[4:5], v[14:15], v[30:31], v[4:5]
.LBB67_38:
	s_or_b32 exec_lo, exec_lo, s2
	s_waitcnt vmcnt(0)
	s_delay_alu instid0(VALU_DEP_2)
	v_fma_f64 v[6:7], v[14:15], v[28:29], v[6:7]
.LBB67_39:
	s_or_b32 exec_lo, exec_lo, s0
	s_waitcnt vmcnt(0)
	s_delay_alu instid0(VALU_DEP_2)
	v_fma_f64 v[8:9], v[14:15], v[22:23], v[8:9]
.LBB67_40:
	s_or_b32 exec_lo, exec_lo, s1
.LBB67_41:
	v_lshlrev_b32_e32 v0, 8, v54
	s_mov_b32 s0, exec_lo
	s_delay_alu instid0(VALU_DEP_1)
	v_add_lshl_u32 v0, v0, v53, 3
	ds_store_2addr_stride64_b64 v0, v[8:9], v[6:7] offset1:1
	ds_store_2addr_stride64_b64 v0, v[4:5], v[2:3] offset0:2 offset1:3
	s_waitcnt vmcnt(0) lgkmcnt(0)
	s_barrier
	buffer_gl0_inv
                                        ; implicit-def: $vgpr2_vgpr3
                                        ; implicit-def: $vgpr0_vgpr1
	v_cmpx_gt_u32_e32 0x100, v52
	s_cbranch_execz .LBB67_47
; %bb.42:
	v_lshlrev_b32_e32 v7, 3, v52
	v_or_b32_e32 v6, s39, v52
	s_mov_b32 s2, s38
	s_mov_b32 s1, exec_lo
	ds_load_2addr_stride64_b64 v[0:3], v7 offset1:4
	s_waitcnt lgkmcnt(0)
	v_add_f64 v[4:5], v[0:1], v[2:3]
	ds_load_2addr_stride64_b64 v[0:3], v7 offset0:8 offset1:12
	s_waitcnt lgkmcnt(0)
	v_add_f64 v[0:1], v[0:1], v[4:5]
	s_delay_alu instid0(VALU_DEP_1) | instskip(SKIP_3) | instid1(VALU_DEP_1)
	v_add_f64 v[4:5], v[2:3], v[0:1]
	ds_load_2addr_stride64_b64 v[0:3], v7 offset0:16 offset1:20
	s_waitcnt lgkmcnt(0)
	v_add_f64 v[0:1], v[0:1], v[4:5]
	v_add_f64 v[4:5], v[2:3], v[0:1]
	ds_load_2addr_stride64_b64 v[0:3], v7 offset0:24 offset1:28
	s_waitcnt lgkmcnt(0)
	v_add_f64 v[0:1], v[0:1], v[4:5]
	s_delay_alu instid0(VALU_DEP_1) | instskip(SKIP_3) | instid1(VALU_DEP_1)
	v_add_f64 v[4:5], v[2:3], v[0:1]
	ds_load_2addr_stride64_b64 v[0:3], v7 offset0:32 offset1:36
	s_waitcnt lgkmcnt(0)
	v_add_f64 v[0:1], v[0:1], v[4:5]
	;; [unrolled: 9-line block ×3, first 2 shown]
	v_add_f64 v[4:5], v[2:3], v[0:1]
	ds_load_2addr_stride64_b64 v[0:3], v7 offset0:56 offset1:60
	s_waitcnt lgkmcnt(0)
	v_add_f64 v[0:1], v[0:1], v[4:5]
	s_delay_alu instid0(VALU_DEP_1)
	v_add_f64 v[4:5], v[2:3], v[0:1]
                                        ; implicit-def: $vgpr2_vgpr3
                                        ; implicit-def: $vgpr0_vgpr1
	ds_store_b64 v7, v[4:5]
	v_cmpx_gt_i32_e64 s36, v6
	s_cbranch_execz .LBB67_46
; %bb.43:
	v_cmp_eq_f64_e64 s2, s[12:13], 0
	v_mul_f64 v[2:3], v[4:5], s[34:35]
	v_ashrrev_i32_e32 v0, 31, v6
	v_mul_lo_u32 v4, v6, s9
	s_delay_alu instid0(VALU_DEP_2) | instskip(SKIP_1) | instid1(VALU_DEP_1)
	v_mul_lo_u32 v5, v0, s8
	v_mad_u64_u32 v[0:1], null, v6, s8, 0
	v_add3_u32 v1, v1, v4, v5
	s_and_b32 vcc_lo, exec_lo, s2
	s_cbranch_vccnz .LBB67_45
; %bb.44:
	s_delay_alu instid0(VALU_DEP_1) | instskip(NEXT) | instid1(VALU_DEP_1)
	v_lshlrev_b64 v[4:5], 3, v[0:1]
	v_add_co_u32 v4, vcc_lo, s5, v4
	s_delay_alu instid0(VALU_DEP_2)
	v_add_co_ci_u32_e32 v5, vcc_lo, s33, v5, vcc_lo
	global_load_b64 v[4:5], v[4:5], off
	s_waitcnt vmcnt(0)
	v_fma_f64 v[2:3], v[4:5], s[12:13], v[2:3]
.LBB67_45:
	s_or_b32 s2, s38, exec_lo
.LBB67_46:
	s_or_b32 exec_lo, exec_lo, s1
	s_delay_alu instid0(SALU_CYCLE_1) | instskip(SKIP_1) | instid1(SALU_CYCLE_1)
	s_and_not1_b32 s1, s38, exec_lo
	s_and_b32 s2, s2, exec_lo
	s_or_b32 s38, s1, s2
.LBB67_47:
	s_or_b32 exec_lo, exec_lo, s0
.LBB67_48:
	s_and_saveexec_b32 s0, s38
	s_cbranch_execz .LBB67_50
; %bb.49:
	v_lshlrev_b64 v[0:1], 3, v[0:1]
	s_delay_alu instid0(VALU_DEP_1) | instskip(NEXT) | instid1(VALU_DEP_2)
	v_add_co_u32 v0, vcc_lo, s5, v0
	v_add_co_ci_u32_e32 v1, vcc_lo, s33, v1, vcc_lo
	global_store_b64 v[0:1], v[2:3], off
.LBB67_50:
	s_nop 0
	s_sendmsg sendmsg(MSG_DEALLOC_VGPRS)
	s_endpgm
	.section	.rodata,"a",@progbits
	.p2align	6, 0x0
	.amdhsa_kernel _ZL20rocblas_gemvn_kernelILi64ELi16EldddEviiT3_lPKT2_lT1_lS3_lS4_lS0_lPT4_lS4_li
		.amdhsa_group_segment_fixed_size 32768
		.amdhsa_private_segment_fixed_size 0
		.amdhsa_kernarg_size 400
		.amdhsa_user_sgpr_count 14
		.amdhsa_user_sgpr_dispatch_ptr 0
		.amdhsa_user_sgpr_queue_ptr 0
		.amdhsa_user_sgpr_kernarg_segment_ptr 1
		.amdhsa_user_sgpr_dispatch_id 0
		.amdhsa_user_sgpr_private_segment_size 0
		.amdhsa_wavefront_size32 1
		.amdhsa_uses_dynamic_stack 0
		.amdhsa_enable_private_segment 0
		.amdhsa_system_sgpr_workgroup_id_x 1
		.amdhsa_system_sgpr_workgroup_id_y 0
		.amdhsa_system_sgpr_workgroup_id_z 1
		.amdhsa_system_sgpr_workgroup_info 0
		.amdhsa_system_vgpr_workitem_id 1
		.amdhsa_next_free_vgpr 71
		.amdhsa_next_free_sgpr 45
		.amdhsa_reserve_vcc 1
		.amdhsa_float_round_mode_32 0
		.amdhsa_float_round_mode_16_64 0
		.amdhsa_float_denorm_mode_32 3
		.amdhsa_float_denorm_mode_16_64 3
		.amdhsa_dx10_clamp 1
		.amdhsa_ieee_mode 1
		.amdhsa_fp16_overflow 0
		.amdhsa_workgroup_processor_mode 1
		.amdhsa_memory_ordered 1
		.amdhsa_forward_progress 0
		.amdhsa_shared_vgpr_count 0
		.amdhsa_exception_fp_ieee_invalid_op 0
		.amdhsa_exception_fp_denorm_src 0
		.amdhsa_exception_fp_ieee_div_zero 0
		.amdhsa_exception_fp_ieee_overflow 0
		.amdhsa_exception_fp_ieee_underflow 0
		.amdhsa_exception_fp_ieee_inexact 0
		.amdhsa_exception_int_div_zero 0
	.end_amdhsa_kernel
	.section	.text._ZL20rocblas_gemvn_kernelILi64ELi16EldddEviiT3_lPKT2_lT1_lS3_lS4_lS0_lPT4_lS4_li,"axG",@progbits,_ZL20rocblas_gemvn_kernelILi64ELi16EldddEviiT3_lPKT2_lT1_lS3_lS4_lS0_lPT4_lS4_li,comdat
.Lfunc_end67:
	.size	_ZL20rocblas_gemvn_kernelILi64ELi16EldddEviiT3_lPKT2_lT1_lS3_lS4_lS0_lPT4_lS4_li, .Lfunc_end67-_ZL20rocblas_gemvn_kernelILi64ELi16EldddEviiT3_lPKT2_lT1_lS3_lS4_lS0_lPT4_lS4_li
                                        ; -- End function
	.section	.AMDGPU.csdata,"",@progbits
; Kernel info:
; codeLenInByte = 3740
; NumSgprs: 47
; NumVgprs: 71
; ScratchSize: 0
; MemoryBound: 1
; FloatMode: 240
; IeeeMode: 1
; LDSByteSize: 32768 bytes/workgroup (compile time only)
; SGPRBlocks: 5
; VGPRBlocks: 8
; NumSGPRsForWavesPerEU: 47
; NumVGPRsForWavesPerEU: 71
; Occupancy: 16
; WaveLimiterHint : 1
; COMPUTE_PGM_RSRC2:SCRATCH_EN: 0
; COMPUTE_PGM_RSRC2:USER_SGPR: 14
; COMPUTE_PGM_RSRC2:TRAP_HANDLER: 0
; COMPUTE_PGM_RSRC2:TGID_X_EN: 1
; COMPUTE_PGM_RSRC2:TGID_Y_EN: 0
; COMPUTE_PGM_RSRC2:TGID_Z_EN: 1
; COMPUTE_PGM_RSRC2:TIDIG_COMP_CNT: 1
	.section	.text._ZL22rocblas_gemvtsm_kernelILb0ELi256EdPKddEviiT2_lPKT1_lilS5_lilS2_lPT3_lil,"axG",@progbits,_ZL22rocblas_gemvtsm_kernelILb0ELi256EdPKddEviiT2_lPKT1_lilS5_lilS2_lPT3_lil,comdat
	.globl	_ZL22rocblas_gemvtsm_kernelILb0ELi256EdPKddEviiT2_lPKT1_lilS5_lilS2_lPT3_lil ; -- Begin function _ZL22rocblas_gemvtsm_kernelILb0ELi256EdPKddEviiT2_lPKT1_lilS5_lilS2_lPT3_lil
	.p2align	8
	.type	_ZL22rocblas_gemvtsm_kernelILb0ELi256EdPKddEviiT2_lPKT1_lilS5_lilS2_lPT3_lil,@function
_ZL22rocblas_gemvtsm_kernelILb0ELi256EdPKddEviiT2_lPKT1_lilS5_lilS2_lPT3_lil: ; @_ZL22rocblas_gemvtsm_kernelILb0ELi256EdPKddEviiT2_lPKT1_lilS5_lilS2_lPT3_lil
; %bb.0:
	s_clause 0x1
	s_load_b256 s[4:11], s[0:1], 0x8
	s_load_b256 s[16:23], s[0:1], 0x50
	s_waitcnt lgkmcnt(0)
	s_mul_i32 s3, s15, s7
	s_mul_hi_u32 s7, s15, s6
	s_mul_i32 s2, s15, s6
	s_add_i32 s3, s7, s3
	s_mul_i32 s6, s15, s21
	s_lshl_b64 s[2:3], s[2:3], 3
	s_mul_hi_u32 s7, s15, s20
	s_add_u32 s2, s4, s2
	s_addc_u32 s3, s5, s3
	s_add_i32 s5, s7, s6
	s_mul_i32 s4, s15, s20
	s_delay_alu instid0(SALU_CYCLE_1) | instskip(NEXT) | instid1(SALU_CYCLE_1)
	s_lshl_b64 s[4:5], s[4:5], 3
	s_add_u32 s4, s18, s4
	s_addc_u32 s5, s19, s5
	s_load_b64 s[26:27], s[2:3], 0x0
	s_load_b64 s[12:13], s[4:5], 0x0
	s_waitcnt lgkmcnt(0)
	v_cmp_eq_f64_e64 s2, s[26:27], 0
	v_cmp_eq_f64_e64 s3, s[12:13], 1.0
	s_delay_alu instid0(VALU_DEP_1) | instskip(NEXT) | instid1(SALU_CYCLE_1)
	s_and_b32 s2, s2, s3
	s_and_b32 vcc_lo, exec_lo, s2
	s_cbranch_vccnz .LBB68_34
; %bb.1:
	v_cmp_neq_f64_e64 s4, s[26:27], 0
	s_clause 0x3
	s_load_b64 s[2:3], s[0:1], 0x80
	s_load_b32 s18, s[0:1], 0x78
	s_load_b64 s[24:25], s[0:1], 0x70
	s_load_b64 s[20:21], s[0:1], 0x0
	s_waitcnt lgkmcnt(0)
	s_mul_i32 s3, s15, s3
	s_mul_hi_u32 s5, s15, s2
	s_mul_i32 s28, s15, s2
	s_add_i32 s29, s5, s3
	s_delay_alu instid0(VALU_DEP_1)
	s_and_b32 vcc_lo, exec_lo, s4
	s_cbranch_vccnz .LBB68_9
; %bb.2:
	v_cmp_neq_f64_e64 s2, s[12:13], 0
	s_cmp_gt_i32 s21, 0
	s_cselect_b32 s4, -1, 0
	s_delay_alu instid0(SALU_CYCLE_1) | instskip(NEXT) | instid1(VALU_DEP_2)
	v_cndmask_b32_e64 v1, 0, 1, s4
	s_and_b32 vcc_lo, exec_lo, s2
	s_delay_alu instid0(VALU_DEP_1)
	v_cmp_ne_u32_e64 s2, 1, v1
	s_cbranch_vccnz .LBB68_10
; %bb.3:
	s_delay_alu instid0(VALU_DEP_1)
	s_and_b32 vcc_lo, exec_lo, s2
	s_cbranch_vccnz .LBB68_8
; %bb.4:
	v_mad_i64_i32 v[1:2], null, s18, v0, 0
	s_lshl_b64 s[6:7], s[24:25], 3
	s_ashr_i32 s19, s18, 31
	s_lshl_b64 s[2:3], s[28:29], 3
	s_add_u32 s5, s22, s6
	s_addc_u32 s6, s23, s7
	s_add_u32 s2, s5, s2
	s_delay_alu instid0(VALU_DEP_1) | instskip(SKIP_3) | instid1(VALU_DEP_2)
	v_lshlrev_b64 v[1:2], 3, v[1:2]
	s_addc_u32 s3, s6, s3
	v_mov_b32_e32 v3, 0
	s_mov_b32 s5, 0
	v_add_co_u32 v1, vcc_lo, s2, v1
	s_delay_alu instid0(VALU_DEP_3)
	v_add_co_ci_u32_e32 v2, vcc_lo, s3, v2, vcc_lo
	s_lshl_b64 s[2:3], s[18:19], 11
	s_branch .LBB68_6
.LBB68_5:                               ;   in Loop: Header=BB68_6 Depth=1
	s_or_b32 exec_lo, exec_lo, s6
	v_add_co_u32 v1, vcc_lo, v1, s2
	v_add_co_ci_u32_e32 v2, vcc_lo, s3, v2, vcc_lo
	s_addk_i32 s5, 0x100
	s_delay_alu instid0(SALU_CYCLE_1)
	s_cmp_ge_i32 s5, s21
	s_cbranch_scc1 .LBB68_8
.LBB68_6:                               ; =>This Inner Loop Header: Depth=1
	v_add_nc_u32_e32 v4, s5, v0
	s_mov_b32 s6, exec_lo
	s_delay_alu instid0(VALU_DEP_1)
	v_cmpx_gt_i32_e64 s21, v4
	s_cbranch_execz .LBB68_5
; %bb.7:                                ;   in Loop: Header=BB68_6 Depth=1
	v_mov_b32_e32 v4, v3
	global_store_b64 v[1:2], v[3:4], off
	s_branch .LBB68_5
.LBB68_8:
	s_cbranch_execz .LBB68_11
	s_branch .LBB68_16
.LBB68_9:
	s_branch .LBB68_17
.LBB68_10:
.LBB68_11:
	s_and_not1_b32 vcc_lo, exec_lo, s4
	s_cbranch_vccnz .LBB68_16
; %bb.12:
	v_mad_i64_i32 v[1:2], null, s18, v0, 0
	s_lshl_b64 s[4:5], s[24:25], 3
	s_ashr_i32 s19, s18, 31
	s_lshl_b64 s[2:3], s[28:29], 3
	s_add_u32 s4, s22, s4
	s_addc_u32 s5, s23, s5
	s_add_u32 s2, s4, s2
	s_delay_alu instid0(VALU_DEP_1) | instskip(SKIP_2) | instid1(VALU_DEP_1)
	v_lshlrev_b64 v[1:2], 3, v[1:2]
	s_addc_u32 s3, s5, s3
	s_mov_b32 s4, 0
	v_add_co_u32 v1, vcc_lo, s2, v1
	s_delay_alu instid0(VALU_DEP_2)
	v_add_co_ci_u32_e32 v2, vcc_lo, s3, v2, vcc_lo
	s_lshl_b64 s[2:3], s[18:19], 11
	s_branch .LBB68_14
	.p2align	6
.LBB68_13:                              ;   in Loop: Header=BB68_14 Depth=1
	s_or_b32 exec_lo, exec_lo, s5
	v_add_co_u32 v1, vcc_lo, v1, s2
	v_add_co_ci_u32_e32 v2, vcc_lo, s3, v2, vcc_lo
	s_addk_i32 s4, 0x100
	s_delay_alu instid0(SALU_CYCLE_1)
	s_cmp_ge_i32 s4, s21
	s_cbranch_scc1 .LBB68_16
.LBB68_14:                              ; =>This Inner Loop Header: Depth=1
	v_add_nc_u32_e32 v3, s4, v0
	s_mov_b32 s5, exec_lo
	s_delay_alu instid0(VALU_DEP_1)
	v_cmpx_gt_i32_e64 s21, v3
	s_cbranch_execz .LBB68_13
; %bb.15:                               ;   in Loop: Header=BB68_14 Depth=1
	global_load_b64 v[3:4], v[1:2], off
	s_waitcnt vmcnt(0)
	v_mul_f64 v[3:4], s[12:13], v[3:4]
	global_store_b64 v[1:2], v[3:4], off
	s_branch .LBB68_13
.LBB68_16:
	s_cbranch_execnz .LBB68_34
.LBB68_17:
	s_clause 0x1
	s_load_b128 s[4:7], s[0:1], 0x30
	s_load_b64 s[2:3], s[0:1], 0x40
	s_mov_b32 s14, exec_lo
	v_cmpx_gt_i32_e64 s20, v0
	s_cbranch_execz .LBB68_19
; %bb.18:
	s_load_b32 s19, s[0:1], 0x48
	s_mul_i32 s17, s15, s17
	s_mul_hi_u32 s30, s15, s16
	s_mul_i32 s16, s15, s16
	s_add_i32 s17, s30, s17
	v_lshlrev_b32_e32 v3, 3, v0
	s_lshl_b64 s[16:17], s[16:17], 3
	s_waitcnt lgkmcnt(0)
	s_add_u32 s6, s6, s16
	s_addc_u32 s7, s7, s17
	s_lshl_b64 s[2:3], s[2:3], 3
	s_delay_alu instid0(SALU_CYCLE_1) | instskip(SKIP_2) | instid1(VALU_DEP_1)
	s_add_u32 s2, s6, s2
	s_addc_u32 s3, s7, s3
	v_mad_i64_i32 v[1:2], null, s19, v0, 0
	v_lshlrev_b64 v[1:2], 3, v[1:2]
	s_delay_alu instid0(VALU_DEP_1) | instskip(NEXT) | instid1(VALU_DEP_2)
	v_add_co_u32 v1, vcc_lo, s2, v1
	v_add_co_ci_u32_e32 v2, vcc_lo, s3, v2, vcc_lo
	global_load_b64 v[1:2], v[1:2], off
	s_waitcnt vmcnt(0)
	v_mul_f64 v[1:2], s[26:27], v[1:2]
	ds_store_b64 v3, v[1:2]
.LBB68_19:
	s_or_b32 exec_lo, exec_lo, s14
	s_cmp_lt_i32 s21, 1
	s_waitcnt lgkmcnt(0)
	s_waitcnt_vscnt null, 0x0
	s_barrier
	buffer_gl0_inv
	s_cbranch_scc1 .LBB68_34
; %bb.20:
	s_load_b32 s2, s[0:1], 0x28
	s_lshl_b64 s[0:1], s[28:29], 3
	s_mul_hi_u32 s28, s4, s15
	s_mul_i32 s26, s4, s15
	v_cmp_neq_f64_e64 s4, s[12:13], 0
	s_add_u32 s3, s22, s0
	s_addc_u32 s6, s23, s1
	s_lshl_b64 s[0:1], s[24:25], 3
	s_mul_i32 s27, s5, s15
	s_add_u32 s5, s3, s0
	s_addc_u32 s6, s6, s1
	s_ashr_i32 s7, s18, 31
	s_waitcnt lgkmcnt(0)
	s_ashr_i32 s3, s2, 31
	s_cmp_gt_i32 s20, 0
	v_mad_i64_i32 v[1:2], null, s2, v0, 0
	s_cselect_b32 s14, -1, 0
	s_and_b32 s15, s20, 7
	s_cmp_gt_u32 s20, 7
	s_cselect_b32 s16, -1, 0
	s_and_b32 s17, s20, 0x7ffffff8
	s_cmp_lg_u32 s15, 0
	s_delay_alu instid0(VALU_DEP_1)
	v_lshlrev_b64 v[1:2], 3, v[1:2]
	s_cselect_b32 s19, -1, 0
	s_add_i32 s27, s28, s27
	s_lshl_b64 s[0:1], s[10:11], 3
	s_lshl_b64 s[10:11], s[26:27], 3
	s_add_u32 s0, s8, s0
	s_addc_u32 s1, s9, s1
	s_add_u32 s0, s0, s10
	s_addc_u32 s1, s1, s11
	v_add_co_u32 v9, vcc_lo, s0, v1
	v_add_co_ci_u32_e32 v10, vcc_lo, s1, v2, vcc_lo
	s_mov_b32 s1, 0
	s_delay_alu instid0(VALU_DEP_2) | instskip(NEXT) | instid1(VALU_DEP_2)
	v_add_co_u32 v1, vcc_lo, v9, 56
	v_add_co_ci_u32_e32 v2, vcc_lo, 0, v10, vcc_lo
	s_lshl_b64 s[2:3], s[2:3], 11
	s_mov_b32 s8, 0
	s_branch .LBB68_23
.LBB68_21:                              ;   in Loop: Header=BB68_23 Depth=1
	v_add_co_u32 v3, vcc_lo, s5, v3
	v_add_co_ci_u32_e32 v4, vcc_lo, s6, v4, vcc_lo
	global_store_b64 v[3:4], v[5:6], off
.LBB68_22:                              ;   in Loop: Header=BB68_23 Depth=1
	s_or_b32 exec_lo, exec_lo, s9
	v_add_co_u32 v1, vcc_lo, v1, s2
	v_add_co_ci_u32_e32 v2, vcc_lo, s3, v2, vcc_lo
	v_add_co_u32 v9, vcc_lo, v9, s2
	v_add_co_ci_u32_e32 v10, vcc_lo, s3, v10, vcc_lo
	s_addk_i32 s8, 0x100
	s_delay_alu instid0(SALU_CYCLE_1)
	s_cmp_ge_i32 s8, s21
	s_cbranch_scc1 .LBB68_34
.LBB68_23:                              ; =>This Loop Header: Depth=1
                                        ;     Child Loop BB68_29 Depth 2
                                        ;     Child Loop BB68_33 Depth 2
	v_add_nc_u32_e32 v3, s8, v0
	s_mov_b32 s9, exec_lo
	s_delay_alu instid0(VALU_DEP_1)
	v_cmpx_gt_i32_e64 s21, v3
	s_cbranch_execz .LBB68_22
; %bb.24:                               ;   in Loop: Header=BB68_23 Depth=1
	v_mad_u64_u32 v[4:5], null, v3, s18, 0
	s_and_not1_b32 vcc_lo, exec_lo, s4
	s_delay_alu instid0(VALU_DEP_1) | instskip(NEXT) | instid1(VALU_DEP_1)
	v_mad_u64_u32 v[6:7], null, v3, s7, v[5:6]
	v_mov_b32_e32 v5, v6
	s_delay_alu instid0(VALU_DEP_1)
	v_lshlrev_b64 v[3:4], 3, v[4:5]
	s_cbranch_vccnz .LBB68_26
; %bb.25:                               ;   in Loop: Header=BB68_23 Depth=1
	s_delay_alu instid0(VALU_DEP_1) | instskip(NEXT) | instid1(VALU_DEP_2)
	v_add_co_u32 v5, vcc_lo, s5, v3
	v_add_co_ci_u32_e32 v6, vcc_lo, s6, v4, vcc_lo
	global_load_b64 v[5:6], v[5:6], off
	s_waitcnt vmcnt(0)
	v_mul_f64 v[5:6], s[12:13], v[5:6]
	s_and_not1_b32 vcc_lo, exec_lo, s14
	s_cbranch_vccz .LBB68_27
	s_branch .LBB68_21
.LBB68_26:                              ;   in Loop: Header=BB68_23 Depth=1
	v_mov_b32_e32 v5, 0
	v_mov_b32_e32 v6, 0
	s_and_not1_b32 vcc_lo, exec_lo, s14
	s_cbranch_vccnz .LBB68_21
.LBB68_27:                              ;   in Loop: Header=BB68_23 Depth=1
	s_and_not1_b32 vcc_lo, exec_lo, s16
	s_cbranch_vccnz .LBB68_31
; %bb.28:                               ;   in Loop: Header=BB68_23 Depth=1
	v_dual_mov_b32 v8, v2 :: v_dual_mov_b32 v7, v1
	s_mov_b32 s0, 0
	s_mov_b32 s10, 0
	s_set_inst_prefetch_distance 0x1
	.p2align	6
.LBB68_29:                              ;   Parent Loop BB68_23 Depth=1
                                        ; =>  This Inner Loop Header: Depth=2
	s_clause 0x3
	global_load_b128 v[11:14], v[7:8], off offset:-56
	global_load_b128 v[15:18], v[7:8], off offset:-40
	;; [unrolled: 1-line block ×4, first 2 shown]
	v_mov_b32_e32 v35, s0
	v_add_co_u32 v7, vcc_lo, v7, 64
	v_add_co_ci_u32_e32 v8, vcc_lo, 0, v8, vcc_lo
	ds_load_b128 v[27:30], v35
	ds_load_b128 v[31:34], v35 offset:16
	s_add_i32 s10, s10, 8
	s_add_i32 s0, s0, 64
	s_cmp_eq_u32 s17, s10
	s_waitcnt vmcnt(3) lgkmcnt(1)
	v_fma_f64 v[5:6], v[27:28], v[11:12], v[5:6]
	s_delay_alu instid0(VALU_DEP_1) | instskip(SKIP_1) | instid1(VALU_DEP_1)
	v_fma_f64 v[5:6], v[29:30], v[13:14], v[5:6]
	s_waitcnt vmcnt(2) lgkmcnt(0)
	v_fma_f64 v[5:6], v[31:32], v[15:16], v[5:6]
	s_delay_alu instid0(VALU_DEP_1) | instskip(SKIP_4) | instid1(VALU_DEP_1)
	v_fma_f64 v[5:6], v[33:34], v[17:18], v[5:6]
	ds_load_b128 v[11:14], v35 offset:32
	ds_load_b128 v[15:18], v35 offset:48
	s_waitcnt vmcnt(1) lgkmcnt(1)
	v_fma_f64 v[5:6], v[11:12], v[19:20], v[5:6]
	v_fma_f64 v[5:6], v[13:14], v[21:22], v[5:6]
	s_waitcnt vmcnt(0) lgkmcnt(0)
	s_delay_alu instid0(VALU_DEP_1) | instskip(NEXT) | instid1(VALU_DEP_1)
	v_fma_f64 v[5:6], v[15:16], v[23:24], v[5:6]
	v_fma_f64 v[5:6], v[17:18], v[25:26], v[5:6]
	s_cbranch_scc0 .LBB68_29
; %bb.30:                               ;   in Loop: Header=BB68_23 Depth=1
	s_set_inst_prefetch_distance 0x2
	s_mov_b32 s0, s17
	s_and_not1_b32 vcc_lo, exec_lo, s19
	s_cbranch_vccz .LBB68_32
	s_branch .LBB68_21
.LBB68_31:                              ;   in Loop: Header=BB68_23 Depth=1
	s_mov_b32 s0, 0
	s_and_not1_b32 vcc_lo, exec_lo, s19
	s_cbranch_vccnz .LBB68_21
.LBB68_32:                              ;   in Loop: Header=BB68_23 Depth=1
	s_lshl_b64 s[10:11], s[0:1], 3
	s_lshl_b32 s0, s0, 3
	v_add_co_u32 v7, vcc_lo, v9, s10
	v_add_co_ci_u32_e32 v8, vcc_lo, s11, v10, vcc_lo
	s_mov_b32 s10, s15
.LBB68_33:                              ;   Parent Loop BB68_23 Depth=1
                                        ; =>  This Inner Loop Header: Depth=2
	global_load_b64 v[11:12], v[7:8], off
	v_mov_b32_e32 v13, s0
	v_add_co_u32 v7, vcc_lo, v7, 8
	v_add_co_ci_u32_e32 v8, vcc_lo, 0, v8, vcc_lo
	ds_load_b64 v[13:14], v13
	s_add_i32 s10, s10, -1
	s_add_i32 s0, s0, 8
	s_cmp_lg_u32 s10, 0
	s_waitcnt vmcnt(0) lgkmcnt(0)
	v_fma_f64 v[5:6], v[13:14], v[11:12], v[5:6]
	s_cbranch_scc1 .LBB68_33
	s_branch .LBB68_21
.LBB68_34:
	s_nop 0
	s_sendmsg sendmsg(MSG_DEALLOC_VGPRS)
	s_endpgm
	.section	.rodata,"a",@progbits
	.p2align	6, 0x0
	.amdhsa_kernel _ZL22rocblas_gemvtsm_kernelILb0ELi256EdPKddEviiT2_lPKT1_lilS5_lilS2_lPT3_lil
		.amdhsa_group_segment_fixed_size 512
		.amdhsa_private_segment_fixed_size 0
		.amdhsa_kernarg_size 136
		.amdhsa_user_sgpr_count 15
		.amdhsa_user_sgpr_dispatch_ptr 0
		.amdhsa_user_sgpr_queue_ptr 0
		.amdhsa_user_sgpr_kernarg_segment_ptr 1
		.amdhsa_user_sgpr_dispatch_id 0
		.amdhsa_user_sgpr_private_segment_size 0
		.amdhsa_wavefront_size32 1
		.amdhsa_uses_dynamic_stack 0
		.amdhsa_enable_private_segment 0
		.amdhsa_system_sgpr_workgroup_id_x 1
		.amdhsa_system_sgpr_workgroup_id_y 0
		.amdhsa_system_sgpr_workgroup_id_z 0
		.amdhsa_system_sgpr_workgroup_info 0
		.amdhsa_system_vgpr_workitem_id 0
		.amdhsa_next_free_vgpr 36
		.amdhsa_next_free_sgpr 31
		.amdhsa_reserve_vcc 1
		.amdhsa_float_round_mode_32 0
		.amdhsa_float_round_mode_16_64 0
		.amdhsa_float_denorm_mode_32 3
		.amdhsa_float_denorm_mode_16_64 3
		.amdhsa_dx10_clamp 1
		.amdhsa_ieee_mode 1
		.amdhsa_fp16_overflow 0
		.amdhsa_workgroup_processor_mode 1
		.amdhsa_memory_ordered 1
		.amdhsa_forward_progress 0
		.amdhsa_shared_vgpr_count 0
		.amdhsa_exception_fp_ieee_invalid_op 0
		.amdhsa_exception_fp_denorm_src 0
		.amdhsa_exception_fp_ieee_div_zero 0
		.amdhsa_exception_fp_ieee_overflow 0
		.amdhsa_exception_fp_ieee_underflow 0
		.amdhsa_exception_fp_ieee_inexact 0
		.amdhsa_exception_int_div_zero 0
	.end_amdhsa_kernel
	.section	.text._ZL22rocblas_gemvtsm_kernelILb0ELi256EdPKddEviiT2_lPKT1_lilS5_lilS2_lPT3_lil,"axG",@progbits,_ZL22rocblas_gemvtsm_kernelILb0ELi256EdPKddEviiT2_lPKT1_lilS5_lilS2_lPT3_lil,comdat
.Lfunc_end68:
	.size	_ZL22rocblas_gemvtsm_kernelILb0ELi256EdPKddEviiT2_lPKT1_lilS5_lilS2_lPT3_lil, .Lfunc_end68-_ZL22rocblas_gemvtsm_kernelILb0ELi256EdPKddEviiT2_lPKT1_lilS5_lilS2_lPT3_lil
                                        ; -- End function
	.section	.AMDGPU.csdata,"",@progbits
; Kernel info:
; codeLenInByte = 1540
; NumSgprs: 33
; NumVgprs: 36
; ScratchSize: 0
; MemoryBound: 0
; FloatMode: 240
; IeeeMode: 1
; LDSByteSize: 512 bytes/workgroup (compile time only)
; SGPRBlocks: 4
; VGPRBlocks: 4
; NumSGPRsForWavesPerEU: 33
; NumVGPRsForWavesPerEU: 36
; Occupancy: 16
; WaveLimiterHint : 1
; COMPUTE_PGM_RSRC2:SCRATCH_EN: 0
; COMPUTE_PGM_RSRC2:USER_SGPR: 15
; COMPUTE_PGM_RSRC2:TRAP_HANDLER: 0
; COMPUTE_PGM_RSRC2:TGID_X_EN: 1
; COMPUTE_PGM_RSRC2:TGID_Y_EN: 0
; COMPUTE_PGM_RSRC2:TGID_Z_EN: 0
; COMPUTE_PGM_RSRC2:TIDIG_COMP_CNT: 0
	.section	.text._ZL22rocblas_gemvtsm_kernelILb0ELi256EdddEviiT2_lPKT1_lilS3_lilS0_lPT3_lil,"axG",@progbits,_ZL22rocblas_gemvtsm_kernelILb0ELi256EdddEviiT2_lPKT1_lilS3_lilS0_lPT3_lil,comdat
	.globl	_ZL22rocblas_gemvtsm_kernelILb0ELi256EdddEviiT2_lPKT1_lilS3_lilS0_lPT3_lil ; -- Begin function _ZL22rocblas_gemvtsm_kernelILb0ELi256EdddEviiT2_lPKT1_lilS3_lilS0_lPT3_lil
	.p2align	8
	.type	_ZL22rocblas_gemvtsm_kernelILb0ELi256EdddEviiT2_lPKT1_lilS3_lilS0_lPT3_lil,@function
_ZL22rocblas_gemvtsm_kernelILb0ELi256EdddEviiT2_lPKT1_lilS3_lilS0_lPT3_lil: ; @_ZL22rocblas_gemvtsm_kernelILb0ELi256EdddEviiT2_lPKT1_lilS3_lilS0_lPT3_lil
; %bb.0:
	s_clause 0x1
	s_load_b64 s[22:23], s[0:1], 0x8
	s_load_b128 s[4:7], s[0:1], 0x50
	s_waitcnt lgkmcnt(0)
	v_cmp_eq_f64_e64 s2, s[22:23], 0
	v_cmp_eq_f64_e64 s3, s[6:7], 1.0
	s_delay_alu instid0(VALU_DEP_1) | instskip(NEXT) | instid1(SALU_CYCLE_1)
	s_and_b32 s2, s2, s3
	s_and_b32 vcc_lo, exec_lo, s2
	s_cbranch_vccnz .LBB69_34
; %bb.1:
	v_cmp_neq_f64_e64 s13, s[22:23], 0
	s_clause 0x3
	s_load_b64 s[2:3], s[0:1], 0x80
	s_load_b32 s12, s[0:1], 0x78
	s_load_b64 s[20:21], s[0:1], 0x0
	s_load_b128 s[8:11], s[0:1], 0x68
	s_waitcnt lgkmcnt(0)
	s_mul_i32 s3, s15, s3
	s_mul_hi_u32 s14, s15, s2
	s_mul_i32 s24, s15, s2
	s_add_i32 s25, s14, s3
	s_delay_alu instid0(VALU_DEP_1)
	s_and_b32 vcc_lo, exec_lo, s13
	s_cbranch_vccnz .LBB69_9
; %bb.2:
	v_cmp_neq_f64_e64 s2, s[6:7], 0
	s_cmp_gt_i32 s21, 0
	s_cselect_b32 s14, -1, 0
	s_delay_alu instid0(SALU_CYCLE_1) | instskip(NEXT) | instid1(VALU_DEP_2)
	v_cndmask_b32_e64 v1, 0, 1, s14
	s_and_b32 vcc_lo, exec_lo, s2
	s_delay_alu instid0(VALU_DEP_1)
	v_cmp_ne_u32_e64 s2, 1, v1
	s_cbranch_vccnz .LBB69_10
; %bb.3:
	s_delay_alu instid0(VALU_DEP_1)
	s_and_b32 vcc_lo, exec_lo, s2
	s_cbranch_vccnz .LBB69_8
; %bb.4:
	v_mad_i64_i32 v[1:2], null, s12, v0, 0
	s_lshl_b64 s[16:17], s[10:11], 3
	s_ashr_i32 s13, s12, 31
	s_lshl_b64 s[2:3], s[24:25], 3
	s_add_u32 s16, s8, s16
	s_addc_u32 s17, s9, s17
	s_add_u32 s2, s16, s2
	s_delay_alu instid0(VALU_DEP_1) | instskip(SKIP_2) | instid1(VALU_DEP_2)
	v_lshlrev_b64 v[1:2], 3, v[1:2]
	s_addc_u32 s3, s17, s3
	v_mov_b32_e32 v3, 0
	v_add_co_u32 v1, vcc_lo, s2, v1
	s_delay_alu instid0(VALU_DEP_3)
	v_add_co_ci_u32_e32 v2, vcc_lo, s3, v2, vcc_lo
	s_lshl_b64 s[2:3], s[12:13], 11
	s_mov_b32 s13, 0
	s_branch .LBB69_6
.LBB69_5:                               ;   in Loop: Header=BB69_6 Depth=1
	s_or_b32 exec_lo, exec_lo, s16
	v_add_co_u32 v1, vcc_lo, v1, s2
	v_add_co_ci_u32_e32 v2, vcc_lo, s3, v2, vcc_lo
	s_addk_i32 s13, 0x100
	s_delay_alu instid0(SALU_CYCLE_1)
	s_cmp_ge_i32 s13, s21
	s_cbranch_scc1 .LBB69_8
.LBB69_6:                               ; =>This Inner Loop Header: Depth=1
	v_add_nc_u32_e32 v4, s13, v0
	s_mov_b32 s16, exec_lo
	s_delay_alu instid0(VALU_DEP_1)
	v_cmpx_gt_i32_e64 s21, v4
	s_cbranch_execz .LBB69_5
; %bb.7:                                ;   in Loop: Header=BB69_6 Depth=1
	v_mov_b32_e32 v4, v3
	global_store_b64 v[1:2], v[3:4], off
	s_branch .LBB69_5
.LBB69_8:
	s_cbranch_execz .LBB69_11
	s_branch .LBB69_16
.LBB69_9:
	s_branch .LBB69_17
.LBB69_10:
.LBB69_11:
	s_and_not1_b32 vcc_lo, exec_lo, s14
	s_cbranch_vccnz .LBB69_16
; %bb.12:
	v_mad_i64_i32 v[1:2], null, s12, v0, 0
	s_lshl_b64 s[16:17], s[10:11], 3
	s_ashr_i32 s13, s12, 31
	s_lshl_b64 s[2:3], s[24:25], 3
	s_add_u32 s14, s8, s16
	s_addc_u32 s16, s9, s17
	s_add_u32 s2, s14, s2
	s_delay_alu instid0(VALU_DEP_1) | instskip(SKIP_1) | instid1(VALU_DEP_1)
	v_lshlrev_b64 v[1:2], 3, v[1:2]
	s_addc_u32 s3, s16, s3
	v_add_co_u32 v1, vcc_lo, s2, v1
	s_delay_alu instid0(VALU_DEP_2)
	v_add_co_ci_u32_e32 v2, vcc_lo, s3, v2, vcc_lo
	s_lshl_b64 s[2:3], s[12:13], 11
	s_mov_b32 s13, 0
	s_branch .LBB69_14
	.p2align	6
.LBB69_13:                              ;   in Loop: Header=BB69_14 Depth=1
	s_or_b32 exec_lo, exec_lo, s14
	v_add_co_u32 v1, vcc_lo, v1, s2
	v_add_co_ci_u32_e32 v2, vcc_lo, s3, v2, vcc_lo
	s_addk_i32 s13, 0x100
	s_delay_alu instid0(SALU_CYCLE_1)
	s_cmp_ge_i32 s13, s21
	s_cbranch_scc1 .LBB69_16
.LBB69_14:                              ; =>This Inner Loop Header: Depth=1
	v_add_nc_u32_e32 v3, s13, v0
	s_mov_b32 s14, exec_lo
	s_delay_alu instid0(VALU_DEP_1)
	v_cmpx_gt_i32_e64 s21, v3
	s_cbranch_execz .LBB69_13
; %bb.15:                               ;   in Loop: Header=BB69_14 Depth=1
	global_load_b64 v[3:4], v[1:2], off
	s_waitcnt vmcnt(0)
	v_mul_f64 v[3:4], v[3:4], s[6:7]
	global_store_b64 v[1:2], v[3:4], off
	s_branch .LBB69_13
.LBB69_16:
	s_cbranch_execnz .LBB69_34
.LBB69_17:
	s_clause 0x1
	s_load_b128 s[16:19], s[0:1], 0x30
	s_load_b64 s[2:3], s[0:1], 0x40
	s_mov_b32 s13, exec_lo
	v_cmpx_gt_i32_e64 s20, v0
	s_cbranch_execz .LBB69_19
; %bb.18:
	s_load_b32 s14, s[0:1], 0x48
	s_mul_i32 s5, s15, s5
	s_mul_hi_u32 s26, s15, s4
	s_mul_i32 s4, s15, s4
	s_add_i32 s5, s26, s5
	v_lshlrev_b32_e32 v3, 3, v0
	s_lshl_b64 s[4:5], s[4:5], 3
	s_waitcnt lgkmcnt(0)
	s_add_u32 s4, s18, s4
	s_addc_u32 s5, s19, s5
	s_lshl_b64 s[2:3], s[2:3], 3
	s_delay_alu instid0(SALU_CYCLE_1) | instskip(SKIP_2) | instid1(VALU_DEP_1)
	s_add_u32 s2, s4, s2
	s_addc_u32 s3, s5, s3
	v_mad_i64_i32 v[1:2], null, s14, v0, 0
	v_lshlrev_b64 v[1:2], 3, v[1:2]
	s_delay_alu instid0(VALU_DEP_1) | instskip(NEXT) | instid1(VALU_DEP_2)
	v_add_co_u32 v1, vcc_lo, s2, v1
	v_add_co_ci_u32_e32 v2, vcc_lo, s3, v2, vcc_lo
	global_load_b64 v[1:2], v[1:2], off
	s_waitcnt vmcnt(0)
	v_mul_f64 v[1:2], v[1:2], s[22:23]
	ds_store_b64 v3, v[1:2]
.LBB69_19:
	s_or_b32 exec_lo, exec_lo, s13
	s_cmp_lt_i32 s21, 1
	s_waitcnt lgkmcnt(0)
	s_waitcnt_vscnt null, 0x0
	s_barrier
	buffer_gl0_inv
	s_cbranch_scc1 .LBB69_34
; %bb.20:
	s_clause 0x1
	s_load_b32 s18, s[0:1], 0x28
	s_load_b128 s[0:3], s[0:1], 0x18
	s_lshl_b64 s[4:5], s[24:25], 3
	s_mul_i32 s17, s17, s15
	s_add_u32 s13, s8, s4
	v_cmp_neq_f64_e64 s4, s[6:7], 0
	s_addc_u32 s14, s9, s5
	s_lshl_b64 s[8:9], s[10:11], 3
	s_mul_hi_u32 s22, s16, s15
	s_add_u32 s5, s13, s8
	s_addc_u32 s8, s14, s9
	s_ashr_i32 s9, s12, 31
	s_mul_i32 s16, s16, s15
	s_waitcnt lgkmcnt(0)
	s_ashr_i32 s19, s18, 31
	s_cmp_gt_i32 s20, 0
	v_mad_i64_i32 v[1:2], null, s18, v0, 0
	s_cselect_b32 s10, -1, 0
	s_and_b32 s11, s20, 7
	s_cmp_gt_u32 s20, 7
	s_cselect_b32 s13, -1, 0
	s_and_b32 s14, s20, 0x7ffffff8
	s_cmp_lg_u32 s11, 0
	s_delay_alu instid0(VALU_DEP_1)
	v_lshlrev_b64 v[1:2], 3, v[1:2]
	s_cselect_b32 s15, -1, 0
	s_add_i32 s17, s22, s17
	s_lshl_b64 s[2:3], s[2:3], 3
	s_lshl_b64 s[16:17], s[16:17], 3
	s_add_u32 s0, s0, s2
	s_addc_u32 s1, s1, s3
	s_add_u32 s0, s0, s16
	s_addc_u32 s1, s1, s17
	v_add_co_u32 v9, vcc_lo, s0, v1
	v_add_co_ci_u32_e32 v10, vcc_lo, s1, v2, vcc_lo
	s_mov_b32 s1, 0
	s_delay_alu instid0(VALU_DEP_2) | instskip(NEXT) | instid1(VALU_DEP_2)
	v_add_co_u32 v1, vcc_lo, v9, 56
	v_add_co_ci_u32_e32 v2, vcc_lo, 0, v10, vcc_lo
	s_lshl_b64 s[2:3], s[18:19], 11
	s_mov_b32 s16, 0
	s_branch .LBB69_23
.LBB69_21:                              ;   in Loop: Header=BB69_23 Depth=1
	v_add_co_u32 v3, vcc_lo, s5, v3
	v_add_co_ci_u32_e32 v4, vcc_lo, s8, v4, vcc_lo
	global_store_b64 v[3:4], v[5:6], off
.LBB69_22:                              ;   in Loop: Header=BB69_23 Depth=1
	s_or_b32 exec_lo, exec_lo, s17
	v_add_co_u32 v1, vcc_lo, v1, s2
	v_add_co_ci_u32_e32 v2, vcc_lo, s3, v2, vcc_lo
	v_add_co_u32 v9, vcc_lo, v9, s2
	v_add_co_ci_u32_e32 v10, vcc_lo, s3, v10, vcc_lo
	s_addk_i32 s16, 0x100
	s_delay_alu instid0(SALU_CYCLE_1)
	s_cmp_ge_i32 s16, s21
	s_cbranch_scc1 .LBB69_34
.LBB69_23:                              ; =>This Loop Header: Depth=1
                                        ;     Child Loop BB69_29 Depth 2
                                        ;     Child Loop BB69_33 Depth 2
	v_add_nc_u32_e32 v3, s16, v0
	s_mov_b32 s17, exec_lo
	s_delay_alu instid0(VALU_DEP_1)
	v_cmpx_gt_i32_e64 s21, v3
	s_cbranch_execz .LBB69_22
; %bb.24:                               ;   in Loop: Header=BB69_23 Depth=1
	v_mad_u64_u32 v[4:5], null, v3, s12, 0
	s_and_not1_b32 vcc_lo, exec_lo, s4
	s_delay_alu instid0(VALU_DEP_1) | instskip(NEXT) | instid1(VALU_DEP_1)
	v_mad_u64_u32 v[6:7], null, v3, s9, v[5:6]
	v_mov_b32_e32 v5, v6
	s_delay_alu instid0(VALU_DEP_1)
	v_lshlrev_b64 v[3:4], 3, v[4:5]
	s_cbranch_vccnz .LBB69_26
; %bb.25:                               ;   in Loop: Header=BB69_23 Depth=1
	s_delay_alu instid0(VALU_DEP_1) | instskip(NEXT) | instid1(VALU_DEP_2)
	v_add_co_u32 v5, vcc_lo, s5, v3
	v_add_co_ci_u32_e32 v6, vcc_lo, s8, v4, vcc_lo
	global_load_b64 v[5:6], v[5:6], off
	s_waitcnt vmcnt(0)
	v_mul_f64 v[5:6], v[5:6], s[6:7]
	s_and_not1_b32 vcc_lo, exec_lo, s10
	s_cbranch_vccz .LBB69_27
	s_branch .LBB69_21
.LBB69_26:                              ;   in Loop: Header=BB69_23 Depth=1
	v_mov_b32_e32 v5, 0
	v_mov_b32_e32 v6, 0
	s_and_not1_b32 vcc_lo, exec_lo, s10
	s_cbranch_vccnz .LBB69_21
.LBB69_27:                              ;   in Loop: Header=BB69_23 Depth=1
	s_and_not1_b32 vcc_lo, exec_lo, s13
	s_cbranch_vccnz .LBB69_31
; %bb.28:                               ;   in Loop: Header=BB69_23 Depth=1
	v_dual_mov_b32 v8, v2 :: v_dual_mov_b32 v7, v1
	s_mov_b32 s0, 0
	s_mov_b32 s18, 0
	s_set_inst_prefetch_distance 0x1
	.p2align	6
.LBB69_29:                              ;   Parent Loop BB69_23 Depth=1
                                        ; =>  This Inner Loop Header: Depth=2
	s_clause 0x3
	global_load_b128 v[11:14], v[7:8], off offset:-56
	global_load_b128 v[15:18], v[7:8], off offset:-40
	;; [unrolled: 1-line block ×4, first 2 shown]
	v_mov_b32_e32 v35, s0
	v_add_co_u32 v7, vcc_lo, v7, 64
	v_add_co_ci_u32_e32 v8, vcc_lo, 0, v8, vcc_lo
	ds_load_b128 v[27:30], v35
	ds_load_b128 v[31:34], v35 offset:16
	s_add_i32 s18, s18, 8
	s_add_i32 s0, s0, 64
	s_cmp_eq_u32 s14, s18
	s_waitcnt vmcnt(3) lgkmcnt(1)
	v_fma_f64 v[5:6], v[27:28], v[11:12], v[5:6]
	s_delay_alu instid0(VALU_DEP_1) | instskip(SKIP_1) | instid1(VALU_DEP_1)
	v_fma_f64 v[5:6], v[29:30], v[13:14], v[5:6]
	s_waitcnt vmcnt(2) lgkmcnt(0)
	v_fma_f64 v[5:6], v[31:32], v[15:16], v[5:6]
	s_delay_alu instid0(VALU_DEP_1) | instskip(SKIP_4) | instid1(VALU_DEP_1)
	v_fma_f64 v[5:6], v[33:34], v[17:18], v[5:6]
	ds_load_b128 v[11:14], v35 offset:32
	ds_load_b128 v[15:18], v35 offset:48
	s_waitcnt vmcnt(1) lgkmcnt(1)
	v_fma_f64 v[5:6], v[11:12], v[19:20], v[5:6]
	v_fma_f64 v[5:6], v[13:14], v[21:22], v[5:6]
	s_waitcnt vmcnt(0) lgkmcnt(0)
	s_delay_alu instid0(VALU_DEP_1) | instskip(NEXT) | instid1(VALU_DEP_1)
	v_fma_f64 v[5:6], v[15:16], v[23:24], v[5:6]
	v_fma_f64 v[5:6], v[17:18], v[25:26], v[5:6]
	s_cbranch_scc0 .LBB69_29
; %bb.30:                               ;   in Loop: Header=BB69_23 Depth=1
	s_set_inst_prefetch_distance 0x2
	s_mov_b32 s0, s14
	s_and_not1_b32 vcc_lo, exec_lo, s15
	s_cbranch_vccz .LBB69_32
	s_branch .LBB69_21
.LBB69_31:                              ;   in Loop: Header=BB69_23 Depth=1
	s_mov_b32 s0, 0
	s_and_not1_b32 vcc_lo, exec_lo, s15
	s_cbranch_vccnz .LBB69_21
.LBB69_32:                              ;   in Loop: Header=BB69_23 Depth=1
	s_lshl_b64 s[18:19], s[0:1], 3
	s_lshl_b32 s0, s0, 3
	v_add_co_u32 v7, vcc_lo, v9, s18
	v_add_co_ci_u32_e32 v8, vcc_lo, s19, v10, vcc_lo
	s_mov_b32 s18, s11
.LBB69_33:                              ;   Parent Loop BB69_23 Depth=1
                                        ; =>  This Inner Loop Header: Depth=2
	global_load_b64 v[11:12], v[7:8], off
	v_mov_b32_e32 v13, s0
	v_add_co_u32 v7, vcc_lo, v7, 8
	v_add_co_ci_u32_e32 v8, vcc_lo, 0, v8, vcc_lo
	ds_load_b64 v[13:14], v13
	s_add_i32 s18, s18, -1
	s_add_i32 s0, s0, 8
	s_cmp_lg_u32 s18, 0
	s_waitcnt vmcnt(0) lgkmcnt(0)
	v_fma_f64 v[5:6], v[13:14], v[11:12], v[5:6]
	s_cbranch_scc1 .LBB69_33
	s_branch .LBB69_21
.LBB69_34:
	s_nop 0
	s_sendmsg sendmsg(MSG_DEALLOC_VGPRS)
	s_endpgm
	.section	.rodata,"a",@progbits
	.p2align	6, 0x0
	.amdhsa_kernel _ZL22rocblas_gemvtsm_kernelILb0ELi256EdddEviiT2_lPKT1_lilS3_lilS0_lPT3_lil
		.amdhsa_group_segment_fixed_size 512
		.amdhsa_private_segment_fixed_size 0
		.amdhsa_kernarg_size 136
		.amdhsa_user_sgpr_count 15
		.amdhsa_user_sgpr_dispatch_ptr 0
		.amdhsa_user_sgpr_queue_ptr 0
		.amdhsa_user_sgpr_kernarg_segment_ptr 1
		.amdhsa_user_sgpr_dispatch_id 0
		.amdhsa_user_sgpr_private_segment_size 0
		.amdhsa_wavefront_size32 1
		.amdhsa_uses_dynamic_stack 0
		.amdhsa_enable_private_segment 0
		.amdhsa_system_sgpr_workgroup_id_x 1
		.amdhsa_system_sgpr_workgroup_id_y 0
		.amdhsa_system_sgpr_workgroup_id_z 0
		.amdhsa_system_sgpr_workgroup_info 0
		.amdhsa_system_vgpr_workitem_id 0
		.amdhsa_next_free_vgpr 36
		.amdhsa_next_free_sgpr 27
		.amdhsa_reserve_vcc 1
		.amdhsa_float_round_mode_32 0
		.amdhsa_float_round_mode_16_64 0
		.amdhsa_float_denorm_mode_32 3
		.amdhsa_float_denorm_mode_16_64 3
		.amdhsa_dx10_clamp 1
		.amdhsa_ieee_mode 1
		.amdhsa_fp16_overflow 0
		.amdhsa_workgroup_processor_mode 1
		.amdhsa_memory_ordered 1
		.amdhsa_forward_progress 0
		.amdhsa_shared_vgpr_count 0
		.amdhsa_exception_fp_ieee_invalid_op 0
		.amdhsa_exception_fp_denorm_src 0
		.amdhsa_exception_fp_ieee_div_zero 0
		.amdhsa_exception_fp_ieee_overflow 0
		.amdhsa_exception_fp_ieee_underflow 0
		.amdhsa_exception_fp_ieee_inexact 0
		.amdhsa_exception_int_div_zero 0
	.end_amdhsa_kernel
	.section	.text._ZL22rocblas_gemvtsm_kernelILb0ELi256EdddEviiT2_lPKT1_lilS3_lilS0_lPT3_lil,"axG",@progbits,_ZL22rocblas_gemvtsm_kernelILb0ELi256EdddEviiT2_lPKT1_lilS3_lilS0_lPT3_lil,comdat
.Lfunc_end69:
	.size	_ZL22rocblas_gemvtsm_kernelILb0ELi256EdddEviiT2_lPKT1_lilS3_lilS0_lPT3_lil, .Lfunc_end69-_ZL22rocblas_gemvtsm_kernelILb0ELi256EdddEviiT2_lPKT1_lilS3_lilS0_lPT3_lil
                                        ; -- End function
	.section	.AMDGPU.csdata,"",@progbits
; Kernel info:
; codeLenInByte = 1472
; NumSgprs: 29
; NumVgprs: 36
; ScratchSize: 0
; MemoryBound: 0
; FloatMode: 240
; IeeeMode: 1
; LDSByteSize: 512 bytes/workgroup (compile time only)
; SGPRBlocks: 3
; VGPRBlocks: 4
; NumSGPRsForWavesPerEU: 29
; NumVGPRsForWavesPerEU: 36
; Occupancy: 16
; WaveLimiterHint : 1
; COMPUTE_PGM_RSRC2:SCRATCH_EN: 0
; COMPUTE_PGM_RSRC2:USER_SGPR: 15
; COMPUTE_PGM_RSRC2:TRAP_HANDLER: 0
; COMPUTE_PGM_RSRC2:TGID_X_EN: 1
; COMPUTE_PGM_RSRC2:TGID_Y_EN: 0
; COMPUTE_PGM_RSRC2:TGID_Z_EN: 0
; COMPUTE_PGM_RSRC2:TIDIG_COMP_CNT: 0
	.section	.text._ZL23rocblas_gemvt_sn_kernelILb0ELi256ELi4EidPKddEviiT4_lPKT3_lilS5_lilPT5_i,"axG",@progbits,_ZL23rocblas_gemvt_sn_kernelILb0ELi256ELi4EidPKddEviiT4_lPKT3_lilS5_lilPT5_i,comdat
	.globl	_ZL23rocblas_gemvt_sn_kernelILb0ELi256ELi4EidPKddEviiT4_lPKT3_lilS5_lilPT5_i ; -- Begin function _ZL23rocblas_gemvt_sn_kernelILb0ELi256ELi4EidPKddEviiT4_lPKT3_lilS5_lilPT5_i
	.p2align	8
	.type	_ZL23rocblas_gemvt_sn_kernelILb0ELi256ELi4EidPKddEviiT4_lPKT3_lilS5_lilPT5_i,@function
_ZL23rocblas_gemvt_sn_kernelILb0ELi256ELi4EidPKddEviiT4_lPKT3_lilS5_lilPT5_i: ; @_ZL23rocblas_gemvt_sn_kernelILb0ELi256ELi4EidPKddEviiT4_lPKT3_lilS5_lilPT5_i
; %bb.0:
	s_load_b256 s[16:23], s[0:1], 0x8
	s_waitcnt lgkmcnt(0)
	s_mul_i32 s3, s15, s19
	s_mul_hi_u32 s4, s15, s18
	s_mul_i32 s2, s15, s18
	s_add_i32 s3, s4, s3
	s_delay_alu instid0(SALU_CYCLE_1) | instskip(NEXT) | instid1(SALU_CYCLE_1)
	s_lshl_b64 s[2:3], s[2:3], 3
	s_add_u32 s2, s16, s2
	s_addc_u32 s3, s17, s3
	s_load_b64 s[10:11], s[2:3], 0x0
	s_clause 0x2
	s_load_b64 s[12:13], s[0:1], 0x0
	s_load_b32 s16, s[0:1], 0x68
	s_load_b128 s[4:7], s[0:1], 0x50
	s_waitcnt lgkmcnt(0)
	s_ashr_i32 s8, s13, 31
	v_cmp_neq_f64_e64 s9, s[10:11], 0
	s_mul_hi_u32 s2, s13, s15
	s_mul_i32 s3, s8, s15
	s_mul_i32 s17, s13, s15
	s_add_i32 s2, s2, s3
	s_mul_hi_u32 s3, s17, s16
	s_mul_i32 s18, s2, s16
	s_mul_i32 s2, s17, s16
	s_add_i32 s3, s3, s18
	s_mov_b32 s17, 0
	s_lshl_b64 s[2:3], s[2:3], 3
	s_delay_alu instid0(SALU_CYCLE_1) | instskip(SKIP_2) | instid1(VALU_DEP_2)
	s_add_u32 s42, s6, s2
	v_cmp_eq_u32_e64 s2, 0, v0
	s_addc_u32 s41, s7, s3
	s_and_b32 vcc_lo, exec_lo, s9
	s_cbranch_vccnz .LBB70_5
; %bb.1:
	s_cmp_gt_i32 s13, 0
	s_cselect_b32 s3, -1, 0
	s_delay_alu instid0(SALU_CYCLE_1) | instskip(NEXT) | instid1(SALU_CYCLE_1)
	s_and_b32 s2, s2, s3
	s_and_saveexec_b32 s9, s2
	s_cbranch_execz .LBB70_4
; %bb.2:
	v_mov_b32_e32 v1, 0
	s_mov_b32 s2, s15
	s_mov_b32 s15, 0
	s_delay_alu instid0(SALU_CYCLE_1) | instskip(NEXT) | instid1(VALU_DEP_1)
	s_lshl_b64 s[6:7], s[14:15], 3
	v_mov_b32_e32 v2, v1
	s_mov_b32 s15, s2
	s_add_u32 s2, s42, s6
	s_addc_u32 s3, s41, s7
	s_lshl_b64 s[6:7], s[16:17], 3
	s_mov_b32 s17, s13
.LBB70_3:                               ; =>This Inner Loop Header: Depth=1
	s_delay_alu instid0(SALU_CYCLE_1)
	s_add_i32 s17, s17, -1
	global_store_b64 v1, v[1:2], s[2:3]
	s_add_u32 s2, s2, s6
	s_addc_u32 s3, s3, s7
	s_cmp_eq_u32 s17, 0
	s_cbranch_scc0 .LBB70_3
.LBB70_4:
	s_or_b32 exec_lo, exec_lo, s9
	s_cbranch_execz .LBB70_6
	s_branch .LBB70_57
.LBB70_5:
.LBB70_6:
	s_clause 0x1
	s_load_b128 s[24:27], s[0:1], 0x30
	s_load_b64 s[2:3], s[0:1], 0x40
	s_mul_i32 s5, s15, s5
	s_mul_hi_u32 s6, s15, s4
	s_mul_i32 s4, s15, s4
	s_add_i32 s5, s6, s5
	s_load_b32 s9, s[0:1], 0x48
	s_lshl_b64 s[4:5], s[4:5], 3
	v_and_b32_e32 v18, 31, v0
	v_mbcnt_lo_u32_b32 v37, -1, 0
	v_lshrrev_b32_e32 v38, 2, v0
	s_waitcnt lgkmcnt(0)
	s_add_u32 s6, s26, s4
	s_addc_u32 s5, s27, s5
	s_lshl_b64 s[2:3], s[2:3], 3
	s_mul_i32 s7, s15, s25
	s_mul_hi_u32 s18, s15, s24
	s_add_u32 s17, s6, s2
	s_mul_i32 s4, s15, s24
	s_addc_u32 s33, s5, s3
	s_add_i32 s5, s18, s7
	s_load_b32 s18, s[0:1], 0x28
	s_lshl_b64 s[34:35], s[4:5], 3
	v_cmp_gt_u32_e64 s0, 32, v0
	s_add_u32 s1, s20, s34
	s_addc_u32 s2, s21, s35
	s_lshl_b64 s[22:23], s[22:23], 3
	s_delay_alu instid0(SALU_CYCLE_1)
	s_add_u32 s3, s1, s22
	s_addc_u32 s2, s2, s23
	s_lshl_b32 s1, s14, 10
	s_ashr_i32 s4, s12, 31
	v_lshl_or_b32 v1, v0, 2, s1
	s_lshr_b32 s4, s4, 30
	s_lshr_b32 s5, s8, 30
	s_add_i32 s4, s12, s4
	s_add_i32 s5, s13, s5
	v_ashrrev_i32_e32 v2, 31, v1
	s_and_b32 s4, s4, -4
	v_mul_lo_u32 v17, v1, s9
	s_sub_i32 s40, s12, s4
	v_cmp_gt_u32_e64 s1, 8, v0
	v_lshlrev_b64 v[19:20], 3, v[1:2]
	v_add_nc_u32_e32 v39, 4, v1
	v_add_nc_u32_e32 v40, s40, v1
	s_and_b32 s15, s5, -4
	s_delay_alu instid0(SALU_CYCLE_1) | instskip(NEXT) | instid1(VALU_DEP_3)
	s_cmp_lt_i32 s15, 1
	v_add_co_u32 v35, vcc_lo, s3, v19
	v_add_co_ci_u32_e32 v36, vcc_lo, s2, v20, vcc_lo
	s_cbranch_scc1 .LBB70_32
; %bb.7:
	v_cmp_gt_u32_e32 vcc_lo, 16, v37
	v_mul_lo_u32 v21, v1, s9
	s_cmp_gt_i32 s40, 0
	s_mov_b32 s24, 0
	s_cselect_b32 s43, -1, 0
	v_cndmask_b32_e64 v2, 0, 1, vcc_lo
	v_cmp_gt_u32_e32 vcc_lo, 24, v37
	s_waitcnt lgkmcnt(0)
	s_lshl_b32 s44, s18, 2
	s_lshl_b32 s45, s18, 1
	v_ashrrev_i32_e32 v22, 31, v21
	v_lshlrev_b32_e32 v2, 4, v2
	v_cndmask_b32_e64 v3, 0, 1, vcc_lo
	v_cmp_gt_u32_e32 vcc_lo, 28, v37
	s_add_u32 s6, s34, s22
	s_addc_u32 s7, s35, s23
	v_add_lshl_u32 v41, v2, v37, 2
	v_lshlrev_b32_e32 v2, 3, v3
	v_cndmask_b32_e64 v4, 0, 1, vcc_lo
	v_cmp_gt_u32_e32 vcc_lo, 30, v37
	s_add_u32 s6, s20, s6
	v_mov_b32_e32 v30, 0
	v_add_lshl_u32 v42, v2, v37, 2
	v_lshlrev_b32_e32 v3, 2, v4
	v_cndmask_b32_e64 v5, 0, 1, vcc_lo
	v_cmp_ne_u32_e32 vcc_lo, 31, v37
	s_addc_u32 s7, s21, s7
	v_cmp_ge_i32_e64 s2, s12, v39
	v_add_lshl_u32 v43, v3, v37, 2
	v_lshlrev_b32_e32 v1, 1, v5
	v_add_co_ci_u32_e32 v4, vcc_lo, 0, v37, vcc_lo
	v_lshlrev_b64 v[5:6], 3, v[21:22]
	v_cmp_ge_i32_e64 s3, s12, v40
	s_delay_alu instid0(VALU_DEP_4) | instskip(SKIP_4) | instid1(VALU_DEP_4)
	v_add_lshl_u32 v44, v1, v37, 2
	v_add_nc_u32_e32 v1, s9, v21
	v_lshlrev_b32_e32 v45, 2, v4
	v_cmp_eq_u32_e64 s4, 0, v18
	v_add_co_u32 v22, vcc_lo, s17, v5
	v_add_nc_u32_e32 v3, s9, v1
	v_ashrrev_i32_e32 v2, 31, v1
	v_add_co_ci_u32_e32 v23, vcc_lo, s33, v6, vcc_lo
	v_lshlrev_b32_e32 v46, 3, v18
	s_delay_alu instid0(VALU_DEP_4) | instskip(NEXT) | instid1(VALU_DEP_4)
	v_add_nc_u32_e32 v7, s9, v3
	v_lshlrev_b64 v[1:2], 3, v[1:2]
	v_ashrrev_i32_e32 v4, 31, v3
	v_and_b32_e32 v47, 56, v38
	v_cmp_eq_u32_e64 s5, 0, v0
	v_ashrrev_i32_e32 v8, 31, v7
	s_mov_b32 s19, s24
	v_lshlrev_b64 v[3:4], 3, v[3:4]
	v_add_co_u32 v24, vcc_lo, s17, v1
	v_add_co_ci_u32_e32 v25, vcc_lo, s33, v2, vcc_lo
	v_lshlrev_b64 v[1:2], 3, v[7:8]
	s_delay_alu instid0(VALU_DEP_4) | instskip(SKIP_2) | instid1(VALU_DEP_3)
	v_add_co_u32 v26, vcc_lo, s17, v3
	v_add_co_ci_u32_e32 v27, vcc_lo, s33, v4, vcc_lo
	s_mov_b32 s46, s24
	v_add_co_u32 v28, vcc_lo, s17, v1
	s_delay_alu instid0(VALU_DEP_4)
	v_add_co_ci_u32_e32 v29, vcc_lo, s33, v2, vcc_lo
	v_add_co_u32 v48, vcc_lo, s6, v19
	v_add_co_ci_u32_e32 v49, vcc_lo, s7, v20, vcc_lo
	s_mul_i32 s47, s18, 3
	s_mov_b32 s48, s24
	s_mov_b32 s36, 0
	s_mov_b64 s[38:39], s[18:19]
	s_mov_b32 s19, 0
                                        ; implicit-def: $vgpr1_vgpr2_vgpr3_vgpr4_vgpr5_vgpr6_vgpr7_vgpr8
	s_branch .LBB70_9
.LBB70_8:                               ;   in Loop: Header=BB70_9 Depth=1
	s_or_b32 exec_lo, exec_lo, s6
	s_add_i32 s19, s19, 4
	s_add_u32 s38, s38, s44
	s_addc_u32 s39, s39, 0
	s_add_u32 s45, s45, s44
	s_addc_u32 s46, s46, 0
	;; [unrolled: 2-line block ×3, first 2 shown]
	s_add_i32 s36, s36, s44
	s_cmp_ge_i32 s19, s15
	s_cbranch_scc1 .LBB70_33
.LBB70_9:                               ; =>This Loop Header: Depth=1
                                        ;     Child Loop BB70_15 Depth 2
                                        ;     Child Loop BB70_18 Depth 2
	;; [unrolled: 1-line block ×3, first 2 shown]
                                        ; implicit-def: $vgpr9_vgpr10_vgpr11_vgpr12_vgpr13_vgpr14_vgpr15_vgpr16
	s_and_saveexec_b32 s6, s2
	s_delay_alu instid0(SALU_CYCLE_1)
	s_xor_b32 s6, exec_lo, s6
	s_cbranch_execz .LBB70_11
; %bb.10:                               ;   in Loop: Header=BB70_9 Depth=1
	s_mul_i32 s26, s19, s18
	s_delay_alu instid0(SALU_CYCLE_1)
	s_ashr_i32 s27, s26, 31
	s_add_i32 s28, s26, s18
	s_lshl_b64 s[26:27], s[26:27], 3
	s_ashr_i32 s29, s28, 31
	v_add_co_u32 v5, vcc_lo, v35, s26
	v_add_co_ci_u32_e32 v6, vcc_lo, s27, v36, vcc_lo
	s_lshl_b64 s[26:27], s[28:29], 3
	s_add_i32 s28, s28, s18
	v_add_co_u32 v7, vcc_lo, v35, s26
	s_ashr_i32 s29, s28, 31
	s_add_i32 s26, s28, s18
	s_lshl_b64 s[28:29], s[28:29], 3
	v_add_co_ci_u32_e32 v8, vcc_lo, s27, v36, vcc_lo
	s_ashr_i32 s27, s26, 31
	v_add_co_u32 v62, vcc_lo, v35, s28
	s_lshl_b64 s[26:27], s[26:27], 3
	v_add_co_ci_u32_e32 v63, vcc_lo, s29, v36, vcc_lo
	v_add_co_u32 v66, vcc_lo, v35, s26
	v_add_co_ci_u32_e32 v67, vcc_lo, s27, v36, vcc_lo
	global_load_b64 v[1:2], v[22:23], off
	s_clause 0x3
	global_load_b128 v[9:12], v[5:6], off
	global_load_b128 v[13:16], v[7:8], off
	;; [unrolled: 1-line block ×4, first 2 shown]
	global_load_b64 v[3:4], v[24:25], off
	global_load_b128 v[54:57], v[5:6], off offset:16
	global_load_b64 v[5:6], v[26:27], off
	s_clause 0x2
	global_load_b128 v[58:61], v[7:8], off offset:16
	global_load_b128 v[62:65], v[62:63], off offset:16
	;; [unrolled: 1-line block ×3, first 2 shown]
	global_load_b64 v[7:8], v[28:29], off
	s_waitcnt vmcnt(10)
	v_fma_f64 v[9:10], v[1:2], v[9:10], 0
	s_waitcnt vmcnt(9)
	v_fma_f64 v[13:14], v[1:2], v[13:14], 0
	;; [unrolled: 2-line block ×4, first 2 shown]
	s_waitcnt vmcnt(6)
	s_delay_alu instid0(VALU_DEP_4) | instskip(NEXT) | instid1(VALU_DEP_4)
	v_fma_f64 v[9:10], v[3:4], v[11:12], v[9:10]
	v_fma_f64 v[11:12], v[3:4], v[15:16], v[13:14]
	s_delay_alu instid0(VALU_DEP_4) | instskip(NEXT) | instid1(VALU_DEP_4)
	v_fma_f64 v[13:14], v[3:4], v[33:34], v[31:32]
	v_fma_f64 v[15:16], v[3:4], v[52:53], v[50:51]
	s_waitcnt vmcnt(4)
	s_delay_alu instid0(VALU_DEP_4) | instskip(SKIP_1) | instid1(VALU_DEP_4)
	v_fma_f64 v[9:10], v[5:6], v[54:55], v[9:10]
	s_waitcnt vmcnt(3)
	v_fma_f64 v[11:12], v[5:6], v[58:59], v[11:12]
	s_waitcnt vmcnt(2)
	s_delay_alu instid0(VALU_DEP_4) | instskip(SKIP_1) | instid1(VALU_DEP_4)
	v_fma_f64 v[13:14], v[5:6], v[62:63], v[13:14]
	s_waitcnt vmcnt(1)
	v_fma_f64 v[15:16], v[5:6], v[66:67], v[15:16]
	s_waitcnt vmcnt(0)
	s_delay_alu instid0(VALU_DEP_4) | instskip(NEXT) | instid1(VALU_DEP_4)
	v_fma_f64 v[9:10], v[7:8], v[56:57], v[9:10]
	v_fma_f64 v[11:12], v[7:8], v[60:61], v[11:12]
	s_delay_alu instid0(VALU_DEP_4) | instskip(NEXT) | instid1(VALU_DEP_4)
	v_fma_f64 v[13:14], v[7:8], v[64:65], v[13:14]
	v_fma_f64 v[15:16], v[7:8], v[68:69], v[15:16]
.LBB70_11:                              ;   in Loop: Header=BB70_9 Depth=1
	s_and_not1_saveexec_b32 s49, s6
	s_cbranch_execz .LBB70_20
; %bb.12:                               ;   in Loop: Header=BB70_9 Depth=1
	s_mov_b32 s25, s24
	s_mov_b32 s26, s24
	;; [unrolled: 1-line block ×7, first 2 shown]
	v_dual_mov_b32 v9, s24 :: v_dual_mov_b32 v10, s25
	v_dual_mov_b32 v11, s26 :: v_dual_mov_b32 v12, s27
	;; [unrolled: 1-line block ×4, first 2 shown]
	s_and_saveexec_b32 s50, s3
	s_cbranch_execz .LBB70_19
; %bb.13:                               ;   in Loop: Header=BB70_9 Depth=1
	s_and_not1_b32 vcc_lo, exec_lo, s43
	s_cbranch_vccnz .LBB70_16
; %bb.14:                               ;   in Loop: Header=BB70_9 Depth=1
	v_mov_b32_e32 v9, v21
	s_mov_b64 s[26:27], 0
	s_set_inst_prefetch_distance 0x1
	.p2align	6
.LBB70_15:                              ;   Parent Loop BB70_9 Depth=1
                                        ; =>  This Inner Loop Header: Depth=2
	s_delay_alu instid0(VALU_DEP_1) | instskip(SKIP_1) | instid1(VALU_DEP_1)
	v_ashrrev_i32_e32 v10, 31, v9
	s_cmp_eq_u32 s26, 3
	v_lshlrev_b64 v[10:11], 3, v[9:10]
	s_delay_alu instid0(VALU_DEP_1) | instskip(NEXT) | instid1(VALU_DEP_2)
	v_add_co_u32 v10, vcc_lo, s17, v10
	v_add_co_ci_u32_e32 v11, vcc_lo, s33, v11, vcc_lo
	s_cselect_b32 vcc_lo, -1, 0
	s_cmp_eq_u32 s26, 2
	s_cselect_b32 s6, -1, 0
	global_load_b64 v[10:11], v[10:11], off
	s_cmp_eq_u32 s26, 1
	v_add_nc_u32_e32 v9, s9, v9
	s_cselect_b32 s7, -1, 0
	s_cmp_eq_u32 s26, 0
	s_cselect_b32 s8, -1, 0
	s_add_u32 s26, s26, 1
	s_addc_u32 s27, s27, 0
	s_cmp_eq_u32 s40, s26
	s_waitcnt vmcnt(0)
	v_dual_cndmask_b32 v8, v8, v11 :: v_dual_cndmask_b32 v7, v7, v10
	v_cndmask_b32_e64 v6, v6, v11, s6
	v_cndmask_b32_e64 v5, v5, v10, s6
	;; [unrolled: 1-line block ×6, first 2 shown]
	s_cbranch_scc0 .LBB70_15
.LBB70_16:                              ;   in Loop: Header=BB70_9 Depth=1
	s_set_inst_prefetch_distance 0x2
	s_mov_b32 s25, s24
	s_mov_b32 s26, s24
	;; [unrolled: 1-line block ×7, first 2 shown]
	v_dual_mov_b32 v9, s24 :: v_dual_mov_b32 v10, s25
	v_dual_mov_b32 v11, s26 :: v_dual_mov_b32 v12, s27
	;; [unrolled: 1-line block ×4, first 2 shown]
	s_and_not1_b32 vcc_lo, exec_lo, s43
	s_cbranch_vccnz .LBB70_19
; %bb.17:                               ;   in Loop: Header=BB70_9 Depth=1
	s_ashr_i32 s37, s36, 31
	v_mov_b32_e32 v9, 0
	v_mov_b32_e32 v10, 0
	s_lshl_b64 s[6:7], s[36:37], 3
	s_mov_b64 s[26:27], 0
	v_add_co_u32 v31, vcc_lo, v48, s6
	v_add_co_ci_u32_e32 v32, vcc_lo, s7, v49, vcc_lo
	v_dual_mov_b32 v12, v10 :: v_dual_mov_b32 v11, v9
	v_dual_mov_b32 v14, v10 :: v_dual_mov_b32 v13, v9
	;; [unrolled: 1-line block ×3, first 2 shown]
.LBB70_18:                              ;   Parent Loop BB70_9 Depth=1
                                        ; =>  This Inner Loop Header: Depth=2
	s_cmp_eq_u32 s26, 1
	s_cselect_b32 vcc_lo, -1, 0
	s_cmp_eq_u32 s26, 2
	v_cndmask_b32_e32 v33, v2, v4, vcc_lo
	s_cselect_b32 s6, -1, 0
	s_cmp_eq_u32 s26, 3
	v_cndmask_b32_e32 v57, v1, v3, vcc_lo
	s_cselect_b32 s7, -1, 0
	s_add_i32 s28, s38, s26
	s_add_i32 s30, s45, s26
	s_ashr_i32 s29, s28, 31
	s_ashr_i32 s31, s30, 31
	s_lshl_b64 s[28:29], s[28:29], 3
	v_cndmask_b32_e64 v56, v33, v6, s6
	s_add_i32 s52, s47, s26
	v_add_co_u32 v33, s8, v35, s28
	s_lshl_b64 s[30:31], s[30:31], 3
	s_ashr_i32 s53, s52, 31
	v_add_co_ci_u32_e64 v34, s8, s29, v36, s8
	v_add_co_u32 v50, s8, v35, s30
	s_lshl_b64 s[52:53], s[52:53], 3
	v_add_co_ci_u32_e64 v51, s8, s31, v36, s8
	v_add_co_u32 v52, s8, v35, s52
	s_delay_alu instid0(VALU_DEP_1)
	v_add_co_ci_u32_e64 v53, s8, s53, v36, s8
	global_load_b64 v[54:55], v[31:32], off
	s_clause 0x2
	global_load_b64 v[33:34], v[33:34], off
	global_load_b64 v[50:51], v[50:51], off
	;; [unrolled: 1-line block ×3, first 2 shown]
	v_cndmask_b32_e64 v58, v57, v5, s6
	v_cndmask_b32_e64 v57, v56, v8, s7
	v_add_co_u32 v31, vcc_lo, v31, 8
	v_add_co_ci_u32_e32 v32, vcc_lo, 0, v32, vcc_lo
	s_delay_alu instid0(VALU_DEP_4)
	v_cndmask_b32_e64 v56, v58, v7, s7
	s_add_u32 s26, s26, 1
	s_addc_u32 s27, s27, 0
	s_cmp_lg_u32 s40, s26
	s_waitcnt vmcnt(3)
	v_fma_f64 v[9:10], v[56:57], v[54:55], v[9:10]
	s_waitcnt vmcnt(2)
	v_fma_f64 v[11:12], v[56:57], v[33:34], v[11:12]
	;; [unrolled: 2-line block ×4, first 2 shown]
	s_cbranch_scc1 .LBB70_18
.LBB70_19:                              ;   in Loop: Header=BB70_9 Depth=1
	s_or_b32 exec_lo, exec_lo, s50
.LBB70_20:                              ;   in Loop: Header=BB70_9 Depth=1
	s_delay_alu instid0(SALU_CYCLE_1)
	s_or_b32 exec_lo, exec_lo, s49
	s_mov_b64 s[6:7], 0
	s_branch .LBB70_22
.LBB70_21:                              ;   in Loop: Header=BB70_22 Depth=2
	s_or_b32 exec_lo, exec_lo, s8
	s_cmp_eq_u32 s6, 3
	s_cselect_b32 vcc_lo, -1, 0
	s_cmp_eq_u32 s6, 2
	s_waitcnt lgkmcnt(0)
	s_delay_alu instid0(VALU_DEP_1)
	v_dual_cndmask_b32 v16, v16, v32 :: v_dual_cndmask_b32 v15, v15, v31
	s_cselect_b32 vcc_lo, -1, 0
	s_cmp_eq_u32 s6, 1
	v_dual_cndmask_b32 v14, v14, v32 :: v_dual_cndmask_b32 v13, v13, v31
	s_cselect_b32 vcc_lo, -1, 0
	s_cmp_eq_u32 s6, 0
	v_dual_cndmask_b32 v12, v12, v32 :: v_dual_cndmask_b32 v11, v11, v31
	s_cselect_b32 vcc_lo, -1, 0
	s_add_u32 s6, s6, 1
	v_dual_cndmask_b32 v10, v10, v32 :: v_dual_cndmask_b32 v9, v9, v31
	s_addc_u32 s7, s7, 0
	s_cmp_eq_u32 s6, 4
	s_cbranch_scc1 .LBB70_30
.LBB70_22:                              ;   Parent Loop BB70_9 Depth=1
                                        ; =>  This Inner Loop Header: Depth=2
	s_and_saveexec_b32 s8, s0
	s_cbranch_execz .LBB70_24
; %bb.23:                               ;   in Loop: Header=BB70_22 Depth=2
	v_mov_b32_e32 v31, v30
	ds_store_b64 v46, v[30:31]
.LBB70_24:                              ;   in Loop: Header=BB70_22 Depth=2
	s_or_b32 exec_lo, exec_lo, s8
	s_cmp_eq_u32 s6, 1
	s_waitcnt lgkmcnt(0)
	s_waitcnt_vscnt null, 0x0
	s_cselect_b32 vcc_lo, -1, 0
	s_cmp_eq_u32 s6, 2
	s_delay_alu instid0(VALU_DEP_1) | instskip(SKIP_3) | instid1(VALU_DEP_1)
	v_dual_cndmask_b32 v31, v10, v12 :: v_dual_cndmask_b32 v32, v9, v11
	s_cselect_b32 vcc_lo, -1, 0
	s_cmp_eq_u32 s6, 3
	s_barrier
	v_cndmask_b32_e32 v31, v31, v14, vcc_lo
	s_delay_alu instid0(VALU_DEP_4)
	v_cndmask_b32_e32 v33, v32, v13, vcc_lo
	s_cselect_b32 vcc_lo, -1, 0
	buffer_gl0_inv
	v_dual_cndmask_b32 v32, v31, v16 :: v_dual_cndmask_b32 v31, v33, v15
	ds_bpermute_b32 v34, v41, v32
	ds_bpermute_b32 v33, v41, v31
	s_waitcnt lgkmcnt(0)
	v_add_f64 v[31:32], v[31:32], v[33:34]
	ds_bpermute_b32 v33, v42, v31
	ds_bpermute_b32 v34, v42, v32
	s_waitcnt lgkmcnt(0)
	v_add_f64 v[31:32], v[31:32], v[33:34]
	;; [unrolled: 4-line block ×4, first 2 shown]
	ds_bpermute_b32 v33, v45, v31
	ds_bpermute_b32 v34, v45, v32
	s_and_saveexec_b32 s8, s4
	s_cbranch_execz .LBB70_26
; %bb.25:                               ;   in Loop: Header=BB70_22 Depth=2
	s_waitcnt lgkmcnt(0)
	v_add_f64 v[31:32], v[31:32], v[33:34]
	ds_store_b64 v47, v[31:32]
.LBB70_26:                              ;   in Loop: Header=BB70_22 Depth=2
	s_or_b32 exec_lo, exec_lo, s8
	v_mov_b32_e32 v31, 0
	v_mov_b32_e32 v32, 0
	s_waitcnt lgkmcnt(0)
	s_barrier
	buffer_gl0_inv
	s_and_saveexec_b32 s8, s1
	s_cbranch_execz .LBB70_28
; %bb.27:                               ;   in Loop: Header=BB70_22 Depth=2
	ds_load_b64 v[31:32], v46
.LBB70_28:                              ;   in Loop: Header=BB70_22 Depth=2
	s_or_b32 exec_lo, exec_lo, s8
	s_and_saveexec_b32 s8, s0
	s_cbranch_execz .LBB70_21
; %bb.29:                               ;   in Loop: Header=BB70_22 Depth=2
	s_waitcnt lgkmcnt(0)
	ds_bpermute_b32 v33, v43, v31
	ds_bpermute_b32 v34, v43, v32
	s_waitcnt lgkmcnt(0)
	v_add_f64 v[31:32], v[31:32], v[33:34]
	ds_bpermute_b32 v33, v44, v31
	ds_bpermute_b32 v34, v44, v32
	s_waitcnt lgkmcnt(0)
	v_add_f64 v[31:32], v[31:32], v[33:34]
	;; [unrolled: 4-line block ×3, first 2 shown]
	s_branch .LBB70_21
.LBB70_30:                              ;   in Loop: Header=BB70_9 Depth=1
	s_and_saveexec_b32 s6, s5
	s_cbranch_execz .LBB70_8
; %bb.31:                               ;   in Loop: Header=BB70_9 Depth=1
	v_mul_f64 v[9:10], s[10:11], v[9:10]
	v_mul_f64 v[11:12], s[10:11], v[11:12]
	;; [unrolled: 1-line block ×4, first 2 shown]
	s_mul_i32 s7, s19, s16
	s_mov_b32 s27, s24
	s_add_i32 s26, s7, s14
	s_delay_alu instid0(SALU_CYCLE_1) | instskip(NEXT) | instid1(SALU_CYCLE_1)
	s_lshl_b64 s[28:29], s[26:27], 3
	s_add_u32 s28, s42, s28
	s_addc_u32 s29, s41, s29
	s_add_i32 s26, s26, s16
	s_delay_alu instid0(SALU_CYCLE_1) | instskip(NEXT) | instid1(SALU_CYCLE_1)
	s_lshl_b64 s[30:31], s[26:27], 3
	s_add_u32 s30, s42, s30
	s_addc_u32 s31, s41, s31
	s_add_i32 s26, s26, s16
	s_delay_alu instid0(SALU_CYCLE_1) | instskip(NEXT) | instid1(SALU_CYCLE_1)
	s_lshl_b64 s[50:51], s[26:27], 3
	s_add_u32 s50, s42, s50
	s_addc_u32 s51, s41, s51
	s_add_i32 s26, s26, s16
	s_delay_alu instid0(SALU_CYCLE_1) | instskip(NEXT) | instid1(SALU_CYCLE_1)
	s_lshl_b64 s[26:27], s[26:27], 3
	s_add_u32 s26, s42, s26
	s_addc_u32 s27, s41, s27
	s_clause 0x3
	global_store_b64 v30, v[9:10], s[28:29]
	global_store_b64 v30, v[11:12], s[30:31]
	global_store_b64 v30, v[13:14], s[50:51]
	global_store_b64 v30, v[15:16], s[26:27]
	s_branch .LBB70_8
.LBB70_32:
	s_mov_b32 s19, 0
                                        ; implicit-def: $vgpr1_vgpr2_vgpr3_vgpr4_vgpr5_vgpr6_vgpr7_vgpr8
.LBB70_33:
	s_delay_alu instid0(SALU_CYCLE_1)
	s_cmp_ge_i32 s19, s13
	s_cbranch_scc1 .LBB70_57
; %bb.34:
	v_cmp_gt_u32_e32 vcc_lo, 16, v37
	v_lshlrev_b32_e32 v24, 3, v18
	v_cmp_eq_u32_e64 s3, 0, v18
	v_ashrrev_i32_e32 v18, 31, v17
	s_cmp_gt_i32 s40, 0
	v_cndmask_b32_e64 v9, 0, 1, vcc_lo
	v_cmp_gt_u32_e32 vcc_lo, 24, v37
	s_mov_b32 s15, 0
	v_cmp_ge_i32_e64 s0, s12, v39
	v_cmp_ge_i32_e64 s1, s12, v40
	v_lshlrev_b32_e32 v9, 4, v9
	v_cndmask_b32_e64 v10, 0, 1, vcc_lo
	v_cmp_gt_u32_e32 vcc_lo, 28, v37
	s_cselect_b32 s12, -1, 0
	s_lshl_b64 s[6:7], s[14:15], 3
	v_cmp_gt_u32_e64 s2, 32, v0
	v_lshlrev_b32_e32 v10, 3, v10
	v_cndmask_b32_e64 v11, 0, 1, vcc_lo
	v_cmp_gt_u32_e32 vcc_lo, 30, v37
	s_add_u32 s14, s42, s6
	s_addc_u32 s24, s41, s7
	v_add_lshl_u32 v26, v10, v37, 2
	v_lshlrev_b32_e32 v11, 2, v11
	v_cndmask_b32_e64 v12, 0, 1, vcc_lo
	v_cmp_ne_u32_e32 vcc_lo, 31, v37
	s_add_u32 s6, s34, s22
	s_addc_u32 s7, s35, s23
	v_add_lshl_u32 v27, v11, v37, 2
	v_lshlrev_b32_e32 v12, 1, v12
	v_add_co_ci_u32_e32 v13, vcc_lo, 0, v37, vcc_lo
	s_add_u32 s6, s20, s6
	v_cmp_gt_u32_e64 s4, 8, v0
	s_delay_alu instid0(VALU_DEP_3) | instskip(NEXT) | instid1(VALU_DEP_3)
	v_add_lshl_u32 v28, v12, v37, 2
	v_lshlrev_b32_e32 v29, 2, v13
	v_lshlrev_b64 v[13:14], 3, v[17:18]
	v_mov_b32_e32 v18, 0
	v_add_lshl_u32 v25, v9, v37, 2
	v_add_nc_u32_e32 v9, s9, v17
	v_cmp_eq_u32_e64 s5, 0, v0
	s_addc_u32 s7, s21, s7
	v_and_b32_e32 v30, 56, v38
	s_waitcnt lgkmcnt(0)
	s_mul_i32 s20, s19, s18
	v_add_nc_u32_e32 v11, s9, v9
	v_ashrrev_i32_e32 v10, 31, v9
	s_delay_alu instid0(VALU_DEP_2) | instskip(NEXT) | instid1(VALU_DEP_2)
	v_add_nc_u32_e32 v21, s9, v11
	v_lshlrev_b64 v[15:16], 3, v[9:10]
	v_ashrrev_i32_e32 v12, 31, v11
	v_add_co_u32 v9, vcc_lo, s17, v13
	s_delay_alu instid0(VALU_DEP_4) | instskip(SKIP_1) | instid1(VALU_DEP_4)
	v_ashrrev_i32_e32 v22, 31, v21
	v_add_co_ci_u32_e32 v10, vcc_lo, s33, v14, vcc_lo
	v_lshlrev_b64 v[13:14], 3, v[11:12]
	v_add_co_u32 v11, vcc_lo, s17, v15
	v_add_co_ci_u32_e32 v12, vcc_lo, s33, v16, vcc_lo
	v_lshlrev_b64 v[15:16], 3, v[21:22]
	s_delay_alu instid0(VALU_DEP_4) | instskip(SKIP_1) | instid1(VALU_DEP_3)
	v_add_co_u32 v13, vcc_lo, s17, v13
	v_add_co_ci_u32_e32 v14, vcc_lo, s33, v14, vcc_lo
	v_add_co_u32 v15, vcc_lo, s17, v15
	s_delay_alu instid0(VALU_DEP_4)
	v_add_co_ci_u32_e32 v16, vcc_lo, s33, v16, vcc_lo
	v_add_co_u32 v0, vcc_lo, s6, v19
	v_add_co_ci_u32_e32 v31, vcc_lo, s7, v20, vcc_lo
	s_branch .LBB70_36
.LBB70_35:                              ;   in Loop: Header=BB70_36 Depth=1
	s_or_b32 exec_lo, exec_lo, s6
	s_add_i32 s19, s19, 1
	s_add_i32 s20, s20, s18
	s_cmp_ge_i32 s19, s13
	s_cbranch_scc1 .LBB70_57
.LBB70_36:                              ; =>This Loop Header: Depth=1
                                        ;     Child Loop BB70_49 Depth 2
                                        ;     Child Loop BB70_52 Depth 2
	s_waitcnt lgkmcnt(0)
	v_dual_mov_b32 v20, s15 :: v_dual_mov_b32 v21, s15
	s_and_saveexec_b32 s6, s0
	s_delay_alu instid0(SALU_CYCLE_1)
	s_xor_b32 s6, exec_lo, s6
	s_cbranch_execnz .LBB70_45
; %bb.37:                               ;   in Loop: Header=BB70_36 Depth=1
	s_and_not1_saveexec_b32 s25, s6
	s_cbranch_execnz .LBB70_46
.LBB70_38:                              ;   in Loop: Header=BB70_36 Depth=1
	s_or_b32 exec_lo, exec_lo, s25
	s_and_saveexec_b32 s6, s2
	s_cbranch_execz .LBB70_40
.LBB70_39:                              ;   in Loop: Header=BB70_36 Depth=1
	v_mov_b32_e32 v19, v18
	ds_store_b64 v24, v[18:19]
.LBB70_40:                              ;   in Loop: Header=BB70_36 Depth=1
	s_or_b32 exec_lo, exec_lo, s6
	ds_bpermute_b32 v22, v25, v20
	ds_bpermute_b32 v23, v25, v21
	s_waitcnt lgkmcnt(0)
	s_waitcnt_vscnt null, 0x0
	s_barrier
	buffer_gl0_inv
	v_add_f64 v[19:20], v[20:21], v[22:23]
	ds_bpermute_b32 v21, v26, v19
	ds_bpermute_b32 v22, v26, v20
	s_waitcnt lgkmcnt(0)
	v_add_f64 v[19:20], v[19:20], v[21:22]
	ds_bpermute_b32 v21, v27, v19
	ds_bpermute_b32 v22, v27, v20
	s_waitcnt lgkmcnt(0)
	;; [unrolled: 4-line block ×3, first 2 shown]
	v_add_f64 v[19:20], v[19:20], v[21:22]
	ds_bpermute_b32 v21, v29, v19
	ds_bpermute_b32 v22, v29, v20
	s_and_saveexec_b32 s6, s3
	s_cbranch_execz .LBB70_42
; %bb.41:                               ;   in Loop: Header=BB70_36 Depth=1
	s_waitcnt lgkmcnt(0)
	v_add_f64 v[19:20], v[19:20], v[21:22]
	ds_store_b64 v30, v[19:20]
.LBB70_42:                              ;   in Loop: Header=BB70_36 Depth=1
	s_or_b32 exec_lo, exec_lo, s6
	v_mov_b32_e32 v19, 0
	v_mov_b32_e32 v20, 0
	s_waitcnt lgkmcnt(0)
	s_barrier
	buffer_gl0_inv
	s_and_saveexec_b32 s6, s4
	s_cbranch_execnz .LBB70_54
; %bb.43:                               ;   in Loop: Header=BB70_36 Depth=1
	s_or_b32 exec_lo, exec_lo, s6
	s_and_saveexec_b32 s6, s2
	s_cbranch_execnz .LBB70_55
.LBB70_44:                              ;   in Loop: Header=BB70_36 Depth=1
	s_or_b32 exec_lo, exec_lo, s6
	s_and_saveexec_b32 s6, s5
	s_cbranch_execz .LBB70_35
	s_branch .LBB70_56
.LBB70_45:                              ;   in Loop: Header=BB70_36 Depth=1
	s_mul_i32 s22, s19, s18
	s_delay_alu instid0(SALU_CYCLE_1) | instskip(NEXT) | instid1(SALU_CYCLE_1)
	s_ashr_i32 s23, s22, 31
	s_lshl_b64 s[22:23], s[22:23], 3
	s_delay_alu instid0(SALU_CYCLE_1)
	v_add_co_u32 v5, vcc_lo, v35, s22
	v_add_co_ci_u32_e32 v6, vcc_lo, s23, v36, vcc_lo
	global_load_b128 v[19:22], v[5:6], off
	s_clause 0x1
	global_load_b64 v[1:2], v[9:10], off
	global_load_b64 v[3:4], v[11:12], off
	global_load_b128 v[37:40], v[5:6], off offset:16
	s_clause 0x1
	global_load_b64 v[5:6], v[13:14], off
	global_load_b64 v[7:8], v[15:16], off
	s_waitcnt vmcnt(4)
	v_fma_f64 v[19:20], v[1:2], v[19:20], 0
	s_waitcnt vmcnt(3)
	s_delay_alu instid0(VALU_DEP_1) | instskip(SKIP_1) | instid1(VALU_DEP_1)
	v_fma_f64 v[19:20], v[3:4], v[21:22], v[19:20]
	s_waitcnt vmcnt(1)
	v_fma_f64 v[19:20], v[5:6], v[37:38], v[19:20]
	s_waitcnt vmcnt(0)
	s_delay_alu instid0(VALU_DEP_1)
	v_fma_f64 v[20:21], v[7:8], v[39:40], v[19:20]
	s_and_not1_saveexec_b32 s25, s6
	s_cbranch_execz .LBB70_38
.LBB70_46:                              ;   in Loop: Header=BB70_36 Depth=1
	s_and_saveexec_b32 s26, s1
	s_cbranch_execz .LBB70_53
; %bb.47:                               ;   in Loop: Header=BB70_36 Depth=1
	s_and_not1_b32 vcc_lo, exec_lo, s12
	s_cbranch_vccnz .LBB70_50
; %bb.48:                               ;   in Loop: Header=BB70_36 Depth=1
	v_mov_b32_e32 v22, v17
	s_mov_b64 s[22:23], 0
	s_set_inst_prefetch_distance 0x1
	.p2align	6
.LBB70_49:                              ;   Parent Loop BB70_36 Depth=1
                                        ; =>  This Inner Loop Header: Depth=2
	s_delay_alu instid0(VALU_DEP_1) | instskip(SKIP_1) | instid1(VALU_DEP_1)
	v_ashrrev_i32_e32 v23, 31, v22
	s_cmp_eq_u32 s22, 3
	v_lshlrev_b64 v[32:33], 3, v[22:23]
	s_delay_alu instid0(VALU_DEP_1) | instskip(NEXT) | instid1(VALU_DEP_2)
	v_add_co_u32 v32, vcc_lo, s17, v32
	v_add_co_ci_u32_e32 v33, vcc_lo, s33, v33, vcc_lo
	s_cselect_b32 vcc_lo, -1, 0
	s_cmp_eq_u32 s22, 2
	s_cselect_b32 s6, -1, 0
	global_load_b64 v[32:33], v[32:33], off
	s_cmp_eq_u32 s22, 1
	v_add_nc_u32_e32 v22, s9, v22
	s_cselect_b32 s7, -1, 0
	s_cmp_eq_u32 s22, 0
	s_cselect_b32 s8, -1, 0
	s_add_u32 s22, s22, 1
	s_addc_u32 s23, s23, 0
	s_cmp_eq_u32 s40, s22
	s_waitcnt vmcnt(0)
	v_dual_cndmask_b32 v7, v7, v32 :: v_dual_cndmask_b32 v8, v8, v33
	v_cndmask_b32_e64 v6, v6, v33, s6
	v_cndmask_b32_e64 v5, v5, v32, s6
	;; [unrolled: 1-line block ×6, first 2 shown]
	s_cbranch_scc0 .LBB70_49
.LBB70_50:                              ;   in Loop: Header=BB70_36 Depth=1
	s_set_inst_prefetch_distance 0x2
	s_and_not1_b32 vcc_lo, exec_lo, s12
	s_cbranch_vccnz .LBB70_53
; %bb.51:                               ;   in Loop: Header=BB70_36 Depth=1
	s_ashr_i32 s21, s20, 31
	s_delay_alu instid0(SALU_CYCLE_1) | instskip(NEXT) | instid1(SALU_CYCLE_1)
	s_lshl_b64 s[6:7], s[20:21], 3
	v_add_co_u32 v22, vcc_lo, v0, s6
	v_add_co_ci_u32_e32 v23, vcc_lo, s7, v31, vcc_lo
	s_mov_b64 s[6:7], 0
	.p2align	6
.LBB70_52:                              ;   Parent Loop BB70_36 Depth=1
                                        ; =>  This Inner Loop Header: Depth=2
	global_load_b64 v[32:33], v[22:23], off
	s_cmp_eq_u32 s6, 1
	s_cselect_b32 vcc_lo, -1, 0
	s_cmp_eq_u32 s6, 2
	v_dual_cndmask_b32 v19, v2, v4 :: v_dual_cndmask_b32 v34, v1, v3
	s_cselect_b32 vcc_lo, -1, 0
	s_cmp_eq_u32 s6, 3
	s_delay_alu instid0(VALU_DEP_1) | instskip(SKIP_3) | instid1(VALU_DEP_1)
	v_dual_cndmask_b32 v19, v19, v6 :: v_dual_cndmask_b32 v34, v34, v5
	s_cselect_b32 vcc_lo, -1, 0
	s_add_u32 s6, s6, 1
	s_addc_u32 s7, s7, 0
	v_dual_cndmask_b32 v38, v19, v8 :: v_dual_cndmask_b32 v37, v34, v7
	v_add_co_u32 v22, vcc_lo, v22, 8
	v_add_co_ci_u32_e32 v23, vcc_lo, 0, v23, vcc_lo
	s_cmp_lg_u32 s40, s6
	s_waitcnt vmcnt(0)
	v_fma_f64 v[20:21], v[37:38], v[32:33], v[20:21]
	s_cbranch_scc1 .LBB70_52
.LBB70_53:                              ;   in Loop: Header=BB70_36 Depth=1
	s_or_b32 exec_lo, exec_lo, s26
	s_delay_alu instid0(SALU_CYCLE_1)
	s_or_b32 exec_lo, exec_lo, s25
	s_and_saveexec_b32 s6, s2
	s_cbranch_execnz .LBB70_39
	s_branch .LBB70_40
.LBB70_54:                              ;   in Loop: Header=BB70_36 Depth=1
	ds_load_b64 v[19:20], v24
	s_or_b32 exec_lo, exec_lo, s6
	s_and_saveexec_b32 s6, s2
	s_cbranch_execz .LBB70_44
.LBB70_55:                              ;   in Loop: Header=BB70_36 Depth=1
	s_waitcnt lgkmcnt(0)
	ds_bpermute_b32 v21, v27, v19
	ds_bpermute_b32 v22, v27, v20
	s_waitcnt lgkmcnt(0)
	v_add_f64 v[19:20], v[19:20], v[21:22]
	ds_bpermute_b32 v21, v28, v19
	ds_bpermute_b32 v22, v28, v20
	s_waitcnt lgkmcnt(0)
	v_add_f64 v[19:20], v[19:20], v[21:22]
	;; [unrolled: 4-line block ×3, first 2 shown]
	s_or_b32 exec_lo, exec_lo, s6
	s_and_saveexec_b32 s6, s5
	s_cbranch_execz .LBB70_35
.LBB70_56:                              ;   in Loop: Header=BB70_36 Depth=1
	s_waitcnt lgkmcnt(0)
	s_delay_alu instid0(VALU_DEP_1) | instskip(SKIP_2) | instid1(SALU_CYCLE_1)
	v_mul_f64 v[19:20], s[10:11], v[19:20]
	s_mul_hi_u32 s23, s19, s16
	s_mul_i32 s22, s19, s16
	s_lshl_b64 s[22:23], s[22:23], 3
	s_delay_alu instid0(SALU_CYCLE_1)
	s_add_u32 s22, s14, s22
	s_addc_u32 s23, s24, s23
	global_store_b64 v18, v[19:20], s[22:23]
	s_branch .LBB70_35
.LBB70_57:
	s_nop 0
	s_sendmsg sendmsg(MSG_DEALLOC_VGPRS)
	s_endpgm
	.section	.rodata,"a",@progbits
	.p2align	6, 0x0
	.amdhsa_kernel _ZL23rocblas_gemvt_sn_kernelILb0ELi256ELi4EidPKddEviiT4_lPKT3_lilS5_lilPT5_i
		.amdhsa_group_segment_fixed_size 256
		.amdhsa_private_segment_fixed_size 0
		.amdhsa_kernarg_size 360
		.amdhsa_user_sgpr_count 14
		.amdhsa_user_sgpr_dispatch_ptr 0
		.amdhsa_user_sgpr_queue_ptr 0
		.amdhsa_user_sgpr_kernarg_segment_ptr 1
		.amdhsa_user_sgpr_dispatch_id 0
		.amdhsa_user_sgpr_private_segment_size 0
		.amdhsa_wavefront_size32 1
		.amdhsa_uses_dynamic_stack 0
		.amdhsa_enable_private_segment 0
		.amdhsa_system_sgpr_workgroup_id_x 1
		.amdhsa_system_sgpr_workgroup_id_y 0
		.amdhsa_system_sgpr_workgroup_id_z 1
		.amdhsa_system_sgpr_workgroup_info 0
		.amdhsa_system_vgpr_workitem_id 0
		.amdhsa_next_free_vgpr 70
		.amdhsa_next_free_sgpr 54
		.amdhsa_reserve_vcc 1
		.amdhsa_float_round_mode_32 0
		.amdhsa_float_round_mode_16_64 0
		.amdhsa_float_denorm_mode_32 3
		.amdhsa_float_denorm_mode_16_64 3
		.amdhsa_dx10_clamp 1
		.amdhsa_ieee_mode 1
		.amdhsa_fp16_overflow 0
		.amdhsa_workgroup_processor_mode 1
		.amdhsa_memory_ordered 1
		.amdhsa_forward_progress 0
		.amdhsa_shared_vgpr_count 0
		.amdhsa_exception_fp_ieee_invalid_op 0
		.amdhsa_exception_fp_denorm_src 0
		.amdhsa_exception_fp_ieee_div_zero 0
		.amdhsa_exception_fp_ieee_overflow 0
		.amdhsa_exception_fp_ieee_underflow 0
		.amdhsa_exception_fp_ieee_inexact 0
		.amdhsa_exception_int_div_zero 0
	.end_amdhsa_kernel
	.section	.text._ZL23rocblas_gemvt_sn_kernelILb0ELi256ELi4EidPKddEviiT4_lPKT3_lilS5_lilPT5_i,"axG",@progbits,_ZL23rocblas_gemvt_sn_kernelILb0ELi256ELi4EidPKddEviiT4_lPKT3_lilS5_lilPT5_i,comdat
.Lfunc_end70:
	.size	_ZL23rocblas_gemvt_sn_kernelILb0ELi256ELi4EidPKddEviiT4_lPKT3_lilS5_lilPT5_i, .Lfunc_end70-_ZL23rocblas_gemvt_sn_kernelILb0ELi256ELi4EidPKddEviiT4_lPKT3_lilS5_lilPT5_i
                                        ; -- End function
	.section	.AMDGPU.csdata,"",@progbits
; Kernel info:
; codeLenInByte = 4056
; NumSgprs: 56
; NumVgprs: 70
; ScratchSize: 0
; MemoryBound: 1
; FloatMode: 240
; IeeeMode: 1
; LDSByteSize: 256 bytes/workgroup (compile time only)
; SGPRBlocks: 6
; VGPRBlocks: 8
; NumSGPRsForWavesPerEU: 56
; NumVGPRsForWavesPerEU: 70
; Occupancy: 16
; WaveLimiterHint : 1
; COMPUTE_PGM_RSRC2:SCRATCH_EN: 0
; COMPUTE_PGM_RSRC2:USER_SGPR: 14
; COMPUTE_PGM_RSRC2:TRAP_HANDLER: 0
; COMPUTE_PGM_RSRC2:TGID_X_EN: 1
; COMPUTE_PGM_RSRC2:TGID_Y_EN: 0
; COMPUTE_PGM_RSRC2:TGID_Z_EN: 1
; COMPUTE_PGM_RSRC2:TIDIG_COMP_CNT: 0
	.section	.text._ZL23rocblas_gemvt_sn_kernelILb0ELi256ELi4EldPKddEviiT4_lPKT3_lilS5_lilPT5_i,"axG",@progbits,_ZL23rocblas_gemvt_sn_kernelILb0ELi256ELi4EldPKddEviiT4_lPKT3_lilS5_lilPT5_i,comdat
	.globl	_ZL23rocblas_gemvt_sn_kernelILb0ELi256ELi4EldPKddEviiT4_lPKT3_lilS5_lilPT5_i ; -- Begin function _ZL23rocblas_gemvt_sn_kernelILb0ELi256ELi4EldPKddEviiT4_lPKT3_lilS5_lilPT5_i
	.p2align	8
	.type	_ZL23rocblas_gemvt_sn_kernelILb0ELi256ELi4EldPKddEviiT4_lPKT3_lilS5_lilPT5_i,@function
_ZL23rocblas_gemvt_sn_kernelILb0ELi256ELi4EldPKddEviiT4_lPKT3_lilS5_lilPT5_i: ; @_ZL23rocblas_gemvt_sn_kernelILb0ELi256ELi4EldPKddEviiT4_lPKT3_lilS5_lilPT5_i
; %bb.0:
	s_load_b256 s[16:23], s[0:1], 0x8
	s_waitcnt lgkmcnt(0)
	s_mul_i32 s3, s15, s19
	s_mul_hi_u32 s4, s15, s18
	s_mul_i32 s2, s15, s18
	s_add_i32 s3, s4, s3
	s_mov_b32 s19, 0
	s_lshl_b64 s[2:3], s[2:3], 3
	s_delay_alu instid0(SALU_CYCLE_1)
	s_add_u32 s2, s16, s2
	s_addc_u32 s3, s17, s3
	s_load_b64 s[12:13], s[2:3], 0x0
	s_clause 0x2
	s_load_b64 s[16:17], s[0:1], 0x0
	s_load_b32 s18, s[0:1], 0x68
	s_load_b128 s[4:7], s[0:1], 0x50
	s_waitcnt lgkmcnt(0)
	s_ashr_i32 s24, s17, 31
	v_cmp_neq_f64_e64 s8, s[12:13], 0
	s_mul_hi_u32 s2, s17, s15
	s_mul_i32 s3, s24, s15
	s_mul_i32 s9, s17, s15
	s_add_i32 s2, s2, s3
	s_mul_hi_u32 s3, s9, s18
	s_mul_i32 s10, s2, s18
	s_mul_i32 s2, s9, s18
	s_add_i32 s3, s3, s10
	s_delay_alu instid0(SALU_CYCLE_1) | instskip(NEXT) | instid1(SALU_CYCLE_1)
	s_lshl_b64 s[2:3], s[2:3], 3
	s_add_u32 s52, s6, s2
	v_cmp_eq_u32_e64 s2, 0, v0
	s_addc_u32 s53, s7, s3
	s_delay_alu instid0(VALU_DEP_2)
	s_and_b32 vcc_lo, exec_lo, s8
	s_cbranch_vccnz .LBB71_5
; %bb.1:
	s_cmp_gt_i32 s17, 0
	s_cselect_b32 s3, -1, 0
	s_delay_alu instid0(SALU_CYCLE_1) | instskip(NEXT) | instid1(SALU_CYCLE_1)
	s_and_b32 s2, s2, s3
	s_and_saveexec_b32 s8, s2
	s_cbranch_execz .LBB71_4
; %bb.2:
	v_mov_b32_e32 v1, 0
	s_mov_b32 s2, s15
	s_mov_b32 s15, 0
	;; [unrolled: 1-line block ×3, first 2 shown]
	s_lshl_b64 s[6:7], s[14:15], 3
	v_mov_b32_e32 v2, v1
	s_mov_b32 s15, s2
	s_add_u32 s2, s52, s6
	s_addc_u32 s3, s53, s7
	s_lshl_b64 s[6:7], s[18:19], 3
.LBB71_3:                               ; =>This Inner Loop Header: Depth=1
	s_add_i32 s9, s9, -1
	global_store_b64 v1, v[1:2], s[2:3]
	s_add_u32 s2, s2, s6
	s_addc_u32 s3, s3, s7
	s_cmp_eq_u32 s9, 0
	s_cbranch_scc0 .LBB71_3
.LBB71_4:
	s_or_b32 exec_lo, exec_lo, s8
	s_cbranch_execz .LBB71_6
	s_branch .LBB71_57
.LBB71_5:
.LBB71_6:
	s_clause 0x3
	s_load_b32 s34, s[0:1], 0x28
	s_load_b32 s36, s[0:1], 0x48
	s_load_b128 s[8:11], s[0:1], 0x30
	s_load_b64 s[0:1], s[0:1], 0x40
	s_mul_i32 s3, s15, s5
	s_mul_hi_u32 s5, s15, s4
	s_mul_i32 s2, s15, s4
	s_add_i32 s3, s5, s3
	v_and_b32_e32 v40, 31, v0
	s_lshl_b64 s[38:39], s[2:3], 3
	v_mbcnt_lo_u32_b32 v43, -1, 0
	v_lshrrev_b32_e32 v45, 2, v0
	s_waitcnt lgkmcnt(0)
	s_ashr_i32 s35, s34, 31
	s_ashr_i32 s37, s36, 31
	s_add_u32 s5, s10, s38
	s_addc_u32 s6, s11, s39
	s_lshl_b64 s[42:43], s[0:1], 3
	s_mul_i32 s3, s15, s9
	s_mul_hi_u32 s4, s15, s8
	s_add_u32 s54, s5, s42
	s_mul_i32 s2, s15, s8
	s_addc_u32 s55, s6, s43
	s_add_i32 s3, s4, s3
	v_cmp_gt_u32_e64 s0, 32, v0
	s_lshl_b64 s[40:41], s[2:3], 3
	v_cmp_gt_u32_e64 s1, 8, v0
	s_add_u32 s2, s20, s40
	s_addc_u32 s3, s21, s41
	s_lshl_b64 s[22:23], s[22:23], 3
	s_delay_alu instid0(SALU_CYCLE_1)
	s_add_u32 s2, s2, s22
	s_addc_u32 s3, s3, s23
	s_lshl_b32 s4, s14, 10
	s_ashr_i32 s5, s16, 31
	v_lshl_or_b32 v21, v0, 2, s4
	s_lshr_b32 s4, s24, 30
	s_lshr_b32 s5, s5, 30
	s_add_i32 s4, s17, s4
	s_add_i32 s5, s16, s5
	v_ashrrev_i32_e32 v22, 31, v21
	s_and_b32 s56, s4, -4
	s_and_b32 s4, s5, -4
	v_add_nc_u32_e32 v46, 4, v21
	s_sub_i32 s19, s16, s4
	v_lshlrev_b64 v[19:20], 3, v[21:22]
	v_or_b32_e32 v44, 1, v21
	v_or_b32_e32 v42, 2, v21
	v_add_nc_u32_e32 v47, s19, v21
	v_or_b32_e32 v41, 3, v21
	s_cmp_lt_i32 s56, 1
	v_add_co_u32 v17, vcc_lo, s2, v19
	v_add_co_ci_u32_e32 v18, vcc_lo, s3, v20, vcc_lo
	s_cbranch_scc1 .LBB71_32
; %bb.7:
	v_cmp_gt_u32_e32 vcc_lo, 16, v43
	v_mad_i64_i32 v[7:8], null, s36, v41, 0
	s_mov_b32 s24, 0
	s_cmp_gt_i32 s19, 0
	v_cndmask_b32_e64 v1, 0, 1, vcc_lo
	v_cmp_gt_u32_e32 vcc_lo, 24, v43
	s_mov_b32 s15, s24
	s_cselect_b32 s57, -1, 0
	s_lshl_b64 s[6:7], s[14:15], 3
	v_dual_mov_b32 v32, 0 :: v_dual_lshlrev_b32 v1, 4, v1
	v_cndmask_b32_e64 v2, 0, 1, vcc_lo
	v_cmp_gt_u32_e32 vcc_lo, 28, v43
	s_add_u32 s15, s52, s6
	s_delay_alu instid0(VALU_DEP_3) | instskip(NEXT) | instid1(VALU_DEP_3)
	v_add_lshl_u32 v48, v1, v43, 2
	v_dual_mov_b32 v35, v18 :: v_dual_lshlrev_b32 v2, 3, v2
	v_cndmask_b32_e64 v3, 0, 1, vcc_lo
	v_cmp_gt_u32_e32 vcc_lo, 30, v43
	v_mov_b32_e32 v34, v17
	s_addc_u32 s58, s53, s7
	v_add_lshl_u32 v49, v2, v43, 2
	v_lshlrev_b32_e32 v3, 2, v3
	v_cndmask_b32_e64 v4, 0, 1, vcc_lo
	v_cmp_ne_u32_e32 vcc_lo, 31, v43
	v_mad_i64_i32 v[1:2], null, s36, v21, 0
	s_delay_alu instid0(VALU_DEP_4) | instskip(NEXT) | instid1(VALU_DEP_4)
	v_add_lshl_u32 v50, v3, v43, 2
	v_lshlrev_b32_e32 v4, 1, v4
	v_add_co_ci_u32_e32 v5, vcc_lo, 0, v43, vcc_lo
	s_add_u32 s6, s10, s42
	s_addc_u32 s7, s11, s43
	s_delay_alu instid0(VALU_DEP_2)
	v_add_lshl_u32 v51, v4, v43, 2
	v_mad_i64_i32 v[3:4], null, s36, v44, 0
	v_lshlrev_b32_e32 v52, 2, v5
	v_lshlrev_b64 v[1:2], 3, v[1:2]
	v_mad_i64_i32 v[5:6], null, s36, v42, 0
	s_add_u32 s6, s6, s38
	s_addc_u32 s7, s7, s39
	s_delay_alu instid0(VALU_DEP_4) | instskip(NEXT) | instid1(VALU_DEP_3)
	v_lshlrev_b64 v[3:4], 3, v[3:4]
	v_add_co_u32 v22, vcc_lo, s54, v1
	v_add_co_ci_u32_e32 v23, vcc_lo, s55, v2, vcc_lo
	s_delay_alu instid0(VALU_DEP_4) | instskip(NEXT) | instid1(VALU_DEP_4)
	v_lshlrev_b64 v[5:6], 3, v[5:6]
	v_add_co_u32 v24, vcc_lo, s54, v3
	v_add_co_ci_u32_e32 v25, vcc_lo, s55, v4, vcc_lo
	v_lshlrev_b64 v[3:4], 3, v[7:8]
	s_delay_alu instid0(VALU_DEP_4) | instskip(SKIP_2) | instid1(VALU_DEP_4)
	v_add_co_u32 v26, vcc_lo, s54, v5
	v_add_co_ci_u32_e32 v27, vcc_lo, s55, v6, vcc_lo
	v_cmp_ge_i32_e64 s2, s16, v46
	v_add_co_u32 v28, vcc_lo, s54, v3
	v_add_co_ci_u32_e32 v29, vcc_lo, s55, v4, vcc_lo
	v_add_co_u32 v30, vcc_lo, s6, v1
	v_cmp_ge_i32_e64 s3, s16, v47
	v_cmp_eq_u32_e64 s4, 0, v40
	v_lshlrev_b32_e32 v53, 3, v40
	v_and_b32_e32 v54, 56, v45
	v_cmp_eq_u32_e64 s5, 0, v0
	v_add_co_ci_u32_e32 v31, vcc_lo, s7, v2, vcc_lo
	s_lshl_b64 s[44:45], s[36:37], 3
	s_lshl_b64 s[46:47], s[34:35], 5
	;; [unrolled: 1-line block ×4, first 2 shown]
	s_mul_hi_i32 s59, s34, 24
	s_mul_i32 s60, s34, 24
	s_mov_b32 s33, 0
                                        ; implicit-def: $vgpr1_vgpr2_vgpr3_vgpr4_vgpr5_vgpr6_vgpr7_vgpr8
	s_branch .LBB71_9
.LBB71_8:                               ;   in Loop: Header=BB71_9 Depth=1
	s_or_b32 exec_lo, exec_lo, s6
	v_add_co_u32 v34, vcc_lo, v34, s46
	v_add_co_ci_u32_e32 v35, vcc_lo, s47, v35, vcc_lo
	s_add_i32 s33, s33, 4
	s_delay_alu instid0(SALU_CYCLE_1)
	s_cmp_ge_i32 s33, s56
	s_cbranch_scc1 .LBB71_33
.LBB71_9:                               ; =>This Loop Header: Depth=1
                                        ;     Child Loop BB71_15 Depth 2
                                        ;     Child Loop BB71_18 Depth 2
	;; [unrolled: 1-line block ×3, first 2 shown]
                                        ; implicit-def: $vgpr9_vgpr10_vgpr11_vgpr12_vgpr13_vgpr14_vgpr15_vgpr16
	s_and_saveexec_b32 s6, s2
	s_delay_alu instid0(SALU_CYCLE_1)
	s_xor_b32 s6, exec_lo, s6
	s_cbranch_execz .LBB71_11
; %bb.10:                               ;   in Loop: Header=BB71_9 Depth=1
	s_mul_i32 s7, s33, s35
	s_mul_hi_u32 s8, s33, s34
	s_delay_alu instid0(SALU_CYCLE_1)
	s_add_i32 s9, s8, s7
	s_mul_i32 s8, s33, s34
	s_or_b32 s7, s33, 1
	s_lshl_b64 s[8:9], s[8:9], 3
	s_mul_i32 s25, s7, s35
	s_mul_hi_u32 s26, s7, s34
	v_add_co_u32 v5, vcc_lo, v17, s8
	v_add_co_ci_u32_e32 v6, vcc_lo, s9, v18, vcc_lo
	s_add_i32 s9, s26, s25
	s_mul_i32 s8, s7, s34
	s_or_b32 s7, s33, 2
	s_lshl_b64 s[8:9], s[8:9], 3
	s_mul_i32 s25, s7, s35
	s_mul_hi_u32 s26, s7, s34
	v_add_co_u32 v7, vcc_lo, v17, s8
	v_add_co_ci_u32_e32 v8, vcc_lo, s9, v18, vcc_lo
	s_add_i32 s9, s26, s25
	s_or_b32 s25, s33, 3
	s_mul_i32 s8, s7, s34
	s_mul_i32 s7, s25, s35
	s_mul_hi_u32 s26, s25, s34
	s_lshl_b64 s[8:9], s[8:9], 3
	s_add_i32 s27, s26, s7
	s_mul_i32 s26, s25, s34
	v_add_co_u32 v67, vcc_lo, v17, s8
	v_add_co_ci_u32_e32 v68, vcc_lo, s9, v18, vcc_lo
	s_lshl_b64 s[8:9], s[26:27], 3
	s_delay_alu instid0(SALU_CYCLE_1)
	v_add_co_u32 v71, vcc_lo, v17, s8
	v_add_co_ci_u32_e32 v72, vcc_lo, s9, v18, vcc_lo
	global_load_b64 v[1:2], v[22:23], off
	s_clause 0x3
	global_load_b128 v[9:12], v[5:6], off
	global_load_b128 v[13:16], v[7:8], off
	;; [unrolled: 1-line block ×4, first 2 shown]
	global_load_b64 v[3:4], v[24:25], off
	global_load_b128 v[59:62], v[5:6], off offset:16
	global_load_b64 v[5:6], v[26:27], off
	s_clause 0x2
	global_load_b128 v[63:66], v[7:8], off offset:16
	global_load_b128 v[67:70], v[67:68], off offset:16
	;; [unrolled: 1-line block ×3, first 2 shown]
	global_load_b64 v[7:8], v[28:29], off
	s_waitcnt vmcnt(10)
	v_fma_f64 v[9:10], v[1:2], v[9:10], 0
	s_waitcnt vmcnt(9)
	v_fma_f64 v[13:14], v[1:2], v[13:14], 0
	s_waitcnt vmcnt(8)
	v_fma_f64 v[36:37], v[1:2], v[36:37], 0
	s_waitcnt vmcnt(7)
	v_fma_f64 v[55:56], v[1:2], v[55:56], 0
	s_waitcnt vmcnt(6)
	s_delay_alu instid0(VALU_DEP_4) | instskip(NEXT) | instid1(VALU_DEP_4)
	v_fma_f64 v[9:10], v[3:4], v[11:12], v[9:10]
	v_fma_f64 v[11:12], v[3:4], v[15:16], v[13:14]
	s_delay_alu instid0(VALU_DEP_4) | instskip(NEXT) | instid1(VALU_DEP_4)
	v_fma_f64 v[13:14], v[3:4], v[38:39], v[36:37]
	v_fma_f64 v[15:16], v[3:4], v[57:58], v[55:56]
	s_waitcnt vmcnt(4)
	s_delay_alu instid0(VALU_DEP_4) | instskip(SKIP_1) | instid1(VALU_DEP_4)
	v_fma_f64 v[9:10], v[5:6], v[59:60], v[9:10]
	s_waitcnt vmcnt(3)
	v_fma_f64 v[11:12], v[5:6], v[63:64], v[11:12]
	s_waitcnt vmcnt(2)
	s_delay_alu instid0(VALU_DEP_4) | instskip(SKIP_1) | instid1(VALU_DEP_4)
	v_fma_f64 v[13:14], v[5:6], v[67:68], v[13:14]
	s_waitcnt vmcnt(1)
	v_fma_f64 v[15:16], v[5:6], v[71:72], v[15:16]
	s_waitcnt vmcnt(0)
	s_delay_alu instid0(VALU_DEP_4) | instskip(NEXT) | instid1(VALU_DEP_4)
	v_fma_f64 v[9:10], v[7:8], v[61:62], v[9:10]
	v_fma_f64 v[11:12], v[7:8], v[65:66], v[11:12]
	s_delay_alu instid0(VALU_DEP_4) | instskip(NEXT) | instid1(VALU_DEP_4)
	v_fma_f64 v[13:14], v[7:8], v[69:70], v[13:14]
	v_fma_f64 v[15:16], v[7:8], v[73:74], v[15:16]
.LBB71_11:                              ;   in Loop: Header=BB71_9 Depth=1
	s_and_not1_saveexec_b32 s61, s6
	s_cbranch_execz .LBB71_20
; %bb.12:                               ;   in Loop: Header=BB71_9 Depth=1
	s_mov_b32 s25, s24
	s_mov_b32 s26, s24
	s_mov_b32 s27, s24
	s_mov_b32 s28, s24
	s_mov_b32 s29, s24
	s_mov_b32 s30, s24
	s_mov_b32 s31, s24
	v_dual_mov_b32 v9, s24 :: v_dual_mov_b32 v10, s25
	v_dual_mov_b32 v11, s26 :: v_dual_mov_b32 v12, s27
	;; [unrolled: 1-line block ×4, first 2 shown]
	s_and_saveexec_b32 s62, s3
	s_cbranch_execz .LBB71_19
; %bb.13:                               ;   in Loop: Header=BB71_9 Depth=1
	s_and_not1_b32 vcc_lo, exec_lo, s57
	s_cbranch_vccnz .LBB71_16
; %bb.14:                               ;   in Loop: Header=BB71_9 Depth=1
	v_dual_mov_b32 v9, v30 :: v_dual_mov_b32 v10, v31
	s_mov_b64 s[26:27], 0
	.p2align	6
.LBB71_15:                              ;   Parent Loop BB71_9 Depth=1
                                        ; =>  This Inner Loop Header: Depth=2
	global_load_b64 v[11:12], v[9:10], off
	v_add_co_u32 v9, vcc_lo, v9, s44
	s_cmp_eq_u32 s26, 3
	v_add_co_ci_u32_e32 v10, vcc_lo, s45, v10, vcc_lo
	s_cselect_b32 vcc_lo, -1, 0
	s_cmp_eq_u32 s26, 2
	s_cselect_b32 s6, -1, 0
	s_cmp_eq_u32 s26, 1
	s_cselect_b32 s7, -1, 0
	s_cmp_eq_u32 s26, 0
	s_cselect_b32 s8, -1, 0
	s_add_u32 s26, s26, 1
	s_addc_u32 s27, s27, 0
	s_cmp_eq_u32 s19, s26
	s_waitcnt vmcnt(0)
	v_dual_cndmask_b32 v8, v8, v12 :: v_dual_cndmask_b32 v7, v7, v11
	v_cndmask_b32_e64 v6, v6, v12, s6
	v_cndmask_b32_e64 v5, v5, v11, s6
	;; [unrolled: 1-line block ×6, first 2 shown]
	s_cbranch_scc0 .LBB71_15
.LBB71_16:                              ;   in Loop: Header=BB71_9 Depth=1
	s_mov_b32 s25, s24
	s_mov_b32 s26, s24
	;; [unrolled: 1-line block ×7, first 2 shown]
	v_dual_mov_b32 v9, s24 :: v_dual_mov_b32 v10, s25
	v_dual_mov_b32 v11, s26 :: v_dual_mov_b32 v12, s27
	;; [unrolled: 1-line block ×4, first 2 shown]
	s_and_not1_b32 vcc_lo, exec_lo, s57
	s_cbranch_vccnz .LBB71_19
; %bb.17:                               ;   in Loop: Header=BB71_9 Depth=1
	v_mov_b32_e32 v9, 0
	v_dual_mov_b32 v10, 0 :: v_dual_mov_b32 v37, v35
	v_mov_b32_e32 v36, v34
	s_mov_b64 s[8:9], 0
	s_delay_alu instid0(VALU_DEP_2)
	v_dual_mov_b32 v12, v10 :: v_dual_mov_b32 v11, v9
	v_dual_mov_b32 v14, v10 :: v_dual_mov_b32 v13, v9
	;; [unrolled: 1-line block ×3, first 2 shown]
	s_set_inst_prefetch_distance 0x1
	.p2align	6
.LBB71_18:                              ;   Parent Loop BB71_9 Depth=1
                                        ; =>  This Inner Loop Header: Depth=2
	v_add_co_u32 v38, vcc_lo, v36, s48
	v_add_co_ci_u32_e32 v39, vcc_lo, s49, v37, vcc_lo
	v_add_co_u32 v55, vcc_lo, v36, s50
	v_add_co_ci_u32_e32 v56, vcc_lo, s51, v37, vcc_lo
	;; [unrolled: 2-line block ×3, first 2 shown]
	s_clause 0x3
	global_load_b64 v[59:60], v[36:37], off
	global_load_b64 v[38:39], v[38:39], off
	;; [unrolled: 1-line block ×4, first 2 shown]
	s_cmp_eq_u32 s8, 1
	s_cselect_b32 vcc_lo, -1, 0
	s_cmp_eq_u32 s8, 2
	v_cndmask_b32_e32 v33, v2, v4, vcc_lo
	v_cndmask_b32_e32 v61, v1, v3, vcc_lo
	s_cselect_b32 vcc_lo, -1, 0
	s_cmp_eq_u32 s8, 3
	s_delay_alu instid0(VALU_DEP_2) | instskip(NEXT) | instid1(VALU_DEP_2)
	v_cndmask_b32_e32 v33, v33, v6, vcc_lo
	v_cndmask_b32_e32 v61, v61, v5, vcc_lo
	s_cselect_b32 s6, -1, 0
	v_add_co_u32 v36, vcc_lo, v36, 8
	s_delay_alu instid0(VALU_DEP_3) | instskip(NEXT) | instid1(VALU_DEP_3)
	v_cndmask_b32_e64 v62, v33, v8, s6
	v_cndmask_b32_e64 v61, v61, v7, s6
	v_add_co_ci_u32_e32 v37, vcc_lo, 0, v37, vcc_lo
	s_add_u32 s8, s8, 1
	s_addc_u32 s9, s9, 0
	s_cmp_lg_u32 s19, s8
	s_waitcnt vmcnt(3)
	v_fma_f64 v[9:10], v[61:62], v[59:60], v[9:10]
	s_waitcnt vmcnt(2)
	v_fma_f64 v[11:12], v[61:62], v[38:39], v[11:12]
	;; [unrolled: 2-line block ×4, first 2 shown]
	s_cbranch_scc1 .LBB71_18
.LBB71_19:                              ;   in Loop: Header=BB71_9 Depth=1
	s_set_inst_prefetch_distance 0x2
	s_or_b32 exec_lo, exec_lo, s62
.LBB71_20:                              ;   in Loop: Header=BB71_9 Depth=1
	s_delay_alu instid0(SALU_CYCLE_1)
	s_or_b32 exec_lo, exec_lo, s61
	s_mov_b64 s[6:7], 0
	s_branch .LBB71_22
.LBB71_21:                              ;   in Loop: Header=BB71_22 Depth=2
	s_or_b32 exec_lo, exec_lo, s8
	s_cmp_eq_u32 s6, 3
	s_cselect_b32 vcc_lo, -1, 0
	s_cmp_eq_u32 s6, 2
	s_waitcnt lgkmcnt(0)
	s_delay_alu instid0(VALU_DEP_1)
	v_dual_cndmask_b32 v16, v16, v37 :: v_dual_cndmask_b32 v15, v15, v36
	s_cselect_b32 vcc_lo, -1, 0
	s_cmp_eq_u32 s6, 1
	v_dual_cndmask_b32 v14, v14, v37 :: v_dual_cndmask_b32 v13, v13, v36
	s_cselect_b32 vcc_lo, -1, 0
	s_cmp_eq_u32 s6, 0
	v_dual_cndmask_b32 v12, v12, v37 :: v_dual_cndmask_b32 v11, v11, v36
	s_cselect_b32 vcc_lo, -1, 0
	s_add_u32 s6, s6, 1
	v_dual_cndmask_b32 v10, v10, v37 :: v_dual_cndmask_b32 v9, v9, v36
	s_addc_u32 s7, s7, 0
	s_cmp_eq_u32 s6, 4
	s_cbranch_scc1 .LBB71_30
.LBB71_22:                              ;   Parent Loop BB71_9 Depth=1
                                        ; =>  This Inner Loop Header: Depth=2
	s_and_saveexec_b32 s8, s0
	s_cbranch_execz .LBB71_24
; %bb.23:                               ;   in Loop: Header=BB71_22 Depth=2
	v_mov_b32_e32 v33, v32
	ds_store_b64 v53, v[32:33]
.LBB71_24:                              ;   in Loop: Header=BB71_22 Depth=2
	s_or_b32 exec_lo, exec_lo, s8
	s_cmp_eq_u32 s6, 1
	s_waitcnt lgkmcnt(0)
	s_waitcnt_vscnt null, 0x0
	s_cselect_b32 vcc_lo, -1, 0
	s_cmp_eq_u32 s6, 2
	s_delay_alu instid0(VALU_DEP_1) | instskip(SKIP_3) | instid1(VALU_DEP_1)
	v_dual_cndmask_b32 v33, v10, v12 :: v_dual_cndmask_b32 v36, v9, v11
	s_cselect_b32 vcc_lo, -1, 0
	s_cmp_eq_u32 s6, 3
	s_barrier
	v_dual_cndmask_b32 v33, v33, v14 :: v_dual_cndmask_b32 v36, v36, v13
	s_cselect_b32 vcc_lo, -1, 0
	buffer_gl0_inv
	v_dual_cndmask_b32 v37, v33, v16 :: v_dual_cndmask_b32 v36, v36, v15
	ds_bpermute_b32 v39, v48, v37
	ds_bpermute_b32 v38, v48, v36
	s_waitcnt lgkmcnt(0)
	v_add_f64 v[36:37], v[36:37], v[38:39]
	ds_bpermute_b32 v38, v49, v36
	ds_bpermute_b32 v39, v49, v37
	s_waitcnt lgkmcnt(0)
	v_add_f64 v[36:37], v[36:37], v[38:39]
	;; [unrolled: 4-line block ×4, first 2 shown]
	ds_bpermute_b32 v38, v52, v36
	ds_bpermute_b32 v39, v52, v37
	s_and_saveexec_b32 s8, s4
	s_cbranch_execz .LBB71_26
; %bb.25:                               ;   in Loop: Header=BB71_22 Depth=2
	s_waitcnt lgkmcnt(0)
	v_add_f64 v[36:37], v[36:37], v[38:39]
	ds_store_b64 v54, v[36:37]
.LBB71_26:                              ;   in Loop: Header=BB71_22 Depth=2
	s_or_b32 exec_lo, exec_lo, s8
	v_mov_b32_e32 v36, 0
	v_mov_b32_e32 v37, 0
	s_waitcnt lgkmcnt(0)
	s_barrier
	buffer_gl0_inv
	s_and_saveexec_b32 s8, s1
	s_cbranch_execz .LBB71_28
; %bb.27:                               ;   in Loop: Header=BB71_22 Depth=2
	ds_load_b64 v[36:37], v53
.LBB71_28:                              ;   in Loop: Header=BB71_22 Depth=2
	s_or_b32 exec_lo, exec_lo, s8
	s_and_saveexec_b32 s8, s0
	s_cbranch_execz .LBB71_21
; %bb.29:                               ;   in Loop: Header=BB71_22 Depth=2
	s_waitcnt lgkmcnt(0)
	ds_bpermute_b32 v38, v50, v36
	ds_bpermute_b32 v39, v50, v37
	s_waitcnt lgkmcnt(0)
	v_add_f64 v[36:37], v[36:37], v[38:39]
	ds_bpermute_b32 v38, v51, v36
	ds_bpermute_b32 v39, v51, v37
	s_waitcnt lgkmcnt(0)
	v_add_f64 v[36:37], v[36:37], v[38:39]
	;; [unrolled: 4-line block ×3, first 2 shown]
	s_branch .LBB71_21
.LBB71_30:                              ;   in Loop: Header=BB71_9 Depth=1
	s_and_saveexec_b32 s6, s5
	s_cbranch_execz .LBB71_8
; %bb.31:                               ;   in Loop: Header=BB71_9 Depth=1
	v_mul_f64 v[9:10], s[12:13], v[9:10]
	v_mul_f64 v[11:12], s[12:13], v[11:12]
	;; [unrolled: 1-line block ×4, first 2 shown]
	s_mul_hi_u32 s9, s33, s18
	s_mul_i32 s8, s33, s18
	s_delay_alu instid0(SALU_CYCLE_1) | instskip(NEXT) | instid1(SALU_CYCLE_1)
	s_lshl_b64 s[8:9], s[8:9], 3
	s_add_u32 s8, s15, s8
	s_addc_u32 s9, s58, s9
	s_or_b32 s7, s33, 1
	s_delay_alu instid0(SALU_CYCLE_1) | instskip(SKIP_1) | instid1(SALU_CYCLE_1)
	s_mul_hi_u32 s27, s7, s18
	s_mul_i32 s26, s7, s18
	s_lshl_b64 s[26:27], s[26:27], 3
	s_delay_alu instid0(SALU_CYCLE_1) | instskip(SKIP_2) | instid1(SALU_CYCLE_1)
	s_add_u32 s26, s15, s26
	s_addc_u32 s27, s58, s27
	s_or_b32 s7, s33, 2
	s_mul_hi_u32 s29, s7, s18
	s_mul_i32 s28, s7, s18
	s_delay_alu instid0(SALU_CYCLE_1) | instskip(NEXT) | instid1(SALU_CYCLE_1)
	s_lshl_b64 s[28:29], s[28:29], 3
	s_add_u32 s28, s15, s28
	s_addc_u32 s29, s58, s29
	s_or_b32 s7, s33, 3
	s_delay_alu instid0(SALU_CYCLE_1) | instskip(SKIP_1) | instid1(SALU_CYCLE_1)
	s_mul_hi_u32 s31, s7, s18
	s_mul_i32 s30, s7, s18
	s_lshl_b64 s[30:31], s[30:31], 3
	s_delay_alu instid0(SALU_CYCLE_1)
	s_add_u32 s30, s15, s30
	s_addc_u32 s31, s58, s31
	s_clause 0x3
	global_store_b64 v32, v[9:10], s[8:9]
	global_store_b64 v32, v[11:12], s[26:27]
	;; [unrolled: 1-line block ×4, first 2 shown]
	s_branch .LBB71_8
.LBB71_32:
	s_mov_b32 s33, 0
                                        ; implicit-def: $vgpr1_vgpr2_vgpr3_vgpr4_vgpr5_vgpr6_vgpr7_vgpr8
.LBB71_33:
	s_delay_alu instid0(SALU_CYCLE_1)
	s_cmp_ge_i32 s33, s17
	s_cbranch_scc1 .LBB71_57
; %bb.34:
	v_cmp_gt_u32_e32 vcc_lo, 16, v43
	v_mad_i64_i32 v[15:16], null, s36, v41, 0
	s_cmp_gt_i32 s19, 0
	s_mov_b32 s15, 0
	v_cndmask_b32_e64 v9, 0, 1, vcc_lo
	v_cmp_gt_u32_e32 vcc_lo, 24, v43
	s_cselect_b32 s9, -1, 0
	s_lshl_b64 s[6:7], s[14:15], 3
	s_delay_alu instid0(VALU_DEP_3)
	v_lshlrev_b64 v[15:16], 3, v[15:16]
	v_lshlrev_b32_e32 v9, 4, v9
	v_cndmask_b32_e64 v10, 0, 1, vcc_lo
	v_cmp_gt_u32_e32 vcc_lo, 28, v43
	s_add_u32 s14, s52, s6
	v_cmp_ge_i32_e64 s0, s16, v46
	v_add_lshl_u32 v30, v9, v43, 2
	v_dual_mov_b32 v23, 0 :: v_dual_lshlrev_b32 v10, 3, v10
	v_cndmask_b32_e64 v11, 0, 1, vcc_lo
	v_cmp_gt_u32_e32 vcc_lo, 30, v43
	v_cmp_ge_i32_e64 s1, s16, v47
	s_delay_alu instid0(VALU_DEP_4)
	v_add_lshl_u32 v31, v10, v43, 2
	v_mad_i64_i32 v[9:10], null, s36, v21, 0
	v_cndmask_b32_e64 v12, 0, 1, vcc_lo
	v_cmp_ne_u32_e32 vcc_lo, 31, v43
	v_lshlrev_b32_e32 v11, 2, v11
	s_addc_u32 s16, s53, s7
	s_add_u32 s6, s10, s42
	v_lshlrev_b32_e32 v12, 1, v12
	v_add_co_ci_u32_e32 v13, vcc_lo, 0, v43, vcc_lo
	v_add_lshl_u32 v32, v11, v43, 2
	v_lshlrev_b64 v[21:22], 3, v[9:10]
	s_delay_alu instid0(VALU_DEP_4)
	v_add_lshl_u32 v33, v12, v43, 2
	v_mad_i64_i32 v[11:12], null, s36, v44, 0
	v_lshlrev_b32_e32 v34, 2, v13
	v_mad_i64_i32 v[13:14], null, s36, v42, 0
	v_add_co_u32 v9, vcc_lo, s54, v21
	v_add_co_ci_u32_e32 v10, vcc_lo, s55, v22, vcc_lo
	v_lshlrev_b64 v[11:12], 3, v[11:12]
	s_addc_u32 s7, s11, s43
	s_delay_alu instid0(VALU_DEP_4)
	v_lshlrev_b64 v[13:14], 3, v[13:14]
	s_add_u32 s8, s6, s38
	s_mul_i32 s6, s35, s33
	s_mul_hi_u32 s10, s34, s33
	v_add_co_u32 v11, vcc_lo, s54, v11
	v_add_co_ci_u32_e32 v12, vcc_lo, s55, v12, vcc_lo
	v_add_co_u32 v13, vcc_lo, s54, v13
	v_add_co_ci_u32_e32 v14, vcc_lo, s55, v14, vcc_lo
	;; [unrolled: 2-line block ×3, first 2 shown]
	s_addc_u32 s11, s7, s39
	s_add_i32 s7, s10, s6
	s_mul_i32 s6, s34, s33
	v_add_co_u32 v21, vcc_lo, s8, v21
	s_lshl_b64 s[6:7], s[6:7], 3
	v_add_co_ci_u32_e32 v22, vcc_lo, s11, v22, vcc_lo
	s_lshl_b64 s[10:11], s[36:37], 3
	s_add_u32 s6, s40, s6
	s_addc_u32 s7, s41, s7
	s_add_u32 s6, s6, s22
	s_addc_u32 s7, s7, s23
	;; [unrolled: 2-line block ×3, first 2 shown]
	v_add_co_u32 v19, vcc_lo, s6, v19
	v_cmp_gt_u32_e64 s2, 32, v0
	v_lshlrev_b32_e32 v29, 3, v40
	v_cmp_eq_u32_e64 s3, 0, v40
	v_and_b32_e32 v35, 56, v45
	v_cmp_gt_u32_e64 s4, 8, v0
	v_cmp_eq_u32_e64 s5, 0, v0
	v_add_co_ci_u32_e32 v20, vcc_lo, s7, v20, vcc_lo
	s_lshl_b64 s[20:21], s[34:35], 3
	s_branch .LBB71_36
.LBB71_35:                              ;   in Loop: Header=BB71_36 Depth=1
	s_or_b32 exec_lo, exec_lo, s6
	v_add_co_u32 v19, vcc_lo, v19, s20
	v_add_co_ci_u32_e32 v20, vcc_lo, s21, v20, vcc_lo
	s_add_i32 s33, s33, 1
	s_delay_alu instid0(SALU_CYCLE_1)
	s_cmp_ge_i32 s33, s17
	s_cbranch_scc1 .LBB71_57
.LBB71_36:                              ; =>This Loop Header: Depth=1
                                        ;     Child Loop BB71_49 Depth 2
                                        ;     Child Loop BB71_52 Depth 2
	s_waitcnt lgkmcnt(0)
	v_dual_mov_b32 v25, s15 :: v_dual_mov_b32 v26, s15
	s_and_saveexec_b32 s6, s0
	s_delay_alu instid0(SALU_CYCLE_1)
	s_xor_b32 s6, exec_lo, s6
	s_cbranch_execnz .LBB71_45
; %bb.37:                               ;   in Loop: Header=BB71_36 Depth=1
	s_and_not1_saveexec_b32 s24, s6
	s_cbranch_execnz .LBB71_46
.LBB71_38:                              ;   in Loop: Header=BB71_36 Depth=1
	s_or_b32 exec_lo, exec_lo, s24
	s_and_saveexec_b32 s6, s2
	s_cbranch_execz .LBB71_40
.LBB71_39:                              ;   in Loop: Header=BB71_36 Depth=1
	v_mov_b32_e32 v24, v23
	ds_store_b64 v29, v[23:24]
.LBB71_40:                              ;   in Loop: Header=BB71_36 Depth=1
	s_or_b32 exec_lo, exec_lo, s6
	ds_bpermute_b32 v27, v30, v25
	ds_bpermute_b32 v28, v30, v26
	s_waitcnt lgkmcnt(0)
	s_waitcnt_vscnt null, 0x0
	s_barrier
	buffer_gl0_inv
	v_add_f64 v[24:25], v[25:26], v[27:28]
	ds_bpermute_b32 v26, v31, v24
	ds_bpermute_b32 v27, v31, v25
	s_waitcnt lgkmcnt(0)
	v_add_f64 v[24:25], v[24:25], v[26:27]
	ds_bpermute_b32 v26, v32, v24
	ds_bpermute_b32 v27, v32, v25
	s_waitcnt lgkmcnt(0)
	;; [unrolled: 4-line block ×3, first 2 shown]
	v_add_f64 v[24:25], v[24:25], v[26:27]
	ds_bpermute_b32 v26, v34, v24
	ds_bpermute_b32 v27, v34, v25
	s_and_saveexec_b32 s6, s3
	s_cbranch_execz .LBB71_42
; %bb.41:                               ;   in Loop: Header=BB71_36 Depth=1
	s_waitcnt lgkmcnt(0)
	v_add_f64 v[24:25], v[24:25], v[26:27]
	ds_store_b64 v35, v[24:25]
.LBB71_42:                              ;   in Loop: Header=BB71_36 Depth=1
	s_or_b32 exec_lo, exec_lo, s6
	v_mov_b32_e32 v24, 0
	v_mov_b32_e32 v25, 0
	s_waitcnt lgkmcnt(0)
	s_barrier
	buffer_gl0_inv
	s_and_saveexec_b32 s6, s4
	s_cbranch_execnz .LBB71_54
; %bb.43:                               ;   in Loop: Header=BB71_36 Depth=1
	s_or_b32 exec_lo, exec_lo, s6
	s_and_saveexec_b32 s6, s2
	s_cbranch_execnz .LBB71_55
.LBB71_44:                              ;   in Loop: Header=BB71_36 Depth=1
	s_or_b32 exec_lo, exec_lo, s6
	s_and_saveexec_b32 s6, s5
	s_cbranch_execz .LBB71_35
	s_branch .LBB71_56
.LBB71_45:                              ;   in Loop: Header=BB71_36 Depth=1
	s_mul_i32 s7, s33, s35
	s_mul_hi_u32 s8, s33, s34
	s_mul_i32 s22, s33, s34
	s_add_i32 s23, s8, s7
	s_delay_alu instid0(SALU_CYCLE_1) | instskip(NEXT) | instid1(SALU_CYCLE_1)
	s_lshl_b64 s[22:23], s[22:23], 3
	v_add_co_u32 v5, vcc_lo, v17, s22
	v_add_co_ci_u32_e32 v6, vcc_lo, s23, v18, vcc_lo
	global_load_b128 v[24:27], v[5:6], off
	s_clause 0x1
	global_load_b64 v[1:2], v[9:10], off
	global_load_b64 v[3:4], v[11:12], off
	global_load_b128 v[36:39], v[5:6], off offset:16
	s_clause 0x1
	global_load_b64 v[5:6], v[13:14], off
	global_load_b64 v[7:8], v[15:16], off
	s_waitcnt vmcnt(4)
	v_fma_f64 v[24:25], v[1:2], v[24:25], 0
	s_waitcnt vmcnt(3)
	s_delay_alu instid0(VALU_DEP_1) | instskip(SKIP_1) | instid1(VALU_DEP_1)
	v_fma_f64 v[24:25], v[3:4], v[26:27], v[24:25]
	s_waitcnt vmcnt(1)
	v_fma_f64 v[24:25], v[5:6], v[36:37], v[24:25]
	s_waitcnt vmcnt(0)
	s_delay_alu instid0(VALU_DEP_1)
	v_fma_f64 v[25:26], v[7:8], v[38:39], v[24:25]
	s_and_not1_saveexec_b32 s24, s6
	s_cbranch_execz .LBB71_38
.LBB71_46:                              ;   in Loop: Header=BB71_36 Depth=1
	s_and_saveexec_b32 s25, s1
	s_cbranch_execz .LBB71_53
; %bb.47:                               ;   in Loop: Header=BB71_36 Depth=1
	s_and_not1_b32 vcc_lo, exec_lo, s9
	s_cbranch_vccnz .LBB71_50
; %bb.48:                               ;   in Loop: Header=BB71_36 Depth=1
	v_dual_mov_b32 v28, v22 :: v_dual_mov_b32 v27, v21
	s_mov_b64 s[22:23], 0
	.p2align	6
.LBB71_49:                              ;   Parent Loop BB71_36 Depth=1
                                        ; =>  This Inner Loop Header: Depth=2
	global_load_b64 v[36:37], v[27:28], off
	v_add_co_u32 v27, vcc_lo, v27, s10
	s_cmp_eq_u32 s22, 3
	v_add_co_ci_u32_e32 v28, vcc_lo, s11, v28, vcc_lo
	s_cselect_b32 vcc_lo, -1, 0
	s_cmp_eq_u32 s22, 2
	s_cselect_b32 s6, -1, 0
	s_cmp_eq_u32 s22, 1
	s_cselect_b32 s7, -1, 0
	s_cmp_eq_u32 s22, 0
	s_cselect_b32 s8, -1, 0
	s_add_u32 s22, s22, 1
	s_addc_u32 s23, s23, 0
	s_cmp_eq_u32 s19, s22
	s_waitcnt vmcnt(0)
	v_dual_cndmask_b32 v8, v8, v37 :: v_dual_cndmask_b32 v7, v7, v36
	v_cndmask_b32_e64 v6, v6, v37, s6
	v_cndmask_b32_e64 v5, v5, v36, s6
	;; [unrolled: 1-line block ×6, first 2 shown]
	s_cbranch_scc0 .LBB71_49
.LBB71_50:                              ;   in Loop: Header=BB71_36 Depth=1
	s_and_not1_b32 vcc_lo, exec_lo, s9
	s_cbranch_vccnz .LBB71_53
; %bb.51:                               ;   in Loop: Header=BB71_36 Depth=1
	v_dual_mov_b32 v28, v20 :: v_dual_mov_b32 v27, v19
	s_mov_b64 s[6:7], 0
	.p2align	6
.LBB71_52:                              ;   Parent Loop BB71_36 Depth=1
                                        ; =>  This Inner Loop Header: Depth=2
	global_load_b64 v[36:37], v[27:28], off
	s_cmp_eq_u32 s6, 1
	s_cselect_b32 vcc_lo, -1, 0
	s_cmp_eq_u32 s6, 2
	v_cndmask_b32_e32 v0, v2, v4, vcc_lo
	v_cndmask_b32_e32 v24, v1, v3, vcc_lo
	s_cselect_b32 vcc_lo, -1, 0
	s_cmp_eq_u32 s6, 3
	s_delay_alu instid0(VALU_DEP_2) | instskip(NEXT) | instid1(VALU_DEP_2)
	v_cndmask_b32_e32 v0, v0, v6, vcc_lo
	v_cndmask_b32_e32 v24, v24, v5, vcc_lo
	s_cselect_b32 vcc_lo, -1, 0
	s_add_u32 s6, s6, 1
	s_addc_u32 s7, s7, 0
	v_cndmask_b32_e32 v39, v0, v8, vcc_lo
	v_cndmask_b32_e32 v38, v24, v7, vcc_lo
	v_add_co_u32 v27, vcc_lo, v27, 8
	v_add_co_ci_u32_e32 v28, vcc_lo, 0, v28, vcc_lo
	s_cmp_lg_u32 s19, s6
	s_waitcnt vmcnt(0)
	v_fma_f64 v[25:26], v[38:39], v[36:37], v[25:26]
	s_cbranch_scc1 .LBB71_52
.LBB71_53:                              ;   in Loop: Header=BB71_36 Depth=1
	s_or_b32 exec_lo, exec_lo, s25
	s_delay_alu instid0(SALU_CYCLE_1)
	s_or_b32 exec_lo, exec_lo, s24
	s_and_saveexec_b32 s6, s2
	s_cbranch_execnz .LBB71_39
	s_branch .LBB71_40
.LBB71_54:                              ;   in Loop: Header=BB71_36 Depth=1
	ds_load_b64 v[24:25], v29
	s_or_b32 exec_lo, exec_lo, s6
	s_and_saveexec_b32 s6, s2
	s_cbranch_execz .LBB71_44
.LBB71_55:                              ;   in Loop: Header=BB71_36 Depth=1
	s_waitcnt lgkmcnt(0)
	ds_bpermute_b32 v26, v32, v24
	ds_bpermute_b32 v27, v32, v25
	s_waitcnt lgkmcnt(0)
	v_add_f64 v[24:25], v[24:25], v[26:27]
	ds_bpermute_b32 v26, v33, v24
	ds_bpermute_b32 v27, v33, v25
	s_waitcnt lgkmcnt(0)
	v_add_f64 v[24:25], v[24:25], v[26:27]
	;; [unrolled: 4-line block ×3, first 2 shown]
	s_or_b32 exec_lo, exec_lo, s6
	s_and_saveexec_b32 s6, s5
	s_cbranch_execz .LBB71_35
.LBB71_56:                              ;   in Loop: Header=BB71_36 Depth=1
	s_waitcnt lgkmcnt(0)
	s_delay_alu instid0(VALU_DEP_1) | instskip(SKIP_2) | instid1(SALU_CYCLE_1)
	v_mul_f64 v[24:25], s[12:13], v[24:25]
	s_mul_hi_u32 s23, s33, s18
	s_mul_i32 s22, s33, s18
	s_lshl_b64 s[22:23], s[22:23], 3
	s_delay_alu instid0(SALU_CYCLE_1)
	s_add_u32 s22, s14, s22
	s_addc_u32 s23, s16, s23
	global_store_b64 v23, v[24:25], s[22:23]
	s_branch .LBB71_35
.LBB71_57:
	s_nop 0
	s_sendmsg sendmsg(MSG_DEALLOC_VGPRS)
	s_endpgm
	.section	.rodata,"a",@progbits
	.p2align	6, 0x0
	.amdhsa_kernel _ZL23rocblas_gemvt_sn_kernelILb0ELi256ELi4EldPKddEviiT4_lPKT3_lilS5_lilPT5_i
		.amdhsa_group_segment_fixed_size 256
		.amdhsa_private_segment_fixed_size 0
		.amdhsa_kernarg_size 360
		.amdhsa_user_sgpr_count 14
		.amdhsa_user_sgpr_dispatch_ptr 0
		.amdhsa_user_sgpr_queue_ptr 0
		.amdhsa_user_sgpr_kernarg_segment_ptr 1
		.amdhsa_user_sgpr_dispatch_id 0
		.amdhsa_user_sgpr_private_segment_size 0
		.amdhsa_wavefront_size32 1
		.amdhsa_uses_dynamic_stack 0
		.amdhsa_enable_private_segment 0
		.amdhsa_system_sgpr_workgroup_id_x 1
		.amdhsa_system_sgpr_workgroup_id_y 0
		.amdhsa_system_sgpr_workgroup_id_z 1
		.amdhsa_system_sgpr_workgroup_info 0
		.amdhsa_system_vgpr_workitem_id 0
		.amdhsa_next_free_vgpr 75
		.amdhsa_next_free_sgpr 63
		.amdhsa_reserve_vcc 1
		.amdhsa_float_round_mode_32 0
		.amdhsa_float_round_mode_16_64 0
		.amdhsa_float_denorm_mode_32 3
		.amdhsa_float_denorm_mode_16_64 3
		.amdhsa_dx10_clamp 1
		.amdhsa_ieee_mode 1
		.amdhsa_fp16_overflow 0
		.amdhsa_workgroup_processor_mode 1
		.amdhsa_memory_ordered 1
		.amdhsa_forward_progress 0
		.amdhsa_shared_vgpr_count 0
		.amdhsa_exception_fp_ieee_invalid_op 0
		.amdhsa_exception_fp_denorm_src 0
		.amdhsa_exception_fp_ieee_div_zero 0
		.amdhsa_exception_fp_ieee_overflow 0
		.amdhsa_exception_fp_ieee_underflow 0
		.amdhsa_exception_fp_ieee_inexact 0
		.amdhsa_exception_int_div_zero 0
	.end_amdhsa_kernel
	.section	.text._ZL23rocblas_gemvt_sn_kernelILb0ELi256ELi4EldPKddEviiT4_lPKT3_lilS5_lilPT5_i,"axG",@progbits,_ZL23rocblas_gemvt_sn_kernelILb0ELi256ELi4EldPKddEviiT4_lPKT3_lilS5_lilPT5_i,comdat
.Lfunc_end71:
	.size	_ZL23rocblas_gemvt_sn_kernelILb0ELi256ELi4EldPKddEviiT4_lPKT3_lilS5_lilPT5_i, .Lfunc_end71-_ZL23rocblas_gemvt_sn_kernelILb0ELi256ELi4EldPKddEviiT4_lPKT3_lilS5_lilPT5_i
                                        ; -- End function
	.section	.AMDGPU.csdata,"",@progbits
; Kernel info:
; codeLenInByte = 4080
; NumSgprs: 65
; NumVgprs: 75
; ScratchSize: 0
; MemoryBound: 1
; FloatMode: 240
; IeeeMode: 1
; LDSByteSize: 256 bytes/workgroup (compile time only)
; SGPRBlocks: 8
; VGPRBlocks: 9
; NumSGPRsForWavesPerEU: 65
; NumVGPRsForWavesPerEU: 75
; Occupancy: 16
; WaveLimiterHint : 1
; COMPUTE_PGM_RSRC2:SCRATCH_EN: 0
; COMPUTE_PGM_RSRC2:USER_SGPR: 14
; COMPUTE_PGM_RSRC2:TRAP_HANDLER: 0
; COMPUTE_PGM_RSRC2:TGID_X_EN: 1
; COMPUTE_PGM_RSRC2:TGID_Y_EN: 0
; COMPUTE_PGM_RSRC2:TGID_Z_EN: 1
; COMPUTE_PGM_RSRC2:TIDIG_COMP_CNT: 0
	.section	.text._ZL23rocblas_gemvt_sn_reduceILi256ELi8EdPKddEviT2_lPT3_lilPT1_i,"axG",@progbits,_ZL23rocblas_gemvt_sn_reduceILi256ELi8EdPKddEviT2_lPT3_lilPT1_i,comdat
	.globl	_ZL23rocblas_gemvt_sn_reduceILi256ELi8EdPKddEviT2_lPT3_lilPT1_i ; -- Begin function _ZL23rocblas_gemvt_sn_reduceILi256ELi8EdPKddEviT2_lPT3_lilPT1_i
	.p2align	8
	.type	_ZL23rocblas_gemvt_sn_reduceILi256ELi8EdPKddEviT2_lPT3_lilPT1_i,@function
_ZL23rocblas_gemvt_sn_reduceILi256ELi8EdPKddEviT2_lPT3_lilPT1_i: ; @_ZL23rocblas_gemvt_sn_reduceILi256ELi8EdPKddEviT2_lPT3_lilPT1_i
; %bb.0:
	s_clause 0x2
	s_load_b256 s[4:11], s[0:1], 0x8
	s_load_b32 s16, s[0:1], 0x0
	s_load_b32 s12, s[0:1], 0x4c
	v_mov_b32_e32 v1, 0
	v_dual_mov_b32 v2, 0 :: v_dual_lshlrev_b32 v5, 3, v0
	s_mov_b32 s19, 0
	s_waitcnt lgkmcnt(0)
	s_mul_i32 s2, s15, s7
	s_mul_hi_u32 s3, s15, s6
	s_ashr_i32 s13, s16, 31
	s_add_i32 s3, s3, s2
	s_mul_i32 s2, s15, s6
	s_mul_i32 s12, s12, s15
	s_lshl_b64 s[2:3], s[2:3], 3
	s_delay_alu instid0(SALU_CYCLE_1)
	s_add_u32 s2, s4, s2
	s_addc_u32 s3, s5, s3
	s_load_b64 s[6:7], s[0:1], 0x38
	s_load_b64 s[4:5], s[2:3], 0x0
	s_add_u32 s2, s0, 0x48
	s_addc_u32 s3, s1, 0
	s_add_i32 s12, s12, s14
	s_delay_alu instid0(SALU_CYCLE_1)
	s_mul_i32 s18, s12, s13
	s_lshr_b32 s13, s13, 29
	s_mul_hi_u32 s20, s12, s16
	s_add_i32 s13, s16, s13
	s_mul_i32 s12, s12, s16
	s_and_b32 s17, s13, -8
	s_add_i32 s13, s20, s18
	s_mov_b32 s18, exec_lo
	v_cmpx_gt_i32_e64 s17, v5
	s_cbranch_execz .LBB72_4
; %bb.1:
	s_load_b32 s2, s[2:3], 0xc
	v_lshlrev_b32_e32 v1, 6, v0
	s_lshl_b64 s[20:21], s[12:13], 3
	s_waitcnt lgkmcnt(0)
	s_and_b32 s2, s2, 0xffff
	s_delay_alu instid0(SALU_CYCLE_1) | instskip(SKIP_3) | instid1(VALU_DEP_1)
	s_lshl_b32 s3, s2, 3
	s_add_u32 s20, s6, s20
	s_addc_u32 s21, s7, s21
	v_add_co_u32 v3, s20, s20, v1
	v_add_co_ci_u32_e64 v4, null, s21, 0, s20
	v_mov_b32_e32 v1, 0
	s_delay_alu instid0(VALU_DEP_3) | instskip(SKIP_1) | instid1(VALU_DEP_4)
	v_add_co_u32 v3, vcc_lo, v3, 56
	v_mov_b32_e32 v2, 0
	v_add_co_ci_u32_e32 v4, vcc_lo, 0, v4, vcc_lo
	s_lshl_b32 s20, s2, 6
	s_set_inst_prefetch_distance 0x1
	.p2align	6
.LBB72_2:                               ; =>This Inner Loop Header: Depth=1
	s_clause 0x3
	global_load_b128 v[6:9], v[3:4], off offset:-56
	global_load_b128 v[10:13], v[3:4], off offset:-40
	;; [unrolled: 1-line block ×4, first 2 shown]
	v_add_nc_u32_e32 v5, s3, v5
	v_add_co_u32 v3, s2, v3, s20
	s_delay_alu instid0(VALU_DEP_1) | instskip(NEXT) | instid1(VALU_DEP_3)
	v_add_co_ci_u32_e64 v4, s2, 0, v4, s2
	v_cmp_le_i32_e32 vcc_lo, s17, v5
	s_or_b32 s19, vcc_lo, s19
	s_waitcnt vmcnt(3)
	v_add_f64 v[1:2], v[1:2], v[6:7]
	s_delay_alu instid0(VALU_DEP_1) | instskip(SKIP_1) | instid1(VALU_DEP_1)
	v_add_f64 v[1:2], v[1:2], v[8:9]
	s_waitcnt vmcnt(2)
	v_add_f64 v[1:2], v[1:2], v[10:11]
	s_delay_alu instid0(VALU_DEP_1) | instskip(SKIP_1) | instid1(VALU_DEP_1)
	v_add_f64 v[1:2], v[1:2], v[12:13]
	;; [unrolled: 4-line block ×3, first 2 shown]
	s_waitcnt vmcnt(0)
	v_add_f64 v[1:2], v[1:2], v[18:19]
	s_delay_alu instid0(VALU_DEP_1)
	v_add_f64 v[1:2], v[1:2], v[20:21]
	s_and_not1_b32 exec_lo, exec_lo, s19
	s_cbranch_execnz .LBB72_2
; %bb.3:
	s_set_inst_prefetch_distance 0x2
	s_or_b32 exec_lo, exec_lo, s19
.LBB72_4:
	s_delay_alu instid0(SALU_CYCLE_1) | instskip(SKIP_1) | instid1(SALU_CYCLE_1)
	s_or_b32 exec_lo, exec_lo, s18
	s_sub_i32 s2, s16, s17
	v_cmp_gt_u32_e32 vcc_lo, s2, v0
	s_and_saveexec_b32 s2, vcc_lo
	s_cbranch_execz .LBB72_6
; %bb.5:
	v_xad_u32 v3, v0, -1, s16
	v_mov_b32_e32 v4, 0
	s_lshl_b64 s[12:13], s[12:13], 3
	s_waitcnt lgkmcnt(0)
	s_add_u32 s3, s6, s12
	s_addc_u32 s6, s7, s13
	v_lshlrev_b64 v[3:4], 3, v[3:4]
	s_delay_alu instid0(VALU_DEP_1) | instskip(NEXT) | instid1(VALU_DEP_2)
	v_add_co_u32 v3, vcc_lo, s3, v3
	v_add_co_ci_u32_e32 v4, vcc_lo, s6, v4, vcc_lo
	global_load_b64 v[3:4], v[3:4], off
	s_waitcnt vmcnt(0)
	v_add_f64 v[1:2], v[1:2], v[3:4]
.LBB72_6:
	s_or_b32 exec_lo, exec_lo, s2
	v_and_b32_e32 v8, 31, v0
	v_cmp_gt_u32_e32 vcc_lo, 32, v0
	s_delay_alu instid0(VALU_DEP_2)
	v_lshlrev_b32_e32 v5, 3, v8
	s_and_saveexec_b32 s2, vcc_lo
	s_cbranch_execz .LBB72_8
; %bb.7:
	v_mov_b32_e32 v3, 0
	s_delay_alu instid0(VALU_DEP_1)
	v_mov_b32_e32 v4, v3
	ds_store_b64 v5, v[3:4]
.LBB72_8:
	s_or_b32 exec_lo, exec_lo, s2
	v_mbcnt_lo_u32_b32 v9, -1, 0
	s_mov_b32 s3, exec_lo
	s_waitcnt lgkmcnt(0)
	s_barrier
	buffer_gl0_inv
	v_cmp_gt_u32_e64 s2, 16, v9
	s_delay_alu instid0(VALU_DEP_1) | instskip(SKIP_1) | instid1(VALU_DEP_2)
	v_cndmask_b32_e64 v3, 0, 1, s2
	v_cmp_gt_u32_e64 s2, 24, v9
	v_lshlrev_b32_e32 v3, 4, v3
	s_delay_alu instid0(VALU_DEP_1)
	v_add_lshl_u32 v4, v3, v9, 2
	ds_bpermute_b32 v3, v4, v1
	ds_bpermute_b32 v4, v4, v2
	s_waitcnt lgkmcnt(0)
	v_add_f64 v[1:2], v[1:2], v[3:4]
	v_cndmask_b32_e64 v3, 0, 1, s2
	v_cmp_gt_u32_e64 s2, 28, v9
	s_delay_alu instid0(VALU_DEP_2) | instskip(NEXT) | instid1(VALU_DEP_1)
	v_lshlrev_b32_e32 v3, 3, v3
	v_add_lshl_u32 v4, v3, v9, 2
	ds_bpermute_b32 v3, v4, v1
	ds_bpermute_b32 v4, v4, v2
	s_waitcnt lgkmcnt(0)
	v_add_f64 v[1:2], v[1:2], v[3:4]
	v_cndmask_b32_e64 v3, 0, 1, s2
	v_cmp_gt_u32_e64 s2, 30, v9
	s_delay_alu instid0(VALU_DEP_2) | instskip(NEXT) | instid1(VALU_DEP_1)
	v_lshlrev_b32_e32 v3, 2, v3
	v_add_lshl_u32 v6, v3, v9, 2
	ds_bpermute_b32 v3, v6, v1
	ds_bpermute_b32 v4, v6, v2
	s_waitcnt lgkmcnt(0)
	v_add_f64 v[1:2], v[1:2], v[3:4]
	v_cndmask_b32_e64 v3, 0, 1, s2
	v_cmp_ne_u32_e64 s2, 31, v9
	s_delay_alu instid0(VALU_DEP_2) | instskip(NEXT) | instid1(VALU_DEP_1)
	v_lshlrev_b32_e32 v3, 1, v3
	v_add_lshl_u32 v7, v3, v9, 2
	ds_bpermute_b32 v3, v7, v1
	ds_bpermute_b32 v4, v7, v2
	s_waitcnt lgkmcnt(0)
	v_add_f64 v[1:2], v[1:2], v[3:4]
	v_add_co_ci_u32_e64 v3, s2, 0, v9, s2
	s_delay_alu instid0(VALU_DEP_1)
	v_lshlrev_b32_e32 v9, 2, v3
	ds_bpermute_b32 v3, v9, v1
	ds_bpermute_b32 v4, v9, v2
	v_cmpx_eq_u32_e32 0, v8
	s_cbranch_execz .LBB72_10
; %bb.9:
	s_waitcnt lgkmcnt(0)
	v_add_f64 v[1:2], v[1:2], v[3:4]
	v_lshrrev_b32_e32 v3, 2, v0
	s_delay_alu instid0(VALU_DEP_1)
	v_and_b32_e32 v3, 56, v3
	ds_store_b64 v3, v[1:2]
.LBB72_10:
	s_or_b32 exec_lo, exec_lo, s3
	v_mov_b32_e32 v1, 0
	v_mov_b32_e32 v2, 0
	s_mov_b32 s3, exec_lo
	s_waitcnt lgkmcnt(0)
	s_barrier
	buffer_gl0_inv
	v_cmpx_gt_u32_e32 8, v0
	s_cbranch_execz .LBB72_12
; %bb.11:
	ds_load_b64 v[1:2], v5
.LBB72_12:
	s_or_b32 exec_lo, exec_lo, s3
	s_and_saveexec_b32 s2, vcc_lo
	s_cbranch_execz .LBB72_14
; %bb.13:
	s_waitcnt lgkmcnt(0)
	ds_bpermute_b32 v3, v6, v1
	ds_bpermute_b32 v4, v6, v2
	s_waitcnt lgkmcnt(0)
	v_add_f64 v[1:2], v[1:2], v[3:4]
	ds_bpermute_b32 v3, v7, v1
	ds_bpermute_b32 v4, v7, v2
	s_waitcnt lgkmcnt(0)
	v_add_f64 v[1:2], v[1:2], v[3:4]
	;; [unrolled: 4-line block ×3, first 2 shown]
.LBB72_14:
	s_or_b32 exec_lo, exec_lo, s2
	s_delay_alu instid0(SALU_CYCLE_1)
	s_mov_b32 s2, exec_lo
	v_cmpx_eq_u32_e32 0, v0
	s_cbranch_execz .LBB72_18
; %bb.15:
	v_cmp_eq_f64_e64 s6, s[4:5], 0
	s_clause 0x1
	s_load_b64 s[2:3], s[0:1], 0x30
	s_load_b32 s7, s[0:1], 0x28
	s_waitcnt lgkmcnt(0)
	s_mul_i32 s0, s15, s3
	s_mul_hi_u32 s1, s15, s2
	s_ashr_i32 s3, s7, 31
	s_add_i32 s1, s1, s0
	s_mul_i32 s0, s15, s2
	s_delay_alu instid0(SALU_CYCLE_1) | instskip(NEXT) | instid1(SALU_CYCLE_1)
	s_lshl_b64 s[0:1], s[0:1], 3
	s_add_u32 s2, s8, s0
	s_addc_u32 s8, s9, s1
	s_lshl_b64 s[0:1], s[10:11], 3
	s_mul_i32 s9, s3, s14
	s_add_u32 s2, s2, s0
	s_mul_hi_u32 s0, s7, s14
	s_addc_u32 s3, s8, s1
	s_add_i32 s1, s0, s9
	s_mul_i32 s0, s7, s14
	s_delay_alu instid0(VALU_DEP_1)
	s_and_b32 vcc_lo, exec_lo, s6
	s_cbranch_vccnz .LBB72_17
; %bb.16:
	s_lshl_b64 s[6:7], s[0:1], 3
	s_delay_alu instid0(SALU_CYCLE_1) | instskip(SKIP_3) | instid1(VALU_DEP_3)
	s_add_u32 s6, s2, s6
	s_addc_u32 s7, s3, s7
	s_load_b64 s[6:7], s[6:7], 0x0
	s_waitcnt lgkmcnt(0)
	v_fma_f64 v[1:2], s[4:5], s[6:7], v[1:2]
.LBB72_17:
	s_lshl_b64 s[0:1], s[0:1], 3
	v_mov_b32_e32 v0, 0
	s_add_u32 s0, s2, s0
	s_addc_u32 s1, s3, s1
	global_store_b64 v0, v[1:2], s[0:1]
.LBB72_18:
	s_nop 0
	s_sendmsg sendmsg(MSG_DEALLOC_VGPRS)
	s_endpgm
	.section	.rodata,"a",@progbits
	.p2align	6, 0x0
	.amdhsa_kernel _ZL23rocblas_gemvt_sn_reduceILi256ELi8EdPKddEviT2_lPT3_lilPT1_i
		.amdhsa_group_segment_fixed_size 256
		.amdhsa_private_segment_fixed_size 0
		.amdhsa_kernarg_size 328
		.amdhsa_user_sgpr_count 13
		.amdhsa_user_sgpr_dispatch_ptr 0
		.amdhsa_user_sgpr_queue_ptr 0
		.amdhsa_user_sgpr_kernarg_segment_ptr 1
		.amdhsa_user_sgpr_dispatch_id 0
		.amdhsa_user_sgpr_private_segment_size 0
		.amdhsa_wavefront_size32 1
		.amdhsa_uses_dynamic_stack 0
		.amdhsa_enable_private_segment 0
		.amdhsa_system_sgpr_workgroup_id_x 1
		.amdhsa_system_sgpr_workgroup_id_y 1
		.amdhsa_system_sgpr_workgroup_id_z 1
		.amdhsa_system_sgpr_workgroup_info 0
		.amdhsa_system_vgpr_workitem_id 0
		.amdhsa_next_free_vgpr 22
		.amdhsa_next_free_sgpr 22
		.amdhsa_reserve_vcc 1
		.amdhsa_float_round_mode_32 0
		.amdhsa_float_round_mode_16_64 0
		.amdhsa_float_denorm_mode_32 3
		.amdhsa_float_denorm_mode_16_64 3
		.amdhsa_dx10_clamp 1
		.amdhsa_ieee_mode 1
		.amdhsa_fp16_overflow 0
		.amdhsa_workgroup_processor_mode 1
		.amdhsa_memory_ordered 1
		.amdhsa_forward_progress 0
		.amdhsa_shared_vgpr_count 0
		.amdhsa_exception_fp_ieee_invalid_op 0
		.amdhsa_exception_fp_denorm_src 0
		.amdhsa_exception_fp_ieee_div_zero 0
		.amdhsa_exception_fp_ieee_overflow 0
		.amdhsa_exception_fp_ieee_underflow 0
		.amdhsa_exception_fp_ieee_inexact 0
		.amdhsa_exception_int_div_zero 0
	.end_amdhsa_kernel
	.section	.text._ZL23rocblas_gemvt_sn_reduceILi256ELi8EdPKddEviT2_lPT3_lilPT1_i,"axG",@progbits,_ZL23rocblas_gemvt_sn_reduceILi256ELi8EdPKddEviT2_lPT3_lilPT1_i,comdat
.Lfunc_end72:
	.size	_ZL23rocblas_gemvt_sn_reduceILi256ELi8EdPKddEviT2_lPT3_lilPT1_i, .Lfunc_end72-_ZL23rocblas_gemvt_sn_reduceILi256ELi8EdPKddEviT2_lPT3_lilPT1_i
                                        ; -- End function
	.section	.AMDGPU.csdata,"",@progbits
; Kernel info:
; codeLenInByte = 1288
; NumSgprs: 24
; NumVgprs: 22
; ScratchSize: 0
; MemoryBound: 1
; FloatMode: 240
; IeeeMode: 1
; LDSByteSize: 256 bytes/workgroup (compile time only)
; SGPRBlocks: 2
; VGPRBlocks: 2
; NumSGPRsForWavesPerEU: 24
; NumVGPRsForWavesPerEU: 22
; Occupancy: 16
; WaveLimiterHint : 0
; COMPUTE_PGM_RSRC2:SCRATCH_EN: 0
; COMPUTE_PGM_RSRC2:USER_SGPR: 13
; COMPUTE_PGM_RSRC2:TRAP_HANDLER: 0
; COMPUTE_PGM_RSRC2:TGID_X_EN: 1
; COMPUTE_PGM_RSRC2:TGID_Y_EN: 1
; COMPUTE_PGM_RSRC2:TGID_Z_EN: 1
; COMPUTE_PGM_RSRC2:TIDIG_COMP_CNT: 0
	.section	.text._ZL23rocblas_gemvt_sn_kernelILb0ELi256ELi4EidddEviiT4_lPKT3_lilS3_lilPT5_i,"axG",@progbits,_ZL23rocblas_gemvt_sn_kernelILb0ELi256ELi4EidddEviiT4_lPKT3_lilS3_lilPT5_i,comdat
	.globl	_ZL23rocblas_gemvt_sn_kernelILb0ELi256ELi4EidddEviiT4_lPKT3_lilS3_lilPT5_i ; -- Begin function _ZL23rocblas_gemvt_sn_kernelILb0ELi256ELi4EidddEviiT4_lPKT3_lilS3_lilPT5_i
	.p2align	8
	.type	_ZL23rocblas_gemvt_sn_kernelILb0ELi256ELi4EidddEviiT4_lPKT3_lilS3_lilPT5_i,@function
_ZL23rocblas_gemvt_sn_kernelILb0ELi256ELi4EidddEviiT4_lPKT3_lilS3_lilPT5_i: ; @_ZL23rocblas_gemvt_sn_kernelILb0ELi256ELi4EidddEviiT4_lPKT3_lilS3_lilPT5_i
; %bb.0:
	s_clause 0x2
	s_load_b128 s[24:27], s[0:1], 0x0
	s_load_b128 s[4:7], s[0:1], 0x50
	s_load_b32 s10, s[0:1], 0x68
	s_waitcnt lgkmcnt(0)
	v_cmp_neq_f64_e64 s9, s[26:27], 0
	s_ashr_i32 s8, s25, 31
	s_mul_hi_u32 s2, s25, s15
	s_mul_i32 s3, s8, s15
	s_mul_i32 s11, s25, s15
	s_add_i32 s2, s2, s3
	s_mul_hi_u32 s3, s11, s10
	s_mul_i32 s12, s2, s10
	s_mul_i32 s2, s11, s10
	s_add_i32 s3, s3, s12
	s_mov_b32 s11, 0
	s_lshl_b64 s[2:3], s[2:3], 3
	s_delay_alu instid0(SALU_CYCLE_1) | instskip(SKIP_2) | instid1(VALU_DEP_2)
	s_add_u32 s42, s6, s2
	v_cmp_eq_u32_e64 s2, 0, v0
	s_addc_u32 s41, s7, s3
	s_and_b32 vcc_lo, exec_lo, s9
	s_cbranch_vccnz .LBB73_5
; %bb.1:
	s_cmp_gt_i32 s25, 0
	s_cselect_b32 s3, -1, 0
	s_delay_alu instid0(SALU_CYCLE_1) | instskip(NEXT) | instid1(SALU_CYCLE_1)
	s_and_b32 s2, s2, s3
	s_and_saveexec_b32 s9, s2
	s_cbranch_execz .LBB73_4
; %bb.2:
	v_mov_b32_e32 v1, 0
	s_mov_b32 s2, s15
	s_mov_b32 s15, 0
	s_delay_alu instid0(SALU_CYCLE_1) | instskip(NEXT) | instid1(VALU_DEP_1)
	s_lshl_b64 s[6:7], s[14:15], 3
	v_mov_b32_e32 v2, v1
	s_mov_b32 s15, s2
	s_add_u32 s2, s42, s6
	s_addc_u32 s3, s41, s7
	s_lshl_b64 s[6:7], s[10:11], 3
	s_mov_b32 s11, s25
.LBB73_3:                               ; =>This Inner Loop Header: Depth=1
	s_delay_alu instid0(SALU_CYCLE_1)
	s_add_i32 s11, s11, -1
	global_store_b64 v1, v[1:2], s[2:3]
	s_add_u32 s2, s2, s6
	s_addc_u32 s3, s3, s7
	s_cmp_eq_u32 s11, 0
	s_cbranch_scc0 .LBB73_3
.LBB73_4:
	s_or_b32 exec_lo, exec_lo, s9
	s_cbranch_execz .LBB73_6
	s_branch .LBB73_57
.LBB73_5:
.LBB73_6:
	s_clause 0x2
	s_load_b128 s[16:19], s[0:1], 0x30
	s_load_b64 s[2:3], s[0:1], 0x40
	s_load_b128 s[28:31], s[0:1], 0x18
	s_mul_i32 s5, s15, s5
	s_mul_hi_u32 s6, s15, s4
	s_mul_i32 s4, s15, s4
	s_add_i32 s5, s6, s5
	s_clause 0x1
	s_load_b32 s12, s[0:1], 0x28
	s_load_b32 s33, s[0:1], 0x48
	s_lshl_b64 s[4:5], s[4:5], 3
	v_and_b32_e32 v18, 31, v0
	v_cmp_gt_u32_e64 s0, 32, v0
	v_mbcnt_lo_u32_b32 v37, -1, 0
	v_lshrrev_b32_e32 v38, 2, v0
	s_waitcnt lgkmcnt(0)
	s_add_u32 s6, s18, s4
	s_addc_u32 s5, s19, s5
	s_lshl_b64 s[2:3], s[2:3], 3
	s_mul_i32 s7, s15, s17
	s_mul_hi_u32 s13, s15, s16
	s_add_u32 s9, s6, s2
	s_mul_i32 s4, s15, s16
	s_addc_u32 s11, s5, s3
	s_add_i32 s5, s13, s7
	s_delay_alu instid0(SALU_CYCLE_1) | instskip(NEXT) | instid1(SALU_CYCLE_1)
	s_lshl_b64 s[34:35], s[4:5], 3
	s_add_u32 s1, s28, s34
	s_addc_u32 s2, s29, s35
	s_lshl_b64 s[30:31], s[30:31], 3
	s_delay_alu instid0(SALU_CYCLE_1)
	s_add_u32 s3, s1, s30
	s_addc_u32 s2, s2, s31
	s_lshl_b32 s1, s14, 10
	s_ashr_i32 s4, s24, 31
	v_lshl_or_b32 v1, v0, 2, s1
	s_lshr_b32 s4, s4, 30
	s_lshr_b32 s5, s8, 30
	s_add_i32 s4, s24, s4
	s_add_i32 s5, s25, s5
	v_ashrrev_i32_e32 v2, 31, v1
	s_and_b32 s4, s4, -4
	v_mul_lo_u32 v17, v1, s33
	s_sub_i32 s40, s24, s4
	v_cmp_gt_u32_e64 s1, 8, v0
	v_lshlrev_b64 v[19:20], 3, v[1:2]
	v_add_nc_u32_e32 v39, 4, v1
	v_add_nc_u32_e32 v40, s40, v1
	s_and_b32 s15, s5, -4
	s_delay_alu instid0(SALU_CYCLE_1) | instskip(NEXT) | instid1(VALU_DEP_3)
	s_cmp_lt_i32 s15, 1
	v_add_co_u32 v35, vcc_lo, s3, v19
	v_add_co_ci_u32_e32 v36, vcc_lo, s2, v20, vcc_lo
	s_cbranch_scc1 .LBB73_32
; %bb.7:
	v_cmp_gt_u32_e32 vcc_lo, 16, v37
	v_mul_lo_u32 v21, v1, s33
	s_cmp_gt_i32 s40, 0
	s_mov_b32 s16, 0
	s_cselect_b32 s43, -1, 0
	v_cndmask_b32_e64 v2, 0, 1, vcc_lo
	v_cmp_gt_u32_e32 vcc_lo, 24, v37
	s_lshl_b32 s44, s12, 2
	s_lshl_b32 s45, s12, 1
	v_ashrrev_i32_e32 v22, 31, v21
	v_lshlrev_b32_e32 v2, 4, v2
	v_cndmask_b32_e64 v3, 0, 1, vcc_lo
	v_cmp_gt_u32_e32 vcc_lo, 28, v37
	s_add_u32 s6, s34, s30
	s_addc_u32 s7, s35, s31
	v_add_lshl_u32 v41, v2, v37, 2
	v_lshlrev_b32_e32 v2, 3, v3
	v_cndmask_b32_e64 v4, 0, 1, vcc_lo
	v_cmp_gt_u32_e32 vcc_lo, 30, v37
	s_add_u32 s6, s28, s6
	v_mov_b32_e32 v30, 0
	v_add_lshl_u32 v42, v2, v37, 2
	v_lshlrev_b32_e32 v3, 2, v4
	v_cndmask_b32_e64 v5, 0, 1, vcc_lo
	v_cmp_ne_u32_e32 vcc_lo, 31, v37
	s_addc_u32 s7, s29, s7
	v_cmp_ge_i32_e64 s2, s24, v39
	v_add_lshl_u32 v43, v3, v37, 2
	v_lshlrev_b32_e32 v1, 1, v5
	v_add_co_ci_u32_e32 v4, vcc_lo, 0, v37, vcc_lo
	v_lshlrev_b64 v[5:6], 3, v[21:22]
	v_cmp_ge_i32_e64 s3, s24, v40
	s_delay_alu instid0(VALU_DEP_4) | instskip(SKIP_4) | instid1(VALU_DEP_4)
	v_add_lshl_u32 v44, v1, v37, 2
	v_add_nc_u32_e32 v1, s33, v21
	v_lshlrev_b32_e32 v45, 2, v4
	v_cmp_eq_u32_e64 s4, 0, v18
	v_add_co_u32 v22, vcc_lo, s9, v5
	v_add_nc_u32_e32 v3, s33, v1
	v_ashrrev_i32_e32 v2, 31, v1
	v_add_co_ci_u32_e32 v23, vcc_lo, s11, v6, vcc_lo
	v_lshlrev_b32_e32 v46, 3, v18
	s_delay_alu instid0(VALU_DEP_4) | instskip(NEXT) | instid1(VALU_DEP_4)
	v_add_nc_u32_e32 v7, s33, v3
	v_lshlrev_b64 v[1:2], 3, v[1:2]
	v_ashrrev_i32_e32 v4, 31, v3
	v_and_b32_e32 v47, 56, v38
	v_cmp_eq_u32_e64 s5, 0, v0
	v_ashrrev_i32_e32 v8, 31, v7
	s_mov_b32 s13, s16
	v_lshlrev_b64 v[3:4], 3, v[3:4]
	v_add_co_u32 v24, vcc_lo, s9, v1
	v_add_co_ci_u32_e32 v25, vcc_lo, s11, v2, vcc_lo
	v_lshlrev_b64 v[1:2], 3, v[7:8]
	s_delay_alu instid0(VALU_DEP_4) | instskip(SKIP_2) | instid1(VALU_DEP_3)
	v_add_co_u32 v26, vcc_lo, s9, v3
	v_add_co_ci_u32_e32 v27, vcc_lo, s11, v4, vcc_lo
	s_mov_b32 s46, s16
	v_add_co_u32 v28, vcc_lo, s9, v1
	s_delay_alu instid0(VALU_DEP_4)
	v_add_co_ci_u32_e32 v29, vcc_lo, s11, v2, vcc_lo
	v_add_co_u32 v48, vcc_lo, s6, v19
	v_add_co_ci_u32_e32 v49, vcc_lo, s7, v20, vcc_lo
	s_mul_i32 s47, s12, 3
	s_mov_b32 s48, s16
	s_mov_b32 s36, 0
	s_mov_b64 s[38:39], s[12:13]
	s_mov_b32 s13, 0
                                        ; implicit-def: $vgpr1_vgpr2_vgpr3_vgpr4_vgpr5_vgpr6_vgpr7_vgpr8
	s_branch .LBB73_9
.LBB73_8:                               ;   in Loop: Header=BB73_9 Depth=1
	s_or_b32 exec_lo, exec_lo, s6
	s_add_i32 s13, s13, 4
	s_add_u32 s38, s38, s44
	s_addc_u32 s39, s39, 0
	s_add_u32 s45, s45, s44
	s_addc_u32 s46, s46, 0
	;; [unrolled: 2-line block ×3, first 2 shown]
	s_add_i32 s36, s36, s44
	s_cmp_ge_i32 s13, s15
	s_cbranch_scc1 .LBB73_33
.LBB73_9:                               ; =>This Loop Header: Depth=1
                                        ;     Child Loop BB73_15 Depth 2
                                        ;     Child Loop BB73_18 Depth 2
	;; [unrolled: 1-line block ×3, first 2 shown]
                                        ; implicit-def: $vgpr9_vgpr10_vgpr11_vgpr12_vgpr13_vgpr14_vgpr15_vgpr16
	s_and_saveexec_b32 s6, s2
	s_delay_alu instid0(SALU_CYCLE_1)
	s_xor_b32 s6, exec_lo, s6
	s_cbranch_execz .LBB73_11
; %bb.10:                               ;   in Loop: Header=BB73_9 Depth=1
	s_mul_i32 s18, s13, s12
	s_delay_alu instid0(SALU_CYCLE_1)
	s_ashr_i32 s19, s18, 31
	s_add_i32 s20, s18, s12
	s_lshl_b64 s[18:19], s[18:19], 3
	s_ashr_i32 s21, s20, 31
	v_add_co_u32 v5, vcc_lo, v35, s18
	v_add_co_ci_u32_e32 v6, vcc_lo, s19, v36, vcc_lo
	s_lshl_b64 s[18:19], s[20:21], 3
	s_add_i32 s20, s20, s12
	v_add_co_u32 v7, vcc_lo, v35, s18
	s_ashr_i32 s21, s20, 31
	s_add_i32 s18, s20, s12
	s_lshl_b64 s[20:21], s[20:21], 3
	v_add_co_ci_u32_e32 v8, vcc_lo, s19, v36, vcc_lo
	s_ashr_i32 s19, s18, 31
	v_add_co_u32 v62, vcc_lo, v35, s20
	s_lshl_b64 s[18:19], s[18:19], 3
	v_add_co_ci_u32_e32 v63, vcc_lo, s21, v36, vcc_lo
	v_add_co_u32 v66, vcc_lo, v35, s18
	v_add_co_ci_u32_e32 v67, vcc_lo, s19, v36, vcc_lo
	global_load_b64 v[1:2], v[22:23], off
	s_clause 0x3
	global_load_b128 v[9:12], v[5:6], off
	global_load_b128 v[13:16], v[7:8], off
	;; [unrolled: 1-line block ×4, first 2 shown]
	global_load_b64 v[3:4], v[24:25], off
	global_load_b128 v[54:57], v[5:6], off offset:16
	global_load_b64 v[5:6], v[26:27], off
	s_clause 0x2
	global_load_b128 v[58:61], v[7:8], off offset:16
	global_load_b128 v[62:65], v[62:63], off offset:16
	;; [unrolled: 1-line block ×3, first 2 shown]
	global_load_b64 v[7:8], v[28:29], off
	s_waitcnt vmcnt(10)
	v_fma_f64 v[9:10], v[1:2], v[9:10], 0
	s_waitcnt vmcnt(9)
	v_fma_f64 v[13:14], v[1:2], v[13:14], 0
	;; [unrolled: 2-line block ×4, first 2 shown]
	s_waitcnt vmcnt(6)
	s_delay_alu instid0(VALU_DEP_4) | instskip(NEXT) | instid1(VALU_DEP_4)
	v_fma_f64 v[9:10], v[3:4], v[11:12], v[9:10]
	v_fma_f64 v[11:12], v[3:4], v[15:16], v[13:14]
	s_delay_alu instid0(VALU_DEP_4) | instskip(NEXT) | instid1(VALU_DEP_4)
	v_fma_f64 v[13:14], v[3:4], v[33:34], v[31:32]
	v_fma_f64 v[15:16], v[3:4], v[52:53], v[50:51]
	s_waitcnt vmcnt(4)
	s_delay_alu instid0(VALU_DEP_4) | instskip(SKIP_1) | instid1(VALU_DEP_4)
	v_fma_f64 v[9:10], v[5:6], v[54:55], v[9:10]
	s_waitcnt vmcnt(3)
	v_fma_f64 v[11:12], v[5:6], v[58:59], v[11:12]
	s_waitcnt vmcnt(2)
	s_delay_alu instid0(VALU_DEP_4) | instskip(SKIP_1) | instid1(VALU_DEP_4)
	v_fma_f64 v[13:14], v[5:6], v[62:63], v[13:14]
	s_waitcnt vmcnt(1)
	v_fma_f64 v[15:16], v[5:6], v[66:67], v[15:16]
	s_waitcnt vmcnt(0)
	s_delay_alu instid0(VALU_DEP_4) | instskip(NEXT) | instid1(VALU_DEP_4)
	v_fma_f64 v[9:10], v[7:8], v[56:57], v[9:10]
	v_fma_f64 v[11:12], v[7:8], v[60:61], v[11:12]
	s_delay_alu instid0(VALU_DEP_4) | instskip(NEXT) | instid1(VALU_DEP_4)
	v_fma_f64 v[13:14], v[7:8], v[64:65], v[13:14]
	v_fma_f64 v[15:16], v[7:8], v[68:69], v[15:16]
.LBB73_11:                              ;   in Loop: Header=BB73_9 Depth=1
	s_and_not1_saveexec_b32 s49, s6
	s_cbranch_execz .LBB73_20
; %bb.12:                               ;   in Loop: Header=BB73_9 Depth=1
	s_mov_b32 s17, s16
	s_mov_b32 s18, s16
	;; [unrolled: 1-line block ×7, first 2 shown]
	v_dual_mov_b32 v9, s16 :: v_dual_mov_b32 v10, s17
	v_dual_mov_b32 v11, s18 :: v_dual_mov_b32 v12, s19
	;; [unrolled: 1-line block ×4, first 2 shown]
	s_and_saveexec_b32 s50, s3
	s_cbranch_execz .LBB73_19
; %bb.13:                               ;   in Loop: Header=BB73_9 Depth=1
	s_and_not1_b32 vcc_lo, exec_lo, s43
	s_cbranch_vccnz .LBB73_16
; %bb.14:                               ;   in Loop: Header=BB73_9 Depth=1
	v_mov_b32_e32 v9, v21
	s_mov_b64 s[18:19], 0
	s_set_inst_prefetch_distance 0x1
	.p2align	6
.LBB73_15:                              ;   Parent Loop BB73_9 Depth=1
                                        ; =>  This Inner Loop Header: Depth=2
	s_delay_alu instid0(VALU_DEP_1) | instskip(SKIP_1) | instid1(VALU_DEP_1)
	v_ashrrev_i32_e32 v10, 31, v9
	s_cmp_eq_u32 s18, 3
	v_lshlrev_b64 v[10:11], 3, v[9:10]
	s_delay_alu instid0(VALU_DEP_1) | instskip(NEXT) | instid1(VALU_DEP_2)
	v_add_co_u32 v10, vcc_lo, s9, v10
	v_add_co_ci_u32_e32 v11, vcc_lo, s11, v11, vcc_lo
	s_cselect_b32 vcc_lo, -1, 0
	s_cmp_eq_u32 s18, 2
	s_cselect_b32 s6, -1, 0
	global_load_b64 v[10:11], v[10:11], off
	s_cmp_eq_u32 s18, 1
	v_add_nc_u32_e32 v9, s33, v9
	s_cselect_b32 s7, -1, 0
	s_cmp_eq_u32 s18, 0
	s_cselect_b32 s8, -1, 0
	s_add_u32 s18, s18, 1
	s_addc_u32 s19, s19, 0
	s_cmp_eq_u32 s40, s18
	s_waitcnt vmcnt(0)
	v_dual_cndmask_b32 v8, v8, v11 :: v_dual_cndmask_b32 v7, v7, v10
	v_cndmask_b32_e64 v6, v6, v11, s6
	v_cndmask_b32_e64 v5, v5, v10, s6
	v_cndmask_b32_e64 v4, v4, v11, s7
	v_cndmask_b32_e64 v3, v3, v10, s7
	v_cndmask_b32_e64 v2, v2, v11, s8
	v_cndmask_b32_e64 v1, v1, v10, s8
	s_cbranch_scc0 .LBB73_15
.LBB73_16:                              ;   in Loop: Header=BB73_9 Depth=1
	s_set_inst_prefetch_distance 0x2
	s_mov_b32 s17, s16
	s_mov_b32 s18, s16
	;; [unrolled: 1-line block ×7, first 2 shown]
	v_dual_mov_b32 v9, s16 :: v_dual_mov_b32 v10, s17
	v_dual_mov_b32 v11, s18 :: v_dual_mov_b32 v12, s19
	;; [unrolled: 1-line block ×4, first 2 shown]
	s_and_not1_b32 vcc_lo, exec_lo, s43
	s_cbranch_vccnz .LBB73_19
; %bb.17:                               ;   in Loop: Header=BB73_9 Depth=1
	s_ashr_i32 s37, s36, 31
	v_mov_b32_e32 v9, 0
	v_mov_b32_e32 v10, 0
	s_lshl_b64 s[6:7], s[36:37], 3
	s_mov_b64 s[18:19], 0
	v_add_co_u32 v31, vcc_lo, v48, s6
	v_add_co_ci_u32_e32 v32, vcc_lo, s7, v49, vcc_lo
	v_dual_mov_b32 v12, v10 :: v_dual_mov_b32 v11, v9
	v_dual_mov_b32 v14, v10 :: v_dual_mov_b32 v13, v9
	;; [unrolled: 1-line block ×3, first 2 shown]
.LBB73_18:                              ;   Parent Loop BB73_9 Depth=1
                                        ; =>  This Inner Loop Header: Depth=2
	s_cmp_eq_u32 s18, 1
	s_cselect_b32 vcc_lo, -1, 0
	s_cmp_eq_u32 s18, 2
	v_cndmask_b32_e32 v33, v2, v4, vcc_lo
	s_cselect_b32 s6, -1, 0
	s_cmp_eq_u32 s18, 3
	v_cndmask_b32_e32 v57, v1, v3, vcc_lo
	s_cselect_b32 s7, -1, 0
	s_add_i32 s20, s38, s18
	s_add_i32 s22, s45, s18
	s_ashr_i32 s21, s20, 31
	s_ashr_i32 s23, s22, 31
	s_lshl_b64 s[20:21], s[20:21], 3
	v_cndmask_b32_e64 v56, v33, v6, s6
	s_add_i32 s52, s47, s18
	v_add_co_u32 v33, s8, v35, s20
	s_lshl_b64 s[22:23], s[22:23], 3
	s_ashr_i32 s53, s52, 31
	v_add_co_ci_u32_e64 v34, s8, s21, v36, s8
	v_add_co_u32 v50, s8, v35, s22
	s_lshl_b64 s[52:53], s[52:53], 3
	v_add_co_ci_u32_e64 v51, s8, s23, v36, s8
	v_add_co_u32 v52, s8, v35, s52
	s_delay_alu instid0(VALU_DEP_1)
	v_add_co_ci_u32_e64 v53, s8, s53, v36, s8
	global_load_b64 v[54:55], v[31:32], off
	s_clause 0x2
	global_load_b64 v[33:34], v[33:34], off
	global_load_b64 v[50:51], v[50:51], off
	;; [unrolled: 1-line block ×3, first 2 shown]
	v_cndmask_b32_e64 v58, v57, v5, s6
	v_cndmask_b32_e64 v57, v56, v8, s7
	v_add_co_u32 v31, vcc_lo, v31, 8
	v_add_co_ci_u32_e32 v32, vcc_lo, 0, v32, vcc_lo
	s_delay_alu instid0(VALU_DEP_4)
	v_cndmask_b32_e64 v56, v58, v7, s7
	s_add_u32 s18, s18, 1
	s_addc_u32 s19, s19, 0
	s_cmp_lg_u32 s40, s18
	s_waitcnt vmcnt(3)
	v_fma_f64 v[9:10], v[56:57], v[54:55], v[9:10]
	s_waitcnt vmcnt(2)
	v_fma_f64 v[11:12], v[56:57], v[33:34], v[11:12]
	;; [unrolled: 2-line block ×4, first 2 shown]
	s_cbranch_scc1 .LBB73_18
.LBB73_19:                              ;   in Loop: Header=BB73_9 Depth=1
	s_or_b32 exec_lo, exec_lo, s50
.LBB73_20:                              ;   in Loop: Header=BB73_9 Depth=1
	s_delay_alu instid0(SALU_CYCLE_1)
	s_or_b32 exec_lo, exec_lo, s49
	s_mov_b64 s[6:7], 0
	s_branch .LBB73_22
.LBB73_21:                              ;   in Loop: Header=BB73_22 Depth=2
	s_or_b32 exec_lo, exec_lo, s8
	s_cmp_eq_u32 s6, 3
	s_cselect_b32 vcc_lo, -1, 0
	s_cmp_eq_u32 s6, 2
	s_waitcnt lgkmcnt(0)
	s_delay_alu instid0(VALU_DEP_1)
	v_dual_cndmask_b32 v16, v16, v32 :: v_dual_cndmask_b32 v15, v15, v31
	s_cselect_b32 vcc_lo, -1, 0
	s_cmp_eq_u32 s6, 1
	v_dual_cndmask_b32 v14, v14, v32 :: v_dual_cndmask_b32 v13, v13, v31
	s_cselect_b32 vcc_lo, -1, 0
	s_cmp_eq_u32 s6, 0
	v_dual_cndmask_b32 v12, v12, v32 :: v_dual_cndmask_b32 v11, v11, v31
	s_cselect_b32 vcc_lo, -1, 0
	s_add_u32 s6, s6, 1
	v_dual_cndmask_b32 v10, v10, v32 :: v_dual_cndmask_b32 v9, v9, v31
	s_addc_u32 s7, s7, 0
	s_cmp_eq_u32 s6, 4
	s_cbranch_scc1 .LBB73_30
.LBB73_22:                              ;   Parent Loop BB73_9 Depth=1
                                        ; =>  This Inner Loop Header: Depth=2
	s_and_saveexec_b32 s8, s0
	s_cbranch_execz .LBB73_24
; %bb.23:                               ;   in Loop: Header=BB73_22 Depth=2
	v_mov_b32_e32 v31, v30
	ds_store_b64 v46, v[30:31]
.LBB73_24:                              ;   in Loop: Header=BB73_22 Depth=2
	s_or_b32 exec_lo, exec_lo, s8
	s_cmp_eq_u32 s6, 1
	s_waitcnt lgkmcnt(0)
	s_waitcnt_vscnt null, 0x0
	s_cselect_b32 vcc_lo, -1, 0
	s_cmp_eq_u32 s6, 2
	s_delay_alu instid0(VALU_DEP_1) | instskip(SKIP_3) | instid1(VALU_DEP_1)
	v_dual_cndmask_b32 v31, v10, v12 :: v_dual_cndmask_b32 v32, v9, v11
	s_cselect_b32 vcc_lo, -1, 0
	s_cmp_eq_u32 s6, 3
	s_barrier
	v_cndmask_b32_e32 v31, v31, v14, vcc_lo
	s_delay_alu instid0(VALU_DEP_4)
	v_cndmask_b32_e32 v33, v32, v13, vcc_lo
	s_cselect_b32 vcc_lo, -1, 0
	buffer_gl0_inv
	v_dual_cndmask_b32 v32, v31, v16 :: v_dual_cndmask_b32 v31, v33, v15
	ds_bpermute_b32 v34, v41, v32
	ds_bpermute_b32 v33, v41, v31
	s_waitcnt lgkmcnt(0)
	v_add_f64 v[31:32], v[31:32], v[33:34]
	ds_bpermute_b32 v33, v42, v31
	ds_bpermute_b32 v34, v42, v32
	s_waitcnt lgkmcnt(0)
	v_add_f64 v[31:32], v[31:32], v[33:34]
	;; [unrolled: 4-line block ×4, first 2 shown]
	ds_bpermute_b32 v33, v45, v31
	ds_bpermute_b32 v34, v45, v32
	s_and_saveexec_b32 s8, s4
	s_cbranch_execz .LBB73_26
; %bb.25:                               ;   in Loop: Header=BB73_22 Depth=2
	s_waitcnt lgkmcnt(0)
	v_add_f64 v[31:32], v[31:32], v[33:34]
	ds_store_b64 v47, v[31:32]
.LBB73_26:                              ;   in Loop: Header=BB73_22 Depth=2
	s_or_b32 exec_lo, exec_lo, s8
	v_mov_b32_e32 v31, 0
	v_mov_b32_e32 v32, 0
	s_waitcnt lgkmcnt(0)
	s_barrier
	buffer_gl0_inv
	s_and_saveexec_b32 s8, s1
	s_cbranch_execz .LBB73_28
; %bb.27:                               ;   in Loop: Header=BB73_22 Depth=2
	ds_load_b64 v[31:32], v46
.LBB73_28:                              ;   in Loop: Header=BB73_22 Depth=2
	s_or_b32 exec_lo, exec_lo, s8
	s_and_saveexec_b32 s8, s0
	s_cbranch_execz .LBB73_21
; %bb.29:                               ;   in Loop: Header=BB73_22 Depth=2
	s_waitcnt lgkmcnt(0)
	ds_bpermute_b32 v33, v43, v31
	ds_bpermute_b32 v34, v43, v32
	s_waitcnt lgkmcnt(0)
	v_add_f64 v[31:32], v[31:32], v[33:34]
	ds_bpermute_b32 v33, v44, v31
	ds_bpermute_b32 v34, v44, v32
	s_waitcnt lgkmcnt(0)
	v_add_f64 v[31:32], v[31:32], v[33:34]
	;; [unrolled: 4-line block ×3, first 2 shown]
	s_branch .LBB73_21
.LBB73_30:                              ;   in Loop: Header=BB73_9 Depth=1
	s_and_saveexec_b32 s6, s5
	s_cbranch_execz .LBB73_8
; %bb.31:                               ;   in Loop: Header=BB73_9 Depth=1
	v_mul_f64 v[9:10], v[9:10], s[26:27]
	v_mul_f64 v[11:12], v[11:12], s[26:27]
	;; [unrolled: 1-line block ×4, first 2 shown]
	s_mul_i32 s7, s13, s10
	s_mov_b32 s19, s16
	s_add_i32 s18, s7, s14
	s_delay_alu instid0(SALU_CYCLE_1) | instskip(NEXT) | instid1(SALU_CYCLE_1)
	s_lshl_b64 s[20:21], s[18:19], 3
	s_add_u32 s20, s42, s20
	s_addc_u32 s21, s41, s21
	s_add_i32 s18, s18, s10
	s_delay_alu instid0(SALU_CYCLE_1) | instskip(NEXT) | instid1(SALU_CYCLE_1)
	s_lshl_b64 s[22:23], s[18:19], 3
	s_add_u32 s22, s42, s22
	s_addc_u32 s23, s41, s23
	;; [unrolled: 5-line block ×4, first 2 shown]
	s_clause 0x3
	global_store_b64 v30, v[9:10], s[20:21]
	global_store_b64 v30, v[11:12], s[22:23]
	;; [unrolled: 1-line block ×4, first 2 shown]
	s_branch .LBB73_8
.LBB73_32:
	s_mov_b32 s13, 0
                                        ; implicit-def: $vgpr1_vgpr2_vgpr3_vgpr4_vgpr5_vgpr6_vgpr7_vgpr8
.LBB73_33:
	s_delay_alu instid0(SALU_CYCLE_1)
	s_cmp_ge_i32 s13, s25
	s_cbranch_scc1 .LBB73_57
; %bb.34:
	v_cmp_gt_u32_e32 vcc_lo, 16, v37
	v_lshlrev_b32_e32 v24, 3, v18
	v_cmp_eq_u32_e64 s3, 0, v18
	v_ashrrev_i32_e32 v18, 31, v17
	s_cmp_gt_i32 s40, 0
	v_cndmask_b32_e64 v9, 0, 1, vcc_lo
	v_cmp_gt_u32_e32 vcc_lo, 24, v37
	s_mov_b32 s15, 0
	s_cselect_b32 s20, -1, 0
	s_lshl_b64 s[6:7], s[14:15], 3
	v_lshlrev_b32_e32 v9, 4, v9
	v_cndmask_b32_e64 v10, 0, 1, vcc_lo
	v_cmp_gt_u32_e32 vcc_lo, 28, v37
	s_add_u32 s14, s42, s6
	s_addc_u32 s21, s41, s7
	s_add_u32 s6, s34, s30
	v_lshlrev_b32_e32 v10, 3, v10
	v_cndmask_b32_e64 v11, 0, 1, vcc_lo
	v_cmp_gt_u32_e32 vcc_lo, 30, v37
	s_addc_u32 s7, s35, s31
	s_add_u32 s6, s28, s6
	v_add_lshl_u32 v26, v10, v37, 2
	v_lshlrev_b32_e32 v11, 2, v11
	v_cndmask_b32_e64 v12, 0, 1, vcc_lo
	v_cmp_ne_u32_e32 vcc_lo, 31, v37
	v_cmp_gt_u32_e64 s2, 32, v0
	v_cmp_gt_u32_e64 s4, 8, v0
	v_add_lshl_u32 v27, v11, v37, 2
	v_lshlrev_b32_e32 v12, 1, v12
	v_add_co_ci_u32_e32 v13, vcc_lo, 0, v37, vcc_lo
	v_cmp_eq_u32_e64 s5, 0, v0
	s_addc_u32 s7, s29, s7
	s_delay_alu instid0(VALU_DEP_3) | instskip(NEXT) | instid1(VALU_DEP_3)
	v_add_lshl_u32 v28, v12, v37, 2
	v_lshlrev_b32_e32 v29, 2, v13
	v_lshlrev_b64 v[13:14], 3, v[17:18]
	v_mov_b32_e32 v18, 0
	v_add_lshl_u32 v25, v9, v37, 2
	v_add_nc_u32_e32 v9, s33, v17
	v_cmp_ge_i32_e64 s0, s24, v39
	v_cmp_ge_i32_e64 s1, s24, v40
	v_and_b32_e32 v30, 56, v38
	s_mul_i32 s16, s13, s12
	v_add_nc_u32_e32 v11, s33, v9
	v_ashrrev_i32_e32 v10, 31, v9
	s_delay_alu instid0(VALU_DEP_2) | instskip(NEXT) | instid1(VALU_DEP_2)
	v_add_nc_u32_e32 v21, s33, v11
	v_lshlrev_b64 v[15:16], 3, v[9:10]
	v_ashrrev_i32_e32 v12, 31, v11
	v_add_co_u32 v9, vcc_lo, s9, v13
	s_delay_alu instid0(VALU_DEP_4) | instskip(SKIP_1) | instid1(VALU_DEP_4)
	v_ashrrev_i32_e32 v22, 31, v21
	v_add_co_ci_u32_e32 v10, vcc_lo, s11, v14, vcc_lo
	v_lshlrev_b64 v[13:14], 3, v[11:12]
	v_add_co_u32 v11, vcc_lo, s9, v15
	v_add_co_ci_u32_e32 v12, vcc_lo, s11, v16, vcc_lo
	v_lshlrev_b64 v[15:16], 3, v[21:22]
	s_delay_alu instid0(VALU_DEP_4) | instskip(SKIP_1) | instid1(VALU_DEP_3)
	v_add_co_u32 v13, vcc_lo, s9, v13
	v_add_co_ci_u32_e32 v14, vcc_lo, s11, v14, vcc_lo
	v_add_co_u32 v15, vcc_lo, s9, v15
	s_delay_alu instid0(VALU_DEP_4)
	v_add_co_ci_u32_e32 v16, vcc_lo, s11, v16, vcc_lo
	v_add_co_u32 v0, vcc_lo, s6, v19
	v_add_co_ci_u32_e32 v31, vcc_lo, s7, v20, vcc_lo
	s_branch .LBB73_36
.LBB73_35:                              ;   in Loop: Header=BB73_36 Depth=1
	s_or_b32 exec_lo, exec_lo, s6
	s_add_i32 s13, s13, 1
	s_add_i32 s16, s16, s12
	s_cmp_ge_i32 s13, s25
	s_cbranch_scc1 .LBB73_57
.LBB73_36:                              ; =>This Loop Header: Depth=1
                                        ;     Child Loop BB73_49 Depth 2
                                        ;     Child Loop BB73_52 Depth 2
	s_waitcnt lgkmcnt(0)
	v_dual_mov_b32 v20, s15 :: v_dual_mov_b32 v21, s15
	s_and_saveexec_b32 s6, s0
	s_delay_alu instid0(SALU_CYCLE_1)
	s_xor_b32 s6, exec_lo, s6
	s_cbranch_execnz .LBB73_45
; %bb.37:                               ;   in Loop: Header=BB73_36 Depth=1
	s_and_not1_saveexec_b32 s22, s6
	s_cbranch_execnz .LBB73_46
.LBB73_38:                              ;   in Loop: Header=BB73_36 Depth=1
	s_or_b32 exec_lo, exec_lo, s22
	s_and_saveexec_b32 s6, s2
	s_cbranch_execz .LBB73_40
.LBB73_39:                              ;   in Loop: Header=BB73_36 Depth=1
	v_mov_b32_e32 v19, v18
	ds_store_b64 v24, v[18:19]
.LBB73_40:                              ;   in Loop: Header=BB73_36 Depth=1
	s_or_b32 exec_lo, exec_lo, s6
	ds_bpermute_b32 v22, v25, v20
	ds_bpermute_b32 v23, v25, v21
	s_waitcnt lgkmcnt(0)
	s_waitcnt_vscnt null, 0x0
	s_barrier
	buffer_gl0_inv
	v_add_f64 v[19:20], v[20:21], v[22:23]
	ds_bpermute_b32 v21, v26, v19
	ds_bpermute_b32 v22, v26, v20
	s_waitcnt lgkmcnt(0)
	v_add_f64 v[19:20], v[19:20], v[21:22]
	ds_bpermute_b32 v21, v27, v19
	ds_bpermute_b32 v22, v27, v20
	s_waitcnt lgkmcnt(0)
	;; [unrolled: 4-line block ×3, first 2 shown]
	v_add_f64 v[19:20], v[19:20], v[21:22]
	ds_bpermute_b32 v21, v29, v19
	ds_bpermute_b32 v22, v29, v20
	s_and_saveexec_b32 s6, s3
	s_cbranch_execz .LBB73_42
; %bb.41:                               ;   in Loop: Header=BB73_36 Depth=1
	s_waitcnt lgkmcnt(0)
	v_add_f64 v[19:20], v[19:20], v[21:22]
	ds_store_b64 v30, v[19:20]
.LBB73_42:                              ;   in Loop: Header=BB73_36 Depth=1
	s_or_b32 exec_lo, exec_lo, s6
	v_mov_b32_e32 v19, 0
	v_mov_b32_e32 v20, 0
	s_waitcnt lgkmcnt(0)
	s_barrier
	buffer_gl0_inv
	s_and_saveexec_b32 s6, s4
	s_cbranch_execnz .LBB73_54
; %bb.43:                               ;   in Loop: Header=BB73_36 Depth=1
	s_or_b32 exec_lo, exec_lo, s6
	s_and_saveexec_b32 s6, s2
	s_cbranch_execnz .LBB73_55
.LBB73_44:                              ;   in Loop: Header=BB73_36 Depth=1
	s_or_b32 exec_lo, exec_lo, s6
	s_and_saveexec_b32 s6, s5
	s_cbranch_execz .LBB73_35
	s_branch .LBB73_56
.LBB73_45:                              ;   in Loop: Header=BB73_36 Depth=1
	s_mul_i32 s18, s13, s12
	s_delay_alu instid0(SALU_CYCLE_1) | instskip(NEXT) | instid1(SALU_CYCLE_1)
	s_ashr_i32 s19, s18, 31
	s_lshl_b64 s[18:19], s[18:19], 3
	s_delay_alu instid0(SALU_CYCLE_1)
	v_add_co_u32 v5, vcc_lo, v35, s18
	v_add_co_ci_u32_e32 v6, vcc_lo, s19, v36, vcc_lo
	global_load_b128 v[19:22], v[5:6], off
	s_clause 0x1
	global_load_b64 v[1:2], v[9:10], off
	global_load_b64 v[3:4], v[11:12], off
	global_load_b128 v[37:40], v[5:6], off offset:16
	s_clause 0x1
	global_load_b64 v[5:6], v[13:14], off
	global_load_b64 v[7:8], v[15:16], off
	s_waitcnt vmcnt(4)
	v_fma_f64 v[19:20], v[1:2], v[19:20], 0
	s_waitcnt vmcnt(3)
	s_delay_alu instid0(VALU_DEP_1) | instskip(SKIP_1) | instid1(VALU_DEP_1)
	v_fma_f64 v[19:20], v[3:4], v[21:22], v[19:20]
	s_waitcnt vmcnt(1)
	v_fma_f64 v[19:20], v[5:6], v[37:38], v[19:20]
	s_waitcnt vmcnt(0)
	s_delay_alu instid0(VALU_DEP_1)
	v_fma_f64 v[20:21], v[7:8], v[39:40], v[19:20]
	s_and_not1_saveexec_b32 s22, s6
	s_cbranch_execz .LBB73_38
.LBB73_46:                              ;   in Loop: Header=BB73_36 Depth=1
	s_and_saveexec_b32 s23, s1
	s_cbranch_execz .LBB73_53
; %bb.47:                               ;   in Loop: Header=BB73_36 Depth=1
	s_and_not1_b32 vcc_lo, exec_lo, s20
	s_cbranch_vccnz .LBB73_50
; %bb.48:                               ;   in Loop: Header=BB73_36 Depth=1
	v_mov_b32_e32 v22, v17
	s_mov_b64 s[18:19], 0
	s_set_inst_prefetch_distance 0x1
	.p2align	6
.LBB73_49:                              ;   Parent Loop BB73_36 Depth=1
                                        ; =>  This Inner Loop Header: Depth=2
	s_delay_alu instid0(VALU_DEP_1) | instskip(SKIP_1) | instid1(VALU_DEP_1)
	v_ashrrev_i32_e32 v23, 31, v22
	s_cmp_eq_u32 s18, 3
	v_lshlrev_b64 v[32:33], 3, v[22:23]
	s_delay_alu instid0(VALU_DEP_1) | instskip(NEXT) | instid1(VALU_DEP_2)
	v_add_co_u32 v32, vcc_lo, s9, v32
	v_add_co_ci_u32_e32 v33, vcc_lo, s11, v33, vcc_lo
	s_cselect_b32 vcc_lo, -1, 0
	s_cmp_eq_u32 s18, 2
	s_cselect_b32 s6, -1, 0
	global_load_b64 v[32:33], v[32:33], off
	s_cmp_eq_u32 s18, 1
	v_add_nc_u32_e32 v22, s33, v22
	s_cselect_b32 s7, -1, 0
	s_cmp_eq_u32 s18, 0
	s_cselect_b32 s8, -1, 0
	s_add_u32 s18, s18, 1
	s_addc_u32 s19, s19, 0
	s_cmp_eq_u32 s40, s18
	s_waitcnt vmcnt(0)
	v_dual_cndmask_b32 v7, v7, v32 :: v_dual_cndmask_b32 v8, v8, v33
	v_cndmask_b32_e64 v6, v6, v33, s6
	v_cndmask_b32_e64 v5, v5, v32, s6
	;; [unrolled: 1-line block ×6, first 2 shown]
	s_cbranch_scc0 .LBB73_49
.LBB73_50:                              ;   in Loop: Header=BB73_36 Depth=1
	s_set_inst_prefetch_distance 0x2
	s_and_not1_b32 vcc_lo, exec_lo, s20
	s_cbranch_vccnz .LBB73_53
; %bb.51:                               ;   in Loop: Header=BB73_36 Depth=1
	s_ashr_i32 s17, s16, 31
	s_delay_alu instid0(SALU_CYCLE_1) | instskip(NEXT) | instid1(SALU_CYCLE_1)
	s_lshl_b64 s[6:7], s[16:17], 3
	v_add_co_u32 v22, vcc_lo, v0, s6
	v_add_co_ci_u32_e32 v23, vcc_lo, s7, v31, vcc_lo
	s_mov_b64 s[6:7], 0
	.p2align	6
.LBB73_52:                              ;   Parent Loop BB73_36 Depth=1
                                        ; =>  This Inner Loop Header: Depth=2
	global_load_b64 v[32:33], v[22:23], off
	s_cmp_eq_u32 s6, 1
	s_cselect_b32 vcc_lo, -1, 0
	s_cmp_eq_u32 s6, 2
	v_dual_cndmask_b32 v19, v2, v4 :: v_dual_cndmask_b32 v34, v1, v3
	s_cselect_b32 vcc_lo, -1, 0
	s_cmp_eq_u32 s6, 3
	s_delay_alu instid0(VALU_DEP_1) | instskip(SKIP_3) | instid1(VALU_DEP_1)
	v_dual_cndmask_b32 v19, v19, v6 :: v_dual_cndmask_b32 v34, v34, v5
	s_cselect_b32 vcc_lo, -1, 0
	s_add_u32 s6, s6, 1
	s_addc_u32 s7, s7, 0
	v_dual_cndmask_b32 v38, v19, v8 :: v_dual_cndmask_b32 v37, v34, v7
	v_add_co_u32 v22, vcc_lo, v22, 8
	v_add_co_ci_u32_e32 v23, vcc_lo, 0, v23, vcc_lo
	s_cmp_lg_u32 s40, s6
	s_waitcnt vmcnt(0)
	v_fma_f64 v[20:21], v[37:38], v[32:33], v[20:21]
	s_cbranch_scc1 .LBB73_52
.LBB73_53:                              ;   in Loop: Header=BB73_36 Depth=1
	s_or_b32 exec_lo, exec_lo, s23
	s_delay_alu instid0(SALU_CYCLE_1)
	s_or_b32 exec_lo, exec_lo, s22
	s_and_saveexec_b32 s6, s2
	s_cbranch_execnz .LBB73_39
	s_branch .LBB73_40
.LBB73_54:                              ;   in Loop: Header=BB73_36 Depth=1
	ds_load_b64 v[19:20], v24
	s_or_b32 exec_lo, exec_lo, s6
	s_and_saveexec_b32 s6, s2
	s_cbranch_execz .LBB73_44
.LBB73_55:                              ;   in Loop: Header=BB73_36 Depth=1
	s_waitcnt lgkmcnt(0)
	ds_bpermute_b32 v21, v27, v19
	ds_bpermute_b32 v22, v27, v20
	s_waitcnt lgkmcnt(0)
	v_add_f64 v[19:20], v[19:20], v[21:22]
	ds_bpermute_b32 v21, v28, v19
	ds_bpermute_b32 v22, v28, v20
	s_waitcnt lgkmcnt(0)
	v_add_f64 v[19:20], v[19:20], v[21:22]
	;; [unrolled: 4-line block ×3, first 2 shown]
	s_or_b32 exec_lo, exec_lo, s6
	s_and_saveexec_b32 s6, s5
	s_cbranch_execz .LBB73_35
.LBB73_56:                              ;   in Loop: Header=BB73_36 Depth=1
	s_waitcnt lgkmcnt(0)
	s_delay_alu instid0(VALU_DEP_1) | instskip(SKIP_2) | instid1(SALU_CYCLE_1)
	v_mul_f64 v[19:20], v[19:20], s[26:27]
	s_mul_hi_u32 s19, s13, s10
	s_mul_i32 s18, s13, s10
	s_lshl_b64 s[18:19], s[18:19], 3
	s_delay_alu instid0(SALU_CYCLE_1)
	s_add_u32 s18, s14, s18
	s_addc_u32 s19, s21, s19
	global_store_b64 v18, v[19:20], s[18:19]
	s_branch .LBB73_35
.LBB73_57:
	s_nop 0
	s_sendmsg sendmsg(MSG_DEALLOC_VGPRS)
	s_endpgm
	.section	.rodata,"a",@progbits
	.p2align	6, 0x0
	.amdhsa_kernel _ZL23rocblas_gemvt_sn_kernelILb0ELi256ELi4EidddEviiT4_lPKT3_lilS3_lilPT5_i
		.amdhsa_group_segment_fixed_size 256
		.amdhsa_private_segment_fixed_size 0
		.amdhsa_kernarg_size 360
		.amdhsa_user_sgpr_count 14
		.amdhsa_user_sgpr_dispatch_ptr 0
		.amdhsa_user_sgpr_queue_ptr 0
		.amdhsa_user_sgpr_kernarg_segment_ptr 1
		.amdhsa_user_sgpr_dispatch_id 0
		.amdhsa_user_sgpr_private_segment_size 0
		.amdhsa_wavefront_size32 1
		.amdhsa_uses_dynamic_stack 0
		.amdhsa_enable_private_segment 0
		.amdhsa_system_sgpr_workgroup_id_x 1
		.amdhsa_system_sgpr_workgroup_id_y 0
		.amdhsa_system_sgpr_workgroup_id_z 1
		.amdhsa_system_sgpr_workgroup_info 0
		.amdhsa_system_vgpr_workitem_id 0
		.amdhsa_next_free_vgpr 70
		.amdhsa_next_free_sgpr 54
		.amdhsa_reserve_vcc 1
		.amdhsa_float_round_mode_32 0
		.amdhsa_float_round_mode_16_64 0
		.amdhsa_float_denorm_mode_32 3
		.amdhsa_float_denorm_mode_16_64 3
		.amdhsa_dx10_clamp 1
		.amdhsa_ieee_mode 1
		.amdhsa_fp16_overflow 0
		.amdhsa_workgroup_processor_mode 1
		.amdhsa_memory_ordered 1
		.amdhsa_forward_progress 0
		.amdhsa_shared_vgpr_count 0
		.amdhsa_exception_fp_ieee_invalid_op 0
		.amdhsa_exception_fp_denorm_src 0
		.amdhsa_exception_fp_ieee_div_zero 0
		.amdhsa_exception_fp_ieee_overflow 0
		.amdhsa_exception_fp_ieee_underflow 0
		.amdhsa_exception_fp_ieee_inexact 0
		.amdhsa_exception_int_div_zero 0
	.end_amdhsa_kernel
	.section	.text._ZL23rocblas_gemvt_sn_kernelILb0ELi256ELi4EidddEviiT4_lPKT3_lilS3_lilPT5_i,"axG",@progbits,_ZL23rocblas_gemvt_sn_kernelILb0ELi256ELi4EidddEviiT4_lPKT3_lilS3_lilPT5_i,comdat
.Lfunc_end73:
	.size	_ZL23rocblas_gemvt_sn_kernelILb0ELi256ELi4EidddEviiT4_lPKT3_lilS3_lilPT5_i, .Lfunc_end73-_ZL23rocblas_gemvt_sn_kernelILb0ELi256ELi4EidddEviiT4_lPKT3_lilS3_lilPT5_i
                                        ; -- End function
	.section	.AMDGPU.csdata,"",@progbits
; Kernel info:
; codeLenInByte = 4012
; NumSgprs: 56
; NumVgprs: 70
; ScratchSize: 0
; MemoryBound: 1
; FloatMode: 240
; IeeeMode: 1
; LDSByteSize: 256 bytes/workgroup (compile time only)
; SGPRBlocks: 6
; VGPRBlocks: 8
; NumSGPRsForWavesPerEU: 56
; NumVGPRsForWavesPerEU: 70
; Occupancy: 16
; WaveLimiterHint : 1
; COMPUTE_PGM_RSRC2:SCRATCH_EN: 0
; COMPUTE_PGM_RSRC2:USER_SGPR: 14
; COMPUTE_PGM_RSRC2:TRAP_HANDLER: 0
; COMPUTE_PGM_RSRC2:TGID_X_EN: 1
; COMPUTE_PGM_RSRC2:TGID_Y_EN: 0
; COMPUTE_PGM_RSRC2:TGID_Z_EN: 1
; COMPUTE_PGM_RSRC2:TIDIG_COMP_CNT: 0
	.section	.text._ZL23rocblas_gemvt_sn_kernelILb0ELi256ELi4EldddEviiT4_lPKT3_lilS3_lilPT5_i,"axG",@progbits,_ZL23rocblas_gemvt_sn_kernelILb0ELi256ELi4EldddEviiT4_lPKT3_lilS3_lilPT5_i,comdat
	.globl	_ZL23rocblas_gemvt_sn_kernelILb0ELi256ELi4EldddEviiT4_lPKT3_lilS3_lilPT5_i ; -- Begin function _ZL23rocblas_gemvt_sn_kernelILb0ELi256ELi4EldddEviiT4_lPKT3_lilS3_lilPT5_i
	.p2align	8
	.type	_ZL23rocblas_gemvt_sn_kernelILb0ELi256ELi4EldddEviiT4_lPKT3_lilS3_lilPT5_i,@function
_ZL23rocblas_gemvt_sn_kernelILb0ELi256ELi4EldddEviiT4_lPKT3_lilS3_lilPT5_i: ; @_ZL23rocblas_gemvt_sn_kernelILb0ELi256ELi4EldddEviiT4_lPKT3_lilS3_lilPT5_i
; %bb.0:
	s_clause 0x2
	s_load_b128 s[24:27], s[0:1], 0x0
	s_load_b128 s[4:7], s[0:1], 0x50
	s_load_b32 s12, s[0:1], 0x68
	s_mov_b32 s13, 0
	s_waitcnt lgkmcnt(0)
	v_cmp_neq_f64_e64 s8, s[26:27], 0
	s_ashr_i32 s16, s25, 31
	s_mul_hi_u32 s2, s25, s15
	s_mul_i32 s3, s16, s15
	s_mul_i32 s9, s25, s15
	s_add_i32 s2, s2, s3
	s_mul_hi_u32 s3, s9, s12
	s_mul_i32 s10, s2, s12
	s_mul_i32 s2, s9, s12
	s_add_i32 s3, s3, s10
	s_delay_alu instid0(SALU_CYCLE_1) | instskip(NEXT) | instid1(SALU_CYCLE_1)
	s_lshl_b64 s[2:3], s[2:3], 3
	s_add_u32 s52, s6, s2
	v_cmp_eq_u32_e64 s2, 0, v0
	s_addc_u32 s53, s7, s3
	s_delay_alu instid0(VALU_DEP_2)
	s_and_b32 vcc_lo, exec_lo, s8
	s_cbranch_vccnz .LBB74_5
; %bb.1:
	s_cmp_gt_i32 s25, 0
	s_cselect_b32 s3, -1, 0
	s_delay_alu instid0(SALU_CYCLE_1) | instskip(NEXT) | instid1(SALU_CYCLE_1)
	s_and_b32 s2, s2, s3
	s_and_saveexec_b32 s8, s2
	s_cbranch_execz .LBB74_4
; %bb.2:
	v_mov_b32_e32 v1, 0
	s_mov_b32 s2, s15
	s_mov_b32 s15, 0
	s_mov_b32 s9, s25
	s_lshl_b64 s[6:7], s[14:15], 3
	v_mov_b32_e32 v2, v1
	s_mov_b32 s15, s2
	s_add_u32 s2, s52, s6
	s_addc_u32 s3, s53, s7
	s_lshl_b64 s[6:7], s[12:13], 3
.LBB74_3:                               ; =>This Inner Loop Header: Depth=1
	s_add_i32 s9, s9, -1
	global_store_b64 v1, v[1:2], s[2:3]
	s_add_u32 s2, s2, s6
	s_addc_u32 s3, s3, s7
	s_cmp_eq_u32 s9, 0
	s_cbranch_scc0 .LBB74_3
.LBB74_4:
	s_or_b32 exec_lo, exec_lo, s8
	s_cbranch_execz .LBB74_6
	s_branch .LBB74_57
.LBB74_5:
.LBB74_6:
	s_clause 0x4
	s_load_b32 s34, s[0:1], 0x28
	s_load_b32 s36, s[0:1], 0x48
	s_load_b128 s[8:11], s[0:1], 0x30
	s_load_b64 s[2:3], s[0:1], 0x40
	s_load_b128 s[28:31], s[0:1], 0x18
	s_mul_i32 s1, s15, s5
	s_mul_hi_u32 s5, s15, s4
	s_mul_i32 s0, s15, s4
	s_add_i32 s1, s5, s1
	v_and_b32_e32 v40, 31, v0
	s_lshl_b64 s[38:39], s[0:1], 3
	v_mbcnt_lo_u32_b32 v43, -1, 0
	v_lshrrev_b32_e32 v45, 2, v0
	s_waitcnt lgkmcnt(0)
	s_ashr_i32 s35, s34, 31
	s_ashr_i32 s37, s36, 31
	s_add_u32 s4, s10, s38
	s_addc_u32 s5, s11, s39
	s_lshl_b64 s[42:43], s[2:3], 3
	s_mul_i32 s0, s15, s9
	s_mul_hi_u32 s1, s15, s8
	s_add_u32 s54, s4, s42
	s_mul_i32 s2, s15, s8
	s_addc_u32 s55, s5, s43
	s_add_i32 s3, s1, s0
	v_cmp_gt_u32_e64 s0, 32, v0
	s_lshl_b64 s[40:41], s[2:3], 3
	v_cmp_gt_u32_e64 s1, 8, v0
	s_add_u32 s2, s28, s40
	s_addc_u32 s3, s29, s41
	s_lshl_b64 s[30:31], s[30:31], 3
	s_delay_alu instid0(SALU_CYCLE_1)
	s_add_u32 s2, s2, s30
	s_addc_u32 s3, s3, s31
	s_lshl_b32 s4, s14, 10
	s_ashr_i32 s5, s24, 31
	v_lshl_or_b32 v21, v0, 2, s4
	s_lshr_b32 s4, s16, 30
	s_lshr_b32 s5, s5, 30
	s_add_i32 s4, s25, s4
	s_add_i32 s5, s24, s5
	v_ashrrev_i32_e32 v22, 31, v21
	s_and_b32 s56, s4, -4
	s_and_b32 s4, s5, -4
	v_add_nc_u32_e32 v46, 4, v21
	s_sub_i32 s13, s24, s4
	v_lshlrev_b64 v[19:20], 3, v[21:22]
	v_or_b32_e32 v44, 1, v21
	v_or_b32_e32 v42, 2, v21
	v_add_nc_u32_e32 v47, s13, v21
	v_or_b32_e32 v41, 3, v21
	s_cmp_lt_i32 s56, 1
	v_add_co_u32 v17, vcc_lo, s2, v19
	v_add_co_ci_u32_e32 v18, vcc_lo, s3, v20, vcc_lo
	s_cbranch_scc1 .LBB74_32
; %bb.7:
	v_cmp_gt_u32_e32 vcc_lo, 16, v43
	v_mad_i64_i32 v[7:8], null, s36, v41, 0
	s_mov_b32 s16, 0
	s_cmp_gt_i32 s13, 0
	v_cndmask_b32_e64 v1, 0, 1, vcc_lo
	v_cmp_gt_u32_e32 vcc_lo, 24, v43
	s_mov_b32 s15, s16
	s_cselect_b32 s57, -1, 0
	s_lshl_b64 s[6:7], s[14:15], 3
	v_dual_mov_b32 v32, 0 :: v_dual_lshlrev_b32 v1, 4, v1
	v_cndmask_b32_e64 v2, 0, 1, vcc_lo
	v_cmp_gt_u32_e32 vcc_lo, 28, v43
	s_add_u32 s15, s52, s6
	s_delay_alu instid0(VALU_DEP_3) | instskip(NEXT) | instid1(VALU_DEP_3)
	v_add_lshl_u32 v48, v1, v43, 2
	v_dual_mov_b32 v35, v18 :: v_dual_lshlrev_b32 v2, 3, v2
	v_cndmask_b32_e64 v3, 0, 1, vcc_lo
	v_cmp_gt_u32_e32 vcc_lo, 30, v43
	v_mov_b32_e32 v34, v17
	s_addc_u32 s58, s53, s7
	v_add_lshl_u32 v49, v2, v43, 2
	v_lshlrev_b32_e32 v3, 2, v3
	v_cndmask_b32_e64 v4, 0, 1, vcc_lo
	v_cmp_ne_u32_e32 vcc_lo, 31, v43
	v_mad_i64_i32 v[1:2], null, s36, v21, 0
	s_delay_alu instid0(VALU_DEP_4) | instskip(NEXT) | instid1(VALU_DEP_4)
	v_add_lshl_u32 v50, v3, v43, 2
	v_lshlrev_b32_e32 v4, 1, v4
	v_add_co_ci_u32_e32 v5, vcc_lo, 0, v43, vcc_lo
	s_add_u32 s6, s10, s42
	s_addc_u32 s7, s11, s43
	s_delay_alu instid0(VALU_DEP_2)
	v_add_lshl_u32 v51, v4, v43, 2
	v_mad_i64_i32 v[3:4], null, s36, v44, 0
	v_lshlrev_b32_e32 v52, 2, v5
	v_lshlrev_b64 v[1:2], 3, v[1:2]
	v_mad_i64_i32 v[5:6], null, s36, v42, 0
	s_add_u32 s6, s6, s38
	s_addc_u32 s7, s7, s39
	s_delay_alu instid0(VALU_DEP_4) | instskip(NEXT) | instid1(VALU_DEP_3)
	v_lshlrev_b64 v[3:4], 3, v[3:4]
	v_add_co_u32 v22, vcc_lo, s54, v1
	v_add_co_ci_u32_e32 v23, vcc_lo, s55, v2, vcc_lo
	s_delay_alu instid0(VALU_DEP_4) | instskip(NEXT) | instid1(VALU_DEP_4)
	v_lshlrev_b64 v[5:6], 3, v[5:6]
	v_add_co_u32 v24, vcc_lo, s54, v3
	v_add_co_ci_u32_e32 v25, vcc_lo, s55, v4, vcc_lo
	v_lshlrev_b64 v[3:4], 3, v[7:8]
	s_delay_alu instid0(VALU_DEP_4) | instskip(SKIP_2) | instid1(VALU_DEP_4)
	v_add_co_u32 v26, vcc_lo, s54, v5
	v_add_co_ci_u32_e32 v27, vcc_lo, s55, v6, vcc_lo
	v_cmp_ge_i32_e64 s2, s24, v46
	v_add_co_u32 v28, vcc_lo, s54, v3
	v_add_co_ci_u32_e32 v29, vcc_lo, s55, v4, vcc_lo
	v_add_co_u32 v30, vcc_lo, s6, v1
	v_cmp_ge_i32_e64 s3, s24, v47
	v_cmp_eq_u32_e64 s4, 0, v40
	v_lshlrev_b32_e32 v53, 3, v40
	v_and_b32_e32 v54, 56, v45
	v_cmp_eq_u32_e64 s5, 0, v0
	v_add_co_ci_u32_e32 v31, vcc_lo, s7, v2, vcc_lo
	s_lshl_b64 s[44:45], s[36:37], 3
	s_lshl_b64 s[46:47], s[34:35], 5
	;; [unrolled: 1-line block ×4, first 2 shown]
	s_mul_hi_i32 s59, s34, 24
	s_mul_i32 s60, s34, 24
	s_mov_b32 s33, 0
                                        ; implicit-def: $vgpr1_vgpr2_vgpr3_vgpr4_vgpr5_vgpr6_vgpr7_vgpr8
	s_branch .LBB74_9
.LBB74_8:                               ;   in Loop: Header=BB74_9 Depth=1
	s_or_b32 exec_lo, exec_lo, s6
	v_add_co_u32 v34, vcc_lo, v34, s46
	v_add_co_ci_u32_e32 v35, vcc_lo, s47, v35, vcc_lo
	s_add_i32 s33, s33, 4
	s_delay_alu instid0(SALU_CYCLE_1)
	s_cmp_ge_i32 s33, s56
	s_cbranch_scc1 .LBB74_33
.LBB74_9:                               ; =>This Loop Header: Depth=1
                                        ;     Child Loop BB74_15 Depth 2
                                        ;     Child Loop BB74_18 Depth 2
	;; [unrolled: 1-line block ×3, first 2 shown]
                                        ; implicit-def: $vgpr9_vgpr10_vgpr11_vgpr12_vgpr13_vgpr14_vgpr15_vgpr16
	s_and_saveexec_b32 s6, s2
	s_delay_alu instid0(SALU_CYCLE_1)
	s_xor_b32 s6, exec_lo, s6
	s_cbranch_execz .LBB74_11
; %bb.10:                               ;   in Loop: Header=BB74_9 Depth=1
	s_mul_i32 s7, s33, s35
	s_mul_hi_u32 s8, s33, s34
	s_delay_alu instid0(SALU_CYCLE_1)
	s_add_i32 s9, s8, s7
	s_mul_i32 s8, s33, s34
	s_or_b32 s7, s33, 1
	s_lshl_b64 s[8:9], s[8:9], 3
	s_mul_i32 s17, s7, s35
	s_mul_hi_u32 s18, s7, s34
	v_add_co_u32 v5, vcc_lo, v17, s8
	v_add_co_ci_u32_e32 v6, vcc_lo, s9, v18, vcc_lo
	s_add_i32 s9, s18, s17
	s_mul_i32 s8, s7, s34
	s_or_b32 s7, s33, 2
	s_lshl_b64 s[8:9], s[8:9], 3
	s_mul_i32 s17, s7, s35
	s_mul_hi_u32 s18, s7, s34
	v_add_co_u32 v7, vcc_lo, v17, s8
	v_add_co_ci_u32_e32 v8, vcc_lo, s9, v18, vcc_lo
	s_add_i32 s9, s18, s17
	s_or_b32 s17, s33, 3
	s_mul_i32 s8, s7, s34
	s_mul_i32 s7, s17, s35
	s_mul_hi_u32 s18, s17, s34
	s_lshl_b64 s[8:9], s[8:9], 3
	s_add_i32 s19, s18, s7
	s_mul_i32 s18, s17, s34
	v_add_co_u32 v67, vcc_lo, v17, s8
	v_add_co_ci_u32_e32 v68, vcc_lo, s9, v18, vcc_lo
	s_lshl_b64 s[8:9], s[18:19], 3
	s_delay_alu instid0(SALU_CYCLE_1)
	v_add_co_u32 v71, vcc_lo, v17, s8
	v_add_co_ci_u32_e32 v72, vcc_lo, s9, v18, vcc_lo
	global_load_b64 v[1:2], v[22:23], off
	s_clause 0x3
	global_load_b128 v[9:12], v[5:6], off
	global_load_b128 v[13:16], v[7:8], off
	;; [unrolled: 1-line block ×4, first 2 shown]
	global_load_b64 v[3:4], v[24:25], off
	global_load_b128 v[59:62], v[5:6], off offset:16
	global_load_b64 v[5:6], v[26:27], off
	s_clause 0x2
	global_load_b128 v[63:66], v[7:8], off offset:16
	global_load_b128 v[67:70], v[67:68], off offset:16
	;; [unrolled: 1-line block ×3, first 2 shown]
	global_load_b64 v[7:8], v[28:29], off
	s_waitcnt vmcnt(10)
	v_fma_f64 v[9:10], v[1:2], v[9:10], 0
	s_waitcnt vmcnt(9)
	v_fma_f64 v[13:14], v[1:2], v[13:14], 0
	;; [unrolled: 2-line block ×4, first 2 shown]
	s_waitcnt vmcnt(6)
	s_delay_alu instid0(VALU_DEP_4) | instskip(NEXT) | instid1(VALU_DEP_4)
	v_fma_f64 v[9:10], v[3:4], v[11:12], v[9:10]
	v_fma_f64 v[11:12], v[3:4], v[15:16], v[13:14]
	s_delay_alu instid0(VALU_DEP_4) | instskip(NEXT) | instid1(VALU_DEP_4)
	v_fma_f64 v[13:14], v[3:4], v[38:39], v[36:37]
	v_fma_f64 v[15:16], v[3:4], v[57:58], v[55:56]
	s_waitcnt vmcnt(4)
	s_delay_alu instid0(VALU_DEP_4) | instskip(SKIP_1) | instid1(VALU_DEP_4)
	v_fma_f64 v[9:10], v[5:6], v[59:60], v[9:10]
	s_waitcnt vmcnt(3)
	v_fma_f64 v[11:12], v[5:6], v[63:64], v[11:12]
	s_waitcnt vmcnt(2)
	s_delay_alu instid0(VALU_DEP_4) | instskip(SKIP_1) | instid1(VALU_DEP_4)
	v_fma_f64 v[13:14], v[5:6], v[67:68], v[13:14]
	s_waitcnt vmcnt(1)
	v_fma_f64 v[15:16], v[5:6], v[71:72], v[15:16]
	s_waitcnt vmcnt(0)
	s_delay_alu instid0(VALU_DEP_4) | instskip(NEXT) | instid1(VALU_DEP_4)
	v_fma_f64 v[9:10], v[7:8], v[61:62], v[9:10]
	v_fma_f64 v[11:12], v[7:8], v[65:66], v[11:12]
	s_delay_alu instid0(VALU_DEP_4) | instskip(NEXT) | instid1(VALU_DEP_4)
	v_fma_f64 v[13:14], v[7:8], v[69:70], v[13:14]
	v_fma_f64 v[15:16], v[7:8], v[73:74], v[15:16]
.LBB74_11:                              ;   in Loop: Header=BB74_9 Depth=1
	s_and_not1_saveexec_b32 s61, s6
	s_cbranch_execz .LBB74_20
; %bb.12:                               ;   in Loop: Header=BB74_9 Depth=1
	s_mov_b32 s17, s16
	s_mov_b32 s18, s16
	s_mov_b32 s19, s16
	s_mov_b32 s20, s16
	s_mov_b32 s21, s16
	s_mov_b32 s22, s16
	s_mov_b32 s23, s16
	v_dual_mov_b32 v9, s16 :: v_dual_mov_b32 v10, s17
	v_dual_mov_b32 v11, s18 :: v_dual_mov_b32 v12, s19
	;; [unrolled: 1-line block ×4, first 2 shown]
	s_and_saveexec_b32 s62, s3
	s_cbranch_execz .LBB74_19
; %bb.13:                               ;   in Loop: Header=BB74_9 Depth=1
	s_and_not1_b32 vcc_lo, exec_lo, s57
	s_cbranch_vccnz .LBB74_16
; %bb.14:                               ;   in Loop: Header=BB74_9 Depth=1
	v_dual_mov_b32 v9, v30 :: v_dual_mov_b32 v10, v31
	s_mov_b64 s[18:19], 0
	.p2align	6
.LBB74_15:                              ;   Parent Loop BB74_9 Depth=1
                                        ; =>  This Inner Loop Header: Depth=2
	global_load_b64 v[11:12], v[9:10], off
	v_add_co_u32 v9, vcc_lo, v9, s44
	s_cmp_eq_u32 s18, 3
	v_add_co_ci_u32_e32 v10, vcc_lo, s45, v10, vcc_lo
	s_cselect_b32 vcc_lo, -1, 0
	s_cmp_eq_u32 s18, 2
	s_cselect_b32 s6, -1, 0
	s_cmp_eq_u32 s18, 1
	s_cselect_b32 s7, -1, 0
	;; [unrolled: 2-line block ×3, first 2 shown]
	s_add_u32 s18, s18, 1
	s_addc_u32 s19, s19, 0
	s_cmp_eq_u32 s13, s18
	s_waitcnt vmcnt(0)
	v_dual_cndmask_b32 v8, v8, v12 :: v_dual_cndmask_b32 v7, v7, v11
	v_cndmask_b32_e64 v6, v6, v12, s6
	v_cndmask_b32_e64 v5, v5, v11, s6
	;; [unrolled: 1-line block ×6, first 2 shown]
	s_cbranch_scc0 .LBB74_15
.LBB74_16:                              ;   in Loop: Header=BB74_9 Depth=1
	s_mov_b32 s17, s16
	s_mov_b32 s18, s16
	s_mov_b32 s19, s16
	s_mov_b32 s20, s16
	s_mov_b32 s21, s16
	s_mov_b32 s22, s16
	s_mov_b32 s23, s16
	v_dual_mov_b32 v9, s16 :: v_dual_mov_b32 v10, s17
	v_dual_mov_b32 v11, s18 :: v_dual_mov_b32 v12, s19
	;; [unrolled: 1-line block ×4, first 2 shown]
	s_and_not1_b32 vcc_lo, exec_lo, s57
	s_cbranch_vccnz .LBB74_19
; %bb.17:                               ;   in Loop: Header=BB74_9 Depth=1
	v_mov_b32_e32 v9, 0
	v_dual_mov_b32 v10, 0 :: v_dual_mov_b32 v37, v35
	v_mov_b32_e32 v36, v34
	s_mov_b64 s[8:9], 0
	s_delay_alu instid0(VALU_DEP_2)
	v_dual_mov_b32 v12, v10 :: v_dual_mov_b32 v11, v9
	v_dual_mov_b32 v14, v10 :: v_dual_mov_b32 v13, v9
	;; [unrolled: 1-line block ×3, first 2 shown]
	s_set_inst_prefetch_distance 0x1
	.p2align	6
.LBB74_18:                              ;   Parent Loop BB74_9 Depth=1
                                        ; =>  This Inner Loop Header: Depth=2
	v_add_co_u32 v38, vcc_lo, v36, s48
	v_add_co_ci_u32_e32 v39, vcc_lo, s49, v37, vcc_lo
	v_add_co_u32 v55, vcc_lo, v36, s50
	v_add_co_ci_u32_e32 v56, vcc_lo, s51, v37, vcc_lo
	;; [unrolled: 2-line block ×3, first 2 shown]
	s_clause 0x3
	global_load_b64 v[59:60], v[36:37], off
	global_load_b64 v[38:39], v[38:39], off
	;; [unrolled: 1-line block ×4, first 2 shown]
	s_cmp_eq_u32 s8, 1
	s_cselect_b32 vcc_lo, -1, 0
	s_cmp_eq_u32 s8, 2
	v_cndmask_b32_e32 v33, v2, v4, vcc_lo
	v_cndmask_b32_e32 v61, v1, v3, vcc_lo
	s_cselect_b32 vcc_lo, -1, 0
	s_cmp_eq_u32 s8, 3
	s_delay_alu instid0(VALU_DEP_2) | instskip(NEXT) | instid1(VALU_DEP_2)
	v_cndmask_b32_e32 v33, v33, v6, vcc_lo
	v_cndmask_b32_e32 v61, v61, v5, vcc_lo
	s_cselect_b32 s6, -1, 0
	v_add_co_u32 v36, vcc_lo, v36, 8
	s_delay_alu instid0(VALU_DEP_3) | instskip(NEXT) | instid1(VALU_DEP_3)
	v_cndmask_b32_e64 v62, v33, v8, s6
	v_cndmask_b32_e64 v61, v61, v7, s6
	v_add_co_ci_u32_e32 v37, vcc_lo, 0, v37, vcc_lo
	s_add_u32 s8, s8, 1
	s_addc_u32 s9, s9, 0
	s_cmp_lg_u32 s13, s8
	s_waitcnt vmcnt(3)
	v_fma_f64 v[9:10], v[61:62], v[59:60], v[9:10]
	s_waitcnt vmcnt(2)
	v_fma_f64 v[11:12], v[61:62], v[38:39], v[11:12]
	;; [unrolled: 2-line block ×4, first 2 shown]
	s_cbranch_scc1 .LBB74_18
.LBB74_19:                              ;   in Loop: Header=BB74_9 Depth=1
	s_set_inst_prefetch_distance 0x2
	s_or_b32 exec_lo, exec_lo, s62
.LBB74_20:                              ;   in Loop: Header=BB74_9 Depth=1
	s_delay_alu instid0(SALU_CYCLE_1)
	s_or_b32 exec_lo, exec_lo, s61
	s_mov_b64 s[6:7], 0
	s_branch .LBB74_22
.LBB74_21:                              ;   in Loop: Header=BB74_22 Depth=2
	s_or_b32 exec_lo, exec_lo, s8
	s_cmp_eq_u32 s6, 3
	s_cselect_b32 vcc_lo, -1, 0
	s_cmp_eq_u32 s6, 2
	s_waitcnt lgkmcnt(0)
	s_delay_alu instid0(VALU_DEP_1)
	v_dual_cndmask_b32 v16, v16, v37 :: v_dual_cndmask_b32 v15, v15, v36
	s_cselect_b32 vcc_lo, -1, 0
	s_cmp_eq_u32 s6, 1
	v_dual_cndmask_b32 v14, v14, v37 :: v_dual_cndmask_b32 v13, v13, v36
	s_cselect_b32 vcc_lo, -1, 0
	s_cmp_eq_u32 s6, 0
	v_dual_cndmask_b32 v12, v12, v37 :: v_dual_cndmask_b32 v11, v11, v36
	s_cselect_b32 vcc_lo, -1, 0
	s_add_u32 s6, s6, 1
	v_dual_cndmask_b32 v10, v10, v37 :: v_dual_cndmask_b32 v9, v9, v36
	s_addc_u32 s7, s7, 0
	s_cmp_eq_u32 s6, 4
	s_cbranch_scc1 .LBB74_30
.LBB74_22:                              ;   Parent Loop BB74_9 Depth=1
                                        ; =>  This Inner Loop Header: Depth=2
	s_and_saveexec_b32 s8, s0
	s_cbranch_execz .LBB74_24
; %bb.23:                               ;   in Loop: Header=BB74_22 Depth=2
	v_mov_b32_e32 v33, v32
	ds_store_b64 v53, v[32:33]
.LBB74_24:                              ;   in Loop: Header=BB74_22 Depth=2
	s_or_b32 exec_lo, exec_lo, s8
	s_cmp_eq_u32 s6, 1
	s_waitcnt lgkmcnt(0)
	s_waitcnt_vscnt null, 0x0
	s_cselect_b32 vcc_lo, -1, 0
	s_cmp_eq_u32 s6, 2
	s_delay_alu instid0(VALU_DEP_1) | instskip(SKIP_3) | instid1(VALU_DEP_1)
	v_dual_cndmask_b32 v33, v10, v12 :: v_dual_cndmask_b32 v36, v9, v11
	s_cselect_b32 vcc_lo, -1, 0
	s_cmp_eq_u32 s6, 3
	s_barrier
	v_dual_cndmask_b32 v33, v33, v14 :: v_dual_cndmask_b32 v36, v36, v13
	s_cselect_b32 vcc_lo, -1, 0
	buffer_gl0_inv
	v_dual_cndmask_b32 v37, v33, v16 :: v_dual_cndmask_b32 v36, v36, v15
	ds_bpermute_b32 v39, v48, v37
	ds_bpermute_b32 v38, v48, v36
	s_waitcnt lgkmcnt(0)
	v_add_f64 v[36:37], v[36:37], v[38:39]
	ds_bpermute_b32 v38, v49, v36
	ds_bpermute_b32 v39, v49, v37
	s_waitcnt lgkmcnt(0)
	v_add_f64 v[36:37], v[36:37], v[38:39]
	;; [unrolled: 4-line block ×4, first 2 shown]
	ds_bpermute_b32 v38, v52, v36
	ds_bpermute_b32 v39, v52, v37
	s_and_saveexec_b32 s8, s4
	s_cbranch_execz .LBB74_26
; %bb.25:                               ;   in Loop: Header=BB74_22 Depth=2
	s_waitcnt lgkmcnt(0)
	v_add_f64 v[36:37], v[36:37], v[38:39]
	ds_store_b64 v54, v[36:37]
.LBB74_26:                              ;   in Loop: Header=BB74_22 Depth=2
	s_or_b32 exec_lo, exec_lo, s8
	v_mov_b32_e32 v36, 0
	v_mov_b32_e32 v37, 0
	s_waitcnt lgkmcnt(0)
	s_barrier
	buffer_gl0_inv
	s_and_saveexec_b32 s8, s1
	s_cbranch_execz .LBB74_28
; %bb.27:                               ;   in Loop: Header=BB74_22 Depth=2
	ds_load_b64 v[36:37], v53
.LBB74_28:                              ;   in Loop: Header=BB74_22 Depth=2
	s_or_b32 exec_lo, exec_lo, s8
	s_and_saveexec_b32 s8, s0
	s_cbranch_execz .LBB74_21
; %bb.29:                               ;   in Loop: Header=BB74_22 Depth=2
	s_waitcnt lgkmcnt(0)
	ds_bpermute_b32 v38, v50, v36
	ds_bpermute_b32 v39, v50, v37
	s_waitcnt lgkmcnt(0)
	v_add_f64 v[36:37], v[36:37], v[38:39]
	ds_bpermute_b32 v38, v51, v36
	ds_bpermute_b32 v39, v51, v37
	s_waitcnt lgkmcnt(0)
	v_add_f64 v[36:37], v[36:37], v[38:39]
	;; [unrolled: 4-line block ×3, first 2 shown]
	s_branch .LBB74_21
.LBB74_30:                              ;   in Loop: Header=BB74_9 Depth=1
	s_and_saveexec_b32 s6, s5
	s_cbranch_execz .LBB74_8
; %bb.31:                               ;   in Loop: Header=BB74_9 Depth=1
	v_mul_f64 v[9:10], v[9:10], s[26:27]
	v_mul_f64 v[11:12], v[11:12], s[26:27]
	;; [unrolled: 1-line block ×4, first 2 shown]
	s_mul_hi_u32 s9, s33, s12
	s_mul_i32 s8, s33, s12
	s_delay_alu instid0(SALU_CYCLE_1) | instskip(NEXT) | instid1(SALU_CYCLE_1)
	s_lshl_b64 s[8:9], s[8:9], 3
	s_add_u32 s8, s15, s8
	s_addc_u32 s9, s58, s9
	s_or_b32 s7, s33, 1
	s_delay_alu instid0(SALU_CYCLE_1) | instskip(SKIP_1) | instid1(SALU_CYCLE_1)
	s_mul_hi_u32 s19, s7, s12
	s_mul_i32 s18, s7, s12
	s_lshl_b64 s[18:19], s[18:19], 3
	s_delay_alu instid0(SALU_CYCLE_1) | instskip(SKIP_2) | instid1(SALU_CYCLE_1)
	s_add_u32 s18, s15, s18
	s_addc_u32 s19, s58, s19
	s_or_b32 s7, s33, 2
	s_mul_hi_u32 s21, s7, s12
	s_mul_i32 s20, s7, s12
	s_delay_alu instid0(SALU_CYCLE_1) | instskip(NEXT) | instid1(SALU_CYCLE_1)
	s_lshl_b64 s[20:21], s[20:21], 3
	s_add_u32 s20, s15, s20
	s_addc_u32 s21, s58, s21
	s_or_b32 s7, s33, 3
	s_delay_alu instid0(SALU_CYCLE_1) | instskip(SKIP_1) | instid1(SALU_CYCLE_1)
	s_mul_hi_u32 s23, s7, s12
	s_mul_i32 s22, s7, s12
	s_lshl_b64 s[22:23], s[22:23], 3
	s_delay_alu instid0(SALU_CYCLE_1)
	s_add_u32 s22, s15, s22
	s_addc_u32 s23, s58, s23
	s_clause 0x3
	global_store_b64 v32, v[9:10], s[8:9]
	global_store_b64 v32, v[11:12], s[18:19]
	;; [unrolled: 1-line block ×4, first 2 shown]
	s_branch .LBB74_8
.LBB74_32:
	s_mov_b32 s33, 0
                                        ; implicit-def: $vgpr1_vgpr2_vgpr3_vgpr4_vgpr5_vgpr6_vgpr7_vgpr8
.LBB74_33:
	s_delay_alu instid0(SALU_CYCLE_1)
	s_cmp_ge_i32 s33, s25
	s_cbranch_scc1 .LBB74_57
; %bb.34:
	v_cmp_gt_u32_e32 vcc_lo, 16, v43
	v_mad_i64_i32 v[15:16], null, s36, v41, 0
	s_cmp_gt_i32 s13, 0
	s_mov_b32 s15, 0
	v_cndmask_b32_e64 v9, 0, 1, vcc_lo
	v_cmp_gt_u32_e32 vcc_lo, 24, v43
	s_cselect_b32 s9, -1, 0
	s_lshl_b64 s[6:7], s[14:15], 3
	s_delay_alu instid0(VALU_DEP_3)
	v_lshlrev_b64 v[15:16], 3, v[15:16]
	v_lshlrev_b32_e32 v9, 4, v9
	v_cndmask_b32_e64 v10, 0, 1, vcc_lo
	v_cmp_gt_u32_e32 vcc_lo, 28, v43
	s_add_u32 s14, s52, s6
	s_addc_u32 s20, s53, s7
	v_add_lshl_u32 v30, v9, v43, 2
	v_dual_mov_b32 v23, 0 :: v_dual_lshlrev_b32 v10, 3, v10
	v_cndmask_b32_e64 v11, 0, 1, vcc_lo
	v_cmp_gt_u32_e32 vcc_lo, 30, v43
	s_add_u32 s6, s10, s42
	s_delay_alu instid0(VALU_DEP_3)
	v_add_lshl_u32 v31, v10, v43, 2
	v_mad_i64_i32 v[9:10], null, s36, v21, 0
	v_cndmask_b32_e64 v12, 0, 1, vcc_lo
	v_cmp_ne_u32_e32 vcc_lo, 31, v43
	v_lshlrev_b32_e32 v11, 2, v11
	s_addc_u32 s7, s11, s43
	s_add_u32 s8, s6, s38
	v_lshlrev_b32_e32 v12, 1, v12
	v_add_co_ci_u32_e32 v13, vcc_lo, 0, v43, vcc_lo
	v_add_lshl_u32 v32, v11, v43, 2
	v_lshlrev_b64 v[21:22], 3, v[9:10]
	s_delay_alu instid0(VALU_DEP_4)
	v_add_lshl_u32 v33, v12, v43, 2
	v_mad_i64_i32 v[11:12], null, s36, v44, 0
	v_lshlrev_b32_e32 v34, 2, v13
	v_mad_i64_i32 v[13:14], null, s36, v42, 0
	v_add_co_u32 v9, vcc_lo, s54, v21
	v_add_co_ci_u32_e32 v10, vcc_lo, s55, v22, vcc_lo
	v_lshlrev_b64 v[11:12], 3, v[11:12]
	s_mul_i32 s6, s35, s33
	s_delay_alu instid0(VALU_DEP_4)
	v_lshlrev_b64 v[13:14], 3, v[13:14]
	s_mul_hi_u32 s10, s34, s33
	s_addc_u32 s11, s7, s39
	s_add_i32 s7, s10, s6
	v_add_co_u32 v11, vcc_lo, s54, v11
	v_add_co_ci_u32_e32 v12, vcc_lo, s55, v12, vcc_lo
	v_add_co_u32 v13, vcc_lo, s54, v13
	v_add_co_ci_u32_e32 v14, vcc_lo, s55, v14, vcc_lo
	;; [unrolled: 2-line block ×3, first 2 shown]
	s_mul_i32 s6, s34, s33
	v_add_co_u32 v21, vcc_lo, s8, v21
	s_lshl_b64 s[6:7], s[6:7], 3
	v_add_co_ci_u32_e32 v22, vcc_lo, s11, v22, vcc_lo
	s_lshl_b64 s[10:11], s[36:37], 3
	s_add_u32 s6, s40, s6
	s_addc_u32 s7, s41, s7
	s_add_u32 s6, s6, s30
	s_addc_u32 s7, s7, s31
	;; [unrolled: 2-line block ×3, first 2 shown]
	v_add_co_u32 v19, vcc_lo, s6, v19
	v_cmp_ge_i32_e64 s0, s24, v46
	v_cmp_ge_i32_e64 s1, s24, v47
	v_cmp_gt_u32_e64 s2, 32, v0
	v_lshlrev_b32_e32 v29, 3, v40
	v_cmp_eq_u32_e64 s3, 0, v40
	v_and_b32_e32 v35, 56, v45
	v_cmp_gt_u32_e64 s4, 8, v0
	v_cmp_eq_u32_e64 s5, 0, v0
	v_add_co_ci_u32_e32 v20, vcc_lo, s7, v20, vcc_lo
	s_lshl_b64 s[16:17], s[34:35], 3
	s_branch .LBB74_36
.LBB74_35:                              ;   in Loop: Header=BB74_36 Depth=1
	s_or_b32 exec_lo, exec_lo, s6
	v_add_co_u32 v19, vcc_lo, v19, s16
	v_add_co_ci_u32_e32 v20, vcc_lo, s17, v20, vcc_lo
	s_add_i32 s33, s33, 1
	s_delay_alu instid0(SALU_CYCLE_1)
	s_cmp_ge_i32 s33, s25
	s_cbranch_scc1 .LBB74_57
.LBB74_36:                              ; =>This Loop Header: Depth=1
                                        ;     Child Loop BB74_49 Depth 2
                                        ;     Child Loop BB74_52 Depth 2
	s_waitcnt lgkmcnt(0)
	v_dual_mov_b32 v25, s15 :: v_dual_mov_b32 v26, s15
	s_and_saveexec_b32 s6, s0
	s_delay_alu instid0(SALU_CYCLE_1)
	s_xor_b32 s6, exec_lo, s6
	s_cbranch_execnz .LBB74_45
; %bb.37:                               ;   in Loop: Header=BB74_36 Depth=1
	s_and_not1_saveexec_b32 s21, s6
	s_cbranch_execnz .LBB74_46
.LBB74_38:                              ;   in Loop: Header=BB74_36 Depth=1
	s_or_b32 exec_lo, exec_lo, s21
	s_and_saveexec_b32 s6, s2
	s_cbranch_execz .LBB74_40
.LBB74_39:                              ;   in Loop: Header=BB74_36 Depth=1
	v_mov_b32_e32 v24, v23
	ds_store_b64 v29, v[23:24]
.LBB74_40:                              ;   in Loop: Header=BB74_36 Depth=1
	s_or_b32 exec_lo, exec_lo, s6
	ds_bpermute_b32 v27, v30, v25
	ds_bpermute_b32 v28, v30, v26
	s_waitcnt lgkmcnt(0)
	s_waitcnt_vscnt null, 0x0
	s_barrier
	buffer_gl0_inv
	v_add_f64 v[24:25], v[25:26], v[27:28]
	ds_bpermute_b32 v26, v31, v24
	ds_bpermute_b32 v27, v31, v25
	s_waitcnt lgkmcnt(0)
	v_add_f64 v[24:25], v[24:25], v[26:27]
	ds_bpermute_b32 v26, v32, v24
	ds_bpermute_b32 v27, v32, v25
	s_waitcnt lgkmcnt(0)
	;; [unrolled: 4-line block ×3, first 2 shown]
	v_add_f64 v[24:25], v[24:25], v[26:27]
	ds_bpermute_b32 v26, v34, v24
	ds_bpermute_b32 v27, v34, v25
	s_and_saveexec_b32 s6, s3
	s_cbranch_execz .LBB74_42
; %bb.41:                               ;   in Loop: Header=BB74_36 Depth=1
	s_waitcnt lgkmcnt(0)
	v_add_f64 v[24:25], v[24:25], v[26:27]
	ds_store_b64 v35, v[24:25]
.LBB74_42:                              ;   in Loop: Header=BB74_36 Depth=1
	s_or_b32 exec_lo, exec_lo, s6
	v_mov_b32_e32 v24, 0
	v_mov_b32_e32 v25, 0
	s_waitcnt lgkmcnt(0)
	s_barrier
	buffer_gl0_inv
	s_and_saveexec_b32 s6, s4
	s_cbranch_execnz .LBB74_54
; %bb.43:                               ;   in Loop: Header=BB74_36 Depth=1
	s_or_b32 exec_lo, exec_lo, s6
	s_and_saveexec_b32 s6, s2
	s_cbranch_execnz .LBB74_55
.LBB74_44:                              ;   in Loop: Header=BB74_36 Depth=1
	s_or_b32 exec_lo, exec_lo, s6
	s_and_saveexec_b32 s6, s5
	s_cbranch_execz .LBB74_35
	s_branch .LBB74_56
.LBB74_45:                              ;   in Loop: Header=BB74_36 Depth=1
	s_mul_i32 s7, s33, s35
	s_mul_hi_u32 s8, s33, s34
	s_mul_i32 s18, s33, s34
	s_add_i32 s19, s8, s7
	s_delay_alu instid0(SALU_CYCLE_1) | instskip(NEXT) | instid1(SALU_CYCLE_1)
	s_lshl_b64 s[18:19], s[18:19], 3
	v_add_co_u32 v5, vcc_lo, v17, s18
	v_add_co_ci_u32_e32 v6, vcc_lo, s19, v18, vcc_lo
	global_load_b128 v[24:27], v[5:6], off
	s_clause 0x1
	global_load_b64 v[1:2], v[9:10], off
	global_load_b64 v[3:4], v[11:12], off
	global_load_b128 v[36:39], v[5:6], off offset:16
	s_clause 0x1
	global_load_b64 v[5:6], v[13:14], off
	global_load_b64 v[7:8], v[15:16], off
	s_waitcnt vmcnt(4)
	v_fma_f64 v[24:25], v[1:2], v[24:25], 0
	s_waitcnt vmcnt(3)
	s_delay_alu instid0(VALU_DEP_1) | instskip(SKIP_1) | instid1(VALU_DEP_1)
	v_fma_f64 v[24:25], v[3:4], v[26:27], v[24:25]
	s_waitcnt vmcnt(1)
	v_fma_f64 v[24:25], v[5:6], v[36:37], v[24:25]
	s_waitcnt vmcnt(0)
	s_delay_alu instid0(VALU_DEP_1)
	v_fma_f64 v[25:26], v[7:8], v[38:39], v[24:25]
	s_and_not1_saveexec_b32 s21, s6
	s_cbranch_execz .LBB74_38
.LBB74_46:                              ;   in Loop: Header=BB74_36 Depth=1
	s_and_saveexec_b32 s22, s1
	s_cbranch_execz .LBB74_53
; %bb.47:                               ;   in Loop: Header=BB74_36 Depth=1
	s_and_not1_b32 vcc_lo, exec_lo, s9
	s_cbranch_vccnz .LBB74_50
; %bb.48:                               ;   in Loop: Header=BB74_36 Depth=1
	v_dual_mov_b32 v28, v22 :: v_dual_mov_b32 v27, v21
	s_mov_b64 s[18:19], 0
	.p2align	6
.LBB74_49:                              ;   Parent Loop BB74_36 Depth=1
                                        ; =>  This Inner Loop Header: Depth=2
	global_load_b64 v[36:37], v[27:28], off
	v_add_co_u32 v27, vcc_lo, v27, s10
	s_cmp_eq_u32 s18, 3
	v_add_co_ci_u32_e32 v28, vcc_lo, s11, v28, vcc_lo
	s_cselect_b32 vcc_lo, -1, 0
	s_cmp_eq_u32 s18, 2
	s_cselect_b32 s6, -1, 0
	s_cmp_eq_u32 s18, 1
	s_cselect_b32 s7, -1, 0
	;; [unrolled: 2-line block ×3, first 2 shown]
	s_add_u32 s18, s18, 1
	s_addc_u32 s19, s19, 0
	s_cmp_eq_u32 s13, s18
	s_waitcnt vmcnt(0)
	v_dual_cndmask_b32 v8, v8, v37 :: v_dual_cndmask_b32 v7, v7, v36
	v_cndmask_b32_e64 v6, v6, v37, s6
	v_cndmask_b32_e64 v5, v5, v36, s6
	;; [unrolled: 1-line block ×6, first 2 shown]
	s_cbranch_scc0 .LBB74_49
.LBB74_50:                              ;   in Loop: Header=BB74_36 Depth=1
	s_and_not1_b32 vcc_lo, exec_lo, s9
	s_cbranch_vccnz .LBB74_53
; %bb.51:                               ;   in Loop: Header=BB74_36 Depth=1
	v_dual_mov_b32 v28, v20 :: v_dual_mov_b32 v27, v19
	s_mov_b64 s[6:7], 0
	.p2align	6
.LBB74_52:                              ;   Parent Loop BB74_36 Depth=1
                                        ; =>  This Inner Loop Header: Depth=2
	global_load_b64 v[36:37], v[27:28], off
	s_cmp_eq_u32 s6, 1
	s_cselect_b32 vcc_lo, -1, 0
	s_cmp_eq_u32 s6, 2
	v_cndmask_b32_e32 v0, v2, v4, vcc_lo
	v_cndmask_b32_e32 v24, v1, v3, vcc_lo
	s_cselect_b32 vcc_lo, -1, 0
	s_cmp_eq_u32 s6, 3
	s_delay_alu instid0(VALU_DEP_2) | instskip(NEXT) | instid1(VALU_DEP_2)
	v_cndmask_b32_e32 v0, v0, v6, vcc_lo
	v_cndmask_b32_e32 v24, v24, v5, vcc_lo
	s_cselect_b32 vcc_lo, -1, 0
	s_add_u32 s6, s6, 1
	s_addc_u32 s7, s7, 0
	v_cndmask_b32_e32 v39, v0, v8, vcc_lo
	v_cndmask_b32_e32 v38, v24, v7, vcc_lo
	v_add_co_u32 v27, vcc_lo, v27, 8
	v_add_co_ci_u32_e32 v28, vcc_lo, 0, v28, vcc_lo
	s_cmp_lg_u32 s13, s6
	s_waitcnt vmcnt(0)
	v_fma_f64 v[25:26], v[38:39], v[36:37], v[25:26]
	s_cbranch_scc1 .LBB74_52
.LBB74_53:                              ;   in Loop: Header=BB74_36 Depth=1
	s_or_b32 exec_lo, exec_lo, s22
	s_delay_alu instid0(SALU_CYCLE_1)
	s_or_b32 exec_lo, exec_lo, s21
	s_and_saveexec_b32 s6, s2
	s_cbranch_execnz .LBB74_39
	s_branch .LBB74_40
.LBB74_54:                              ;   in Loop: Header=BB74_36 Depth=1
	ds_load_b64 v[24:25], v29
	s_or_b32 exec_lo, exec_lo, s6
	s_and_saveexec_b32 s6, s2
	s_cbranch_execz .LBB74_44
.LBB74_55:                              ;   in Loop: Header=BB74_36 Depth=1
	s_waitcnt lgkmcnt(0)
	ds_bpermute_b32 v26, v32, v24
	ds_bpermute_b32 v27, v32, v25
	s_waitcnt lgkmcnt(0)
	v_add_f64 v[24:25], v[24:25], v[26:27]
	ds_bpermute_b32 v26, v33, v24
	ds_bpermute_b32 v27, v33, v25
	s_waitcnt lgkmcnt(0)
	v_add_f64 v[24:25], v[24:25], v[26:27]
	;; [unrolled: 4-line block ×3, first 2 shown]
	s_or_b32 exec_lo, exec_lo, s6
	s_and_saveexec_b32 s6, s5
	s_cbranch_execz .LBB74_35
.LBB74_56:                              ;   in Loop: Header=BB74_36 Depth=1
	s_waitcnt lgkmcnt(0)
	s_delay_alu instid0(VALU_DEP_1) | instskip(SKIP_2) | instid1(SALU_CYCLE_1)
	v_mul_f64 v[24:25], v[24:25], s[26:27]
	s_mul_hi_u32 s19, s33, s12
	s_mul_i32 s18, s33, s12
	s_lshl_b64 s[18:19], s[18:19], 3
	s_delay_alu instid0(SALU_CYCLE_1)
	s_add_u32 s18, s14, s18
	s_addc_u32 s19, s20, s19
	global_store_b64 v23, v[24:25], s[18:19]
	s_branch .LBB74_35
.LBB74_57:
	s_nop 0
	s_sendmsg sendmsg(MSG_DEALLOC_VGPRS)
	s_endpgm
	.section	.rodata,"a",@progbits
	.p2align	6, 0x0
	.amdhsa_kernel _ZL23rocblas_gemvt_sn_kernelILb0ELi256ELi4EldddEviiT4_lPKT3_lilS3_lilPT5_i
		.amdhsa_group_segment_fixed_size 256
		.amdhsa_private_segment_fixed_size 0
		.amdhsa_kernarg_size 360
		.amdhsa_user_sgpr_count 14
		.amdhsa_user_sgpr_dispatch_ptr 0
		.amdhsa_user_sgpr_queue_ptr 0
		.amdhsa_user_sgpr_kernarg_segment_ptr 1
		.amdhsa_user_sgpr_dispatch_id 0
		.amdhsa_user_sgpr_private_segment_size 0
		.amdhsa_wavefront_size32 1
		.amdhsa_uses_dynamic_stack 0
		.amdhsa_enable_private_segment 0
		.amdhsa_system_sgpr_workgroup_id_x 1
		.amdhsa_system_sgpr_workgroup_id_y 0
		.amdhsa_system_sgpr_workgroup_id_z 1
		.amdhsa_system_sgpr_workgroup_info 0
		.amdhsa_system_vgpr_workitem_id 0
		.amdhsa_next_free_vgpr 75
		.amdhsa_next_free_sgpr 63
		.amdhsa_reserve_vcc 1
		.amdhsa_float_round_mode_32 0
		.amdhsa_float_round_mode_16_64 0
		.amdhsa_float_denorm_mode_32 3
		.amdhsa_float_denorm_mode_16_64 3
		.amdhsa_dx10_clamp 1
		.amdhsa_ieee_mode 1
		.amdhsa_fp16_overflow 0
		.amdhsa_workgroup_processor_mode 1
		.amdhsa_memory_ordered 1
		.amdhsa_forward_progress 0
		.amdhsa_shared_vgpr_count 0
		.amdhsa_exception_fp_ieee_invalid_op 0
		.amdhsa_exception_fp_denorm_src 0
		.amdhsa_exception_fp_ieee_div_zero 0
		.amdhsa_exception_fp_ieee_overflow 0
		.amdhsa_exception_fp_ieee_underflow 0
		.amdhsa_exception_fp_ieee_inexact 0
		.amdhsa_exception_int_div_zero 0
	.end_amdhsa_kernel
	.section	.text._ZL23rocblas_gemvt_sn_kernelILb0ELi256ELi4EldddEviiT4_lPKT3_lilS3_lilPT5_i,"axG",@progbits,_ZL23rocblas_gemvt_sn_kernelILb0ELi256ELi4EldddEviiT4_lPKT3_lilS3_lilPT5_i,comdat
.Lfunc_end74:
	.size	_ZL23rocblas_gemvt_sn_kernelILb0ELi256ELi4EldddEviiT4_lPKT3_lilS3_lilPT5_i, .Lfunc_end74-_ZL23rocblas_gemvt_sn_kernelILb0ELi256ELi4EldddEviiT4_lPKT3_lilS3_lilPT5_i
                                        ; -- End function
	.section	.AMDGPU.csdata,"",@progbits
; Kernel info:
; codeLenInByte = 4036
; NumSgprs: 65
; NumVgprs: 75
; ScratchSize: 0
; MemoryBound: 1
; FloatMode: 240
; IeeeMode: 1
; LDSByteSize: 256 bytes/workgroup (compile time only)
; SGPRBlocks: 8
; VGPRBlocks: 9
; NumSGPRsForWavesPerEU: 65
; NumVGPRsForWavesPerEU: 75
; Occupancy: 16
; WaveLimiterHint : 1
; COMPUTE_PGM_RSRC2:SCRATCH_EN: 0
; COMPUTE_PGM_RSRC2:USER_SGPR: 14
; COMPUTE_PGM_RSRC2:TRAP_HANDLER: 0
; COMPUTE_PGM_RSRC2:TGID_X_EN: 1
; COMPUTE_PGM_RSRC2:TGID_Y_EN: 0
; COMPUTE_PGM_RSRC2:TGID_Z_EN: 1
; COMPUTE_PGM_RSRC2:TIDIG_COMP_CNT: 0
	.section	.text._ZL23rocblas_gemvt_sn_reduceILi256ELi8EdddEviT2_lPT3_lilPT1_i,"axG",@progbits,_ZL23rocblas_gemvt_sn_reduceILi256ELi8EdddEviT2_lPT3_lilPT1_i,comdat
	.globl	_ZL23rocblas_gemvt_sn_reduceILi256ELi8EdddEviT2_lPT3_lilPT1_i ; -- Begin function _ZL23rocblas_gemvt_sn_reduceILi256ELi8EdddEviT2_lPT3_lilPT1_i
	.p2align	8
	.type	_ZL23rocblas_gemvt_sn_reduceILi256ELi8EdddEviT2_lPT3_lilPT1_i,@function
_ZL23rocblas_gemvt_sn_reduceILi256ELi8EdddEviT2_lPT3_lilPT1_i: ; @_ZL23rocblas_gemvt_sn_reduceILi256ELi8EdddEviT2_lPT3_lilPT1_i
; %bb.0:
	s_clause 0x2
	s_load_b32 s8, s[0:1], 0x0
	s_load_b32 s2, s[0:1], 0x4c
	s_load_b64 s[4:5], s[0:1], 0x38
	v_mov_b32_e32 v1, 0
	v_dual_mov_b32 v2, 0 :: v_dual_lshlrev_b32 v5, 3, v0
	s_waitcnt lgkmcnt(0)
	s_ashr_i32 s6, s8, 31
	s_mul_i32 s7, s2, s15
	s_add_u32 s2, s0, 0x48
	s_addc_u32 s3, s1, 0
	s_add_i32 s10, s7, s14
	s_lshr_b32 s7, s6, 29
	s_mul_i32 s6, s10, s6
	s_add_i32 s7, s8, s7
	s_mul_hi_u32 s11, s10, s8
	s_and_b32 s9, s7, -8
	s_add_i32 s7, s11, s6
	s_mul_i32 s6, s10, s8
	s_mov_b32 s10, exec_lo
	v_cmpx_gt_i32_e64 s9, v5
	s_cbranch_execz .LBB75_4
; %bb.1:
	s_load_b32 s2, s[2:3], 0xc
	v_lshlrev_b32_e32 v1, 6, v0
	s_lshl_b64 s[12:13], s[6:7], 3
	s_waitcnt lgkmcnt(0)
	s_and_b32 s2, s2, 0xffff
	s_delay_alu instid0(SALU_CYCLE_1) | instskip(SKIP_3) | instid1(VALU_DEP_1)
	s_lshl_b32 s3, s2, 3
	s_add_u32 s11, s4, s12
	s_addc_u32 s12, s5, s13
	v_add_co_u32 v3, s11, s11, v1
	v_add_co_ci_u32_e64 v4, null, s12, 0, s11
	v_mov_b32_e32 v1, 0
	s_delay_alu instid0(VALU_DEP_3) | instskip(SKIP_1) | instid1(VALU_DEP_4)
	v_add_co_u32 v3, vcc_lo, v3, 56
	v_mov_b32_e32 v2, 0
	v_add_co_ci_u32_e32 v4, vcc_lo, 0, v4, vcc_lo
	s_mov_b32 s11, 0
	s_lshl_b32 s12, s2, 6
	s_set_inst_prefetch_distance 0x1
	.p2align	6
.LBB75_2:                               ; =>This Inner Loop Header: Depth=1
	s_clause 0x3
	global_load_b128 v[6:9], v[3:4], off offset:-56
	global_load_b128 v[10:13], v[3:4], off offset:-40
	;; [unrolled: 1-line block ×4, first 2 shown]
	v_add_nc_u32_e32 v5, s3, v5
	v_add_co_u32 v3, s2, v3, s12
	s_delay_alu instid0(VALU_DEP_1) | instskip(NEXT) | instid1(VALU_DEP_3)
	v_add_co_ci_u32_e64 v4, s2, 0, v4, s2
	v_cmp_le_i32_e32 vcc_lo, s9, v5
	s_or_b32 s11, vcc_lo, s11
	s_waitcnt vmcnt(3)
	v_add_f64 v[1:2], v[1:2], v[6:7]
	s_delay_alu instid0(VALU_DEP_1) | instskip(SKIP_1) | instid1(VALU_DEP_1)
	v_add_f64 v[1:2], v[1:2], v[8:9]
	s_waitcnt vmcnt(2)
	v_add_f64 v[1:2], v[1:2], v[10:11]
	s_delay_alu instid0(VALU_DEP_1) | instskip(SKIP_1) | instid1(VALU_DEP_1)
	v_add_f64 v[1:2], v[1:2], v[12:13]
	;; [unrolled: 4-line block ×3, first 2 shown]
	s_waitcnt vmcnt(0)
	v_add_f64 v[1:2], v[1:2], v[18:19]
	s_delay_alu instid0(VALU_DEP_1)
	v_add_f64 v[1:2], v[1:2], v[20:21]
	s_and_not1_b32 exec_lo, exec_lo, s11
	s_cbranch_execnz .LBB75_2
; %bb.3:
	s_set_inst_prefetch_distance 0x2
	s_or_b32 exec_lo, exec_lo, s11
.LBB75_4:
	s_delay_alu instid0(SALU_CYCLE_1) | instskip(SKIP_1) | instid1(SALU_CYCLE_1)
	s_or_b32 exec_lo, exec_lo, s10
	s_sub_i32 s2, s8, s9
	v_cmp_gt_u32_e32 vcc_lo, s2, v0
	s_and_saveexec_b32 s2, vcc_lo
	s_cbranch_execz .LBB75_6
; %bb.5:
	v_xad_u32 v3, v0, -1, s8
	v_mov_b32_e32 v4, 0
	s_lshl_b64 s[6:7], s[6:7], 3
	s_delay_alu instid0(SALU_CYCLE_1) | instskip(SKIP_1) | instid1(VALU_DEP_1)
	s_add_u32 s3, s4, s6
	s_addc_u32 s4, s5, s7
	v_lshlrev_b64 v[3:4], 3, v[3:4]
	s_delay_alu instid0(VALU_DEP_1) | instskip(NEXT) | instid1(VALU_DEP_2)
	v_add_co_u32 v3, vcc_lo, s3, v3
	v_add_co_ci_u32_e32 v4, vcc_lo, s4, v4, vcc_lo
	global_load_b64 v[3:4], v[3:4], off
	s_waitcnt vmcnt(0)
	v_add_f64 v[1:2], v[1:2], v[3:4]
.LBB75_6:
	s_or_b32 exec_lo, exec_lo, s2
	v_and_b32_e32 v8, 31, v0
	v_cmp_gt_u32_e32 vcc_lo, 32, v0
	s_delay_alu instid0(VALU_DEP_2)
	v_lshlrev_b32_e32 v5, 3, v8
	s_and_saveexec_b32 s2, vcc_lo
	s_cbranch_execz .LBB75_8
; %bb.7:
	v_mov_b32_e32 v3, 0
	s_delay_alu instid0(VALU_DEP_1)
	v_mov_b32_e32 v4, v3
	ds_store_b64 v5, v[3:4]
.LBB75_8:
	s_or_b32 exec_lo, exec_lo, s2
	v_mbcnt_lo_u32_b32 v9, -1, 0
	s_mov_b32 s3, exec_lo
	s_waitcnt lgkmcnt(0)
	s_barrier
	buffer_gl0_inv
	v_cmp_gt_u32_e64 s2, 16, v9
	s_delay_alu instid0(VALU_DEP_1) | instskip(SKIP_1) | instid1(VALU_DEP_2)
	v_cndmask_b32_e64 v3, 0, 1, s2
	v_cmp_gt_u32_e64 s2, 24, v9
	v_lshlrev_b32_e32 v3, 4, v3
	s_delay_alu instid0(VALU_DEP_1)
	v_add_lshl_u32 v4, v3, v9, 2
	ds_bpermute_b32 v3, v4, v1
	ds_bpermute_b32 v4, v4, v2
	s_waitcnt lgkmcnt(0)
	v_add_f64 v[1:2], v[1:2], v[3:4]
	v_cndmask_b32_e64 v3, 0, 1, s2
	v_cmp_gt_u32_e64 s2, 28, v9
	s_delay_alu instid0(VALU_DEP_2) | instskip(NEXT) | instid1(VALU_DEP_1)
	v_lshlrev_b32_e32 v3, 3, v3
	v_add_lshl_u32 v4, v3, v9, 2
	ds_bpermute_b32 v3, v4, v1
	ds_bpermute_b32 v4, v4, v2
	s_waitcnt lgkmcnt(0)
	v_add_f64 v[1:2], v[1:2], v[3:4]
	v_cndmask_b32_e64 v3, 0, 1, s2
	v_cmp_gt_u32_e64 s2, 30, v9
	s_delay_alu instid0(VALU_DEP_2) | instskip(NEXT) | instid1(VALU_DEP_1)
	v_lshlrev_b32_e32 v3, 2, v3
	v_add_lshl_u32 v6, v3, v9, 2
	ds_bpermute_b32 v3, v6, v1
	ds_bpermute_b32 v4, v6, v2
	s_waitcnt lgkmcnt(0)
	v_add_f64 v[1:2], v[1:2], v[3:4]
	v_cndmask_b32_e64 v3, 0, 1, s2
	v_cmp_ne_u32_e64 s2, 31, v9
	s_delay_alu instid0(VALU_DEP_2) | instskip(NEXT) | instid1(VALU_DEP_1)
	v_lshlrev_b32_e32 v3, 1, v3
	v_add_lshl_u32 v7, v3, v9, 2
	ds_bpermute_b32 v3, v7, v1
	ds_bpermute_b32 v4, v7, v2
	s_waitcnt lgkmcnt(0)
	v_add_f64 v[1:2], v[1:2], v[3:4]
	v_add_co_ci_u32_e64 v3, s2, 0, v9, s2
	s_delay_alu instid0(VALU_DEP_1)
	v_lshlrev_b32_e32 v9, 2, v3
	ds_bpermute_b32 v3, v9, v1
	ds_bpermute_b32 v4, v9, v2
	v_cmpx_eq_u32_e32 0, v8
	s_cbranch_execz .LBB75_10
; %bb.9:
	s_waitcnt lgkmcnt(0)
	v_add_f64 v[1:2], v[1:2], v[3:4]
	v_lshrrev_b32_e32 v3, 2, v0
	s_delay_alu instid0(VALU_DEP_1)
	v_and_b32_e32 v3, 56, v3
	ds_store_b64 v3, v[1:2]
.LBB75_10:
	s_or_b32 exec_lo, exec_lo, s3
	v_mov_b32_e32 v1, 0
	v_mov_b32_e32 v2, 0
	s_mov_b32 s3, exec_lo
	s_waitcnt lgkmcnt(0)
	s_barrier
	buffer_gl0_inv
	v_cmpx_gt_u32_e32 8, v0
	s_cbranch_execz .LBB75_12
; %bb.11:
	ds_load_b64 v[1:2], v5
.LBB75_12:
	s_or_b32 exec_lo, exec_lo, s3
	s_and_saveexec_b32 s2, vcc_lo
	s_cbranch_execz .LBB75_14
; %bb.13:
	s_waitcnt lgkmcnt(0)
	ds_bpermute_b32 v3, v6, v1
	ds_bpermute_b32 v4, v6, v2
	s_waitcnt lgkmcnt(0)
	v_add_f64 v[1:2], v[1:2], v[3:4]
	ds_bpermute_b32 v3, v7, v1
	ds_bpermute_b32 v4, v7, v2
	s_waitcnt lgkmcnt(0)
	v_add_f64 v[1:2], v[1:2], v[3:4]
	;; [unrolled: 4-line block ×3, first 2 shown]
.LBB75_14:
	s_or_b32 exec_lo, exec_lo, s2
	s_delay_alu instid0(SALU_CYCLE_1)
	s_mov_b32 s2, exec_lo
	v_cmpx_eq_u32_e32 0, v0
	s_cbranch_execz .LBB75_18
; %bb.15:
	s_clause 0x3
	s_load_b64 s[2:3], s[0:1], 0x8
	s_load_b128 s[4:7], s[0:1], 0x18
	s_load_b64 s[8:9], s[0:1], 0x30
	s_load_b32 s11, s[0:1], 0x28
	s_waitcnt lgkmcnt(0)
	v_cmp_eq_f64_e64 s10, s[2:3], 0
	s_mul_i32 s0, s15, s9
	s_mul_hi_u32 s1, s15, s8
	s_delay_alu instid0(SALU_CYCLE_1)
	s_add_i32 s1, s1, s0
	s_mul_i32 s0, s15, s8
	s_ashr_i32 s8, s11, 31
	s_lshl_b64 s[0:1], s[0:1], 3
	s_mul_i32 s8, s8, s14
	s_add_u32 s4, s4, s0
	s_addc_u32 s5, s5, s1
	s_lshl_b64 s[0:1], s[6:7], 3
	s_delay_alu instid0(SALU_CYCLE_1) | instskip(SKIP_4) | instid1(VALU_DEP_1)
	s_add_u32 s4, s4, s0
	s_mul_hi_u32 s0, s11, s14
	s_addc_u32 s5, s5, s1
	s_add_i32 s1, s0, s8
	s_mul_i32 s0, s11, s14
	s_and_b32 vcc_lo, exec_lo, s10
	s_cbranch_vccnz .LBB75_17
; %bb.16:
	s_lshl_b64 s[6:7], s[0:1], 3
	s_delay_alu instid0(SALU_CYCLE_1) | instskip(SKIP_3) | instid1(VALU_DEP_3)
	s_add_u32 s6, s4, s6
	s_addc_u32 s7, s5, s7
	s_load_b64 s[6:7], s[6:7], 0x0
	s_waitcnt lgkmcnt(0)
	v_fma_f64 v[1:2], s[6:7], s[2:3], v[1:2]
.LBB75_17:
	s_lshl_b64 s[0:1], s[0:1], 3
	v_mov_b32_e32 v0, 0
	s_add_u32 s0, s4, s0
	s_addc_u32 s1, s5, s1
	global_store_b64 v0, v[1:2], s[0:1]
.LBB75_18:
	s_nop 0
	s_sendmsg sendmsg(MSG_DEALLOC_VGPRS)
	s_endpgm
	.section	.rodata,"a",@progbits
	.p2align	6, 0x0
	.amdhsa_kernel _ZL23rocblas_gemvt_sn_reduceILi256ELi8EdddEviT2_lPT3_lilPT1_i
		.amdhsa_group_segment_fixed_size 256
		.amdhsa_private_segment_fixed_size 0
		.amdhsa_kernarg_size 328
		.amdhsa_user_sgpr_count 13
		.amdhsa_user_sgpr_dispatch_ptr 0
		.amdhsa_user_sgpr_queue_ptr 0
		.amdhsa_user_sgpr_kernarg_segment_ptr 1
		.amdhsa_user_sgpr_dispatch_id 0
		.amdhsa_user_sgpr_private_segment_size 0
		.amdhsa_wavefront_size32 1
		.amdhsa_uses_dynamic_stack 0
		.amdhsa_enable_private_segment 0
		.amdhsa_system_sgpr_workgroup_id_x 1
		.amdhsa_system_sgpr_workgroup_id_y 1
		.amdhsa_system_sgpr_workgroup_id_z 1
		.amdhsa_system_sgpr_workgroup_info 0
		.amdhsa_system_vgpr_workitem_id 0
		.amdhsa_next_free_vgpr 22
		.amdhsa_next_free_sgpr 16
		.amdhsa_reserve_vcc 1
		.amdhsa_float_round_mode_32 0
		.amdhsa_float_round_mode_16_64 0
		.amdhsa_float_denorm_mode_32 3
		.amdhsa_float_denorm_mode_16_64 3
		.amdhsa_dx10_clamp 1
		.amdhsa_ieee_mode 1
		.amdhsa_fp16_overflow 0
		.amdhsa_workgroup_processor_mode 1
		.amdhsa_memory_ordered 1
		.amdhsa_forward_progress 0
		.amdhsa_shared_vgpr_count 0
		.amdhsa_exception_fp_ieee_invalid_op 0
		.amdhsa_exception_fp_denorm_src 0
		.amdhsa_exception_fp_ieee_div_zero 0
		.amdhsa_exception_fp_ieee_overflow 0
		.amdhsa_exception_fp_ieee_underflow 0
		.amdhsa_exception_fp_ieee_inexact 0
		.amdhsa_exception_int_div_zero 0
	.end_amdhsa_kernel
	.section	.text._ZL23rocblas_gemvt_sn_reduceILi256ELi8EdddEviT2_lPT3_lilPT1_i,"axG",@progbits,_ZL23rocblas_gemvt_sn_reduceILi256ELi8EdddEviT2_lPT3_lilPT1_i,comdat
.Lfunc_end75:
	.size	_ZL23rocblas_gemvt_sn_reduceILi256ELi8EdddEviT2_lPT3_lilPT1_i, .Lfunc_end75-_ZL23rocblas_gemvt_sn_reduceILi256ELi8EdddEviT2_lPT3_lilPT1_i
                                        ; -- End function
	.section	.AMDGPU.csdata,"",@progbits
; Kernel info:
; codeLenInByte = 1252
; NumSgprs: 18
; NumVgprs: 22
; ScratchSize: 0
; MemoryBound: 1
; FloatMode: 240
; IeeeMode: 1
; LDSByteSize: 256 bytes/workgroup (compile time only)
; SGPRBlocks: 2
; VGPRBlocks: 2
; NumSGPRsForWavesPerEU: 18
; NumVGPRsForWavesPerEU: 22
; Occupancy: 16
; WaveLimiterHint : 0
; COMPUTE_PGM_RSRC2:SCRATCH_EN: 0
; COMPUTE_PGM_RSRC2:USER_SGPR: 13
; COMPUTE_PGM_RSRC2:TRAP_HANDLER: 0
; COMPUTE_PGM_RSRC2:TGID_X_EN: 1
; COMPUTE_PGM_RSRC2:TGID_Y_EN: 1
; COMPUTE_PGM_RSRC2:TGID_Z_EN: 1
; COMPUTE_PGM_RSRC2:TIDIG_COMP_CNT: 0
	.section	.text._ZL36rocblas_gemvt_double_buffered_kernelILb0ELi128ELi4ELi16EdPKddEviiT4_lPKT3_lilS5_lilPT5_lili,"axG",@progbits,_ZL36rocblas_gemvt_double_buffered_kernelILb0ELi128ELi4ELi16EdPKddEviiT4_lPKT3_lilS5_lilPT5_lili,comdat
	.globl	_ZL36rocblas_gemvt_double_buffered_kernelILb0ELi128ELi4ELi16EdPKddEviiT4_lPKT3_lilS5_lilPT5_lili ; -- Begin function _ZL36rocblas_gemvt_double_buffered_kernelILb0ELi128ELi4ELi16EdPKddEviiT4_lPKT3_lilS5_lilPT5_lili
	.p2align	8
	.type	_ZL36rocblas_gemvt_double_buffered_kernelILb0ELi128ELi4ELi16EdPKddEviiT4_lPKT3_lilS5_lilPT5_lili,@function
_ZL36rocblas_gemvt_double_buffered_kernelILb0ELi128ELi4ELi16EdPKddEviiT4_lPKT3_lilS5_lilPT5_lili: ; @_ZL36rocblas_gemvt_double_buffered_kernelILb0ELi128ELi4ELi16EdPKddEviiT4_lPKT3_lilS5_lilPT5_lili
; %bb.0:
	s_load_b256 s[4:11], s[0:1], 0x8
	s_waitcnt lgkmcnt(0)
	s_mul_i32 s2, s15, s7
	s_mul_hi_u32 s3, s15, s6
	s_delay_alu instid0(SALU_CYCLE_1) | instskip(SKIP_1) | instid1(SALU_CYCLE_1)
	s_add_i32 s3, s3, s2
	s_mul_i32 s2, s15, s6
	s_lshl_b64 s[2:3], s[2:3], 3
	s_delay_alu instid0(SALU_CYCLE_1) | instskip(SKIP_4) | instid1(VALU_DEP_1)
	s_add_u32 s2, s4, s2
	s_addc_u32 s3, s5, s3
	s_load_b64 s[2:3], s[2:3], 0x0
	s_waitcnt lgkmcnt(0)
	v_cmp_eq_f64_e64 s4, s[2:3], 0
	s_and_b32 vcc_lo, exec_lo, s4
	s_cbranch_vccnz .LBB76_11
; %bb.1:
	s_clause 0x1
	s_load_b32 s4, s[0:1], 0x84
	s_load_b32 s5, s[0:1], 0x0
	s_waitcnt lgkmcnt(0)
	v_cvt_f32_u32_e32 v1, s4
	s_ashr_i32 s7, s5, 31
	s_sub_i32 s12, 0, s4
	s_lshr_b32 s7, s7, 25
	s_delay_alu instid0(SALU_CYCLE_1) | instskip(SKIP_4) | instid1(VALU_DEP_1)
	s_add_i32 s5, s5, s7
	v_rcp_iflag_f32_e32 v1, v1
	s_ashr_i32 s5, s5, 7
	s_waitcnt_depctr 0xfff
	v_mul_f32_e32 v1, 0x4f7ffffe, v1
	v_cvt_u32_f32_e32 v1, v1
	s_delay_alu instid0(VALU_DEP_1) | instskip(NEXT) | instid1(VALU_DEP_1)
	v_readfirstlane_b32 s6, v1
	s_mul_i32 s12, s12, s6
	s_delay_alu instid0(SALU_CYCLE_1) | instskip(NEXT) | instid1(SALU_CYCLE_1)
	s_mul_hi_u32 s7, s6, s12
	s_add_i32 s6, s6, s7
	s_delay_alu instid0(SALU_CYCLE_1) | instskip(NEXT) | instid1(SALU_CYCLE_1)
	s_mul_hi_u32 s6, s5, s6
	s_mul_i32 s7, s6, s4
	s_add_i32 s12, s6, 1
	s_sub_i32 s7, s5, s7
	s_delay_alu instid0(SALU_CYCLE_1)
	s_sub_i32 s16, s7, s4
	s_cmp_ge_u32 s7, s4
	s_cselect_b32 s6, s12, s6
	s_cselect_b32 s7, s16, s7
	s_add_i32 s12, s6, 1
	s_cmp_ge_u32 s7, s4
	s_cselect_b32 s18, s12, s6
	s_delay_alu instid0(SALU_CYCLE_1) | instskip(NEXT) | instid1(SALU_CYCLE_1)
	s_mul_i32 s4, s18, s4
	s_sub_i32 s19, s5, s4
	s_delay_alu instid0(SALU_CYCLE_1) | instskip(SKIP_1) | instid1(SALU_CYCLE_1)
	s_cmp_lt_u32 s14, s19
	s_cselect_b32 s4, -1, 0
	s_cmp_lg_u32 s4, 0
	s_addc_u32 s28, s18, 0
	s_delay_alu instid0(SALU_CYCLE_1)
	s_cmp_eq_u32 s28, 0
	s_cbranch_scc1 .LBB76_11
; %bb.2:
	v_and_b32_e32 v139, 0x3ff, v0
	v_bfe_u32 v140, v0, 10, 10
	s_clause 0x1
	s_load_b128 s[4:7], s[0:1], 0x50
	s_load_b64 s[16:17], s[0:1], 0x60
	v_mov_b32_e32 v35, 0
	v_mov_b32_e32 v36, 0
	v_and_b32_e32 v0, 63, v139
	v_lshl_add_u32 v65, v140, 7, v139
	s_lshl_b32 s12, s13, 7
	s_delay_alu instid0(VALU_DEP_3) | instskip(SKIP_1) | instid1(VALU_DEP_3)
	v_dual_mov_b32 v33, v35 :: v_dual_mov_b32 v34, v36
	v_dual_mov_b32 v38, v36 :: v_dual_mov_b32 v37, v35
	v_lshrrev_b32_e32 v141, 2, v65
	v_dual_mov_b32 v40, v36 :: v_dual_mov_b32 v39, v35
	v_mov_b32_e32 v50, v36
	v_dual_mov_b32 v42, v36 :: v_dual_mov_b32 v41, v35
	s_delay_alu instid0(VALU_DEP_4)
	v_dual_mov_b32 v46, v36 :: v_dual_and_b32 v143, 0x7ff0, v141
	v_dual_mov_b32 v45, v35 :: v_dual_mov_b32 v44, v36
	v_dual_mov_b32 v43, v35 :: v_dual_lshlrev_b32 v142, 3, v0
	v_dual_mov_b32 v49, v35 :: v_dual_mov_b32 v48, v36
	v_dual_mov_b32 v47, v35 :: v_dual_mov_b32 v54, v36
	v_dual_mov_b32 v53, v35 :: v_dual_mov_b32 v52, v36
	v_dual_mov_b32 v51, v35 :: v_dual_mov_b32 v58, v36
	v_dual_mov_b32 v57, v35 :: v_dual_mov_b32 v56, v36
	v_dual_mov_b32 v55, v35 :: v_dual_mov_b32 v62, v36
	v_dual_mov_b32 v61, v35 :: v_dual_mov_b32 v60, v36
	v_dual_mov_b32 v59, v35 :: v_dual_mov_b32 v64, v36
	v_mov_b32_e32 v63, v35
	s_ashr_i32 s13, s12, 31
	s_cmp_lt_i32 s28, 1
	s_cbranch_scc1 .LBB76_8
; %bb.3:
	v_cvt_f64_i32_e32 v[1:2], s14
	v_cvt_f64_u32_e32 v[3:4], s19
	s_mul_i32 s18, s18, s14
	s_waitcnt lgkmcnt(0)
	s_mul_i32 s5, s15, s5
	v_cvt_f64_u32_e32 v[5:6], s18
	s_clause 0x3
	s_load_b128 s[24:27], s[0:1], 0x30
	s_load_b32 s18, s[0:1], 0x28
	s_load_b32 s20, s[0:1], 0x48
	s_load_b64 s[30:31], s[0:1], 0x40
	s_mul_hi_u32 s14, s15, s4
	s_mul_i32 s4, s15, s4
	v_mov_b32_e32 v33, 0
	v_dual_mov_b32 v34, 0 :: v_dual_lshlrev_b32 v35, 1, v65
	s_delay_alu instid0(VALU_DEP_1) | instskip(NEXT) | instid1(VALU_DEP_3)
	v_dual_mov_b32 v64, v34 :: v_dual_and_b32 v65, 0x7ff80, v35
	v_dual_mov_b32 v60, v34 :: v_dual_mov_b32 v63, v33
	v_dual_mov_b32 v62, v34 :: v_dual_mov_b32 v59, v33
	;; [unrolled: 1-line block ×3, first 2 shown]
	v_mov_b32_e32 v58, v34
	s_waitcnt lgkmcnt(0)
	s_mul_i32 s19, s15, s25
	s_mul_hi_u32 s21, s15, s24
	s_mul_i32 s22, s15, s24
	s_add_i32 s23, s21, s19
	s_ashr_i32 s19, s18, 31
	s_lshl_b64 s[22:23], s[22:23], 3
	s_ashr_i32 s21, s20, 31
	s_add_u32 s29, s8, s22
	s_addc_u32 s33, s9, s23
	s_lshl_b64 s[24:25], s[10:11], 3
	s_mul_hi_i32 s11, s18, s12
	s_add_u32 s34, s29, s24
	s_addc_u32 s33, s33, s25
	s_add_i32 s5, s14, s5
	s_mul_i32 s10, s18, s12
	v_min_f64 v[1:2], v[1:2], v[3:4]
	s_lshl_b64 s[4:5], s[4:5], 3
	v_dual_mov_b32 v55, v33 :: v_dual_mov_b32 v52, v34
	s_add_u32 s14, s26, s4
	s_addc_u32 s26, s27, s5
	s_lshl_b64 s[4:5], s[30:31], 3
	v_dual_mov_b32 v57, v33 :: v_dual_mov_b32 v54, v34
	s_add_u32 s14, s14, s4
	s_addc_u32 s29, s26, s5
	;; [unrolled: 4-line block ×3, first 2 shown]
	v_dual_mov_b32 v53, v33 :: v_dual_mov_b32 v50, v34
	v_dual_mov_b32 v47, v33 :: v_dual_mov_b32 v44, v34
	;; [unrolled: 1-line block ×7, first 2 shown]
	v_add_f64 v[1:2], v[1:2], v[5:6]
	s_delay_alu instid0(VALU_DEP_1) | instskip(SKIP_1) | instid1(VALU_DEP_1)
	v_cvt_i32_f64_e32 v4, v[1:2]
	v_mov_b32_e32 v1, 0
	v_mad_i64_i32 v[2:3], null, s18, v143, v[0:1]
	s_delay_alu instid0(VALU_DEP_1) | instskip(NEXT) | instid1(VALU_DEP_4)
	v_lshlrev_b64 v[1:2], 3, v[2:3]
	v_readfirstlane_b32 s26, v4
	s_delay_alu instid0(VALU_DEP_1) | instskip(NEXT) | instid1(SALU_CYCLE_1)
	s_lshl_b32 s4, s26, 7
	s_ashr_i32 s5, s4, 31
	s_delay_alu instid0(SALU_CYCLE_1) | instskip(NEXT) | instid1(SALU_CYCLE_1)
	s_lshl_b64 s[26:27], s[4:5], 3
	s_add_u32 s4, s10, s26
	s_addc_u32 s5, s11, s27
	v_add_co_u32 v1, vcc_lo, s4, v1
	v_add_co_ci_u32_e32 v2, vcc_lo, s5, v2, vcc_lo
	s_lshl_b64 s[4:5], s[18:19], 3
	s_lshl_b64 s[34:35], s[12:13], 3
	v_or_b32_e32 v67, s26, v142
	s_delay_alu instid0(VALU_DEP_2) | instskip(SKIP_2) | instid1(VALU_DEP_1)
	v_mad_i64_i32 v[31:32], null, 0x78, s18, v[1:2]
	global_load_b64 v[1:2], v[1:2], off
	v_add_co_u32 v69, s13, v65, s34
	v_add_co_ci_u32_e64 v68, null, 0, s35, s13
	s_add_i32 s30, s28, -1
	v_sub_co_u32 v3, vcc_lo, v31, s4
	v_subrev_co_ci_u32_e32 v4, vcc_lo, s5, v32, vcc_lo
	s_lshl_b64 s[10:11], s[20:21], 10
	s_delay_alu instid0(VALU_DEP_2) | instskip(NEXT) | instid1(VALU_DEP_2)
	v_sub_co_u32 v5, vcc_lo, v3, s4
	v_subrev_co_ci_u32_e32 v6, vcc_lo, s5, v4, vcc_lo
	global_load_b64 v[3:4], v[3:4], off
	v_sub_co_u32 v7, vcc_lo, v5, s4
	v_subrev_co_ci_u32_e32 v8, vcc_lo, s5, v6, vcc_lo
	global_load_b64 v[5:6], v[5:6], off
	;; [unrolled: 3-line block ×9, first 2 shown]
	v_sub_co_u32 v23, vcc_lo, v21, s4
	v_subrev_co_ci_u32_e32 v24, vcc_lo, s5, v22, vcc_lo
	s_add_u32 s8, s8, s26
	s_delay_alu instid0(VALU_DEP_2) | instskip(NEXT) | instid1(VALU_DEP_2)
	v_sub_co_u32 v25, vcc_lo, v23, s4
	v_subrev_co_ci_u32_e32 v26, vcc_lo, s5, v24, vcc_lo
	s_addc_u32 s9, s9, s27
	s_delay_alu instid0(VALU_DEP_2) | instskip(NEXT) | instid1(VALU_DEP_2)
	v_sub_co_u32 v27, vcc_lo, v25, s4
	v_subrev_co_ci_u32_e32 v28, vcc_lo, s5, v26, vcc_lo
	s_add_u32 s8, s8, s24
	s_delay_alu instid0(VALU_DEP_2) | instskip(NEXT) | instid1(VALU_DEP_2)
	v_sub_co_u32 v29, vcc_lo, v27, s4
	v_subrev_co_ci_u32_e32 v30, vcc_lo, s5, v28, vcc_lo
	global_load_b64 v[21:22], v[21:22], off
	global_load_b64 v[23:24], v[23:24], off
	;; [unrolled: 1-line block ×6, first 2 shown]
	v_add_co_u32 v73, vcc_lo, v69, 8
	v_add_co_ci_u32_e32 v74, vcc_lo, 0, v68, vcc_lo
	v_add_co_u32 v75, vcc_lo, v69, 16
	v_add_co_ci_u32_e32 v76, vcc_lo, 0, v68, vcc_lo
	;; [unrolled: 2-line block ×13, first 2 shown]
	v_or_b32_e32 v71, 0x200, v67
	v_add_co_u32 v99, vcc_lo, 0x70, v69
	s_addc_u32 s9, s9, s25
	s_add_u32 s8, s8, s22
	v_add_co_ci_u32_e32 v100, vcc_lo, 0, v68, vcc_lo
	s_addc_u32 s9, s9, s23
	v_add_co_u32 v102, vcc_lo, 0x78, v69
	v_mul_lo_u32 v101, v67, s21
	v_mad_u64_u32 v[65:66], null, v67, s20, 0
	v_add_co_ci_u32_e32 v103, vcc_lo, 0, v68, vcc_lo
	v_mul_lo_u32 v104, v69, s19
	v_mul_lo_u32 v105, v68, s18
	v_mad_u64_u32 v[67:68], null, v69, s18, s[8:9]
	v_mul_lo_u32 v106, v71, s21
	v_mad_u64_u32 v[69:70], null, v71, s20, 0
	v_mad_u64_u32 v[71:72], null, v73, s18, s[8:9]
	v_mul_lo_u32 v107, v73, s19
	v_mul_lo_u32 v108, v74, s18
	v_mad_u64_u32 v[73:74], null, v75, s18, s[8:9]
	v_mul_lo_u32 v109, v75, s19
	v_mul_lo_u32 v110, v76, s18
	;; [unrolled: 3-line block ×3, first 2 shown]
	v_add3_u32 v72, v108, v72, v107
	v_mad_u64_u32 v[77:78], null, v79, s18, s[8:9]
	v_mul_lo_u32 v113, v79, s19
	v_mul_lo_u32 v114, v80, s18
	v_add3_u32 v74, v110, v74, v109
	v_add_co_u32 v144, vcc_lo, 0x400, v71
	v_mad_u64_u32 v[79:80], null, v81, s18, s[8:9]
	v_mul_lo_u32 v115, v81, s19
	v_mul_lo_u32 v116, v82, s18
	v_add_co_ci_u32_e32 v145, vcc_lo, 0, v72, vcc_lo
	v_add3_u32 v76, v112, v76, v111
	v_add_co_u32 v146, vcc_lo, 0x400, v73
	v_mad_u64_u32 v[81:82], null, v83, s18, s[8:9]
	v_mul_lo_u32 v117, v83, s19
	v_mul_lo_u32 v118, v84, s18
	v_add_co_ci_u32_e32 v147, vcc_lo, 0, v74, vcc_lo
	;; [unrolled: 6-line block ×11, first 2 shown]
	v_add3_u32 v96, v132, v96, v131
	v_add_co_u32 v166, vcc_lo, 0x400, v93
	v_add_co_ci_u32_e32 v167, vcc_lo, 0, v94, vcc_lo
	v_add3_u32 v98, v134, v98, v133
	v_add_co_u32 v168, vcc_lo, 0x400, v95
	v_add_co_ci_u32_e32 v169, vcc_lo, 0, v96, vcc_lo
	;; [unrolled: 3-line block ×3, first 2 shown]
	v_add_co_u32 v172, vcc_lo, 0x400, v99
	v_mov_b32_e32 v37, v33
	v_mov_b32_e32 v35, v33
	v_add_co_ci_u32_e32 v173, vcc_lo, 0, v100, vcc_lo
	s_mul_i32 s31, s27, s20
	v_add3_u32 v68, v105, v68, v104
	v_add3_u32 v66, v66, v101, s31
	;; [unrolled: 1-line block ×3, first 2 shown]
	s_mov_b32 s8, 0
	s_waitcnt vmcnt(15)
	v_dual_mov_b32 v72, v2 :: v_dual_mov_b32 v71, v1
	s_waitcnt vmcnt(14)
	v_dual_mov_b32 v100, v4 :: v_dual_mov_b32 v99, v3
	;; [unrolled: 2-line block ×10, first 2 shown]
	s_waitcnt vmcnt(5)
	v_mov_b32_e32 v82, v22
	s_waitcnt vmcnt(4)
	v_mov_b32_e32 v80, v24
	s_waitcnt vmcnt(3)
	v_dual_mov_b32 v78, v26 :: v_dual_mov_b32 v81, v21
	s_waitcnt vmcnt(2)
	v_dual_mov_b32 v76, v28 :: v_dual_mov_b32 v79, v23
	;; [unrolled: 2-line block ×4, first 2 shown]
	v_mov_b32_e32 v73, v29
	v_mov_b32_e32 v101, v31
.LBB76_4:                               ; =>This Inner Loop Header: Depth=1
	v_add_co_u32 v137, vcc_lo, v67, v142
	v_add_co_ci_u32_e32 v138, vcc_lo, 0, v68, vcc_lo
	s_cmp_lg_u32 s30, s8
	s_delay_alu instid0(VALU_DEP_2) | instskip(NEXT) | instid1(VALU_DEP_2)
	v_add_co_u32 v103, vcc_lo, 0x200, v137
	v_add_co_ci_u32_e32 v104, vcc_lo, 0, v138, vcc_lo
	s_delay_alu instid0(VALU_DEP_2) | instskip(NEXT) | instid1(VALU_DEP_2)
	v_add_co_u32 v105, vcc_lo, v103, s4
	v_add_co_ci_u32_e32 v106, vcc_lo, s5, v104, vcc_lo
	;; [unrolled: 3-line block ×5, first 2 shown]
	s_clause 0x3
	global_load_b64 v[103:104], v[137:138], off offset:512
	global_load_b64 v[105:106], v[105:106], off
	global_load_b64 v[107:108], v[107:108], off
	;; [unrolled: 1-line block ×3, first 2 shown]
	v_add_co_u32 v113, vcc_lo, v111, s4
	v_add_co_ci_u32_e32 v114, vcc_lo, s5, v112, vcc_lo
	global_load_b64 v[111:112], v[111:112], off
	v_add_co_u32 v115, vcc_lo, v113, s4
	v_add_co_ci_u32_e32 v116, vcc_lo, s5, v114, vcc_lo
	global_load_b64 v[113:114], v[113:114], off
	;; [unrolled: 3-line block ×8, first 2 shown]
	v_add_co_u32 v129, vcc_lo, v127, s4
	v_add_co_ci_u32_e32 v130, vcc_lo, s5, v128, vcc_lo
	s_delay_alu instid0(VALU_DEP_2) | instskip(NEXT) | instid1(VALU_DEP_2)
	v_add_co_u32 v131, vcc_lo, v129, s4
	v_add_co_ci_u32_e32 v132, vcc_lo, s5, v130, vcc_lo
	s_delay_alu instid0(VALU_DEP_2) | instskip(NEXT) | instid1(VALU_DEP_2)
	v_add_co_u32 v133, vcc_lo, v131, s4
	v_add_co_ci_u32_e32 v134, vcc_lo, s5, v132, vcc_lo
	v_add_co_u32 v135, vcc_lo, s14, v65
	v_add_co_ci_u32_e32 v136, vcc_lo, s29, v66, vcc_lo
	global_load_b64 v[127:128], v[127:128], off
	global_load_b64 v[129:130], v[129:130], off
	;; [unrolled: 1-line block ×5, first 2 shown]
	s_cbranch_scc0 .LBB76_6
; %bb.5:                                ;   in Loop: Header=BB76_4 Depth=1
	v_add_co_u32 v73, vcc_lo, v144, v142
	v_add_co_ci_u32_e32 v74, vcc_lo, 0, v145, vcc_lo
	v_add_co_u32 v75, vcc_lo, v146, v142
	v_add_co_ci_u32_e32 v76, vcc_lo, 0, v147, vcc_lo
	v_add_co_u32 v77, vcc_lo, v148, v142
	v_add_co_ci_u32_e32 v78, vcc_lo, 0, v149, vcc_lo
	v_add_co_u32 v79, vcc_lo, v150, v142
	v_add_co_ci_u32_e32 v80, vcc_lo, 0, v151, vcc_lo
	v_add_co_u32 v81, vcc_lo, v152, v142
	v_add_co_ci_u32_e32 v82, vcc_lo, 0, v153, vcc_lo
	v_add_co_u32 v83, vcc_lo, v154, v142
	v_add_co_ci_u32_e32 v84, vcc_lo, 0, v155, vcc_lo
	v_add_co_u32 v85, vcc_lo, v156, v142
	v_add_co_ci_u32_e32 v86, vcc_lo, 0, v157, vcc_lo
	v_add_co_u32 v87, vcc_lo, v158, v142
	v_add_co_ci_u32_e32 v88, vcc_lo, 0, v159, vcc_lo
	v_add_co_u32 v89, vcc_lo, v160, v142
	v_add_co_ci_u32_e32 v90, vcc_lo, 0, v161, vcc_lo
	v_add_co_u32 v91, vcc_lo, v162, v142
	v_add_co_ci_u32_e32 v92, vcc_lo, 0, v163, vcc_lo
	v_add_co_u32 v93, vcc_lo, v164, v142
	v_add_co_ci_u32_e32 v94, vcc_lo, 0, v165, vcc_lo
	v_add_co_u32 v95, vcc_lo, v166, v142
	v_add_co_ci_u32_e32 v96, vcc_lo, 0, v167, vcc_lo
	v_add_co_u32 v97, vcc_lo, v168, v142
	v_add_co_ci_u32_e32 v98, vcc_lo, 0, v169, vcc_lo
	v_add_co_u32 v99, vcc_lo, v170, v142
	v_add_co_ci_u32_e32 v100, vcc_lo, 0, v171, vcc_lo
	v_add_co_u32 v101, vcc_lo, v172, v142
	v_add_co_ci_u32_e32 v102, vcc_lo, 0, v173, vcc_lo
	global_load_b64 v[71:72], v[137:138], off offset:1024
	global_load_b64 v[73:74], v[73:74], off
	global_load_b64 v[75:76], v[75:76], off
	;; [unrolled: 1-line block ×15, first 2 shown]
.LBB76_6:                               ;   in Loop: Header=BB76_4 Depth=1
	v_add_co_u32 v137, vcc_lo, s14, v69
	v_add_co_ci_u32_e32 v138, vcc_lo, s29, v70, vcc_lo
	s_waitcnt vmcnt(0)
	v_fma_f64 v[1:2], v[1:2], v[135:136], v[33:34]
	v_fma_f64 v[29:30], v[29:30], v[135:136], v[63:64]
	v_fma_f64 v[27:28], v[27:28], v[135:136], v[59:60]
	global_load_b64 v[137:138], v[137:138], off
	v_fma_f64 v[25:26], v[25:26], v[135:136], v[61:62]
	v_fma_f64 v[23:24], v[23:24], v[135:136], v[55:56]
	;; [unrolled: 1-line block ×13, first 2 shown]
	v_add_co_u32 v144, vcc_lo, 0x400, v144
	v_add_co_ci_u32_e32 v145, vcc_lo, 0, v145, vcc_lo
	v_add_co_u32 v146, vcc_lo, 0x400, v146
	v_add_co_ci_u32_e32 v147, vcc_lo, 0, v147, vcc_lo
	;; [unrolled: 2-line block ×15, first 2 shown]
	v_add_co_u32 v67, vcc_lo, 0x400, v67
	s_add_i32 s8, s8, 1
	v_add_co_ci_u32_e32 v68, vcc_lo, 0, v68, vcc_lo
	s_add_u32 s14, s14, s10
	s_addc_u32 s29, s29, s11
	s_cmp_ge_i32 s8, s28
	s_waitcnt vmcnt(0)
	v_fma_f64 v[33:34], v[103:104], v[137:138], v[1:2]
	v_fma_f64 v[63:64], v[105:106], v[137:138], v[29:30]
	;; [unrolled: 1-line block ×16, first 2 shown]
	s_cbranch_scc1 .LBB76_8
; %bb.7:                                ;   in Loop: Header=BB76_4 Depth=1
	v_dual_mov_b32 v1, v71 :: v_dual_mov_b32 v2, v72
	v_dual_mov_b32 v29, v73 :: v_dual_mov_b32 v30, v74
	;; [unrolled: 1-line block ×16, first 2 shown]
	s_branch .LBB76_4
.LBB76_8:
	v_lshlrev_b32_e32 v2, 3, v139
	v_lshlrev_b32_e32 v3, 9, v141
	v_lshl_or_b32 v1, v143, 9, v142
	s_waitcnt lgkmcnt(0)
	s_mov_b32 s4, 0
	s_mov_b32 s5, exec_lo
	ds_store_2addr_stride64_b64 v1, v[33:34], v[63:64] offset1:1
	ds_store_2addr_stride64_b64 v1, v[59:60], v[61:62] offset0:2 offset1:3
	ds_store_2addr_stride64_b64 v1, v[55:56], v[57:58] offset0:4 offset1:5
	ds_store_2addr_stride64_b64 v1, v[51:52], v[53:54] offset0:6 offset1:7
	v_or3_b32 v2, v3, v2, 0x1e00
	ds_store_2addr_stride64_b64 v1, v[47:48], v[49:50] offset0:8 offset1:9
	ds_store_2addr_stride64_b64 v1, v[43:44], v[45:46] offset0:10 offset1:11
	;; [unrolled: 1-line block ×3, first 2 shown]
	ds_store_b64 v1, v[37:38] offset:7168
	ds_store_b64 v2, v[35:36]
	s_waitcnt lgkmcnt(0)
	s_barrier
	buffer_gl0_inv
	v_cmpx_eq_u32_e32 0, v140
	s_cbranch_execz .LBB76_11
; %bb.9:
	v_lshlrev_b32_e32 v12, 6, v139
	v_add_nc_u32_e32 v2, 1, v139
	v_add_nc_u32_e32 v3, 2, v139
	;; [unrolled: 1-line block ×3, first 2 shown]
	s_clause 0x1
	s_load_b64 s[8:9], s[0:1], 0x70
	s_load_b32 s5, s[0:1], 0x68
	v_or_b32_e32 v10, v0, v12
	v_and_or_b32 v2, v2, 63, v12
	v_and_or_b32 v3, v3, 63, v12
	;; [unrolled: 1-line block ×3, first 2 shown]
	s_delay_alu instid0(VALU_DEP_4) | instskip(NEXT) | instid1(VALU_DEP_4)
	v_lshlrev_b32_e32 v0, 3, v10
	v_lshlrev_b32_e32 v2, 3, v2
	s_delay_alu instid0(VALU_DEP_4) | instskip(NEXT) | instid1(VALU_DEP_4)
	v_lshlrev_b32_e32 v5, 3, v3
	v_lshlrev_b32_e32 v6, 3, v4
	ds_load_b64 v[0:1], v0
	ds_load_b64 v[2:3], v2
	;; [unrolled: 1-line block ×4, first 2 shown]
	s_waitcnt lgkmcnt(0)
	s_mul_i32 s1, s15, s9
	s_mul_hi_u32 s9, s15, s8
	s_mul_i32 s0, s15, s8
	s_add_i32 s1, s9, s1
	s_delay_alu instid0(SALU_CYCLE_1) | instskip(NEXT) | instid1(SALU_CYCLE_1)
	s_lshl_b64 s[0:1], s[0:1], 3
	s_add_u32 s6, s6, s0
	s_addc_u32 s7, s7, s1
	s_lshl_b64 s[0:1], s[16:17], 3
	s_delay_alu instid0(SALU_CYCLE_1) | instskip(SKIP_4) | instid1(SALU_CYCLE_1)
	s_add_u32 s6, s6, s0
	v_add_f64 v[0:1], v[0:1], 0
	s_addc_u32 s7, s7, s1
	s_mul_hi_i32 s1, s5, s12
	s_mul_i32 s0, s5, s12
	s_lshl_b64 s[0:1], s[0:1], 3
	s_delay_alu instid0(SALU_CYCLE_1) | instskip(SKIP_1) | instid1(VALU_DEP_1)
	s_add_u32 s0, s6, s0
	s_addc_u32 s1, s7, s1
	v_add_f64 v[0:1], v[0:1], v[2:3]
	v_add_nc_u32_e32 v2, 4, v139
	s_delay_alu instid0(VALU_DEP_1) | instskip(NEXT) | instid1(VALU_DEP_1)
	v_and_or_b32 v2, v2, 63, v12
	v_lshlrev_b32_e32 v2, 3, v2
	ds_load_b64 v[2:3], v2
	v_add_f64 v[0:1], v[0:1], v[4:5]
	v_add_nc_u32_e32 v4, 5, v139
	v_add_nc_u32_e32 v5, 6, v139
	s_delay_alu instid0(VALU_DEP_2) | instskip(NEXT) | instid1(VALU_DEP_2)
	v_and_or_b32 v4, v4, 63, v12
	v_and_or_b32 v5, v5, 63, v12
	s_delay_alu instid0(VALU_DEP_2) | instskip(SKIP_2) | instid1(VALU_DEP_4)
	v_lshlrev_b32_e32 v4, 3, v4
	v_add_f64 v[0:1], v[0:1], v[6:7]
	v_add_nc_u32_e32 v6, 7, v139
	v_lshlrev_b32_e32 v7, 3, v5
	s_delay_alu instid0(VALU_DEP_2) | instskip(NEXT) | instid1(VALU_DEP_1)
	v_and_or_b32 v6, v6, 63, v12
	v_lshlrev_b32_e32 v8, 3, v6
	ds_load_b64 v[4:5], v4
	ds_load_b64 v[6:7], v7
	ds_load_b64 v[8:9], v8
	s_waitcnt lgkmcnt(3)
	v_add_f64 v[0:1], v[0:1], v[2:3]
	v_add_nc_u32_e32 v2, 8, v139
	s_delay_alu instid0(VALU_DEP_1) | instskip(NEXT) | instid1(VALU_DEP_1)
	v_and_or_b32 v2, v2, 63, v12
	v_lshlrev_b32_e32 v2, 3, v2
	ds_load_b64 v[2:3], v2
	s_waitcnt lgkmcnt(3)
	v_add_f64 v[0:1], v[0:1], v[4:5]
	v_add_nc_u32_e32 v4, 9, v139
	v_add_nc_u32_e32 v5, 10, v139
	s_delay_alu instid0(VALU_DEP_2) | instskip(NEXT) | instid1(VALU_DEP_2)
	v_and_or_b32 v4, v4, 63, v12
	v_and_or_b32 v5, v5, 63, v12
	s_delay_alu instid0(VALU_DEP_2) | instskip(SKIP_4) | instid1(VALU_DEP_2)
	v_lshlrev_b32_e32 v4, 3, v4
	s_waitcnt lgkmcnt(2)
	v_add_f64 v[0:1], v[0:1], v[6:7]
	v_add_nc_u32_e32 v6, 11, v139
	v_lshlrev_b32_e32 v7, 3, v5
	v_and_or_b32 v6, v6, 63, v12
	s_waitcnt lgkmcnt(1)
	s_delay_alu instid0(VALU_DEP_4) | instskip(NEXT) | instid1(VALU_DEP_2)
	v_add_f64 v[0:1], v[0:1], v[8:9]
	v_lshlrev_b32_e32 v8, 3, v6
	ds_load_b64 v[4:5], v4
	ds_load_b64 v[6:7], v7
	ds_load_b64 v[8:9], v8
	s_waitcnt lgkmcnt(3)
	v_add_f64 v[0:1], v[0:1], v[2:3]
	v_add_nc_u32_e32 v2, 12, v139
	s_delay_alu instid0(VALU_DEP_1) | instskip(NEXT) | instid1(VALU_DEP_1)
	v_and_or_b32 v2, v2, 63, v12
	v_lshlrev_b32_e32 v2, 3, v2
	ds_load_b64 v[2:3], v2
	s_waitcnt lgkmcnt(3)
	v_add_f64 v[0:1], v[0:1], v[4:5]
	v_add_nc_u32_e32 v4, 13, v139
	v_add_nc_u32_e32 v5, 14, v139
	s_delay_alu instid0(VALU_DEP_2) | instskip(NEXT) | instid1(VALU_DEP_2)
	v_and_or_b32 v4, v4, 63, v12
	v_and_or_b32 v5, v5, 63, v12
	s_delay_alu instid0(VALU_DEP_2) | instskip(SKIP_4) | instid1(VALU_DEP_2)
	v_lshlrev_b32_e32 v4, 3, v4
	s_waitcnt lgkmcnt(2)
	v_add_f64 v[0:1], v[0:1], v[6:7]
	v_add_nc_u32_e32 v6, 15, v139
	v_lshlrev_b32_e32 v7, 3, v5
	v_and_or_b32 v6, v6, 63, v12
	s_waitcnt lgkmcnt(1)
	s_delay_alu instid0(VALU_DEP_4) | instskip(NEXT) | instid1(VALU_DEP_2)
	v_add_f64 v[0:1], v[0:1], v[8:9]
	;; [unrolled: 28-line block ×6, first 2 shown]
	v_lshlrev_b32_e32 v8, 3, v6
	ds_load_b64 v[4:5], v4
	ds_load_b64 v[6:7], v7
	ds_load_b64 v[8:9], v8
	s_waitcnt lgkmcnt(3)
	v_add_f64 v[0:1], v[0:1], v[2:3]
	v_xor_b32_e32 v2, 32, v10
	s_delay_alu instid0(VALU_DEP_1)
	v_lshlrev_b32_e32 v2, 3, v2
	ds_load_b64 v[2:3], v2
	s_waitcnt lgkmcnt(3)
	v_add_f64 v[0:1], v[0:1], v[4:5]
	v_add_nc_u32_e32 v4, 33, v139
	v_add_nc_u32_e32 v5, 34, v139
	s_delay_alu instid0(VALU_DEP_2) | instskip(NEXT) | instid1(VALU_DEP_2)
	v_and_or_b32 v4, v4, 63, v12
	v_and_or_b32 v5, v5, 63, v12
	s_delay_alu instid0(VALU_DEP_2) | instskip(SKIP_4) | instid1(VALU_DEP_2)
	v_lshlrev_b32_e32 v4, 3, v4
	s_waitcnt lgkmcnt(2)
	v_add_f64 v[0:1], v[0:1], v[6:7]
	v_add_nc_u32_e32 v6, 35, v139
	v_lshlrev_b32_e32 v7, 3, v5
	v_and_or_b32 v6, v6, 63, v12
	s_waitcnt lgkmcnt(1)
	s_delay_alu instid0(VALU_DEP_4) | instskip(NEXT) | instid1(VALU_DEP_2)
	v_add_f64 v[0:1], v[0:1], v[8:9]
	v_lshlrev_b32_e32 v8, 3, v6
	ds_load_b64 v[4:5], v4
	ds_load_b64 v[6:7], v7
	ds_load_b64 v[8:9], v8
	s_waitcnt lgkmcnt(3)
	v_add_f64 v[0:1], v[0:1], v[2:3]
	v_add_nc_u32_e32 v2, 36, v139
	s_delay_alu instid0(VALU_DEP_1) | instskip(NEXT) | instid1(VALU_DEP_1)
	v_and_or_b32 v2, v2, 63, v12
	v_lshlrev_b32_e32 v2, 3, v2
	ds_load_b64 v[2:3], v2
	s_waitcnt lgkmcnt(3)
	v_add_f64 v[0:1], v[0:1], v[4:5]
	v_add_nc_u32_e32 v4, 37, v139
	v_add_nc_u32_e32 v5, 38, v139
	s_delay_alu instid0(VALU_DEP_2) | instskip(NEXT) | instid1(VALU_DEP_2)
	v_and_or_b32 v4, v4, 63, v12
	v_and_or_b32 v5, v5, 63, v12
	s_delay_alu instid0(VALU_DEP_2) | instskip(SKIP_4) | instid1(VALU_DEP_2)
	v_lshlrev_b32_e32 v4, 3, v4
	s_waitcnt lgkmcnt(2)
	v_add_f64 v[0:1], v[0:1], v[6:7]
	v_add_nc_u32_e32 v6, 39, v139
	v_lshlrev_b32_e32 v7, 3, v5
	v_and_or_b32 v6, v6, 63, v12
	s_waitcnt lgkmcnt(1)
	s_delay_alu instid0(VALU_DEP_4) | instskip(NEXT) | instid1(VALU_DEP_2)
	v_add_f64 v[0:1], v[0:1], v[8:9]
	v_lshlrev_b32_e32 v8, 3, v6
	ds_load_b64 v[4:5], v4
	ds_load_b64 v[6:7], v7
	ds_load_b64 v[8:9], v8
	s_waitcnt lgkmcnt(3)
	v_add_f64 v[0:1], v[0:1], v[2:3]
	v_add_nc_u32_e32 v2, 40, v139
	s_delay_alu instid0(VALU_DEP_1) | instskip(NEXT) | instid1(VALU_DEP_1)
	v_and_or_b32 v2, v2, 63, v12
	;; [unrolled: 28-line block ×6, first 2 shown]
	v_lshlrev_b32_e32 v2, 3, v2
	ds_load_b64 v[2:3], v2
	s_waitcnt lgkmcnt(3)
	v_add_f64 v[0:1], v[0:1], v[4:5]
	v_add_nc_u32_e32 v4, 57, v139
	v_add_nc_u32_e32 v5, 58, v139
	s_delay_alu instid0(VALU_DEP_2) | instskip(NEXT) | instid1(VALU_DEP_2)
	v_and_or_b32 v4, v4, 63, v12
	v_and_or_b32 v5, v5, 63, v12
	s_delay_alu instid0(VALU_DEP_2) | instskip(NEXT) | instid1(VALU_DEP_2)
	v_lshlrev_b32_e32 v4, 3, v4
	v_lshlrev_b32_e32 v5, 3, v5
	s_waitcnt lgkmcnt(2)
	v_add_f64 v[0:1], v[0:1], v[6:7]
	v_add_nc_u32_e32 v6, 59, v139
	s_delay_alu instid0(VALU_DEP_1) | instskip(NEXT) | instid1(VALU_DEP_1)
	v_and_or_b32 v6, v6, 63, v12
	v_lshlrev_b32_e32 v10, 3, v6
	s_waitcnt lgkmcnt(1)
	s_delay_alu instid0(VALU_DEP_4)
	v_add_f64 v[0:1], v[0:1], v[8:9]
	ds_load_b64 v[6:7], v4
	ds_load_b64 v[8:9], v5
	;; [unrolled: 1-line block ×3, first 2 shown]
	s_waitcnt lgkmcnt(3)
	v_add_f64 v[0:1], v[0:1], v[2:3]
	v_mad_i64_i32 v[2:3], null, s5, v139, 0
	s_delay_alu instid0(VALU_DEP_1) | instskip(NEXT) | instid1(VALU_DEP_1)
	v_lshlrev_b64 v[2:3], 3, v[2:3]
	v_add_co_u32 v4, vcc_lo, s0, v2
	s_delay_alu instid0(VALU_DEP_2) | instskip(SKIP_4) | instid1(VALU_DEP_1)
	v_add_co_ci_u32_e32 v5, vcc_lo, s1, v3, vcc_lo
	global_load_b64 v[2:3], v[4:5], off
	s_waitcnt lgkmcnt(2)
	v_add_f64 v[0:1], v[0:1], v[6:7]
	v_add_nc_u32_e32 v6, 60, v139
	v_and_or_b32 v6, v6, 63, v12
	s_delay_alu instid0(VALU_DEP_1)
	v_lshlrev_b32_e32 v6, 3, v6
	ds_load_b64 v[6:7], v6
	s_waitcnt lgkmcnt(2)
	v_add_f64 v[0:1], v[0:1], v[8:9]
	v_add_nc_u32_e32 v8, 61, v139
	v_add_nc_u32_e32 v9, 62, v139
	s_delay_alu instid0(VALU_DEP_2) | instskip(NEXT) | instid1(VALU_DEP_2)
	v_and_or_b32 v8, v8, 63, v12
	v_and_or_b32 v9, v9, 63, v12
	s_delay_alu instid0(VALU_DEP_2) | instskip(SKIP_4) | instid1(VALU_DEP_2)
	v_lshlrev_b32_e32 v8, 3, v8
	s_waitcnt lgkmcnt(1)
	v_add_f64 v[0:1], v[0:1], v[10:11]
	v_add_nc_u32_e32 v10, -1, v139
	v_lshlrev_b32_e32 v11, 3, v9
	v_and_or_b32 v10, v10, 63, v12
	s_delay_alu instid0(VALU_DEP_1)
	v_lshlrev_b32_e32 v12, 3, v10
	ds_load_b64 v[8:9], v8
	ds_load_b64 v[10:11], v11
	ds_load_b64 v[12:13], v12
	s_waitcnt lgkmcnt(3)
	v_add_f64 v[0:1], v[0:1], v[6:7]
	s_waitcnt lgkmcnt(2)
	s_delay_alu instid0(VALU_DEP_1) | instskip(SKIP_1) | instid1(VALU_DEP_1)
	v_add_f64 v[0:1], v[0:1], v[8:9]
	s_waitcnt lgkmcnt(1)
	v_add_f64 v[0:1], v[0:1], v[10:11]
	s_waitcnt lgkmcnt(0)
	s_delay_alu instid0(VALU_DEP_1) | instskip(NEXT) | instid1(VALU_DEP_1)
	v_add_f64 v[0:1], v[0:1], v[12:13]
	v_mul_f64 v[6:7], s[2:3], v[0:1]
.LBB76_10:                              ; =>This Inner Loop Header: Depth=1
	s_waitcnt vmcnt(0)
	s_delay_alu instid0(VALU_DEP_1)
	v_add_f64 v[0:1], v[2:3], v[6:7]
	global_atomic_cmpswap_b64 v[0:1], v[4:5], v[0:3], off glc
	s_waitcnt vmcnt(0)
	v_cmp_eq_u64_e32 vcc_lo, v[0:1], v[2:3]
	v_dual_mov_b32 v3, v1 :: v_dual_mov_b32 v2, v0
	s_or_b32 s4, vcc_lo, s4
	s_delay_alu instid0(SALU_CYCLE_1)
	s_and_not1_b32 exec_lo, exec_lo, s4
	s_cbranch_execnz .LBB76_10
.LBB76_11:
	s_endpgm
	.section	.rodata,"a",@progbits
	.p2align	6, 0x0
	.amdhsa_kernel _ZL36rocblas_gemvt_double_buffered_kernelILb0ELi128ELi4ELi16EdPKddEviiT4_lPKT3_lilS5_lilPT5_lili
		.amdhsa_group_segment_fixed_size 65536
		.amdhsa_private_segment_fixed_size 0
		.amdhsa_kernarg_size 384
		.amdhsa_user_sgpr_count 13
		.amdhsa_user_sgpr_dispatch_ptr 0
		.amdhsa_user_sgpr_queue_ptr 0
		.amdhsa_user_sgpr_kernarg_segment_ptr 1
		.amdhsa_user_sgpr_dispatch_id 0
		.amdhsa_user_sgpr_private_segment_size 0
		.amdhsa_wavefront_size32 1
		.amdhsa_uses_dynamic_stack 0
		.amdhsa_enable_private_segment 0
		.amdhsa_system_sgpr_workgroup_id_x 1
		.amdhsa_system_sgpr_workgroup_id_y 1
		.amdhsa_system_sgpr_workgroup_id_z 1
		.amdhsa_system_sgpr_workgroup_info 0
		.amdhsa_system_vgpr_workitem_id 1
		.amdhsa_next_free_vgpr 174
		.amdhsa_next_free_sgpr 36
		.amdhsa_reserve_vcc 1
		.amdhsa_float_round_mode_32 0
		.amdhsa_float_round_mode_16_64 0
		.amdhsa_float_denorm_mode_32 3
		.amdhsa_float_denorm_mode_16_64 3
		.amdhsa_dx10_clamp 1
		.amdhsa_ieee_mode 1
		.amdhsa_fp16_overflow 0
		.amdhsa_workgroup_processor_mode 1
		.amdhsa_memory_ordered 1
		.amdhsa_forward_progress 0
		.amdhsa_shared_vgpr_count 0
		.amdhsa_exception_fp_ieee_invalid_op 0
		.amdhsa_exception_fp_denorm_src 0
		.amdhsa_exception_fp_ieee_div_zero 0
		.amdhsa_exception_fp_ieee_overflow 0
		.amdhsa_exception_fp_ieee_underflow 0
		.amdhsa_exception_fp_ieee_inexact 0
		.amdhsa_exception_int_div_zero 0
	.end_amdhsa_kernel
	.section	.text._ZL36rocblas_gemvt_double_buffered_kernelILb0ELi128ELi4ELi16EdPKddEviiT4_lPKT3_lilS5_lilPT5_lili,"axG",@progbits,_ZL36rocblas_gemvt_double_buffered_kernelILb0ELi128ELi4ELi16EdPKddEviiT4_lPKT3_lilS5_lilPT5_lili,comdat
.Lfunc_end76:
	.size	_ZL36rocblas_gemvt_double_buffered_kernelILb0ELi128ELi4ELi16EdPKddEviiT4_lPKT3_lilS5_lilPT5_lili, .Lfunc_end76-_ZL36rocblas_gemvt_double_buffered_kernelILb0ELi128ELi4ELi16EdPKddEviiT4_lPKT3_lilS5_lilPT5_lili
                                        ; -- End function
	.section	.AMDGPU.csdata,"",@progbits
; Kernel info:
; codeLenInByte = 6768
; NumSgprs: 38
; NumVgprs: 174
; ScratchSize: 0
; MemoryBound: 0
; FloatMode: 240
; IeeeMode: 1
; LDSByteSize: 65536 bytes/workgroup (compile time only)
; SGPRBlocks: 4
; VGPRBlocks: 21
; NumSGPRsForWavesPerEU: 38
; NumVGPRsForWavesPerEU: 174
; Occupancy: 8
; WaveLimiterHint : 0
; COMPUTE_PGM_RSRC2:SCRATCH_EN: 0
; COMPUTE_PGM_RSRC2:USER_SGPR: 13
; COMPUTE_PGM_RSRC2:TRAP_HANDLER: 0
; COMPUTE_PGM_RSRC2:TGID_X_EN: 1
; COMPUTE_PGM_RSRC2:TGID_Y_EN: 1
; COMPUTE_PGM_RSRC2:TGID_Z_EN: 1
; COMPUTE_PGM_RSRC2:TIDIG_COMP_CNT: 1
	.section	.text._ZL36rocblas_gemvt_double_buffered_kernelILb0ELi128ELi4ELi16EdddEviiT4_lPKT3_lilS3_lilPT5_lili,"axG",@progbits,_ZL36rocblas_gemvt_double_buffered_kernelILb0ELi128ELi4ELi16EdddEviiT4_lPKT3_lilS3_lilPT5_lili,comdat
	.globl	_ZL36rocblas_gemvt_double_buffered_kernelILb0ELi128ELi4ELi16EdddEviiT4_lPKT3_lilS3_lilPT5_lili ; -- Begin function _ZL36rocblas_gemvt_double_buffered_kernelILb0ELi128ELi4ELi16EdddEviiT4_lPKT3_lilS3_lilPT5_lili
	.p2align	8
	.type	_ZL36rocblas_gemvt_double_buffered_kernelILb0ELi128ELi4ELi16EdddEviiT4_lPKT3_lilS3_lilPT5_lili,@function
_ZL36rocblas_gemvt_double_buffered_kernelILb0ELi128ELi4ELi16EdddEviiT4_lPKT3_lilS3_lilPT5_lili: ; @_ZL36rocblas_gemvt_double_buffered_kernelILb0ELi128ELi4ELi16EdddEviiT4_lPKT3_lilS3_lilPT5_lili
; %bb.0:
	s_load_b64 s[2:3], s[0:1], 0x8
	s_waitcnt lgkmcnt(0)
	v_cmp_eq_f64_e64 s4, s[2:3], 0
	s_delay_alu instid0(VALU_DEP_1)
	s_and_b32 vcc_lo, exec_lo, s4
	s_cbranch_vccnz .LBB77_11
; %bb.1:
	s_clause 0x1
	s_load_b32 s4, s[0:1], 0x84
	s_load_b32 s5, s[0:1], 0x0
	s_waitcnt lgkmcnt(0)
	v_cvt_f32_u32_e32 v1, s4
	s_ashr_i32 s7, s5, 31
	s_sub_i32 s8, 0, s4
	s_lshr_b32 s7, s7, 25
	s_delay_alu instid0(SALU_CYCLE_1) | instskip(SKIP_4) | instid1(VALU_DEP_1)
	s_add_i32 s5, s5, s7
	v_rcp_iflag_f32_e32 v1, v1
	s_ashr_i32 s5, s5, 7
	s_waitcnt_depctr 0xfff
	v_mul_f32_e32 v1, 0x4f7ffffe, v1
	v_cvt_u32_f32_e32 v1, v1
	s_delay_alu instid0(VALU_DEP_1) | instskip(NEXT) | instid1(VALU_DEP_1)
	v_readfirstlane_b32 s6, v1
	s_mul_i32 s8, s8, s6
	s_delay_alu instid0(SALU_CYCLE_1) | instskip(NEXT) | instid1(SALU_CYCLE_1)
	s_mul_hi_u32 s7, s6, s8
	s_add_i32 s6, s6, s7
	s_delay_alu instid0(SALU_CYCLE_1) | instskip(NEXT) | instid1(SALU_CYCLE_1)
	s_mul_hi_u32 s6, s5, s6
	s_mul_i32 s7, s6, s4
	s_add_i32 s8, s6, 1
	s_sub_i32 s7, s5, s7
	s_delay_alu instid0(SALU_CYCLE_1)
	s_sub_i32 s9, s7, s4
	s_cmp_ge_u32 s7, s4
	s_cselect_b32 s6, s8, s6
	s_cselect_b32 s7, s9, s7
	s_add_i32 s8, s6, 1
	s_cmp_ge_u32 s7, s4
	s_cselect_b32 s8, s8, s6
	s_delay_alu instid0(SALU_CYCLE_1) | instskip(NEXT) | instid1(SALU_CYCLE_1)
	s_mul_i32 s4, s8, s4
	s_sub_i32 s9, s5, s4
	s_delay_alu instid0(SALU_CYCLE_1) | instskip(SKIP_1) | instid1(SALU_CYCLE_1)
	s_cmp_lt_u32 s14, s9
	s_cselect_b32 s4, -1, 0
	s_cmp_lg_u32 s4, 0
	s_addc_u32 s28, s8, 0
	s_delay_alu instid0(SALU_CYCLE_1)
	s_cmp_eq_u32 s28, 0
	s_cbranch_scc1 .LBB77_11
; %bb.2:
	v_and_b32_e32 v139, 0x3ff, v0
	v_bfe_u32 v140, v0, 10, 10
	s_clause 0x1
	s_load_b128 s[4:7], s[0:1], 0x50
	s_load_b64 s[16:17], s[0:1], 0x60
	v_mov_b32_e32 v35, 0
	v_mov_b32_e32 v36, 0
	v_and_b32_e32 v0, 63, v139
	v_lshl_add_u32 v65, v140, 7, v139
	s_lshl_b32 s12, s13, 7
	s_delay_alu instid0(VALU_DEP_3) | instskip(SKIP_1) | instid1(VALU_DEP_3)
	v_dual_mov_b32 v33, v35 :: v_dual_mov_b32 v34, v36
	v_dual_mov_b32 v38, v36 :: v_dual_mov_b32 v37, v35
	v_lshrrev_b32_e32 v141, 2, v65
	v_dual_mov_b32 v40, v36 :: v_dual_mov_b32 v39, v35
	v_mov_b32_e32 v50, v36
	v_dual_mov_b32 v42, v36 :: v_dual_mov_b32 v41, v35
	s_delay_alu instid0(VALU_DEP_4)
	v_dual_mov_b32 v46, v36 :: v_dual_and_b32 v143, 0x7ff0, v141
	v_dual_mov_b32 v45, v35 :: v_dual_mov_b32 v44, v36
	v_dual_mov_b32 v43, v35 :: v_dual_lshlrev_b32 v142, 3, v0
	v_dual_mov_b32 v49, v35 :: v_dual_mov_b32 v48, v36
	v_dual_mov_b32 v47, v35 :: v_dual_mov_b32 v54, v36
	;; [unrolled: 1-line block ×8, first 2 shown]
	v_mov_b32_e32 v63, v35
	s_ashr_i32 s13, s12, 31
	s_cmp_lt_i32 s28, 1
	s_cbranch_scc1 .LBB77_8
; %bb.3:
	v_cvt_f64_i32_e32 v[1:2], s14
	v_cvt_f64_u32_e32 v[3:4], s9
	s_mul_i32 s8, s8, s14
	s_clause 0x2
	s_load_b128 s[24:27], s[0:1], 0x30
	s_load_b32 s18, s[0:1], 0x28
	s_load_b32 s20, s[0:1], 0x48
	v_cvt_f64_u32_e32 v[5:6], s8
	s_clause 0x1
	s_load_b128 s[8:11], s[0:1], 0x18
	s_load_b64 s[30:31], s[0:1], 0x40
	s_waitcnt lgkmcnt(0)
	s_mul_i32 s5, s15, s5
	s_mul_hi_u32 s14, s15, s4
	s_mul_i32 s4, s15, s4
	v_mov_b32_e32 v33, 0
	v_dual_mov_b32 v34, 0 :: v_dual_lshlrev_b32 v35, 1, v65
	s_delay_alu instid0(VALU_DEP_1) | instskip(NEXT) | instid1(VALU_DEP_3)
	v_dual_mov_b32 v64, v34 :: v_dual_and_b32 v65, 0x7ff80, v35
	v_dual_mov_b32 v60, v34 :: v_dual_mov_b32 v63, v33
	v_dual_mov_b32 v62, v34 :: v_dual_mov_b32 v59, v33
	v_mov_b32_e32 v56, v34
	s_mul_i32 s19, s15, s25
	s_mul_hi_u32 s21, s15, s24
	s_mul_i32 s22, s15, s24
	s_add_i32 s23, s21, s19
	s_ashr_i32 s19, s18, 31
	s_lshl_b64 s[22:23], s[22:23], 3
	s_ashr_i32 s21, s20, 31
	s_add_u32 s29, s8, s22
	s_addc_u32 s33, s9, s23
	s_lshl_b64 s[24:25], s[10:11], 3
	s_mul_hi_i32 s11, s18, s12
	s_add_u32 s34, s29, s24
	s_addc_u32 s33, s33, s25
	s_add_i32 s5, s14, s5
	s_mul_i32 s10, s18, s12
	s_lshl_b64 s[4:5], s[4:5], 3
	v_dual_mov_b32 v61, v33 :: v_dual_mov_b32 v58, v34
	v_min_f64 v[1:2], v[1:2], v[3:4]
	s_add_u32 s14, s26, s4
	s_addc_u32 s26, s27, s5
	s_lshl_b64 s[4:5], s[30:31], 3
	v_dual_mov_b32 v55, v33 :: v_dual_mov_b32 v52, v34
	s_add_u32 s14, s14, s4
	s_addc_u32 s29, s26, s5
	s_lshl_b64 s[4:5], s[10:11], 3
	v_dual_mov_b32 v57, v33 :: v_dual_mov_b32 v54, v34
	s_add_u32 s10, s34, s4
	s_addc_u32 s11, s33, s5
	v_dual_mov_b32 v51, v33 :: v_dual_mov_b32 v48, v34
	v_dual_mov_b32 v53, v33 :: v_dual_mov_b32 v50, v34
	;; [unrolled: 1-line block ×8, first 2 shown]
	v_add_f64 v[1:2], v[1:2], v[5:6]
	s_delay_alu instid0(VALU_DEP_1) | instskip(SKIP_1) | instid1(VALU_DEP_1)
	v_cvt_i32_f64_e32 v4, v[1:2]
	v_mov_b32_e32 v1, 0
	v_mad_i64_i32 v[2:3], null, s18, v143, v[0:1]
	s_delay_alu instid0(VALU_DEP_1) | instskip(NEXT) | instid1(VALU_DEP_4)
	v_lshlrev_b64 v[1:2], 3, v[2:3]
	v_readfirstlane_b32 s26, v4
	s_delay_alu instid0(VALU_DEP_1) | instskip(NEXT) | instid1(SALU_CYCLE_1)
	s_lshl_b32 s4, s26, 7
	s_ashr_i32 s5, s4, 31
	s_delay_alu instid0(SALU_CYCLE_1) | instskip(NEXT) | instid1(SALU_CYCLE_1)
	s_lshl_b64 s[26:27], s[4:5], 3
	s_add_u32 s4, s10, s26
	s_addc_u32 s5, s11, s27
	v_add_co_u32 v1, vcc_lo, s4, v1
	v_add_co_ci_u32_e32 v2, vcc_lo, s5, v2, vcc_lo
	s_lshl_b64 s[4:5], s[18:19], 3
	s_lshl_b64 s[34:35], s[12:13], 3
	v_or_b32_e32 v67, s26, v142
	s_delay_alu instid0(VALU_DEP_2) | instskip(SKIP_2) | instid1(VALU_DEP_1)
	v_mad_i64_i32 v[31:32], null, 0x78, s18, v[1:2]
	global_load_b64 v[1:2], v[1:2], off
	v_add_co_u32 v69, s13, v65, s34
	v_add_co_ci_u32_e64 v68, null, 0, s35, s13
	s_add_i32 s30, s28, -1
	v_sub_co_u32 v3, vcc_lo, v31, s4
	v_subrev_co_ci_u32_e32 v4, vcc_lo, s5, v32, vcc_lo
	s_lshl_b64 s[10:11], s[20:21], 10
	s_delay_alu instid0(VALU_DEP_2) | instskip(NEXT) | instid1(VALU_DEP_2)
	v_sub_co_u32 v5, vcc_lo, v3, s4
	v_subrev_co_ci_u32_e32 v6, vcc_lo, s5, v4, vcc_lo
	global_load_b64 v[3:4], v[3:4], off
	v_sub_co_u32 v7, vcc_lo, v5, s4
	v_subrev_co_ci_u32_e32 v8, vcc_lo, s5, v6, vcc_lo
	global_load_b64 v[5:6], v[5:6], off
	;; [unrolled: 3-line block ×9, first 2 shown]
	v_sub_co_u32 v23, vcc_lo, v21, s4
	v_subrev_co_ci_u32_e32 v24, vcc_lo, s5, v22, vcc_lo
	s_add_u32 s8, s8, s26
	s_delay_alu instid0(VALU_DEP_2) | instskip(NEXT) | instid1(VALU_DEP_2)
	v_sub_co_u32 v25, vcc_lo, v23, s4
	v_subrev_co_ci_u32_e32 v26, vcc_lo, s5, v24, vcc_lo
	s_addc_u32 s9, s9, s27
	s_delay_alu instid0(VALU_DEP_2) | instskip(NEXT) | instid1(VALU_DEP_2)
	v_sub_co_u32 v27, vcc_lo, v25, s4
	v_subrev_co_ci_u32_e32 v28, vcc_lo, s5, v26, vcc_lo
	s_add_u32 s8, s8, s24
	s_delay_alu instid0(VALU_DEP_2) | instskip(NEXT) | instid1(VALU_DEP_2)
	v_sub_co_u32 v29, vcc_lo, v27, s4
	v_subrev_co_ci_u32_e32 v30, vcc_lo, s5, v28, vcc_lo
	global_load_b64 v[21:22], v[21:22], off
	global_load_b64 v[23:24], v[23:24], off
	;; [unrolled: 1-line block ×6, first 2 shown]
	v_add_co_u32 v73, vcc_lo, v69, 8
	v_add_co_ci_u32_e32 v74, vcc_lo, 0, v68, vcc_lo
	v_add_co_u32 v75, vcc_lo, v69, 16
	v_add_co_ci_u32_e32 v76, vcc_lo, 0, v68, vcc_lo
	;; [unrolled: 2-line block ×13, first 2 shown]
	v_or_b32_e32 v71, 0x200, v67
	v_add_co_u32 v99, vcc_lo, 0x70, v69
	s_addc_u32 s9, s9, s25
	s_add_u32 s8, s8, s22
	v_add_co_ci_u32_e32 v100, vcc_lo, 0, v68, vcc_lo
	s_addc_u32 s9, s9, s23
	v_add_co_u32 v102, vcc_lo, 0x78, v69
	v_mul_lo_u32 v101, v67, s21
	v_mad_u64_u32 v[65:66], null, v67, s20, 0
	v_add_co_ci_u32_e32 v103, vcc_lo, 0, v68, vcc_lo
	v_mul_lo_u32 v104, v69, s19
	v_mul_lo_u32 v105, v68, s18
	v_mad_u64_u32 v[67:68], null, v69, s18, s[8:9]
	v_mul_lo_u32 v106, v71, s21
	v_mad_u64_u32 v[69:70], null, v71, s20, 0
	v_mad_u64_u32 v[71:72], null, v73, s18, s[8:9]
	v_mul_lo_u32 v107, v73, s19
	v_mul_lo_u32 v108, v74, s18
	v_mad_u64_u32 v[73:74], null, v75, s18, s[8:9]
	v_mul_lo_u32 v109, v75, s19
	v_mul_lo_u32 v110, v76, s18
	;; [unrolled: 3-line block ×3, first 2 shown]
	v_add3_u32 v72, v108, v72, v107
	v_mad_u64_u32 v[77:78], null, v79, s18, s[8:9]
	v_mul_lo_u32 v113, v79, s19
	v_mul_lo_u32 v114, v80, s18
	v_add3_u32 v74, v110, v74, v109
	v_add_co_u32 v144, vcc_lo, 0x400, v71
	v_mad_u64_u32 v[79:80], null, v81, s18, s[8:9]
	v_mul_lo_u32 v115, v81, s19
	v_mul_lo_u32 v116, v82, s18
	v_add_co_ci_u32_e32 v145, vcc_lo, 0, v72, vcc_lo
	v_add3_u32 v76, v112, v76, v111
	v_add_co_u32 v146, vcc_lo, 0x400, v73
	v_mad_u64_u32 v[81:82], null, v83, s18, s[8:9]
	v_mul_lo_u32 v117, v83, s19
	v_mul_lo_u32 v118, v84, s18
	v_add_co_ci_u32_e32 v147, vcc_lo, 0, v74, vcc_lo
	;; [unrolled: 6-line block ×11, first 2 shown]
	v_add3_u32 v96, v132, v96, v131
	v_add_co_u32 v166, vcc_lo, 0x400, v93
	v_add_co_ci_u32_e32 v167, vcc_lo, 0, v94, vcc_lo
	v_add3_u32 v98, v134, v98, v133
	v_add_co_u32 v168, vcc_lo, 0x400, v95
	v_add_co_ci_u32_e32 v169, vcc_lo, 0, v96, vcc_lo
	;; [unrolled: 3-line block ×3, first 2 shown]
	v_add_co_u32 v172, vcc_lo, 0x400, v99
	v_mov_b32_e32 v37, v33
	v_mov_b32_e32 v35, v33
	v_add_co_ci_u32_e32 v173, vcc_lo, 0, v100, vcc_lo
	s_mul_i32 s31, s27, s20
	v_add3_u32 v68, v105, v68, v104
	v_add3_u32 v66, v66, v101, s31
	;; [unrolled: 1-line block ×3, first 2 shown]
	s_mov_b32 s8, 0
	s_waitcnt vmcnt(15)
	v_dual_mov_b32 v72, v2 :: v_dual_mov_b32 v71, v1
	s_waitcnt vmcnt(14)
	v_dual_mov_b32 v100, v4 :: v_dual_mov_b32 v99, v3
	;; [unrolled: 2-line block ×10, first 2 shown]
	s_waitcnt vmcnt(5)
	v_mov_b32_e32 v82, v22
	s_waitcnt vmcnt(4)
	v_mov_b32_e32 v80, v24
	s_waitcnt vmcnt(3)
	v_dual_mov_b32 v78, v26 :: v_dual_mov_b32 v81, v21
	s_waitcnt vmcnt(2)
	v_dual_mov_b32 v76, v28 :: v_dual_mov_b32 v79, v23
	;; [unrolled: 2-line block ×4, first 2 shown]
	v_mov_b32_e32 v73, v29
	v_mov_b32_e32 v101, v31
.LBB77_4:                               ; =>This Inner Loop Header: Depth=1
	v_add_co_u32 v137, vcc_lo, v67, v142
	v_add_co_ci_u32_e32 v138, vcc_lo, 0, v68, vcc_lo
	s_cmp_lg_u32 s30, s8
	s_delay_alu instid0(VALU_DEP_2) | instskip(NEXT) | instid1(VALU_DEP_2)
	v_add_co_u32 v103, vcc_lo, 0x200, v137
	v_add_co_ci_u32_e32 v104, vcc_lo, 0, v138, vcc_lo
	s_delay_alu instid0(VALU_DEP_2) | instskip(NEXT) | instid1(VALU_DEP_2)
	v_add_co_u32 v105, vcc_lo, v103, s4
	v_add_co_ci_u32_e32 v106, vcc_lo, s5, v104, vcc_lo
	;; [unrolled: 3-line block ×5, first 2 shown]
	s_clause 0x3
	global_load_b64 v[103:104], v[137:138], off offset:512
	global_load_b64 v[105:106], v[105:106], off
	global_load_b64 v[107:108], v[107:108], off
	;; [unrolled: 1-line block ×3, first 2 shown]
	v_add_co_u32 v113, vcc_lo, v111, s4
	v_add_co_ci_u32_e32 v114, vcc_lo, s5, v112, vcc_lo
	global_load_b64 v[111:112], v[111:112], off
	v_add_co_u32 v115, vcc_lo, v113, s4
	v_add_co_ci_u32_e32 v116, vcc_lo, s5, v114, vcc_lo
	global_load_b64 v[113:114], v[113:114], off
	;; [unrolled: 3-line block ×8, first 2 shown]
	v_add_co_u32 v129, vcc_lo, v127, s4
	v_add_co_ci_u32_e32 v130, vcc_lo, s5, v128, vcc_lo
	s_delay_alu instid0(VALU_DEP_2) | instskip(NEXT) | instid1(VALU_DEP_2)
	v_add_co_u32 v131, vcc_lo, v129, s4
	v_add_co_ci_u32_e32 v132, vcc_lo, s5, v130, vcc_lo
	s_delay_alu instid0(VALU_DEP_2) | instskip(NEXT) | instid1(VALU_DEP_2)
	v_add_co_u32 v133, vcc_lo, v131, s4
	v_add_co_ci_u32_e32 v134, vcc_lo, s5, v132, vcc_lo
	v_add_co_u32 v135, vcc_lo, s14, v65
	v_add_co_ci_u32_e32 v136, vcc_lo, s29, v66, vcc_lo
	global_load_b64 v[127:128], v[127:128], off
	global_load_b64 v[129:130], v[129:130], off
	;; [unrolled: 1-line block ×5, first 2 shown]
	s_cbranch_scc0 .LBB77_6
; %bb.5:                                ;   in Loop: Header=BB77_4 Depth=1
	v_add_co_u32 v73, vcc_lo, v144, v142
	v_add_co_ci_u32_e32 v74, vcc_lo, 0, v145, vcc_lo
	v_add_co_u32 v75, vcc_lo, v146, v142
	v_add_co_ci_u32_e32 v76, vcc_lo, 0, v147, vcc_lo
	;; [unrolled: 2-line block ×15, first 2 shown]
	global_load_b64 v[71:72], v[137:138], off offset:1024
	global_load_b64 v[73:74], v[73:74], off
	global_load_b64 v[75:76], v[75:76], off
	global_load_b64 v[77:78], v[77:78], off
	global_load_b64 v[79:80], v[79:80], off
	global_load_b64 v[81:82], v[81:82], off
	global_load_b64 v[83:84], v[83:84], off
	global_load_b64 v[85:86], v[85:86], off
	global_load_b64 v[87:88], v[87:88], off
	global_load_b64 v[89:90], v[89:90], off
	global_load_b64 v[91:92], v[91:92], off
	global_load_b64 v[93:94], v[93:94], off
	global_load_b64 v[95:96], v[95:96], off
	global_load_b64 v[97:98], v[97:98], off
	global_load_b64 v[99:100], v[99:100], off
	global_load_b64 v[101:102], v[101:102], off
.LBB77_6:                               ;   in Loop: Header=BB77_4 Depth=1
	v_add_co_u32 v137, vcc_lo, s14, v69
	v_add_co_ci_u32_e32 v138, vcc_lo, s29, v70, vcc_lo
	s_waitcnt vmcnt(0)
	v_fma_f64 v[1:2], v[1:2], v[135:136], v[33:34]
	v_fma_f64 v[29:30], v[29:30], v[135:136], v[63:64]
	;; [unrolled: 1-line block ×3, first 2 shown]
	global_load_b64 v[137:138], v[137:138], off
	v_fma_f64 v[25:26], v[25:26], v[135:136], v[61:62]
	v_fma_f64 v[23:24], v[23:24], v[135:136], v[55:56]
	;; [unrolled: 1-line block ×13, first 2 shown]
	v_add_co_u32 v144, vcc_lo, 0x400, v144
	v_add_co_ci_u32_e32 v145, vcc_lo, 0, v145, vcc_lo
	v_add_co_u32 v146, vcc_lo, 0x400, v146
	v_add_co_ci_u32_e32 v147, vcc_lo, 0, v147, vcc_lo
	;; [unrolled: 2-line block ×15, first 2 shown]
	v_add_co_u32 v67, vcc_lo, 0x400, v67
	s_add_i32 s8, s8, 1
	v_add_co_ci_u32_e32 v68, vcc_lo, 0, v68, vcc_lo
	s_add_u32 s14, s14, s10
	s_addc_u32 s29, s29, s11
	s_cmp_ge_i32 s8, s28
	s_waitcnt vmcnt(0)
	v_fma_f64 v[33:34], v[103:104], v[137:138], v[1:2]
	v_fma_f64 v[63:64], v[105:106], v[137:138], v[29:30]
	;; [unrolled: 1-line block ×16, first 2 shown]
	s_cbranch_scc1 .LBB77_8
; %bb.7:                                ;   in Loop: Header=BB77_4 Depth=1
	v_dual_mov_b32 v1, v71 :: v_dual_mov_b32 v2, v72
	v_dual_mov_b32 v29, v73 :: v_dual_mov_b32 v30, v74
	;; [unrolled: 1-line block ×16, first 2 shown]
	s_branch .LBB77_4
.LBB77_8:
	v_lshlrev_b32_e32 v2, 3, v139
	v_lshlrev_b32_e32 v3, 9, v141
	v_lshl_or_b32 v1, v143, 9, v142
	s_waitcnt lgkmcnt(0)
	s_mov_b32 s4, 0
	s_mov_b32 s5, exec_lo
	ds_store_2addr_stride64_b64 v1, v[33:34], v[63:64] offset1:1
	ds_store_2addr_stride64_b64 v1, v[59:60], v[61:62] offset0:2 offset1:3
	ds_store_2addr_stride64_b64 v1, v[55:56], v[57:58] offset0:4 offset1:5
	;; [unrolled: 1-line block ×3, first 2 shown]
	v_or3_b32 v2, v3, v2, 0x1e00
	ds_store_2addr_stride64_b64 v1, v[47:48], v[49:50] offset0:8 offset1:9
	ds_store_2addr_stride64_b64 v1, v[43:44], v[45:46] offset0:10 offset1:11
	;; [unrolled: 1-line block ×3, first 2 shown]
	ds_store_b64 v1, v[37:38] offset:7168
	ds_store_b64 v2, v[35:36]
	s_waitcnt lgkmcnt(0)
	s_barrier
	buffer_gl0_inv
	v_cmpx_eq_u32_e32 0, v140
	s_cbranch_execz .LBB77_11
; %bb.9:
	v_lshlrev_b32_e32 v12, 6, v139
	v_add_nc_u32_e32 v2, 1, v139
	v_add_nc_u32_e32 v3, 2, v139
	;; [unrolled: 1-line block ×3, first 2 shown]
	s_clause 0x1
	s_load_b64 s[8:9], s[0:1], 0x70
	s_load_b32 s5, s[0:1], 0x68
	v_or_b32_e32 v10, v0, v12
	v_and_or_b32 v2, v2, 63, v12
	v_and_or_b32 v3, v3, 63, v12
	;; [unrolled: 1-line block ×3, first 2 shown]
	s_delay_alu instid0(VALU_DEP_4) | instskip(NEXT) | instid1(VALU_DEP_4)
	v_lshlrev_b32_e32 v0, 3, v10
	v_lshlrev_b32_e32 v2, 3, v2
	s_delay_alu instid0(VALU_DEP_4) | instskip(NEXT) | instid1(VALU_DEP_4)
	v_lshlrev_b32_e32 v5, 3, v3
	v_lshlrev_b32_e32 v6, 3, v4
	ds_load_b64 v[0:1], v0
	ds_load_b64 v[2:3], v2
	;; [unrolled: 1-line block ×4, first 2 shown]
	s_waitcnt lgkmcnt(0)
	s_mul_i32 s1, s15, s9
	s_mul_hi_u32 s9, s15, s8
	s_mul_i32 s0, s15, s8
	s_add_i32 s1, s9, s1
	s_delay_alu instid0(SALU_CYCLE_1) | instskip(NEXT) | instid1(SALU_CYCLE_1)
	s_lshl_b64 s[0:1], s[0:1], 3
	s_add_u32 s6, s6, s0
	s_addc_u32 s7, s7, s1
	s_lshl_b64 s[0:1], s[16:17], 3
	s_delay_alu instid0(SALU_CYCLE_1) | instskip(SKIP_4) | instid1(SALU_CYCLE_1)
	s_add_u32 s6, s6, s0
	v_add_f64 v[0:1], v[0:1], 0
	s_addc_u32 s7, s7, s1
	s_mul_hi_i32 s1, s5, s12
	s_mul_i32 s0, s5, s12
	s_lshl_b64 s[0:1], s[0:1], 3
	s_delay_alu instid0(SALU_CYCLE_1) | instskip(SKIP_1) | instid1(VALU_DEP_1)
	s_add_u32 s0, s6, s0
	s_addc_u32 s1, s7, s1
	v_add_f64 v[0:1], v[0:1], v[2:3]
	v_add_nc_u32_e32 v2, 4, v139
	s_delay_alu instid0(VALU_DEP_1) | instskip(NEXT) | instid1(VALU_DEP_1)
	v_and_or_b32 v2, v2, 63, v12
	v_lshlrev_b32_e32 v2, 3, v2
	ds_load_b64 v[2:3], v2
	v_add_f64 v[0:1], v[0:1], v[4:5]
	v_add_nc_u32_e32 v4, 5, v139
	v_add_nc_u32_e32 v5, 6, v139
	s_delay_alu instid0(VALU_DEP_2) | instskip(NEXT) | instid1(VALU_DEP_2)
	v_and_or_b32 v4, v4, 63, v12
	v_and_or_b32 v5, v5, 63, v12
	s_delay_alu instid0(VALU_DEP_2) | instskip(SKIP_2) | instid1(VALU_DEP_4)
	v_lshlrev_b32_e32 v4, 3, v4
	v_add_f64 v[0:1], v[0:1], v[6:7]
	v_add_nc_u32_e32 v6, 7, v139
	v_lshlrev_b32_e32 v7, 3, v5
	s_delay_alu instid0(VALU_DEP_2) | instskip(NEXT) | instid1(VALU_DEP_1)
	v_and_or_b32 v6, v6, 63, v12
	v_lshlrev_b32_e32 v8, 3, v6
	ds_load_b64 v[4:5], v4
	ds_load_b64 v[6:7], v7
	ds_load_b64 v[8:9], v8
	s_waitcnt lgkmcnt(3)
	v_add_f64 v[0:1], v[0:1], v[2:3]
	v_add_nc_u32_e32 v2, 8, v139
	s_delay_alu instid0(VALU_DEP_1) | instskip(NEXT) | instid1(VALU_DEP_1)
	v_and_or_b32 v2, v2, 63, v12
	v_lshlrev_b32_e32 v2, 3, v2
	ds_load_b64 v[2:3], v2
	s_waitcnt lgkmcnt(3)
	v_add_f64 v[0:1], v[0:1], v[4:5]
	v_add_nc_u32_e32 v4, 9, v139
	v_add_nc_u32_e32 v5, 10, v139
	s_delay_alu instid0(VALU_DEP_2) | instskip(NEXT) | instid1(VALU_DEP_2)
	v_and_or_b32 v4, v4, 63, v12
	v_and_or_b32 v5, v5, 63, v12
	s_delay_alu instid0(VALU_DEP_2) | instskip(SKIP_4) | instid1(VALU_DEP_2)
	v_lshlrev_b32_e32 v4, 3, v4
	s_waitcnt lgkmcnt(2)
	v_add_f64 v[0:1], v[0:1], v[6:7]
	v_add_nc_u32_e32 v6, 11, v139
	v_lshlrev_b32_e32 v7, 3, v5
	v_and_or_b32 v6, v6, 63, v12
	s_waitcnt lgkmcnt(1)
	s_delay_alu instid0(VALU_DEP_4) | instskip(NEXT) | instid1(VALU_DEP_2)
	v_add_f64 v[0:1], v[0:1], v[8:9]
	v_lshlrev_b32_e32 v8, 3, v6
	ds_load_b64 v[4:5], v4
	ds_load_b64 v[6:7], v7
	ds_load_b64 v[8:9], v8
	s_waitcnt lgkmcnt(3)
	v_add_f64 v[0:1], v[0:1], v[2:3]
	v_add_nc_u32_e32 v2, 12, v139
	s_delay_alu instid0(VALU_DEP_1) | instskip(NEXT) | instid1(VALU_DEP_1)
	v_and_or_b32 v2, v2, 63, v12
	v_lshlrev_b32_e32 v2, 3, v2
	ds_load_b64 v[2:3], v2
	s_waitcnt lgkmcnt(3)
	v_add_f64 v[0:1], v[0:1], v[4:5]
	v_add_nc_u32_e32 v4, 13, v139
	v_add_nc_u32_e32 v5, 14, v139
	s_delay_alu instid0(VALU_DEP_2) | instskip(NEXT) | instid1(VALU_DEP_2)
	v_and_or_b32 v4, v4, 63, v12
	v_and_or_b32 v5, v5, 63, v12
	s_delay_alu instid0(VALU_DEP_2) | instskip(SKIP_4) | instid1(VALU_DEP_2)
	v_lshlrev_b32_e32 v4, 3, v4
	s_waitcnt lgkmcnt(2)
	v_add_f64 v[0:1], v[0:1], v[6:7]
	v_add_nc_u32_e32 v6, 15, v139
	v_lshlrev_b32_e32 v7, 3, v5
	v_and_or_b32 v6, v6, 63, v12
	s_waitcnt lgkmcnt(1)
	s_delay_alu instid0(VALU_DEP_4) | instskip(NEXT) | instid1(VALU_DEP_2)
	v_add_f64 v[0:1], v[0:1], v[8:9]
	;; [unrolled: 28-line block ×6, first 2 shown]
	v_lshlrev_b32_e32 v8, 3, v6
	ds_load_b64 v[4:5], v4
	ds_load_b64 v[6:7], v7
	;; [unrolled: 1-line block ×3, first 2 shown]
	s_waitcnt lgkmcnt(3)
	v_add_f64 v[0:1], v[0:1], v[2:3]
	v_xor_b32_e32 v2, 32, v10
	s_delay_alu instid0(VALU_DEP_1)
	v_lshlrev_b32_e32 v2, 3, v2
	ds_load_b64 v[2:3], v2
	s_waitcnt lgkmcnt(3)
	v_add_f64 v[0:1], v[0:1], v[4:5]
	v_add_nc_u32_e32 v4, 33, v139
	v_add_nc_u32_e32 v5, 34, v139
	s_delay_alu instid0(VALU_DEP_2) | instskip(NEXT) | instid1(VALU_DEP_2)
	v_and_or_b32 v4, v4, 63, v12
	v_and_or_b32 v5, v5, 63, v12
	s_delay_alu instid0(VALU_DEP_2) | instskip(SKIP_4) | instid1(VALU_DEP_2)
	v_lshlrev_b32_e32 v4, 3, v4
	s_waitcnt lgkmcnt(2)
	v_add_f64 v[0:1], v[0:1], v[6:7]
	v_add_nc_u32_e32 v6, 35, v139
	v_lshlrev_b32_e32 v7, 3, v5
	v_and_or_b32 v6, v6, 63, v12
	s_waitcnt lgkmcnt(1)
	s_delay_alu instid0(VALU_DEP_4) | instskip(NEXT) | instid1(VALU_DEP_2)
	v_add_f64 v[0:1], v[0:1], v[8:9]
	v_lshlrev_b32_e32 v8, 3, v6
	ds_load_b64 v[4:5], v4
	ds_load_b64 v[6:7], v7
	ds_load_b64 v[8:9], v8
	s_waitcnt lgkmcnt(3)
	v_add_f64 v[0:1], v[0:1], v[2:3]
	v_add_nc_u32_e32 v2, 36, v139
	s_delay_alu instid0(VALU_DEP_1) | instskip(NEXT) | instid1(VALU_DEP_1)
	v_and_or_b32 v2, v2, 63, v12
	v_lshlrev_b32_e32 v2, 3, v2
	ds_load_b64 v[2:3], v2
	s_waitcnt lgkmcnt(3)
	v_add_f64 v[0:1], v[0:1], v[4:5]
	v_add_nc_u32_e32 v4, 37, v139
	v_add_nc_u32_e32 v5, 38, v139
	s_delay_alu instid0(VALU_DEP_2) | instskip(NEXT) | instid1(VALU_DEP_2)
	v_and_or_b32 v4, v4, 63, v12
	v_and_or_b32 v5, v5, 63, v12
	s_delay_alu instid0(VALU_DEP_2) | instskip(SKIP_4) | instid1(VALU_DEP_2)
	v_lshlrev_b32_e32 v4, 3, v4
	s_waitcnt lgkmcnt(2)
	v_add_f64 v[0:1], v[0:1], v[6:7]
	v_add_nc_u32_e32 v6, 39, v139
	v_lshlrev_b32_e32 v7, 3, v5
	v_and_or_b32 v6, v6, 63, v12
	s_waitcnt lgkmcnt(1)
	s_delay_alu instid0(VALU_DEP_4) | instskip(NEXT) | instid1(VALU_DEP_2)
	v_add_f64 v[0:1], v[0:1], v[8:9]
	v_lshlrev_b32_e32 v8, 3, v6
	ds_load_b64 v[4:5], v4
	ds_load_b64 v[6:7], v7
	ds_load_b64 v[8:9], v8
	s_waitcnt lgkmcnt(3)
	v_add_f64 v[0:1], v[0:1], v[2:3]
	v_add_nc_u32_e32 v2, 40, v139
	s_delay_alu instid0(VALU_DEP_1) | instskip(NEXT) | instid1(VALU_DEP_1)
	v_and_or_b32 v2, v2, 63, v12
	;; [unrolled: 28-line block ×6, first 2 shown]
	v_lshlrev_b32_e32 v2, 3, v2
	ds_load_b64 v[2:3], v2
	s_waitcnt lgkmcnt(3)
	v_add_f64 v[0:1], v[0:1], v[4:5]
	v_add_nc_u32_e32 v4, 57, v139
	v_add_nc_u32_e32 v5, 58, v139
	s_delay_alu instid0(VALU_DEP_2) | instskip(NEXT) | instid1(VALU_DEP_2)
	v_and_or_b32 v4, v4, 63, v12
	v_and_or_b32 v5, v5, 63, v12
	s_delay_alu instid0(VALU_DEP_2) | instskip(NEXT) | instid1(VALU_DEP_2)
	v_lshlrev_b32_e32 v4, 3, v4
	v_lshlrev_b32_e32 v5, 3, v5
	s_waitcnt lgkmcnt(2)
	v_add_f64 v[0:1], v[0:1], v[6:7]
	v_add_nc_u32_e32 v6, 59, v139
	s_delay_alu instid0(VALU_DEP_1) | instskip(NEXT) | instid1(VALU_DEP_1)
	v_and_or_b32 v6, v6, 63, v12
	v_lshlrev_b32_e32 v10, 3, v6
	s_waitcnt lgkmcnt(1)
	s_delay_alu instid0(VALU_DEP_4)
	v_add_f64 v[0:1], v[0:1], v[8:9]
	ds_load_b64 v[6:7], v4
	ds_load_b64 v[8:9], v5
	;; [unrolled: 1-line block ×3, first 2 shown]
	s_waitcnt lgkmcnt(3)
	v_add_f64 v[0:1], v[0:1], v[2:3]
	v_mad_i64_i32 v[2:3], null, s5, v139, 0
	s_delay_alu instid0(VALU_DEP_1) | instskip(NEXT) | instid1(VALU_DEP_1)
	v_lshlrev_b64 v[2:3], 3, v[2:3]
	v_add_co_u32 v4, vcc_lo, s0, v2
	s_delay_alu instid0(VALU_DEP_2) | instskip(SKIP_4) | instid1(VALU_DEP_1)
	v_add_co_ci_u32_e32 v5, vcc_lo, s1, v3, vcc_lo
	global_load_b64 v[2:3], v[4:5], off
	s_waitcnt lgkmcnt(2)
	v_add_f64 v[0:1], v[0:1], v[6:7]
	v_add_nc_u32_e32 v6, 60, v139
	v_and_or_b32 v6, v6, 63, v12
	s_delay_alu instid0(VALU_DEP_1)
	v_lshlrev_b32_e32 v6, 3, v6
	ds_load_b64 v[6:7], v6
	s_waitcnt lgkmcnt(2)
	v_add_f64 v[0:1], v[0:1], v[8:9]
	v_add_nc_u32_e32 v8, 61, v139
	v_add_nc_u32_e32 v9, 62, v139
	s_delay_alu instid0(VALU_DEP_2) | instskip(NEXT) | instid1(VALU_DEP_2)
	v_and_or_b32 v8, v8, 63, v12
	v_and_or_b32 v9, v9, 63, v12
	s_delay_alu instid0(VALU_DEP_2) | instskip(SKIP_4) | instid1(VALU_DEP_2)
	v_lshlrev_b32_e32 v8, 3, v8
	s_waitcnt lgkmcnt(1)
	v_add_f64 v[0:1], v[0:1], v[10:11]
	v_add_nc_u32_e32 v10, -1, v139
	v_lshlrev_b32_e32 v11, 3, v9
	v_and_or_b32 v10, v10, 63, v12
	s_delay_alu instid0(VALU_DEP_1)
	v_lshlrev_b32_e32 v12, 3, v10
	ds_load_b64 v[8:9], v8
	ds_load_b64 v[10:11], v11
	;; [unrolled: 1-line block ×3, first 2 shown]
	s_waitcnt lgkmcnt(3)
	v_add_f64 v[0:1], v[0:1], v[6:7]
	s_waitcnt lgkmcnt(2)
	s_delay_alu instid0(VALU_DEP_1) | instskip(SKIP_1) | instid1(VALU_DEP_1)
	v_add_f64 v[0:1], v[0:1], v[8:9]
	s_waitcnt lgkmcnt(1)
	v_add_f64 v[0:1], v[0:1], v[10:11]
	s_waitcnt lgkmcnt(0)
	s_delay_alu instid0(VALU_DEP_1) | instskip(NEXT) | instid1(VALU_DEP_1)
	v_add_f64 v[0:1], v[0:1], v[12:13]
	v_mul_f64 v[6:7], v[0:1], s[2:3]
.LBB77_10:                              ; =>This Inner Loop Header: Depth=1
	s_waitcnt vmcnt(0)
	s_delay_alu instid0(VALU_DEP_1)
	v_add_f64 v[0:1], v[2:3], v[6:7]
	global_atomic_cmpswap_b64 v[0:1], v[4:5], v[0:3], off glc
	s_waitcnt vmcnt(0)
	v_cmp_eq_u64_e32 vcc_lo, v[0:1], v[2:3]
	v_dual_mov_b32 v3, v1 :: v_dual_mov_b32 v2, v0
	s_or_b32 s4, vcc_lo, s4
	s_delay_alu instid0(SALU_CYCLE_1)
	s_and_not1_b32 exec_lo, exec_lo, s4
	s_cbranch_execnz .LBB77_10
.LBB77_11:
	s_endpgm
	.section	.rodata,"a",@progbits
	.p2align	6, 0x0
	.amdhsa_kernel _ZL36rocblas_gemvt_double_buffered_kernelILb0ELi128ELi4ELi16EdddEviiT4_lPKT3_lilS3_lilPT5_lili
		.amdhsa_group_segment_fixed_size 65536
		.amdhsa_private_segment_fixed_size 0
		.amdhsa_kernarg_size 384
		.amdhsa_user_sgpr_count 13
		.amdhsa_user_sgpr_dispatch_ptr 0
		.amdhsa_user_sgpr_queue_ptr 0
		.amdhsa_user_sgpr_kernarg_segment_ptr 1
		.amdhsa_user_sgpr_dispatch_id 0
		.amdhsa_user_sgpr_private_segment_size 0
		.amdhsa_wavefront_size32 1
		.amdhsa_uses_dynamic_stack 0
		.amdhsa_enable_private_segment 0
		.amdhsa_system_sgpr_workgroup_id_x 1
		.amdhsa_system_sgpr_workgroup_id_y 1
		.amdhsa_system_sgpr_workgroup_id_z 1
		.amdhsa_system_sgpr_workgroup_info 0
		.amdhsa_system_vgpr_workitem_id 1
		.amdhsa_next_free_vgpr 174
		.amdhsa_next_free_sgpr 36
		.amdhsa_reserve_vcc 1
		.amdhsa_float_round_mode_32 0
		.amdhsa_float_round_mode_16_64 0
		.amdhsa_float_denorm_mode_32 3
		.amdhsa_float_denorm_mode_16_64 3
		.amdhsa_dx10_clamp 1
		.amdhsa_ieee_mode 1
		.amdhsa_fp16_overflow 0
		.amdhsa_workgroup_processor_mode 1
		.amdhsa_memory_ordered 1
		.amdhsa_forward_progress 0
		.amdhsa_shared_vgpr_count 0
		.amdhsa_exception_fp_ieee_invalid_op 0
		.amdhsa_exception_fp_denorm_src 0
		.amdhsa_exception_fp_ieee_div_zero 0
		.amdhsa_exception_fp_ieee_overflow 0
		.amdhsa_exception_fp_ieee_underflow 0
		.amdhsa_exception_fp_ieee_inexact 0
		.amdhsa_exception_int_div_zero 0
	.end_amdhsa_kernel
	.section	.text._ZL36rocblas_gemvt_double_buffered_kernelILb0ELi128ELi4ELi16EdddEviiT4_lPKT3_lilS3_lilPT5_lili,"axG",@progbits,_ZL36rocblas_gemvt_double_buffered_kernelILb0ELi128ELi4ELi16EdddEviiT4_lPKT3_lilS3_lilPT5_lili,comdat
.Lfunc_end77:
	.size	_ZL36rocblas_gemvt_double_buffered_kernelILb0ELi128ELi4ELi16EdddEviiT4_lPKT3_lilS3_lilPT5_lili, .Lfunc_end77-_ZL36rocblas_gemvt_double_buffered_kernelILb0ELi128ELi4ELi16EdddEviiT4_lPKT3_lilS3_lilPT5_lili
                                        ; -- End function
	.section	.AMDGPU.csdata,"",@progbits
; Kernel info:
; codeLenInByte = 6732
; NumSgprs: 38
; NumVgprs: 174
; ScratchSize: 0
; MemoryBound: 0
; FloatMode: 240
; IeeeMode: 1
; LDSByteSize: 65536 bytes/workgroup (compile time only)
; SGPRBlocks: 4
; VGPRBlocks: 21
; NumSGPRsForWavesPerEU: 38
; NumVGPRsForWavesPerEU: 174
; Occupancy: 8
; WaveLimiterHint : 0
; COMPUTE_PGM_RSRC2:SCRATCH_EN: 0
; COMPUTE_PGM_RSRC2:USER_SGPR: 13
; COMPUTE_PGM_RSRC2:TRAP_HANDLER: 0
; COMPUTE_PGM_RSRC2:TGID_X_EN: 1
; COMPUTE_PGM_RSRC2:TGID_Y_EN: 1
; COMPUTE_PGM_RSRC2:TGID_Z_EN: 1
; COMPUTE_PGM_RSRC2:TIDIG_COMP_CNT: 1
	.section	.text._ZL32rocblas_gemvt_warp_reduce_kernelILb0ELi256EidPKddEviiT3_lPKT2_lT1_lS5_lS6_lS2_lPT4_lS6_li,"axG",@progbits,_ZL32rocblas_gemvt_warp_reduce_kernelILb0ELi256EidPKddEviiT3_lPKT2_lT1_lS5_lS6_lS2_lPT4_lS6_li,comdat
	.globl	_ZL32rocblas_gemvt_warp_reduce_kernelILb0ELi256EidPKddEviiT3_lPKT2_lT1_lS5_lS6_lS2_lPT4_lS6_li ; -- Begin function _ZL32rocblas_gemvt_warp_reduce_kernelILb0ELi256EidPKddEviiT3_lPKT2_lT1_lS5_lS6_lS2_lPT4_lS6_li
	.p2align	8
	.type	_ZL32rocblas_gemvt_warp_reduce_kernelILb0ELi256EidPKddEviiT3_lPKT2_lT1_lS5_lS6_lS2_lPT4_lS6_li,@function
_ZL32rocblas_gemvt_warp_reduce_kernelILb0ELi256EidPKddEviiT3_lPKT2_lT1_lS5_lS6_lS2_lPT4_lS6_li: ; @_ZL32rocblas_gemvt_warp_reduce_kernelILb0ELi256EidPKddEviiT3_lPKT2_lT1_lS5_lS6_lS2_lPT4_lS6_li
; %bb.0:
	s_clause 0x1
	s_load_b256 s[4:11], s[0:1], 0x8
	s_load_b256 s[16:23], s[0:1], 0x50
	s_waitcnt lgkmcnt(0)
	s_mul_i32 s3, s15, s7
	s_mul_hi_u32 s7, s15, s6
	s_mul_i32 s2, s15, s6
	s_add_i32 s3, s7, s3
	s_mul_i32 s6, s15, s21
	s_lshl_b64 s[2:3], s[2:3], 3
	s_mul_hi_u32 s7, s15, s20
	s_add_u32 s2, s4, s2
	s_addc_u32 s3, s5, s3
	s_add_i32 s5, s7, s6
	s_mul_i32 s4, s15, s20
	s_delay_alu instid0(SALU_CYCLE_1) | instskip(NEXT) | instid1(SALU_CYCLE_1)
	s_lshl_b64 s[4:5], s[4:5], 3
	s_add_u32 s4, s18, s4
	s_addc_u32 s5, s19, s5
	s_load_b64 s[6:7], s[2:3], 0x0
	s_load_b64 s[4:5], s[4:5], 0x0
	s_waitcnt lgkmcnt(0)
	v_cmp_eq_f64_e64 s2, s[6:7], 0
	v_cmp_eq_f64_e64 s3, s[4:5], 1.0
	s_delay_alu instid0(VALU_DEP_1) | instskip(NEXT) | instid1(SALU_CYCLE_1)
	s_and_b32 s2, s2, s3
	s_and_b32 vcc_lo, exec_lo, s2
	s_cbranch_vccnz .LBB78_29
; %bb.1:
	v_cmp_neq_f64_e64 s20, s[6:7], 0
	s_clause 0x2
	s_load_b64 s[2:3], s[0:1], 0x80
	s_load_b64 s[12:13], s[0:1], 0x70
	s_load_b32 s21, s[0:1], 0x78
	s_waitcnt lgkmcnt(0)
	s_mul_i32 s3, s15, s3
	s_mul_hi_u32 s18, s15, s2
	s_mul_i32 s2, s15, s2
	s_add_i32 s3, s18, s3
	s_delay_alu instid0(SALU_CYCLE_1) | instskip(NEXT) | instid1(SALU_CYCLE_1)
	s_lshl_b64 s[2:3], s[2:3], 3
	s_add_u32 s18, s22, s2
	s_addc_u32 s19, s23, s3
	s_lshl_b64 s[2:3], s[12:13], 3
	s_delay_alu instid0(SALU_CYCLE_1) | instskip(SKIP_2) | instid1(VALU_DEP_2)
	s_add_u32 s18, s18, s2
	v_cmp_eq_u32_e64 s2, 0, v0
	s_addc_u32 s19, s19, s3
	s_and_b32 vcc_lo, exec_lo, s20
	s_mov_b32 s20, 0
	s_cbranch_vccnz .LBB78_6
; %bb.2:
	s_mov_b32 s3, 0
                                        ; implicit-def: $vgpr1_vgpr2
                                        ; implicit-def: $sgpr12_sgpr13
	s_and_saveexec_b32 s22, s2
	s_cbranch_execz .LBB78_7
; %bb.3:
	v_cmp_eq_f64_e64 s2, s[4:5], 0
	v_mov_b32_e32 v1, 0
	v_mov_b32_e32 v2, 0
	s_mul_i32 s12, s14, s21
	s_delay_alu instid0(SALU_CYCLE_1) | instskip(NEXT) | instid1(VALU_DEP_3)
	s_ashr_i32 s13, s12, 31
	s_and_b32 vcc_lo, exec_lo, s2
	s_cbranch_vccnz .LBB78_5
; %bb.4:
	s_lshl_b64 s[24:25], s[12:13], 3
	s_delay_alu instid0(SALU_CYCLE_1)
	s_add_u32 s24, s18, s24
	s_addc_u32 s25, s19, s25
	s_load_b64 s[24:25], s[24:25], 0x0
	s_waitcnt lgkmcnt(0)
	v_mul_f64 v[1:2], s[4:5], s[24:25]
.LBB78_5:
	s_mov_b32 s20, exec_lo
	s_or_b32 exec_lo, exec_lo, s22
	s_delay_alu instid0(SALU_CYCLE_1)
	s_and_b32 vcc_lo, exec_lo, s3
	s_cbranch_vccnz .LBB78_8
	s_branch .LBB78_27
.LBB78_6:
                                        ; implicit-def: $vgpr1_vgpr2
                                        ; implicit-def: $sgpr12_sgpr13
	s_cbranch_execnz .LBB78_8
	s_branch .LBB78_27
.LBB78_7:
	s_or_b32 exec_lo, exec_lo, s22
	s_delay_alu instid0(SALU_CYCLE_1)
	s_and_b32 vcc_lo, exec_lo, s3
	s_cbranch_vccz .LBB78_27
.LBB78_8:
	s_mul_i32 s3, s15, s17
	s_mul_hi_u32 s17, s15, s16
	s_mul_i32 s2, s15, s16
	s_add_i32 s3, s17, s3
	s_clause 0x2
	s_load_b128 s[24:27], s[0:1], 0x30
	s_load_b64 s[12:13], s[0:1], 0x40
	s_load_b32 s22, s[0:1], 0x28
	s_lshl_b64 s[16:17], s[2:3], 3
	s_clause 0x1
	s_load_b32 s3, s[0:1], 0x0
	s_load_b32 s1, s[0:1], 0x48
	s_waitcnt lgkmcnt(0)
	s_add_u32 s2, s26, s16
	s_addc_u32 s17, s27, s17
	s_lshl_b64 s[12:13], s[12:13], 3
	s_mul_i32 s23, s15, s25
	s_mul_hi_u32 s25, s15, s24
	s_add_u32 s12, s2, s12
	v_cmp_gt_i32_e32 vcc_lo, s3, v0
	s_mul_i32 s16, s15, s24
	s_addc_u32 s13, s17, s13
	s_add_i32 s17, s25, s23
	s_delay_alu instid0(SALU_CYCLE_1)
	s_lshl_b64 s[16:17], s[16:17], 3
	v_cndmask_b32_e32 v1, 0, v0, vcc_lo
	s_add_u32 s0, s8, s16
	s_addc_u32 s2, s9, s17
	s_lshl_b64 s[8:9], s[10:11], 3
	s_mul_i32 s10, s14, s22
	s_add_u32 s0, s0, s8
	s_addc_u32 s2, s2, s9
	s_ashr_i32 s11, s10, 31
	v_lshlrev_b32_e32 v1, 3, v1
	s_lshl_b64 s[8:9], s[10:11], 3
	s_delay_alu instid0(SALU_CYCLE_1)
	s_add_u32 s0, s8, s0
	s_addc_u32 s2, s9, s2
	s_ashr_i32 s8, s3, 31
	v_add_co_u32 v3, s0, s0, v1
	s_lshr_b32 s8, s8, 24
	v_mov_b32_e32 v1, 0
	v_add_co_ci_u32_e64 v4, null, s2, 0, s0
	v_mov_b32_e32 v2, 0
	s_add_i32 s8, s3, s8
	s_mov_b32 s9, 0
	s_and_b32 s2, s8, 0xffffff00
	s_mov_b32 s8, exec_lo
	v_cmpx_gt_i32_e64 s2, v0
	s_cbranch_execz .LBB78_12
; %bb.9:
	v_mul_lo_u32 v5, v0, s1
	v_dual_mov_b32 v1, 0 :: v_dual_mov_b32 v8, v4
	v_dual_mov_b32 v2, 0 :: v_dual_mov_b32 v7, v3
	v_mov_b32_e32 v9, v0
	s_lshl_b32 s10, s1, 8
	.p2align	6
.LBB78_10:                              ; =>This Inner Loop Header: Depth=1
	s_delay_alu instid0(VALU_DEP_4) | instskip(NEXT) | instid1(VALU_DEP_2)
	v_ashrrev_i32_e32 v6, 31, v5
	v_add_nc_u32_e32 v9, 0x100, v9
	s_delay_alu instid0(VALU_DEP_2) | instskip(NEXT) | instid1(VALU_DEP_2)
	v_lshlrev_b64 v[10:11], 3, v[5:6]
	v_cmp_le_i32_e64 s0, s2, v9
	v_add_nc_u32_e32 v5, s10, v5
	s_delay_alu instid0(VALU_DEP_2) | instskip(NEXT) | instid1(VALU_DEP_3)
	s_or_b32 s9, s0, s9
	v_add_co_u32 v10, vcc_lo, s12, v10
	s_delay_alu instid0(VALU_DEP_4)
	v_add_co_ci_u32_e32 v11, vcc_lo, s13, v11, vcc_lo
	global_load_b64 v[12:13], v[7:8], off
	global_load_b64 v[10:11], v[10:11], off
	v_add_co_u32 v7, vcc_lo, 0x800, v7
	v_add_co_ci_u32_e32 v8, vcc_lo, 0, v8, vcc_lo
	s_waitcnt vmcnt(0)
	v_fma_f64 v[1:2], v[12:13], v[10:11], v[1:2]
	s_and_not1_b32 exec_lo, exec_lo, s9
	s_cbranch_execnz .LBB78_10
; %bb.11:
	s_or_b32 exec_lo, exec_lo, s9
.LBB78_12:
	s_delay_alu instid0(SALU_CYCLE_1) | instskip(SKIP_2) | instid1(VALU_DEP_1)
	s_or_b32 exec_lo, exec_lo, s8
	v_add_nc_u32_e32 v5, s2, v0
	s_mov_b32 s0, exec_lo
	v_cmpx_gt_i32_e64 s3, v5
	s_cbranch_execz .LBB78_14
; %bb.13:
	v_mul_lo_u32 v5, v5, s1
	s_ashr_i32 s3, s2, 31
	s_delay_alu instid0(SALU_CYCLE_1) | instskip(NEXT) | instid1(SALU_CYCLE_1)
	s_lshl_b64 s[2:3], s[2:3], 3
	v_add_co_u32 v3, vcc_lo, v3, s2
	v_add_co_ci_u32_e32 v4, vcc_lo, s3, v4, vcc_lo
	s_delay_alu instid0(VALU_DEP_3) | instskip(NEXT) | instid1(VALU_DEP_1)
	v_ashrrev_i32_e32 v6, 31, v5
	v_lshlrev_b64 v[5:6], 3, v[5:6]
	s_delay_alu instid0(VALU_DEP_1) | instskip(NEXT) | instid1(VALU_DEP_2)
	v_add_co_u32 v5, vcc_lo, s12, v5
	v_add_co_ci_u32_e32 v6, vcc_lo, s13, v6, vcc_lo
	global_load_b64 v[3:4], v[3:4], off
	global_load_b64 v[5:6], v[5:6], off
	s_waitcnt vmcnt(0)
	v_fma_f64 v[1:2], v[3:4], v[5:6], v[1:2]
.LBB78_14:
	s_or_b32 exec_lo, exec_lo, s0
	v_and_b32_e32 v8, 31, v0
	v_cmp_gt_u32_e32 vcc_lo, 32, v0
	s_delay_alu instid0(VALU_DEP_2)
	v_lshlrev_b32_e32 v5, 3, v8
	s_and_saveexec_b32 s0, vcc_lo
	s_cbranch_execz .LBB78_16
; %bb.15:
	v_mov_b32_e32 v3, 0
	s_delay_alu instid0(VALU_DEP_1)
	v_mov_b32_e32 v4, v3
	ds_store_b64 v5, v[3:4]
.LBB78_16:
	s_or_b32 exec_lo, exec_lo, s0
	v_mbcnt_lo_u32_b32 v9, -1, 0
	s_mov_b32 s1, exec_lo
	s_waitcnt lgkmcnt(0)
	s_barrier
	buffer_gl0_inv
	v_cmp_gt_u32_e64 s0, 16, v9
	s_delay_alu instid0(VALU_DEP_1) | instskip(SKIP_1) | instid1(VALU_DEP_2)
	v_cndmask_b32_e64 v3, 0, 1, s0
	v_cmp_gt_u32_e64 s0, 24, v9
	v_lshlrev_b32_e32 v3, 4, v3
	s_delay_alu instid0(VALU_DEP_1)
	v_add_lshl_u32 v4, v3, v9, 2
	ds_bpermute_b32 v3, v4, v1
	ds_bpermute_b32 v4, v4, v2
	s_waitcnt lgkmcnt(0)
	v_add_f64 v[1:2], v[1:2], v[3:4]
	v_cndmask_b32_e64 v3, 0, 1, s0
	v_cmp_gt_u32_e64 s0, 28, v9
	s_delay_alu instid0(VALU_DEP_2) | instskip(NEXT) | instid1(VALU_DEP_1)
	v_lshlrev_b32_e32 v3, 3, v3
	v_add_lshl_u32 v4, v3, v9, 2
	ds_bpermute_b32 v3, v4, v1
	ds_bpermute_b32 v4, v4, v2
	s_waitcnt lgkmcnt(0)
	v_add_f64 v[1:2], v[1:2], v[3:4]
	v_cndmask_b32_e64 v3, 0, 1, s0
	v_cmp_gt_u32_e64 s0, 30, v9
	s_delay_alu instid0(VALU_DEP_2) | instskip(NEXT) | instid1(VALU_DEP_1)
	v_lshlrev_b32_e32 v3, 2, v3
	v_add_lshl_u32 v6, v3, v9, 2
	ds_bpermute_b32 v3, v6, v1
	ds_bpermute_b32 v4, v6, v2
	s_waitcnt lgkmcnt(0)
	v_add_f64 v[1:2], v[1:2], v[3:4]
	v_cndmask_b32_e64 v3, 0, 1, s0
	v_cmp_ne_u32_e64 s0, 31, v9
	s_delay_alu instid0(VALU_DEP_2) | instskip(NEXT) | instid1(VALU_DEP_1)
	v_lshlrev_b32_e32 v3, 1, v3
	v_add_lshl_u32 v7, v3, v9, 2
	ds_bpermute_b32 v3, v7, v1
	ds_bpermute_b32 v4, v7, v2
	s_waitcnt lgkmcnt(0)
	v_add_f64 v[1:2], v[1:2], v[3:4]
	v_add_co_ci_u32_e64 v3, s0, 0, v9, s0
	s_delay_alu instid0(VALU_DEP_1)
	v_lshlrev_b32_e32 v9, 2, v3
	ds_bpermute_b32 v3, v9, v1
	ds_bpermute_b32 v4, v9, v2
	v_cmpx_eq_u32_e32 0, v8
	s_cbranch_execz .LBB78_18
; %bb.17:
	s_waitcnt lgkmcnt(0)
	v_add_f64 v[1:2], v[1:2], v[3:4]
	v_lshrrev_b32_e32 v3, 2, v0
	s_delay_alu instid0(VALU_DEP_1)
	v_and_b32_e32 v3, 56, v3
	ds_store_b64 v3, v[1:2]
.LBB78_18:
	s_or_b32 exec_lo, exec_lo, s1
	s_waitcnt lgkmcnt(0)
	v_mov_b32_e32 v3, 0
	v_mov_b32_e32 v4, 0
	s_mov_b32 s1, exec_lo
	s_barrier
	buffer_gl0_inv
	v_cmpx_gt_u32_e32 8, v0
	s_cbranch_execz .LBB78_20
; %bb.19:
	ds_load_b64 v[3:4], v5
.LBB78_20:
	s_or_b32 exec_lo, exec_lo, s1
	s_and_saveexec_b32 s0, vcc_lo
	s_cbranch_execz .LBB78_22
; %bb.21:
	s_waitcnt lgkmcnt(0)
	ds_bpermute_b32 v1, v6, v3
	ds_bpermute_b32 v2, v6, v4
	s_waitcnt lgkmcnt(0)
	v_add_f64 v[1:2], v[3:4], v[1:2]
	ds_bpermute_b32 v3, v7, v1
	ds_bpermute_b32 v4, v7, v2
	s_waitcnt lgkmcnt(0)
	v_add_f64 v[1:2], v[1:2], v[3:4]
	ds_bpermute_b32 v3, v9, v1
	ds_bpermute_b32 v4, v9, v2
	s_waitcnt lgkmcnt(0)
	v_add_f64 v[3:4], v[1:2], v[3:4]
.LBB78_22:
	s_or_b32 exec_lo, exec_lo, s0
	s_delay_alu instid0(SALU_CYCLE_1)
	s_mov_b32 s0, exec_lo
                                        ; implicit-def: $vgpr1_vgpr2
                                        ; implicit-def: $sgpr12_sgpr13
	v_cmpx_eq_u32_e32 0, v0
	s_cbranch_execz .LBB78_26
; %bb.23:
	v_cmp_eq_f64_e64 s1, s[4:5], 0
	s_waitcnt lgkmcnt(0)
	s_delay_alu instid0(VALU_DEP_3) | instskip(SKIP_1) | instid1(SALU_CYCLE_1)
	v_mul_f64 v[1:2], s[6:7], v[3:4]
	s_mul_i32 s12, s14, s21
	s_ashr_i32 s13, s12, 31
	s_delay_alu instid0(VALU_DEP_2)
	s_and_b32 vcc_lo, exec_lo, s1
	s_cbranch_vccnz .LBB78_25
; %bb.24:
	s_lshl_b64 s[2:3], s[12:13], 3
	s_delay_alu instid0(SALU_CYCLE_1) | instskip(SKIP_3) | instid1(VALU_DEP_1)
	s_add_u32 s2, s18, s2
	s_addc_u32 s3, s19, s3
	s_load_b64 s[2:3], s[2:3], 0x0
	s_waitcnt lgkmcnt(0)
	v_fma_f64 v[1:2], s[4:5], s[2:3], v[1:2]
.LBB78_25:
	s_or_b32 s20, s20, exec_lo
.LBB78_26:
	s_or_b32 exec_lo, exec_lo, s0
.LBB78_27:
	s_and_saveexec_b32 s0, s20
	s_cbranch_execz .LBB78_29
; %bb.28:
	s_lshl_b64 s[0:1], s[12:13], 3
	v_mov_b32_e32 v0, 0
	s_add_u32 s0, s18, s0
	s_addc_u32 s1, s19, s1
	global_store_b64 v0, v[1:2], s[0:1]
.LBB78_29:
	s_nop 0
	s_sendmsg sendmsg(MSG_DEALLOC_VGPRS)
	s_endpgm
	.section	.rodata,"a",@progbits
	.p2align	6, 0x0
	.amdhsa_kernel _ZL32rocblas_gemvt_warp_reduce_kernelILb0ELi256EidPKddEviiT3_lPKT2_lT1_lS5_lS6_lS2_lPT4_lS6_li
		.amdhsa_group_segment_fixed_size 256
		.amdhsa_private_segment_fixed_size 0
		.amdhsa_kernarg_size 140
		.amdhsa_user_sgpr_count 14
		.amdhsa_user_sgpr_dispatch_ptr 0
		.amdhsa_user_sgpr_queue_ptr 0
		.amdhsa_user_sgpr_kernarg_segment_ptr 1
		.amdhsa_user_sgpr_dispatch_id 0
		.amdhsa_user_sgpr_private_segment_size 0
		.amdhsa_wavefront_size32 1
		.amdhsa_uses_dynamic_stack 0
		.amdhsa_enable_private_segment 0
		.amdhsa_system_sgpr_workgroup_id_x 1
		.amdhsa_system_sgpr_workgroup_id_y 0
		.amdhsa_system_sgpr_workgroup_id_z 1
		.amdhsa_system_sgpr_workgroup_info 0
		.amdhsa_system_vgpr_workitem_id 0
		.amdhsa_next_free_vgpr 14
		.amdhsa_next_free_sgpr 28
		.amdhsa_reserve_vcc 1
		.amdhsa_float_round_mode_32 0
		.amdhsa_float_round_mode_16_64 0
		.amdhsa_float_denorm_mode_32 3
		.amdhsa_float_denorm_mode_16_64 3
		.amdhsa_dx10_clamp 1
		.amdhsa_ieee_mode 1
		.amdhsa_fp16_overflow 0
		.amdhsa_workgroup_processor_mode 1
		.amdhsa_memory_ordered 1
		.amdhsa_forward_progress 0
		.amdhsa_shared_vgpr_count 0
		.amdhsa_exception_fp_ieee_invalid_op 0
		.amdhsa_exception_fp_denorm_src 0
		.amdhsa_exception_fp_ieee_div_zero 0
		.amdhsa_exception_fp_ieee_overflow 0
		.amdhsa_exception_fp_ieee_underflow 0
		.amdhsa_exception_fp_ieee_inexact 0
		.amdhsa_exception_int_div_zero 0
	.end_amdhsa_kernel
	.section	.text._ZL32rocblas_gemvt_warp_reduce_kernelILb0ELi256EidPKddEviiT3_lPKT2_lT1_lS5_lS6_lS2_lPT4_lS6_li,"axG",@progbits,_ZL32rocblas_gemvt_warp_reduce_kernelILb0ELi256EidPKddEviiT3_lPKT2_lT1_lS5_lS6_lS2_lPT4_lS6_li,comdat
.Lfunc_end78:
	.size	_ZL32rocblas_gemvt_warp_reduce_kernelILb0ELi256EidPKddEviiT3_lPKT2_lT1_lS5_lS6_lS2_lPT4_lS6_li, .Lfunc_end78-_ZL32rocblas_gemvt_warp_reduce_kernelILb0ELi256EidPKddEviiT3_lPKT2_lT1_lS5_lS6_lS2_lPT4_lS6_li
                                        ; -- End function
	.section	.AMDGPU.csdata,"",@progbits
; Kernel info:
; codeLenInByte = 1588
; NumSgprs: 30
; NumVgprs: 14
; ScratchSize: 0
; MemoryBound: 0
; FloatMode: 240
; IeeeMode: 1
; LDSByteSize: 256 bytes/workgroup (compile time only)
; SGPRBlocks: 3
; VGPRBlocks: 1
; NumSGPRsForWavesPerEU: 30
; NumVGPRsForWavesPerEU: 14
; Occupancy: 16
; WaveLimiterHint : 1
; COMPUTE_PGM_RSRC2:SCRATCH_EN: 0
; COMPUTE_PGM_RSRC2:USER_SGPR: 14
; COMPUTE_PGM_RSRC2:TRAP_HANDLER: 0
; COMPUTE_PGM_RSRC2:TGID_X_EN: 1
; COMPUTE_PGM_RSRC2:TGID_Y_EN: 0
; COMPUTE_PGM_RSRC2:TGID_Z_EN: 1
; COMPUTE_PGM_RSRC2:TIDIG_COMP_CNT: 0
	.section	.text._ZL32rocblas_gemvt_warp_reduce_kernelILb0ELi256EldPKddEviiT3_lPKT2_lT1_lS5_lS6_lS2_lPT4_lS6_li,"axG",@progbits,_ZL32rocblas_gemvt_warp_reduce_kernelILb0ELi256EldPKddEviiT3_lPKT2_lT1_lS5_lS6_lS2_lPT4_lS6_li,comdat
	.globl	_ZL32rocblas_gemvt_warp_reduce_kernelILb0ELi256EldPKddEviiT3_lPKT2_lT1_lS5_lS6_lS2_lPT4_lS6_li ; -- Begin function _ZL32rocblas_gemvt_warp_reduce_kernelILb0ELi256EldPKddEviiT3_lPKT2_lT1_lS5_lS6_lS2_lPT4_lS6_li
	.p2align	8
	.type	_ZL32rocblas_gemvt_warp_reduce_kernelILb0ELi256EldPKddEviiT3_lPKT2_lT1_lS5_lS6_lS2_lPT4_lS6_li,@function
_ZL32rocblas_gemvt_warp_reduce_kernelILb0ELi256EldPKddEviiT3_lPKT2_lT1_lS5_lS6_lS2_lPT4_lS6_li: ; @_ZL32rocblas_gemvt_warp_reduce_kernelILb0ELi256EldPKddEviiT3_lPKT2_lT1_lS5_lS6_lS2_lPT4_lS6_li
; %bb.0:
	s_clause 0x1
	s_load_b512 s[36:51], s[0:1], 0x8
	s_load_b512 s[16:31], s[0:1], 0x48
	s_waitcnt lgkmcnt(0)
	s_mul_i32 s3, s15, s39
	s_mul_hi_u32 s4, s15, s38
	s_mul_i32 s2, s15, s38
	s_add_i32 s3, s4, s3
	s_mul_i32 s4, s15, s23
	s_lshl_b64 s[2:3], s[2:3], 3
	s_mul_hi_u32 s5, s15, s22
	s_add_u32 s2, s36, s2
	s_addc_u32 s3, s37, s3
	s_add_i32 s5, s5, s4
	s_mul_i32 s4, s15, s22
	s_delay_alu instid0(SALU_CYCLE_1) | instskip(NEXT) | instid1(SALU_CYCLE_1)
	s_lshl_b64 s[4:5], s[4:5], 3
	s_add_u32 s4, s20, s4
	s_addc_u32 s5, s21, s5
	s_load_b64 s[6:7], s[2:3], 0x0
	s_load_b64 s[4:5], s[4:5], 0x0
	s_waitcnt lgkmcnt(0)
	v_cmp_eq_f64_e64 s2, s[6:7], 0
	v_cmp_eq_f64_e64 s3, s[4:5], 1.0
	s_delay_alu instid0(VALU_DEP_1) | instskip(NEXT) | instid1(SALU_CYCLE_1)
	s_and_b32 s2, s2, s3
	s_and_b32 vcc_lo, exec_lo, s2
	s_cbranch_vccnz .LBB79_29
; %bb.1:
	v_cmp_neq_f64_e64 s8, s[6:7], 0
	s_mul_i32 s3, s15, s31
	s_mul_hi_u32 s9, s15, s30
	s_mul_i32 s2, s15, s30
	s_add_i32 s3, s9, s3
	s_mov_b32 s20, 0
	s_lshl_b64 s[2:3], s[2:3], 3
	s_delay_alu instid0(SALU_CYCLE_1) | instskip(SKIP_2) | instid1(SALU_CYCLE_1)
	s_add_u32 s9, s24, s2
	s_addc_u32 s10, s25, s3
	s_lshl_b64 s[2:3], s[26:27], 3
	s_add_u32 s12, s9, s2
	v_cmp_eq_u32_e64 s2, 0, v0
	s_addc_u32 s13, s10, s3
	s_delay_alu instid0(VALU_DEP_2)
	s_and_b32 vcc_lo, exec_lo, s8
	s_cbranch_vccnz .LBB79_6
; %bb.2:
	s_mov_b32 s3, 0
                                        ; implicit-def: $vgpr1_vgpr2
                                        ; implicit-def: $sgpr8_sgpr9
	s_and_saveexec_b32 s10, s2
	s_cbranch_execz .LBB79_7
; %bb.3:
	v_cmp_eq_f64_e64 s2, s[4:5], 0
	s_mul_i32 s8, s14, s29
	s_mul_hi_u32 s9, s14, s28
	s_ashr_i32 s11, s14, 31
	v_mov_b32_e32 v1, 0
	v_mov_b32_e32 v2, 0
	s_add_i32 s8, s9, s8
	s_mul_i32 s11, s11, s28
	s_delay_alu instid0(SALU_CYCLE_1) | instskip(SKIP_1) | instid1(VALU_DEP_3)
	s_add_i32 s9, s8, s11
	s_mul_i32 s8, s14, s28
	s_and_b32 vcc_lo, exec_lo, s2
	s_cbranch_vccnz .LBB79_5
; %bb.4:
	s_lshl_b64 s[20:21], s[8:9], 3
	s_delay_alu instid0(SALU_CYCLE_1)
	s_add_u32 s20, s12, s20
	s_addc_u32 s21, s13, s21
	s_load_b64 s[20:21], s[20:21], 0x0
	s_waitcnt lgkmcnt(0)
	v_mul_f64 v[1:2], s[4:5], s[20:21]
.LBB79_5:
	s_mov_b32 s20, exec_lo
	s_or_b32 exec_lo, exec_lo, s10
	s_delay_alu instid0(SALU_CYCLE_1)
	s_and_b32 vcc_lo, exec_lo, s3
	s_cbranch_vccnz .LBB79_8
	s_branch .LBB79_27
.LBB79_6:
                                        ; implicit-def: $vgpr1_vgpr2
                                        ; implicit-def: $sgpr8_sgpr9
	s_cbranch_execnz .LBB79_8
	s_branch .LBB79_27
.LBB79_7:
	s_or_b32 exec_lo, exec_lo, s10
	s_delay_alu instid0(SALU_CYCLE_1)
	s_and_b32 vcc_lo, exec_lo, s3
	s_cbranch_vccz .LBB79_27
.LBB79_8:
	s_load_b32 s9, s[0:1], 0x0
	s_mul_i32 s3, s15, s47
	s_mul_hi_u32 s8, s15, s46
	s_mul_i32 s0, s15, s46
	s_add_i32 s1, s8, s3
	s_mul_i32 s2, s15, s19
	s_mul_hi_u32 s3, s15, s18
	s_lshl_b64 s[0:1], s[0:1], 3
	s_add_i32 s3, s3, s2
	s_add_u32 s2, s40, s0
	s_addc_u32 s8, s41, s1
	s_lshl_b64 s[0:1], s[42:43], 3
	s_mul_hi_u32 s10, s14, s44
	s_add_u32 s0, s2, s0
	s_addc_u32 s2, s8, s1
	s_mul_i32 s8, s14, s45
	s_ashr_i32 s1, s14, 31
	s_add_i32 s8, s10, s8
	s_mul_i32 s10, s1, s44
	s_delay_alu instid0(SALU_CYCLE_1) | instskip(SKIP_3) | instid1(SALU_CYCLE_1)
	s_add_i32 s11, s8, s10
	s_waitcnt lgkmcnt(0)
	v_cmp_gt_i32_e32 vcc_lo, s9, v0
	s_mul_i32 s10, s14, s44
	s_lshl_b64 s[10:11], s[10:11], 3
	v_cndmask_b32_e32 v1, 0, v0, vcc_lo
	s_add_u32 s0, s10, s0
	s_addc_u32 s2, s11, s2
	s_ashr_i32 s8, s9, 31
	s_delay_alu instid0(VALU_DEP_1) | instskip(SKIP_1) | instid1(SALU_CYCLE_1)
	v_lshlrev_b32_e32 v1, 3, v1
	s_lshr_b32 s8, s8, 24
	s_add_i32 s8, s9, s8
	s_delay_alu instid0(VALU_DEP_1)
	v_add_co_u32 v3, s0, s0, v1
	v_mov_b32_e32 v1, 0
	v_add_co_ci_u32_e64 v4, null, s2, 0, s0
	v_mov_b32_e32 v2, 0
	s_and_b32 s8, s8, 0xffffff00
	s_mul_i32 s2, s15, s18
	s_mov_b32 s18, 0
	s_mov_b32 s15, exec_lo
	v_cmpx_gt_i32_e64 s8, v0
	s_cbranch_execz .LBB79_12
; %bb.9:
	v_mad_u64_u32 v[7:8], null, s16, v0, 0
	s_lshl_b64 s[22:23], s[50:51], 3
	s_lshl_b64 s[10:11], s[2:3], 3
	s_add_u32 s0, s48, s22
	s_addc_u32 s19, s49, s23
	s_add_u32 s0, s0, s10
	s_addc_u32 s10, s19, s11
	s_delay_alu instid0(VALU_DEP_1) | instskip(SKIP_1) | instid1(VALU_DEP_2)
	v_mov_b32_e32 v1, v8
	v_mov_b32_e32 v9, v0
	v_mad_u64_u32 v[5:6], null, s17, v0, v[1:2]
	v_mov_b32_e32 v1, 0
	v_mov_b32_e32 v2, 0
	s_delay_alu instid0(VALU_DEP_3) | instskip(SKIP_1) | instid1(VALU_DEP_2)
	v_mov_b32_e32 v8, v5
	v_dual_mov_b32 v6, v4 :: v_dual_mov_b32 v5, v3
	v_lshlrev_b64 v[7:8], 3, v[7:8]
	s_delay_alu instid0(VALU_DEP_1) | instskip(NEXT) | instid1(VALU_DEP_2)
	v_add_co_u32 v7, vcc_lo, s0, v7
	v_add_co_ci_u32_e32 v8, vcc_lo, s10, v8, vcc_lo
	s_lshl_b64 s[10:11], s[16:17], 11
	.p2align	6
.LBB79_10:                              ; =>This Inner Loop Header: Depth=1
	global_load_b64 v[10:11], v[5:6], off
	global_load_b64 v[12:13], v[7:8], off
	v_add_nc_u32_e32 v9, 0x100, v9
	v_add_co_u32 v5, vcc_lo, 0x800, v5
	v_add_co_ci_u32_e32 v6, vcc_lo, 0, v6, vcc_lo
	s_delay_alu instid0(VALU_DEP_3) | instskip(SKIP_1) | instid1(VALU_DEP_1)
	v_cmp_le_i32_e32 vcc_lo, s8, v9
	v_add_co_u32 v7, s0, v7, s10
	v_add_co_ci_u32_e64 v8, s0, s11, v8, s0
	s_or_b32 s18, vcc_lo, s18
	s_waitcnt vmcnt(0)
	v_fma_f64 v[1:2], v[10:11], v[12:13], v[1:2]
	s_and_not1_b32 exec_lo, exec_lo, s18
	s_cbranch_execnz .LBB79_10
; %bb.11:
	s_or_b32 exec_lo, exec_lo, s18
.LBB79_12:
	s_delay_alu instid0(SALU_CYCLE_1) | instskip(SKIP_2) | instid1(VALU_DEP_1)
	s_or_b32 exec_lo, exec_lo, s15
	v_add_nc_u32_e32 v5, s8, v0
	s_mov_b32 s0, exec_lo
	v_cmpx_gt_i32_e64 s9, v5
	s_cbranch_execz .LBB79_14
; %bb.13:
	v_ashrrev_i32_e32 v8, 31, v5
	v_mul_lo_u32 v9, v5, s17
	v_mad_u64_u32 v[6:7], null, v5, s16, 0
	s_lshl_b64 s[2:3], s[2:3], 3
	s_delay_alu instid0(VALU_DEP_3) | instskip(SKIP_3) | instid1(SALU_CYCLE_1)
	v_mul_lo_u32 v5, v8, s16
	s_add_u32 s9, s48, s2
	s_addc_u32 s10, s49, s3
	s_lshl_b64 s[2:3], s[50:51], 3
	s_add_u32 s11, s9, s2
	s_addc_u32 s10, s10, s3
	s_ashr_i32 s9, s8, 31
	s_delay_alu instid0(VALU_DEP_1) | instskip(SKIP_1) | instid1(SALU_CYCLE_1)
	v_add3_u32 v7, v7, v9, v5
	s_lshl_b64 s[2:3], s[8:9], 3
	v_add_co_u32 v3, vcc_lo, v3, s2
	s_delay_alu instid0(VALU_DEP_2) | instskip(SKIP_1) | instid1(VALU_DEP_2)
	v_lshlrev_b64 v[5:6], 3, v[6:7]
	v_add_co_ci_u32_e32 v4, vcc_lo, s3, v4, vcc_lo
	v_add_co_u32 v5, vcc_lo, s11, v5
	s_delay_alu instid0(VALU_DEP_3)
	v_add_co_ci_u32_e32 v6, vcc_lo, s10, v6, vcc_lo
	global_load_b64 v[3:4], v[3:4], off
	global_load_b64 v[5:6], v[5:6], off
	s_waitcnt vmcnt(0)
	v_fma_f64 v[1:2], v[3:4], v[5:6], v[1:2]
.LBB79_14:
	s_or_b32 exec_lo, exec_lo, s0
	v_and_b32_e32 v8, 31, v0
	v_cmp_gt_u32_e32 vcc_lo, 32, v0
	s_delay_alu instid0(VALU_DEP_2)
	v_lshlrev_b32_e32 v5, 3, v8
	s_and_saveexec_b32 s0, vcc_lo
	s_cbranch_execz .LBB79_16
; %bb.15:
	v_mov_b32_e32 v3, 0
	s_delay_alu instid0(VALU_DEP_1)
	v_mov_b32_e32 v4, v3
	ds_store_b64 v5, v[3:4]
.LBB79_16:
	s_or_b32 exec_lo, exec_lo, s0
	v_mbcnt_lo_u32_b32 v9, -1, 0
	s_mov_b32 s2, exec_lo
	s_waitcnt lgkmcnt(0)
	s_barrier
	buffer_gl0_inv
	v_cmp_gt_u32_e64 s0, 16, v9
	s_delay_alu instid0(VALU_DEP_1) | instskip(SKIP_1) | instid1(VALU_DEP_2)
	v_cndmask_b32_e64 v3, 0, 1, s0
	v_cmp_gt_u32_e64 s0, 24, v9
	v_lshlrev_b32_e32 v3, 4, v3
	s_delay_alu instid0(VALU_DEP_1)
	v_add_lshl_u32 v4, v3, v9, 2
	ds_bpermute_b32 v3, v4, v1
	ds_bpermute_b32 v4, v4, v2
	s_waitcnt lgkmcnt(0)
	v_add_f64 v[1:2], v[1:2], v[3:4]
	v_cndmask_b32_e64 v3, 0, 1, s0
	v_cmp_gt_u32_e64 s0, 28, v9
	s_delay_alu instid0(VALU_DEP_2) | instskip(NEXT) | instid1(VALU_DEP_1)
	v_lshlrev_b32_e32 v3, 3, v3
	v_add_lshl_u32 v4, v3, v9, 2
	ds_bpermute_b32 v3, v4, v1
	ds_bpermute_b32 v4, v4, v2
	s_waitcnt lgkmcnt(0)
	v_add_f64 v[1:2], v[1:2], v[3:4]
	v_cndmask_b32_e64 v3, 0, 1, s0
	v_cmp_gt_u32_e64 s0, 30, v9
	s_delay_alu instid0(VALU_DEP_2) | instskip(NEXT) | instid1(VALU_DEP_1)
	v_lshlrev_b32_e32 v3, 2, v3
	v_add_lshl_u32 v6, v3, v9, 2
	ds_bpermute_b32 v3, v6, v1
	ds_bpermute_b32 v4, v6, v2
	s_waitcnt lgkmcnt(0)
	v_add_f64 v[1:2], v[1:2], v[3:4]
	v_cndmask_b32_e64 v3, 0, 1, s0
	v_cmp_ne_u32_e64 s0, 31, v9
	s_delay_alu instid0(VALU_DEP_2) | instskip(NEXT) | instid1(VALU_DEP_1)
	v_lshlrev_b32_e32 v3, 1, v3
	v_add_lshl_u32 v7, v3, v9, 2
	ds_bpermute_b32 v3, v7, v1
	ds_bpermute_b32 v4, v7, v2
	s_waitcnt lgkmcnt(0)
	v_add_f64 v[1:2], v[1:2], v[3:4]
	v_add_co_ci_u32_e64 v3, s0, 0, v9, s0
	s_delay_alu instid0(VALU_DEP_1)
	v_lshlrev_b32_e32 v9, 2, v3
	ds_bpermute_b32 v3, v9, v1
	ds_bpermute_b32 v4, v9, v2
	v_cmpx_eq_u32_e32 0, v8
	s_cbranch_execz .LBB79_18
; %bb.17:
	s_waitcnt lgkmcnt(0)
	v_add_f64 v[1:2], v[1:2], v[3:4]
	v_lshrrev_b32_e32 v3, 2, v0
	s_delay_alu instid0(VALU_DEP_1)
	v_and_b32_e32 v3, 56, v3
	ds_store_b64 v3, v[1:2]
.LBB79_18:
	s_or_b32 exec_lo, exec_lo, s2
	s_waitcnt lgkmcnt(0)
	v_mov_b32_e32 v3, 0
	v_mov_b32_e32 v4, 0
	s_mov_b32 s2, exec_lo
	s_barrier
	buffer_gl0_inv
	v_cmpx_gt_u32_e32 8, v0
	s_cbranch_execz .LBB79_20
; %bb.19:
	ds_load_b64 v[3:4], v5
.LBB79_20:
	s_or_b32 exec_lo, exec_lo, s2
	s_and_saveexec_b32 s0, vcc_lo
	s_cbranch_execz .LBB79_22
; %bb.21:
	s_waitcnt lgkmcnt(0)
	ds_bpermute_b32 v1, v6, v3
	ds_bpermute_b32 v2, v6, v4
	s_waitcnt lgkmcnt(0)
	v_add_f64 v[1:2], v[3:4], v[1:2]
	ds_bpermute_b32 v3, v7, v1
	ds_bpermute_b32 v4, v7, v2
	s_waitcnt lgkmcnt(0)
	v_add_f64 v[1:2], v[1:2], v[3:4]
	;; [unrolled: 4-line block ×3, first 2 shown]
.LBB79_22:
	s_or_b32 exec_lo, exec_lo, s0
	s_delay_alu instid0(SALU_CYCLE_1)
	s_mov_b32 s0, exec_lo
                                        ; implicit-def: $vgpr1_vgpr2
                                        ; implicit-def: $sgpr8_sgpr9
	v_cmpx_eq_u32_e32 0, v0
	s_cbranch_execz .LBB79_26
; %bb.23:
	v_cmp_eq_f64_e64 s2, s[4:5], 0
	s_waitcnt lgkmcnt(0)
	s_delay_alu instid0(VALU_DEP_3)
	v_mul_f64 v[1:2], s[6:7], v[3:4]
	s_mul_i32 s3, s14, s29
	s_mul_hi_u32 s6, s14, s28
	s_mul_i32 s1, s1, s28
	s_add_i32 s3, s6, s3
	s_mul_i32 s8, s14, s28
	s_add_i32 s9, s3, s1
	s_delay_alu instid0(VALU_DEP_2)
	s_and_b32 vcc_lo, exec_lo, s2
	s_cbranch_vccnz .LBB79_25
; %bb.24:
	s_lshl_b64 s[2:3], s[8:9], 3
	s_delay_alu instid0(SALU_CYCLE_1) | instskip(SKIP_3) | instid1(VALU_DEP_1)
	s_add_u32 s2, s12, s2
	s_addc_u32 s3, s13, s3
	s_load_b64 s[2:3], s[2:3], 0x0
	s_waitcnt lgkmcnt(0)
	v_fma_f64 v[1:2], s[4:5], s[2:3], v[1:2]
.LBB79_25:
	s_or_b32 s20, s20, exec_lo
.LBB79_26:
	s_or_b32 exec_lo, exec_lo, s0
.LBB79_27:
	s_and_saveexec_b32 s0, s20
	s_cbranch_execz .LBB79_29
; %bb.28:
	s_lshl_b64 s[0:1], s[8:9], 3
	v_mov_b32_e32 v0, 0
	s_add_u32 s0, s12, s0
	s_addc_u32 s1, s13, s1
	global_store_b64 v0, v[1:2], s[0:1]
.LBB79_29:
	s_nop 0
	s_sendmsg sendmsg(MSG_DEALLOC_VGPRS)
	s_endpgm
	.section	.rodata,"a",@progbits
	.p2align	6, 0x0
	.amdhsa_kernel _ZL32rocblas_gemvt_warp_reduce_kernelILb0ELi256EldPKddEviiT3_lPKT2_lT1_lS5_lS6_lS2_lPT4_lS6_li
		.amdhsa_group_segment_fixed_size 256
		.amdhsa_private_segment_fixed_size 0
		.amdhsa_kernarg_size 140
		.amdhsa_user_sgpr_count 14
		.amdhsa_user_sgpr_dispatch_ptr 0
		.amdhsa_user_sgpr_queue_ptr 0
		.amdhsa_user_sgpr_kernarg_segment_ptr 1
		.amdhsa_user_sgpr_dispatch_id 0
		.amdhsa_user_sgpr_private_segment_size 0
		.amdhsa_wavefront_size32 1
		.amdhsa_uses_dynamic_stack 0
		.amdhsa_enable_private_segment 0
		.amdhsa_system_sgpr_workgroup_id_x 1
		.amdhsa_system_sgpr_workgroup_id_y 0
		.amdhsa_system_sgpr_workgroup_id_z 1
		.amdhsa_system_sgpr_workgroup_info 0
		.amdhsa_system_vgpr_workitem_id 0
		.amdhsa_next_free_vgpr 14
		.amdhsa_next_free_sgpr 52
		.amdhsa_reserve_vcc 1
		.amdhsa_float_round_mode_32 0
		.amdhsa_float_round_mode_16_64 0
		.amdhsa_float_denorm_mode_32 3
		.amdhsa_float_denorm_mode_16_64 3
		.amdhsa_dx10_clamp 1
		.amdhsa_ieee_mode 1
		.amdhsa_fp16_overflow 0
		.amdhsa_workgroup_processor_mode 1
		.amdhsa_memory_ordered 1
		.amdhsa_forward_progress 0
		.amdhsa_shared_vgpr_count 0
		.amdhsa_exception_fp_ieee_invalid_op 0
		.amdhsa_exception_fp_denorm_src 0
		.amdhsa_exception_fp_ieee_div_zero 0
		.amdhsa_exception_fp_ieee_overflow 0
		.amdhsa_exception_fp_ieee_underflow 0
		.amdhsa_exception_fp_ieee_inexact 0
		.amdhsa_exception_int_div_zero 0
	.end_amdhsa_kernel
	.section	.text._ZL32rocblas_gemvt_warp_reduce_kernelILb0ELi256EldPKddEviiT3_lPKT2_lT1_lS5_lS6_lS2_lPT4_lS6_li,"axG",@progbits,_ZL32rocblas_gemvt_warp_reduce_kernelILb0ELi256EldPKddEviiT3_lPKT2_lT1_lS5_lS6_lS2_lPT4_lS6_li,comdat
.Lfunc_end79:
	.size	_ZL32rocblas_gemvt_warp_reduce_kernelILb0ELi256EldPKddEviiT3_lPKT2_lT1_lS5_lS6_lS2_lPT4_lS6_li, .Lfunc_end79-_ZL32rocblas_gemvt_warp_reduce_kernelILb0ELi256EldPKddEviiT3_lPKT2_lT1_lS5_lS6_lS2_lPT4_lS6_li
                                        ; -- End function
	.section	.AMDGPU.csdata,"",@progbits
; Kernel info:
; codeLenInByte = 1648
; NumSgprs: 54
; NumVgprs: 14
; ScratchSize: 0
; MemoryBound: 0
; FloatMode: 240
; IeeeMode: 1
; LDSByteSize: 256 bytes/workgroup (compile time only)
; SGPRBlocks: 6
; VGPRBlocks: 1
; NumSGPRsForWavesPerEU: 54
; NumVGPRsForWavesPerEU: 14
; Occupancy: 16
; WaveLimiterHint : 0
; COMPUTE_PGM_RSRC2:SCRATCH_EN: 0
; COMPUTE_PGM_RSRC2:USER_SGPR: 14
; COMPUTE_PGM_RSRC2:TRAP_HANDLER: 0
; COMPUTE_PGM_RSRC2:TGID_X_EN: 1
; COMPUTE_PGM_RSRC2:TGID_Y_EN: 0
; COMPUTE_PGM_RSRC2:TGID_Z_EN: 1
; COMPUTE_PGM_RSRC2:TIDIG_COMP_CNT: 0
	.section	.text._ZL32rocblas_gemvt_warp_reduce_kernelILb0ELi256EidddEviiT3_lPKT2_lT1_lS3_lS4_lS0_lPT4_lS4_li,"axG",@progbits,_ZL32rocblas_gemvt_warp_reduce_kernelILb0ELi256EidddEviiT3_lPKT2_lT1_lS3_lS4_lS0_lPT4_lS4_li,comdat
	.globl	_ZL32rocblas_gemvt_warp_reduce_kernelILb0ELi256EidddEviiT3_lPKT2_lT1_lS3_lS4_lS0_lPT4_lS4_li ; -- Begin function _ZL32rocblas_gemvt_warp_reduce_kernelILb0ELi256EidddEviiT3_lPKT2_lT1_lS3_lS4_lS0_lPT4_lS4_li
	.p2align	8
	.type	_ZL32rocblas_gemvt_warp_reduce_kernelILb0ELi256EidddEviiT3_lPKT2_lT1_lS3_lS4_lS0_lPT4_lS4_li,@function
_ZL32rocblas_gemvt_warp_reduce_kernelILb0ELi256EidddEviiT3_lPKT2_lT1_lS3_lS4_lS0_lPT4_lS4_li: ; @_ZL32rocblas_gemvt_warp_reduce_kernelILb0ELi256EidddEviiT3_lPKT2_lT1_lS3_lS4_lS0_lPT4_lS4_li
; %bb.0:
	s_clause 0x1
	s_load_b64 s[8:9], s[0:1], 0x8
	s_load_b128 s[4:7], s[0:1], 0x50
	s_waitcnt lgkmcnt(0)
	v_cmp_eq_f64_e64 s2, s[8:9], 0
	v_cmp_eq_f64_e64 s3, s[6:7], 1.0
	s_delay_alu instid0(VALU_DEP_1) | instskip(NEXT) | instid1(SALU_CYCLE_1)
	s_and_b32 s2, s2, s3
	s_and_b32 vcc_lo, exec_lo, s2
	s_cbranch_vccnz .LBB80_29
; %bb.1:
	v_cmp_neq_f64_e64 s10, s[8:9], 0
	s_clause 0x2
	s_load_b64 s[2:3], s[0:1], 0x80
	s_load_b128 s[20:23], s[0:1], 0x68
	s_load_b32 s17, s[0:1], 0x78
	s_mov_b32 s16, 0
	s_waitcnt lgkmcnt(0)
	s_mul_i32 s3, s15, s3
	s_mul_hi_u32 s11, s15, s2
	s_mul_i32 s2, s15, s2
	s_add_i32 s3, s11, s3
	s_delay_alu instid0(SALU_CYCLE_1) | instskip(NEXT) | instid1(SALU_CYCLE_1)
	s_lshl_b64 s[2:3], s[2:3], 3
	s_add_u32 s11, s20, s2
	s_addc_u32 s13, s21, s3
	s_lshl_b64 s[2:3], s[22:23], 3
	s_delay_alu instid0(SALU_CYCLE_1) | instskip(SKIP_2) | instid1(VALU_DEP_2)
	s_add_u32 s12, s11, s2
	v_cmp_eq_u32_e64 s2, 0, v0
	s_addc_u32 s13, s13, s3
	s_and_b32 vcc_lo, exec_lo, s10
	s_cbranch_vccnz .LBB80_6
; %bb.2:
	s_mov_b32 s3, 0
                                        ; implicit-def: $vgpr1_vgpr2
                                        ; implicit-def: $sgpr10_sgpr11
	s_and_saveexec_b32 s18, s2
	s_cbranch_execz .LBB80_7
; %bb.3:
	v_cmp_eq_f64_e64 s2, s[6:7], 0
	v_mov_b32_e32 v1, 0
	v_mov_b32_e32 v2, 0
	s_mul_i32 s10, s14, s17
	s_delay_alu instid0(SALU_CYCLE_1) | instskip(NEXT) | instid1(VALU_DEP_3)
	s_ashr_i32 s11, s10, 31
	s_and_b32 vcc_lo, exec_lo, s2
	s_cbranch_vccnz .LBB80_5
; %bb.4:
	s_lshl_b64 s[20:21], s[10:11], 3
	s_delay_alu instid0(SALU_CYCLE_1)
	s_add_u32 s20, s12, s20
	s_addc_u32 s21, s13, s21
	s_load_b64 s[20:21], s[20:21], 0x0
	s_waitcnt lgkmcnt(0)
	v_mul_f64 v[1:2], s[20:21], s[6:7]
.LBB80_5:
	s_mov_b32 s16, exec_lo
	s_or_b32 exec_lo, exec_lo, s18
	s_delay_alu instid0(SALU_CYCLE_1)
	s_and_b32 vcc_lo, exec_lo, s3
	s_cbranch_vccnz .LBB80_8
	s_branch .LBB80_27
.LBB80_6:
                                        ; implicit-def: $vgpr1_vgpr2
                                        ; implicit-def: $sgpr10_sgpr11
	s_cbranch_execnz .LBB80_8
	s_branch .LBB80_27
.LBB80_7:
	s_or_b32 exec_lo, exec_lo, s18
	s_delay_alu instid0(SALU_CYCLE_1)
	s_and_b32 vcc_lo, exec_lo, s3
	s_cbranch_vccz .LBB80_27
.LBB80_8:
	s_mul_i32 s3, s15, s5
	s_mul_hi_u32 s5, s15, s4
	s_mul_i32 s2, s15, s4
	s_add_i32 s3, s5, s3
	s_clause 0x3
	s_load_b128 s[20:23], s[0:1], 0x30
	s_load_b64 s[10:11], s[0:1], 0x40
	s_load_b128 s[24:27], s[0:1], 0x18
	s_load_b32 s18, s[0:1], 0x28
	s_lshl_b64 s[4:5], s[2:3], 3
	s_clause 0x1
	s_load_b32 s3, s[0:1], 0x0
	s_load_b32 s1, s[0:1], 0x48
	s_waitcnt lgkmcnt(0)
	s_add_u32 s2, s22, s4
	s_addc_u32 s22, s23, s5
	s_lshl_b64 s[4:5], s[10:11], 3
	s_mul_i32 s19, s15, s21
	s_mul_hi_u32 s21, s15, s20
	s_add_u32 s4, s2, s4
	v_cmp_gt_i32_e32 vcc_lo, s3, v0
	s_mul_i32 s10, s15, s20
	s_addc_u32 s5, s22, s5
	s_add_i32 s11, s21, s19
	s_mul_i32 s18, s14, s18
	s_lshl_b64 s[10:11], s[10:11], 3
	v_cndmask_b32_e32 v1, 0, v0, vcc_lo
	s_add_u32 s0, s24, s10
	s_addc_u32 s2, s25, s11
	s_lshl_b64 s[10:11], s[26:27], 3
	s_delay_alu instid0(SALU_CYCLE_1) | instskip(SKIP_4) | instid1(SALU_CYCLE_1)
	s_add_u32 s0, s0, s10
	s_addc_u32 s2, s2, s11
	s_ashr_i32 s19, s18, 31
	v_lshlrev_b32_e32 v1, 3, v1
	s_lshl_b64 s[10:11], s[18:19], 3
	s_add_u32 s0, s10, s0
	s_addc_u32 s2, s11, s2
	s_ashr_i32 s10, s3, 31
	v_add_co_u32 v3, s0, s0, v1
	s_lshr_b32 s10, s10, 24
	v_mov_b32_e32 v1, 0
	v_add_co_ci_u32_e64 v4, null, s2, 0, s0
	v_mov_b32_e32 v2, 0
	s_add_i32 s10, s3, s10
	s_mov_b32 s11, 0
	s_and_b32 s2, s10, 0xffffff00
	s_mov_b32 s10, exec_lo
	v_cmpx_gt_i32_e64 s2, v0
	s_cbranch_execz .LBB80_12
; %bb.9:
	v_mul_lo_u32 v5, v0, s1
	v_dual_mov_b32 v1, 0 :: v_dual_mov_b32 v8, v4
	v_dual_mov_b32 v2, 0 :: v_dual_mov_b32 v7, v3
	v_mov_b32_e32 v9, v0
	s_lshl_b32 s15, s1, 8
	.p2align	6
.LBB80_10:                              ; =>This Inner Loop Header: Depth=1
	s_delay_alu instid0(VALU_DEP_4) | instskip(NEXT) | instid1(VALU_DEP_2)
	v_ashrrev_i32_e32 v6, 31, v5
	v_add_nc_u32_e32 v9, 0x100, v9
	s_delay_alu instid0(VALU_DEP_2) | instskip(NEXT) | instid1(VALU_DEP_2)
	v_lshlrev_b64 v[10:11], 3, v[5:6]
	v_cmp_le_i32_e64 s0, s2, v9
	v_add_nc_u32_e32 v5, s15, v5
	s_delay_alu instid0(VALU_DEP_2) | instskip(NEXT) | instid1(VALU_DEP_3)
	s_or_b32 s11, s0, s11
	v_add_co_u32 v10, vcc_lo, s4, v10
	s_delay_alu instid0(VALU_DEP_4)
	v_add_co_ci_u32_e32 v11, vcc_lo, s5, v11, vcc_lo
	global_load_b64 v[12:13], v[7:8], off
	global_load_b64 v[10:11], v[10:11], off
	v_add_co_u32 v7, vcc_lo, 0x800, v7
	v_add_co_ci_u32_e32 v8, vcc_lo, 0, v8, vcc_lo
	s_waitcnt vmcnt(0)
	v_fma_f64 v[1:2], v[12:13], v[10:11], v[1:2]
	s_and_not1_b32 exec_lo, exec_lo, s11
	s_cbranch_execnz .LBB80_10
; %bb.11:
	s_or_b32 exec_lo, exec_lo, s11
.LBB80_12:
	s_delay_alu instid0(SALU_CYCLE_1) | instskip(SKIP_2) | instid1(VALU_DEP_1)
	s_or_b32 exec_lo, exec_lo, s10
	v_add_nc_u32_e32 v5, s2, v0
	s_mov_b32 s0, exec_lo
	v_cmpx_gt_i32_e64 s3, v5
	s_cbranch_execz .LBB80_14
; %bb.13:
	v_mul_lo_u32 v5, v5, s1
	s_ashr_i32 s3, s2, 31
	s_delay_alu instid0(SALU_CYCLE_1) | instskip(NEXT) | instid1(SALU_CYCLE_1)
	s_lshl_b64 s[2:3], s[2:3], 3
	v_add_co_u32 v3, vcc_lo, v3, s2
	v_add_co_ci_u32_e32 v4, vcc_lo, s3, v4, vcc_lo
	s_delay_alu instid0(VALU_DEP_3) | instskip(NEXT) | instid1(VALU_DEP_1)
	v_ashrrev_i32_e32 v6, 31, v5
	v_lshlrev_b64 v[5:6], 3, v[5:6]
	s_delay_alu instid0(VALU_DEP_1) | instskip(NEXT) | instid1(VALU_DEP_2)
	v_add_co_u32 v5, vcc_lo, s4, v5
	v_add_co_ci_u32_e32 v6, vcc_lo, s5, v6, vcc_lo
	global_load_b64 v[3:4], v[3:4], off
	global_load_b64 v[5:6], v[5:6], off
	s_waitcnt vmcnt(0)
	v_fma_f64 v[1:2], v[3:4], v[5:6], v[1:2]
.LBB80_14:
	s_or_b32 exec_lo, exec_lo, s0
	v_and_b32_e32 v8, 31, v0
	v_cmp_gt_u32_e32 vcc_lo, 32, v0
	s_delay_alu instid0(VALU_DEP_2)
	v_lshlrev_b32_e32 v5, 3, v8
	s_and_saveexec_b32 s0, vcc_lo
	s_cbranch_execz .LBB80_16
; %bb.15:
	v_mov_b32_e32 v3, 0
	s_delay_alu instid0(VALU_DEP_1)
	v_mov_b32_e32 v4, v3
	ds_store_b64 v5, v[3:4]
.LBB80_16:
	s_or_b32 exec_lo, exec_lo, s0
	v_mbcnt_lo_u32_b32 v9, -1, 0
	s_mov_b32 s1, exec_lo
	s_waitcnt lgkmcnt(0)
	s_barrier
	buffer_gl0_inv
	v_cmp_gt_u32_e64 s0, 16, v9
	s_delay_alu instid0(VALU_DEP_1) | instskip(SKIP_1) | instid1(VALU_DEP_2)
	v_cndmask_b32_e64 v3, 0, 1, s0
	v_cmp_gt_u32_e64 s0, 24, v9
	v_lshlrev_b32_e32 v3, 4, v3
	s_delay_alu instid0(VALU_DEP_1)
	v_add_lshl_u32 v4, v3, v9, 2
	ds_bpermute_b32 v3, v4, v1
	ds_bpermute_b32 v4, v4, v2
	s_waitcnt lgkmcnt(0)
	v_add_f64 v[1:2], v[1:2], v[3:4]
	v_cndmask_b32_e64 v3, 0, 1, s0
	v_cmp_gt_u32_e64 s0, 28, v9
	s_delay_alu instid0(VALU_DEP_2) | instskip(NEXT) | instid1(VALU_DEP_1)
	v_lshlrev_b32_e32 v3, 3, v3
	v_add_lshl_u32 v4, v3, v9, 2
	ds_bpermute_b32 v3, v4, v1
	ds_bpermute_b32 v4, v4, v2
	s_waitcnt lgkmcnt(0)
	v_add_f64 v[1:2], v[1:2], v[3:4]
	v_cndmask_b32_e64 v3, 0, 1, s0
	v_cmp_gt_u32_e64 s0, 30, v9
	s_delay_alu instid0(VALU_DEP_2) | instskip(NEXT) | instid1(VALU_DEP_1)
	v_lshlrev_b32_e32 v3, 2, v3
	v_add_lshl_u32 v6, v3, v9, 2
	ds_bpermute_b32 v3, v6, v1
	ds_bpermute_b32 v4, v6, v2
	s_waitcnt lgkmcnt(0)
	v_add_f64 v[1:2], v[1:2], v[3:4]
	v_cndmask_b32_e64 v3, 0, 1, s0
	v_cmp_ne_u32_e64 s0, 31, v9
	s_delay_alu instid0(VALU_DEP_2) | instskip(NEXT) | instid1(VALU_DEP_1)
	v_lshlrev_b32_e32 v3, 1, v3
	v_add_lshl_u32 v7, v3, v9, 2
	ds_bpermute_b32 v3, v7, v1
	ds_bpermute_b32 v4, v7, v2
	s_waitcnt lgkmcnt(0)
	v_add_f64 v[1:2], v[1:2], v[3:4]
	v_add_co_ci_u32_e64 v3, s0, 0, v9, s0
	s_delay_alu instid0(VALU_DEP_1)
	v_lshlrev_b32_e32 v9, 2, v3
	ds_bpermute_b32 v3, v9, v1
	ds_bpermute_b32 v4, v9, v2
	v_cmpx_eq_u32_e32 0, v8
	s_cbranch_execz .LBB80_18
; %bb.17:
	s_waitcnt lgkmcnt(0)
	v_add_f64 v[1:2], v[1:2], v[3:4]
	v_lshrrev_b32_e32 v3, 2, v0
	s_delay_alu instid0(VALU_DEP_1)
	v_and_b32_e32 v3, 56, v3
	ds_store_b64 v3, v[1:2]
.LBB80_18:
	s_or_b32 exec_lo, exec_lo, s1
	s_waitcnt lgkmcnt(0)
	v_mov_b32_e32 v3, 0
	v_mov_b32_e32 v4, 0
	s_mov_b32 s1, exec_lo
	s_barrier
	buffer_gl0_inv
	v_cmpx_gt_u32_e32 8, v0
	s_cbranch_execz .LBB80_20
; %bb.19:
	ds_load_b64 v[3:4], v5
.LBB80_20:
	s_or_b32 exec_lo, exec_lo, s1
	s_and_saveexec_b32 s0, vcc_lo
	s_cbranch_execz .LBB80_22
; %bb.21:
	s_waitcnt lgkmcnt(0)
	ds_bpermute_b32 v1, v6, v3
	ds_bpermute_b32 v2, v6, v4
	s_waitcnt lgkmcnt(0)
	v_add_f64 v[1:2], v[3:4], v[1:2]
	ds_bpermute_b32 v3, v7, v1
	ds_bpermute_b32 v4, v7, v2
	s_waitcnt lgkmcnt(0)
	v_add_f64 v[1:2], v[1:2], v[3:4]
	;; [unrolled: 4-line block ×3, first 2 shown]
.LBB80_22:
	s_or_b32 exec_lo, exec_lo, s0
	s_delay_alu instid0(SALU_CYCLE_1)
	s_mov_b32 s0, exec_lo
                                        ; implicit-def: $vgpr1_vgpr2
                                        ; implicit-def: $sgpr10_sgpr11
	v_cmpx_eq_u32_e32 0, v0
	s_cbranch_execz .LBB80_26
; %bb.23:
	v_cmp_eq_f64_e64 s1, s[6:7], 0
	s_waitcnt lgkmcnt(0)
	s_delay_alu instid0(VALU_DEP_3) | instskip(SKIP_1) | instid1(SALU_CYCLE_1)
	v_mul_f64 v[1:2], v[3:4], s[8:9]
	s_mul_i32 s10, s14, s17
	s_ashr_i32 s11, s10, 31
	s_delay_alu instid0(VALU_DEP_2)
	s_and_b32 vcc_lo, exec_lo, s1
	s_cbranch_vccnz .LBB80_25
; %bb.24:
	s_lshl_b64 s[2:3], s[10:11], 3
	s_delay_alu instid0(SALU_CYCLE_1) | instskip(SKIP_3) | instid1(VALU_DEP_1)
	s_add_u32 s2, s12, s2
	s_addc_u32 s3, s13, s3
	s_load_b64 s[2:3], s[2:3], 0x0
	s_waitcnt lgkmcnt(0)
	v_fma_f64 v[1:2], s[2:3], s[6:7], v[1:2]
.LBB80_25:
	s_or_b32 s16, s16, exec_lo
.LBB80_26:
	s_or_b32 exec_lo, exec_lo, s0
.LBB80_27:
	s_and_saveexec_b32 s0, s16
	s_cbranch_execz .LBB80_29
; %bb.28:
	s_lshl_b64 s[0:1], s[10:11], 3
	v_mov_b32_e32 v0, 0
	s_add_u32 s0, s12, s0
	s_addc_u32 s1, s13, s1
	global_store_b64 v0, v[1:2], s[0:1]
.LBB80_29:
	s_nop 0
	s_sendmsg sendmsg(MSG_DEALLOC_VGPRS)
	s_endpgm
	.section	.rodata,"a",@progbits
	.p2align	6, 0x0
	.amdhsa_kernel _ZL32rocblas_gemvt_warp_reduce_kernelILb0ELi256EidddEviiT3_lPKT2_lT1_lS3_lS4_lS0_lPT4_lS4_li
		.amdhsa_group_segment_fixed_size 256
		.amdhsa_private_segment_fixed_size 0
		.amdhsa_kernarg_size 140
		.amdhsa_user_sgpr_count 14
		.amdhsa_user_sgpr_dispatch_ptr 0
		.amdhsa_user_sgpr_queue_ptr 0
		.amdhsa_user_sgpr_kernarg_segment_ptr 1
		.amdhsa_user_sgpr_dispatch_id 0
		.amdhsa_user_sgpr_private_segment_size 0
		.amdhsa_wavefront_size32 1
		.amdhsa_uses_dynamic_stack 0
		.amdhsa_enable_private_segment 0
		.amdhsa_system_sgpr_workgroup_id_x 1
		.amdhsa_system_sgpr_workgroup_id_y 0
		.amdhsa_system_sgpr_workgroup_id_z 1
		.amdhsa_system_sgpr_workgroup_info 0
		.amdhsa_system_vgpr_workitem_id 0
		.amdhsa_next_free_vgpr 14
		.amdhsa_next_free_sgpr 28
		.amdhsa_reserve_vcc 1
		.amdhsa_float_round_mode_32 0
		.amdhsa_float_round_mode_16_64 0
		.amdhsa_float_denorm_mode_32 3
		.amdhsa_float_denorm_mode_16_64 3
		.amdhsa_dx10_clamp 1
		.amdhsa_ieee_mode 1
		.amdhsa_fp16_overflow 0
		.amdhsa_workgroup_processor_mode 1
		.amdhsa_memory_ordered 1
		.amdhsa_forward_progress 0
		.amdhsa_shared_vgpr_count 0
		.amdhsa_exception_fp_ieee_invalid_op 0
		.amdhsa_exception_fp_denorm_src 0
		.amdhsa_exception_fp_ieee_div_zero 0
		.amdhsa_exception_fp_ieee_overflow 0
		.amdhsa_exception_fp_ieee_underflow 0
		.amdhsa_exception_fp_ieee_inexact 0
		.amdhsa_exception_int_div_zero 0
	.end_amdhsa_kernel
	.section	.text._ZL32rocblas_gemvt_warp_reduce_kernelILb0ELi256EidddEviiT3_lPKT2_lT1_lS3_lS4_lS0_lPT4_lS4_li,"axG",@progbits,_ZL32rocblas_gemvt_warp_reduce_kernelILb0ELi256EidddEviiT3_lPKT2_lT1_lS3_lS4_lS0_lPT4_lS4_li,comdat
.Lfunc_end80:
	.size	_ZL32rocblas_gemvt_warp_reduce_kernelILb0ELi256EidddEviiT3_lPKT2_lT1_lS3_lS4_lS0_lPT4_lS4_li, .Lfunc_end80-_ZL32rocblas_gemvt_warp_reduce_kernelILb0ELi256EidddEviiT3_lPKT2_lT1_lS3_lS4_lS0_lPT4_lS4_li
                                        ; -- End function
	.section	.AMDGPU.csdata,"",@progbits
; Kernel info:
; codeLenInByte = 1512
; NumSgprs: 30
; NumVgprs: 14
; ScratchSize: 0
; MemoryBound: 0
; FloatMode: 240
; IeeeMode: 1
; LDSByteSize: 256 bytes/workgroup (compile time only)
; SGPRBlocks: 3
; VGPRBlocks: 1
; NumSGPRsForWavesPerEU: 30
; NumVGPRsForWavesPerEU: 14
; Occupancy: 16
; WaveLimiterHint : 1
; COMPUTE_PGM_RSRC2:SCRATCH_EN: 0
; COMPUTE_PGM_RSRC2:USER_SGPR: 14
; COMPUTE_PGM_RSRC2:TRAP_HANDLER: 0
; COMPUTE_PGM_RSRC2:TGID_X_EN: 1
; COMPUTE_PGM_RSRC2:TGID_Y_EN: 0
; COMPUTE_PGM_RSRC2:TGID_Z_EN: 1
; COMPUTE_PGM_RSRC2:TIDIG_COMP_CNT: 0
	.section	.text._ZL32rocblas_gemvt_warp_reduce_kernelILb0ELi256EldddEviiT3_lPKT2_lT1_lS3_lS4_lS0_lPT4_lS4_li,"axG",@progbits,_ZL32rocblas_gemvt_warp_reduce_kernelILb0ELi256EldddEviiT3_lPKT2_lT1_lS3_lS4_lS0_lPT4_lS4_li,comdat
	.globl	_ZL32rocblas_gemvt_warp_reduce_kernelILb0ELi256EldddEviiT3_lPKT2_lT1_lS3_lS4_lS0_lPT4_lS4_li ; -- Begin function _ZL32rocblas_gemvt_warp_reduce_kernelILb0ELi256EldddEviiT3_lPKT2_lT1_lS3_lS4_lS0_lPT4_lS4_li
	.p2align	8
	.type	_ZL32rocblas_gemvt_warp_reduce_kernelILb0ELi256EldddEviiT3_lPKT2_lT1_lS3_lS4_lS0_lPT4_lS4_li,@function
_ZL32rocblas_gemvt_warp_reduce_kernelILb0ELi256EldddEviiT3_lPKT2_lT1_lS3_lS4_lS0_lPT4_lS4_li: ; @_ZL32rocblas_gemvt_warp_reduce_kernelILb0ELi256EldddEviiT3_lPKT2_lT1_lS3_lS4_lS0_lPT4_lS4_li
; %bb.0:
	s_clause 0x1
	s_load_b64 s[34:35], s[0:1], 0x8
	s_load_b64 s[12:13], s[0:1], 0x58
	s_waitcnt lgkmcnt(0)
	v_cmp_eq_f64_e64 s2, s[34:35], 0
	v_cmp_eq_f64_e64 s3, s[12:13], 1.0
	s_delay_alu instid0(VALU_DEP_1) | instskip(NEXT) | instid1(SALU_CYCLE_1)
	s_and_b32 s2, s2, s3
	s_and_b32 vcc_lo, exec_lo, s2
	s_cbranch_vccnz .LBB81_29
; %bb.1:
	v_cmp_neq_f64_e64 s16, s[34:35], 0
	s_load_b256 s[4:11], s[0:1], 0x68
	s_mov_b32 s33, 0
	s_waitcnt lgkmcnt(0)
	s_mul_i32 s3, s15, s11
	s_mul_hi_u32 s11, s15, s10
	s_mul_i32 s2, s15, s10
	s_add_i32 s3, s11, s3
	s_delay_alu instid0(SALU_CYCLE_1) | instskip(NEXT) | instid1(SALU_CYCLE_1)
	s_lshl_b64 s[2:3], s[2:3], 3
	s_add_u32 s4, s4, s2
	s_addc_u32 s5, s5, s3
	s_lshl_b64 s[2:3], s[6:7], 3
	s_delay_alu instid0(SALU_CYCLE_1) | instskip(SKIP_2) | instid1(VALU_DEP_2)
	s_add_u32 s10, s4, s2
	v_cmp_eq_u32_e64 s2, 0, v0
	s_addc_u32 s11, s5, s3
	s_and_b32 vcc_lo, exec_lo, s16
	s_cbranch_vccnz .LBB81_6
; %bb.2:
	s_mov_b32 s3, 0
                                        ; implicit-def: $vgpr1_vgpr2
                                        ; implicit-def: $sgpr4_sgpr5
	s_and_saveexec_b32 s6, s2
	s_cbranch_execz .LBB81_7
; %bb.3:
	v_cmp_eq_f64_e64 s2, s[12:13], 0
	s_mul_i32 s4, s14, s9
	s_mul_hi_u32 s5, s14, s8
	s_ashr_i32 s7, s14, 31
	v_mov_b32_e32 v1, 0
	v_mov_b32_e32 v2, 0
	s_add_i32 s4, s5, s4
	s_mul_i32 s7, s7, s8
	s_delay_alu instid0(SALU_CYCLE_1) | instskip(SKIP_1) | instid1(VALU_DEP_3)
	s_add_i32 s5, s4, s7
	s_mul_i32 s4, s14, s8
	s_and_b32 vcc_lo, exec_lo, s2
	s_cbranch_vccnz .LBB81_5
; %bb.4:
	s_lshl_b64 s[16:17], s[4:5], 3
	s_delay_alu instid0(SALU_CYCLE_1)
	s_add_u32 s16, s10, s16
	s_addc_u32 s17, s11, s17
	s_load_b64 s[16:17], s[16:17], 0x0
	s_waitcnt lgkmcnt(0)
	v_mul_f64 v[1:2], s[16:17], s[12:13]
.LBB81_5:
	s_mov_b32 s33, exec_lo
	s_or_b32 exec_lo, exec_lo, s6
	s_delay_alu instid0(SALU_CYCLE_1)
	s_and_b32 vcc_lo, exec_lo, s3
	s_cbranch_vccnz .LBB81_8
	s_branch .LBB81_27
.LBB81_6:
                                        ; implicit-def: $vgpr1_vgpr2
                                        ; implicit-def: $sgpr4_sgpr5
	s_cbranch_execnz .LBB81_8
	s_branch .LBB81_27
.LBB81_7:
	s_or_b32 exec_lo, exec_lo, s6
	s_delay_alu instid0(SALU_CYCLE_1)
	s_and_b32 vcc_lo, exec_lo, s3
	s_cbranch_vccz .LBB81_27
.LBB81_8:
	s_clause 0x1
	s_load_b512 s[16:31], s[0:1], 0x18
	s_load_b32 s5, s[0:1], 0x0
	s_waitcnt lgkmcnt(0)
	s_mul_i32 s1, s15, s23
	s_mul_hi_u32 s4, s15, s22
	s_mul_i32 s0, s15, s22
	s_add_i32 s1, s4, s1
	s_mul_i32 s2, s15, s31
	s_mul_hi_u32 s3, s15, s30
	s_lshl_b64 s[0:1], s[0:1], 3
	s_add_i32 s3, s3, s2
	v_cmp_gt_i32_e32 vcc_lo, s5, v0
	s_add_u32 s2, s16, s0
	s_addc_u32 s6, s17, s1
	s_lshl_b64 s[0:1], s[18:19], 3
	s_mul_i32 s4, s14, s21
	s_add_u32 s0, s2, s0
	s_mul_hi_u32 s7, s14, s20
	s_addc_u32 s2, s6, s1
	s_ashr_i32 s1, s14, 31
	v_cndmask_b32_e32 v1, 0, v0, vcc_lo
	s_add_i32 s4, s7, s4
	s_mul_i32 s7, s1, s20
	s_mul_i32 s6, s14, s20
	s_add_i32 s7, s4, s7
	v_lshlrev_b32_e32 v1, 3, v1
	s_lshl_b64 s[6:7], s[6:7], 3
	s_mov_b32 s16, 0
	s_add_u32 s0, s6, s0
	s_addc_u32 s2, s7, s2
	s_ashr_i32 s4, s5, 31
	v_add_co_u32 v3, s0, s0, v1
	s_lshr_b32 s4, s4, 24
	v_mov_b32_e32 v1, 0
	v_add_co_ci_u32_e64 v4, null, s2, 0, s0
	v_mov_b32_e32 v2, 0
	s_add_i32 s4, s5, s4
	s_mul_i32 s2, s15, s30
	s_and_b32 s4, s4, 0xffffff00
	s_mov_b32 s15, exec_lo
	v_cmpx_gt_i32_e64 s4, v0
	s_cbranch_execz .LBB81_12
; %bb.9:
	v_mad_u64_u32 v[7:8], null, s28, v0, 0
	s_lshl_b64 s[18:19], s[26:27], 3
	s_lshl_b64 s[6:7], s[2:3], 3
	s_add_u32 s0, s24, s18
	s_addc_u32 s17, s25, s19
	s_add_u32 s0, s0, s6
	s_addc_u32 s6, s17, s7
	s_delay_alu instid0(VALU_DEP_1) | instskip(SKIP_1) | instid1(VALU_DEP_2)
	v_mov_b32_e32 v1, v8
	v_mov_b32_e32 v9, v0
	v_mad_u64_u32 v[5:6], null, s29, v0, v[1:2]
	v_mov_b32_e32 v1, 0
	v_mov_b32_e32 v2, 0
	s_delay_alu instid0(VALU_DEP_3) | instskip(SKIP_1) | instid1(VALU_DEP_2)
	v_mov_b32_e32 v8, v5
	v_dual_mov_b32 v6, v4 :: v_dual_mov_b32 v5, v3
	v_lshlrev_b64 v[7:8], 3, v[7:8]
	s_delay_alu instid0(VALU_DEP_1) | instskip(NEXT) | instid1(VALU_DEP_2)
	v_add_co_u32 v7, vcc_lo, s0, v7
	v_add_co_ci_u32_e32 v8, vcc_lo, s6, v8, vcc_lo
	s_lshl_b64 s[6:7], s[28:29], 11
	.p2align	6
.LBB81_10:                              ; =>This Inner Loop Header: Depth=1
	global_load_b64 v[10:11], v[5:6], off
	global_load_b64 v[12:13], v[7:8], off
	v_add_nc_u32_e32 v9, 0x100, v9
	v_add_co_u32 v5, vcc_lo, 0x800, v5
	v_add_co_ci_u32_e32 v6, vcc_lo, 0, v6, vcc_lo
	s_delay_alu instid0(VALU_DEP_3) | instskip(SKIP_1) | instid1(VALU_DEP_1)
	v_cmp_le_i32_e32 vcc_lo, s4, v9
	v_add_co_u32 v7, s0, v7, s6
	v_add_co_ci_u32_e64 v8, s0, s7, v8, s0
	s_or_b32 s16, vcc_lo, s16
	s_waitcnt vmcnt(0)
	v_fma_f64 v[1:2], v[10:11], v[12:13], v[1:2]
	s_and_not1_b32 exec_lo, exec_lo, s16
	s_cbranch_execnz .LBB81_10
; %bb.11:
	s_or_b32 exec_lo, exec_lo, s16
.LBB81_12:
	s_delay_alu instid0(SALU_CYCLE_1) | instskip(SKIP_2) | instid1(VALU_DEP_1)
	s_or_b32 exec_lo, exec_lo, s15
	v_add_nc_u32_e32 v5, s4, v0
	s_mov_b32 s0, exec_lo
	v_cmpx_gt_i32_e64 s5, v5
	s_cbranch_execz .LBB81_14
; %bb.13:
	v_ashrrev_i32_e32 v8, 31, v5
	v_mul_lo_u32 v9, v5, s29
	v_mad_u64_u32 v[6:7], null, v5, s28, 0
	s_lshl_b64 s[2:3], s[2:3], 3
	s_delay_alu instid0(VALU_DEP_3) | instskip(SKIP_3) | instid1(SALU_CYCLE_1)
	v_mul_lo_u32 v5, v8, s28
	s_add_u32 s5, s24, s2
	s_addc_u32 s6, s25, s3
	s_lshl_b64 s[2:3], s[26:27], 3
	s_add_u32 s7, s5, s2
	s_addc_u32 s6, s6, s3
	s_ashr_i32 s5, s4, 31
	s_delay_alu instid0(VALU_DEP_1) | instskip(SKIP_1) | instid1(SALU_CYCLE_1)
	v_add3_u32 v7, v7, v9, v5
	s_lshl_b64 s[2:3], s[4:5], 3
	v_add_co_u32 v3, vcc_lo, v3, s2
	s_delay_alu instid0(VALU_DEP_2) | instskip(SKIP_1) | instid1(VALU_DEP_2)
	v_lshlrev_b64 v[5:6], 3, v[6:7]
	v_add_co_ci_u32_e32 v4, vcc_lo, s3, v4, vcc_lo
	v_add_co_u32 v5, vcc_lo, s7, v5
	s_delay_alu instid0(VALU_DEP_3)
	v_add_co_ci_u32_e32 v6, vcc_lo, s6, v6, vcc_lo
	global_load_b64 v[3:4], v[3:4], off
	global_load_b64 v[5:6], v[5:6], off
	s_waitcnt vmcnt(0)
	v_fma_f64 v[1:2], v[3:4], v[5:6], v[1:2]
.LBB81_14:
	s_or_b32 exec_lo, exec_lo, s0
	v_and_b32_e32 v8, 31, v0
	v_cmp_gt_u32_e32 vcc_lo, 32, v0
	s_delay_alu instid0(VALU_DEP_2)
	v_lshlrev_b32_e32 v5, 3, v8
	s_and_saveexec_b32 s0, vcc_lo
	s_cbranch_execz .LBB81_16
; %bb.15:
	v_mov_b32_e32 v3, 0
	s_delay_alu instid0(VALU_DEP_1)
	v_mov_b32_e32 v4, v3
	ds_store_b64 v5, v[3:4]
.LBB81_16:
	s_or_b32 exec_lo, exec_lo, s0
	v_mbcnt_lo_u32_b32 v9, -1, 0
	s_mov_b32 s2, exec_lo
	s_waitcnt lgkmcnt(0)
	s_barrier
	buffer_gl0_inv
	v_cmp_gt_u32_e64 s0, 16, v9
	s_delay_alu instid0(VALU_DEP_1) | instskip(SKIP_1) | instid1(VALU_DEP_2)
	v_cndmask_b32_e64 v3, 0, 1, s0
	v_cmp_gt_u32_e64 s0, 24, v9
	v_lshlrev_b32_e32 v3, 4, v3
	s_delay_alu instid0(VALU_DEP_1)
	v_add_lshl_u32 v4, v3, v9, 2
	ds_bpermute_b32 v3, v4, v1
	ds_bpermute_b32 v4, v4, v2
	s_waitcnt lgkmcnt(0)
	v_add_f64 v[1:2], v[1:2], v[3:4]
	v_cndmask_b32_e64 v3, 0, 1, s0
	v_cmp_gt_u32_e64 s0, 28, v9
	s_delay_alu instid0(VALU_DEP_2) | instskip(NEXT) | instid1(VALU_DEP_1)
	v_lshlrev_b32_e32 v3, 3, v3
	v_add_lshl_u32 v4, v3, v9, 2
	ds_bpermute_b32 v3, v4, v1
	ds_bpermute_b32 v4, v4, v2
	s_waitcnt lgkmcnt(0)
	v_add_f64 v[1:2], v[1:2], v[3:4]
	v_cndmask_b32_e64 v3, 0, 1, s0
	v_cmp_gt_u32_e64 s0, 30, v9
	s_delay_alu instid0(VALU_DEP_2) | instskip(NEXT) | instid1(VALU_DEP_1)
	v_lshlrev_b32_e32 v3, 2, v3
	v_add_lshl_u32 v6, v3, v9, 2
	ds_bpermute_b32 v3, v6, v1
	ds_bpermute_b32 v4, v6, v2
	s_waitcnt lgkmcnt(0)
	v_add_f64 v[1:2], v[1:2], v[3:4]
	v_cndmask_b32_e64 v3, 0, 1, s0
	v_cmp_ne_u32_e64 s0, 31, v9
	s_delay_alu instid0(VALU_DEP_2) | instskip(NEXT) | instid1(VALU_DEP_1)
	v_lshlrev_b32_e32 v3, 1, v3
	v_add_lshl_u32 v7, v3, v9, 2
	ds_bpermute_b32 v3, v7, v1
	ds_bpermute_b32 v4, v7, v2
	s_waitcnt lgkmcnt(0)
	v_add_f64 v[1:2], v[1:2], v[3:4]
	v_add_co_ci_u32_e64 v3, s0, 0, v9, s0
	s_delay_alu instid0(VALU_DEP_1)
	v_lshlrev_b32_e32 v9, 2, v3
	ds_bpermute_b32 v3, v9, v1
	ds_bpermute_b32 v4, v9, v2
	v_cmpx_eq_u32_e32 0, v8
	s_cbranch_execz .LBB81_18
; %bb.17:
	s_waitcnt lgkmcnt(0)
	v_add_f64 v[1:2], v[1:2], v[3:4]
	v_lshrrev_b32_e32 v3, 2, v0
	s_delay_alu instid0(VALU_DEP_1)
	v_and_b32_e32 v3, 56, v3
	ds_store_b64 v3, v[1:2]
.LBB81_18:
	s_or_b32 exec_lo, exec_lo, s2
	s_waitcnt lgkmcnt(0)
	v_mov_b32_e32 v3, 0
	v_mov_b32_e32 v4, 0
	s_mov_b32 s2, exec_lo
	s_barrier
	buffer_gl0_inv
	v_cmpx_gt_u32_e32 8, v0
	s_cbranch_execz .LBB81_20
; %bb.19:
	ds_load_b64 v[3:4], v5
.LBB81_20:
	s_or_b32 exec_lo, exec_lo, s2
	s_and_saveexec_b32 s0, vcc_lo
	s_cbranch_execz .LBB81_22
; %bb.21:
	s_waitcnt lgkmcnt(0)
	ds_bpermute_b32 v1, v6, v3
	ds_bpermute_b32 v2, v6, v4
	s_waitcnt lgkmcnt(0)
	v_add_f64 v[1:2], v[3:4], v[1:2]
	ds_bpermute_b32 v3, v7, v1
	ds_bpermute_b32 v4, v7, v2
	s_waitcnt lgkmcnt(0)
	v_add_f64 v[1:2], v[1:2], v[3:4]
	;; [unrolled: 4-line block ×3, first 2 shown]
.LBB81_22:
	s_or_b32 exec_lo, exec_lo, s0
	s_delay_alu instid0(SALU_CYCLE_1)
	s_mov_b32 s0, exec_lo
                                        ; implicit-def: $vgpr1_vgpr2
                                        ; implicit-def: $sgpr4_sgpr5
	v_cmpx_eq_u32_e32 0, v0
	s_cbranch_execz .LBB81_26
; %bb.23:
	v_cmp_eq_f64_e64 s2, s[12:13], 0
	s_waitcnt lgkmcnt(0)
	s_delay_alu instid0(VALU_DEP_3)
	v_mul_f64 v[1:2], v[3:4], s[34:35]
	s_mul_i32 s3, s14, s9
	s_mul_hi_u32 s4, s14, s8
	s_mul_i32 s1, s1, s8
	s_add_i32 s3, s4, s3
	s_mul_i32 s4, s14, s8
	s_add_i32 s5, s3, s1
	s_delay_alu instid0(VALU_DEP_2)
	s_and_b32 vcc_lo, exec_lo, s2
	s_cbranch_vccnz .LBB81_25
; %bb.24:
	s_lshl_b64 s[2:3], s[4:5], 3
	s_delay_alu instid0(SALU_CYCLE_1) | instskip(SKIP_3) | instid1(VALU_DEP_1)
	s_add_u32 s2, s10, s2
	s_addc_u32 s3, s11, s3
	s_load_b64 s[2:3], s[2:3], 0x0
	s_waitcnt lgkmcnt(0)
	v_fma_f64 v[1:2], s[2:3], s[12:13], v[1:2]
.LBB81_25:
	s_or_b32 s33, s33, exec_lo
.LBB81_26:
	s_or_b32 exec_lo, exec_lo, s0
.LBB81_27:
	s_and_saveexec_b32 s0, s33
	s_cbranch_execz .LBB81_29
; %bb.28:
	s_lshl_b64 s[0:1], s[4:5], 3
	v_mov_b32_e32 v0, 0
	s_add_u32 s0, s10, s0
	s_addc_u32 s1, s11, s1
	global_store_b64 v0, v[1:2], s[0:1]
.LBB81_29:
	s_nop 0
	s_sendmsg sendmsg(MSG_DEALLOC_VGPRS)
	s_endpgm
	.section	.rodata,"a",@progbits
	.p2align	6, 0x0
	.amdhsa_kernel _ZL32rocblas_gemvt_warp_reduce_kernelILb0ELi256EldddEviiT3_lPKT2_lT1_lS3_lS4_lS0_lPT4_lS4_li
		.amdhsa_group_segment_fixed_size 256
		.amdhsa_private_segment_fixed_size 0
		.amdhsa_kernarg_size 140
		.amdhsa_user_sgpr_count 14
		.amdhsa_user_sgpr_dispatch_ptr 0
		.amdhsa_user_sgpr_queue_ptr 0
		.amdhsa_user_sgpr_kernarg_segment_ptr 1
		.amdhsa_user_sgpr_dispatch_id 0
		.amdhsa_user_sgpr_private_segment_size 0
		.amdhsa_wavefront_size32 1
		.amdhsa_uses_dynamic_stack 0
		.amdhsa_enable_private_segment 0
		.amdhsa_system_sgpr_workgroup_id_x 1
		.amdhsa_system_sgpr_workgroup_id_y 0
		.amdhsa_system_sgpr_workgroup_id_z 1
		.amdhsa_system_sgpr_workgroup_info 0
		.amdhsa_system_vgpr_workitem_id 0
		.amdhsa_next_free_vgpr 14
		.amdhsa_next_free_sgpr 36
		.amdhsa_reserve_vcc 1
		.amdhsa_float_round_mode_32 0
		.amdhsa_float_round_mode_16_64 0
		.amdhsa_float_denorm_mode_32 3
		.amdhsa_float_denorm_mode_16_64 3
		.amdhsa_dx10_clamp 1
		.amdhsa_ieee_mode 1
		.amdhsa_fp16_overflow 0
		.amdhsa_workgroup_processor_mode 1
		.amdhsa_memory_ordered 1
		.amdhsa_forward_progress 0
		.amdhsa_shared_vgpr_count 0
		.amdhsa_exception_fp_ieee_invalid_op 0
		.amdhsa_exception_fp_denorm_src 0
		.amdhsa_exception_fp_ieee_div_zero 0
		.amdhsa_exception_fp_ieee_overflow 0
		.amdhsa_exception_fp_ieee_underflow 0
		.amdhsa_exception_fp_ieee_inexact 0
		.amdhsa_exception_int_div_zero 0
	.end_amdhsa_kernel
	.section	.text._ZL32rocblas_gemvt_warp_reduce_kernelILb0ELi256EldddEviiT3_lPKT2_lT1_lS3_lS4_lS0_lPT4_lS4_li,"axG",@progbits,_ZL32rocblas_gemvt_warp_reduce_kernelILb0ELi256EldddEviiT3_lPKT2_lT1_lS3_lS4_lS0_lPT4_lS4_li,comdat
.Lfunc_end81:
	.size	_ZL32rocblas_gemvt_warp_reduce_kernelILb0ELi256EldddEviiT3_lPKT2_lT1_lS3_lS4_lS0_lPT4_lS4_li, .Lfunc_end81-_ZL32rocblas_gemvt_warp_reduce_kernelILb0ELi256EldddEviiT3_lPKT2_lT1_lS3_lS4_lS0_lPT4_lS4_li
                                        ; -- End function
	.section	.AMDGPU.csdata,"",@progbits
; Kernel info:
; codeLenInByte = 1580
; NumSgprs: 38
; NumVgprs: 14
; ScratchSize: 0
; MemoryBound: 0
; FloatMode: 240
; IeeeMode: 1
; LDSByteSize: 256 bytes/workgroup (compile time only)
; SGPRBlocks: 4
; VGPRBlocks: 1
; NumSGPRsForWavesPerEU: 38
; NumVGPRsForWavesPerEU: 14
; Occupancy: 16
; WaveLimiterHint : 1
; COMPUTE_PGM_RSRC2:SCRATCH_EN: 0
; COMPUTE_PGM_RSRC2:USER_SGPR: 14
; COMPUTE_PGM_RSRC2:TRAP_HANDLER: 0
; COMPUTE_PGM_RSRC2:TGID_X_EN: 1
; COMPUTE_PGM_RSRC2:TGID_Y_EN: 0
; COMPUTE_PGM_RSRC2:TGID_Z_EN: 1
; COMPUTE_PGM_RSRC2:TIDIG_COMP_CNT: 0
	.section	.text._ZL20rocblas_gemvt_kernelILb0ELi256EdPKddEviiT2_lPKT1_lilS5_lilS2_lPT3_lili,"axG",@progbits,_ZL20rocblas_gemvt_kernelILb0ELi256EdPKddEviiT2_lPKT1_lilS5_lilS2_lPT3_lili,comdat
	.globl	_ZL20rocblas_gemvt_kernelILb0ELi256EdPKddEviiT2_lPKT1_lilS5_lilS2_lPT3_lili ; -- Begin function _ZL20rocblas_gemvt_kernelILb0ELi256EdPKddEviiT2_lPKT1_lilS5_lilS2_lPT3_lili
	.p2align	8
	.type	_ZL20rocblas_gemvt_kernelILb0ELi256EdPKddEviiT2_lPKT1_lilS5_lilS2_lPT3_lili,@function
_ZL20rocblas_gemvt_kernelILb0ELi256EdPKddEviiT2_lPKT1_lilS5_lilS2_lPT3_lili: ; @_ZL20rocblas_gemvt_kernelILb0ELi256EdPKddEviiT2_lPKT1_lilS5_lilS2_lPT3_lili
; %bb.0:
	s_clause 0x1
	s_load_b256 s[16:23], s[0:1], 0x8
	s_load_b256 s[4:11], s[0:1], 0x50
	s_waitcnt lgkmcnt(0)
	s_mul_i32 s3, s15, s19
	s_mul_hi_u32 s12, s15, s18
	s_mul_i32 s2, s15, s18
	s_add_i32 s3, s12, s3
	s_mul_i32 s9, s15, s9
	s_lshl_b64 s[2:3], s[2:3], 3
	s_mul_hi_u32 s12, s15, s8
	s_add_u32 s2, s16, s2
	s_addc_u32 s3, s17, s3
	s_add_i32 s9, s12, s9
	s_mul_i32 s8, s15, s8
	s_delay_alu instid0(SALU_CYCLE_1) | instskip(NEXT) | instid1(SALU_CYCLE_1)
	s_lshl_b64 s[8:9], s[8:9], 3
	s_add_u32 s6, s6, s8
	s_addc_u32 s7, s7, s9
	s_load_b64 s[12:13], s[2:3], 0x0
	s_load_b64 s[6:7], s[6:7], 0x0
	s_waitcnt lgkmcnt(0)
	v_cmp_eq_f64_e64 s2, s[12:13], 0
	v_cmp_eq_f64_e64 s3, s[6:7], 1.0
	s_delay_alu instid0(VALU_DEP_1) | instskip(NEXT) | instid1(SALU_CYCLE_1)
	s_and_b32 s2, s2, s3
	s_and_b32 vcc_lo, exec_lo, s2
	s_cbranch_vccnz .LBB82_36
; %bb.1:
	v_cmp_neq_f64_e64 s16, s[12:13], 0
	s_clause 0x2
	s_load_b64 s[2:3], s[0:1], 0x80
	s_load_b64 s[8:9], s[0:1], 0x70
	s_load_b32 s24, s[0:1], 0x78
	s_mov_b32 s25, 0
	s_waitcnt lgkmcnt(0)
	s_mul_i32 s3, s15, s3
	s_mul_hi_u32 s17, s15, s2
	s_mul_i32 s2, s15, s2
	s_add_i32 s3, s17, s3
	s_delay_alu instid0(SALU_CYCLE_1) | instskip(NEXT) | instid1(SALU_CYCLE_1)
	s_lshl_b64 s[2:3], s[2:3], 3
	s_add_u32 s10, s10, s2
	s_addc_u32 s11, s11, s3
	s_lshl_b64 s[2:3], s[8:9], 3
	s_delay_alu instid0(SALU_CYCLE_1) | instskip(SKIP_2) | instid1(VALU_DEP_2)
	s_add_u32 s18, s10, s2
	v_cmp_eq_u32_e64 s2, 0, v0
	s_addc_u32 s19, s11, s3
	s_and_b32 vcc_lo, exec_lo, s16
	s_cbranch_vccnz .LBB82_6
; %bb.2:
	s_mov_b32 s3, 0
                                        ; implicit-def: $vgpr1_vgpr2
                                        ; implicit-def: $sgpr8_sgpr9
	s_and_saveexec_b32 s10, s2
	s_cbranch_execz .LBB82_7
; %bb.3:
	v_cmp_eq_f64_e64 s2, s[6:7], 0
	v_mov_b32_e32 v1, 0
	v_mov_b32_e32 v2, 0
	s_mul_hi_i32 s9, s24, s14
	s_mul_i32 s8, s24, s14
	s_delay_alu instid0(VALU_DEP_3)
	s_and_b32 vcc_lo, exec_lo, s2
	s_cbranch_vccnz .LBB82_5
; %bb.4:
	s_lshl_b64 s[16:17], s[8:9], 3
	s_delay_alu instid0(SALU_CYCLE_1)
	s_add_u32 s16, s18, s16
	s_addc_u32 s17, s19, s17
	s_load_b64 s[16:17], s[16:17], 0x0
	s_waitcnt lgkmcnt(0)
	v_mul_f64 v[1:2], s[6:7], s[16:17]
.LBB82_5:
	s_mov_b32 s25, exec_lo
	s_or_b32 exec_lo, exec_lo, s10
	s_delay_alu instid0(SALU_CYCLE_1)
	s_and_b32 vcc_lo, exec_lo, s3
	s_cbranch_vccnz .LBB82_8
	s_branch .LBB82_34
.LBB82_6:
                                        ; implicit-def: $vgpr1_vgpr2
                                        ; implicit-def: $sgpr8_sgpr9
	s_cbranch_execnz .LBB82_8
	s_branch .LBB82_34
.LBB82_7:
	s_or_b32 exec_lo, exec_lo, s10
	s_delay_alu instid0(SALU_CYCLE_1)
	s_and_b32 vcc_lo, exec_lo, s3
	s_cbranch_vccz .LBB82_34
.LBB82_8:
	s_clause 0x4
	s_load_b128 s[8:11], s[0:1], 0x30
	s_load_b32 s26, s[0:1], 0x0
	s_load_b32 s16, s[0:1], 0x28
	s_load_b64 s[2:3], s[0:1], 0x40
	s_load_b32 s0, s[0:1], 0x48
	s_mul_i32 s5, s15, s5
	s_mul_hi_u32 s17, s15, s4
	v_mov_b32_e32 v3, 0
	s_add_i32 s5, s17, s5
	s_mul_i32 s4, s15, s4
	v_mov_b32_e32 v4, 0
	s_waitcnt lgkmcnt(0)
	s_mul_i32 s1, s15, s9
	s_mul_hi_u32 s9, s15, s8
	v_cmp_gt_i32_e32 vcc_lo, s26, v0
	s_mul_i32 s8, s15, s8
	s_add_i32 s9, s9, s1
	s_mul_hi_i32 s17, s16, s14
	s_lshl_b64 s[8:9], s[8:9], 3
	v_cndmask_b32_e32 v1, 0, v0, vcc_lo
	s_add_u32 s1, s20, s8
	s_addc_u32 s20, s21, s9
	s_lshl_b64 s[8:9], s[22:23], 3
	s_mul_i32 s16, s16, s14
	s_add_u32 s1, s1, s8
	s_addc_u32 s20, s20, s9
	s_lshl_b64 s[8:9], s[16:17], 3
	v_lshlrev_b32_e32 v1, 3, v1
	s_add_u32 s1, s8, s1
	s_addc_u32 s8, s9, s20
	s_ashr_i32 s9, s26, 31
	s_delay_alu instid0(SALU_CYCLE_1)
	s_lshr_b32 s9, s9, 24
	v_add_co_u32 v1, s1, s1, v1
	s_add_i32 s9, s26, s9
	v_add_co_ci_u32_e64 v2, null, s8, 0, s1
	s_and_b32 s8, s9, 0xffffff00
	s_cmpk_lt_i32 s26, 0x100
	s_mov_b32 s9, 0
	s_cbranch_scc1 .LBB82_11
; %bb.9:
	v_mad_i64_i32 v[5:6], null, s0, v0, 0
	s_lshl_b64 s[20:21], s[2:3], 3
	s_ashr_i32 s1, s0, 31
	s_lshl_b64 s[16:17], s[4:5], 3
	s_add_u32 s15, s10, s20
	s_addc_u32 s20, s11, s21
	s_add_u32 s15, s15, s16
	s_delay_alu instid0(VALU_DEP_1) | instskip(SKIP_3) | instid1(VALU_DEP_3)
	v_lshlrev_b64 v[5:6], 3, v[5:6]
	s_addc_u32 s16, s20, s17
	v_dual_mov_b32 v3, 0 :: v_dual_mov_b32 v8, v2
	v_dual_mov_b32 v4, 0 :: v_dual_mov_b32 v7, v1
	v_add_co_u32 v5, vcc_lo, s15, v5
	s_delay_alu instid0(VALU_DEP_4)
	v_add_co_ci_u32_e32 v6, vcc_lo, s16, v6, vcc_lo
	s_lshl_b64 s[16:17], s[0:1], 11
.LBB82_10:                              ; =>This Inner Loop Header: Depth=1
	global_load_b64 v[9:10], v[7:8], off
	global_load_b64 v[11:12], v[5:6], off
	v_add_co_u32 v5, vcc_lo, v5, s16
	v_add_co_ci_u32_e32 v6, vcc_lo, s17, v6, vcc_lo
	v_add_co_u32 v7, vcc_lo, 0x800, v7
	v_add_co_ci_u32_e32 v8, vcc_lo, 0, v8, vcc_lo
	s_addk_i32 s9, 0x100
	s_delay_alu instid0(SALU_CYCLE_1)
	s_cmp_ge_i32 s9, s8
	s_waitcnt vmcnt(0)
	v_fma_f64 v[3:4], v[9:10], v[11:12], v[3:4]
	s_cbranch_scc0 .LBB82_10
.LBB82_11:
	v_add_nc_u32_e32 v5, s8, v0
	s_mov_b32 s1, exec_lo
	s_delay_alu instid0(VALU_DEP_1)
	v_cmpx_gt_i32_e64 s26, v5
	s_cbranch_execz .LBB82_13
; %bb.12:
	v_mad_i64_i32 v[6:7], null, s0, v5, 0
	s_lshl_b64 s[4:5], s[4:5], 3
	s_delay_alu instid0(SALU_CYCLE_1) | instskip(SKIP_2) | instid1(SALU_CYCLE_1)
	s_add_u32 s4, s10, s4
	s_addc_u32 s5, s11, s5
	s_lshl_b64 s[2:3], s[2:3], 3
	s_add_u32 s0, s4, s2
	s_addc_u32 s4, s5, s3
	s_ashr_i32 s9, s8, 31
	v_lshlrev_b64 v[5:6], 3, v[6:7]
	s_lshl_b64 s[2:3], s[8:9], 3
	s_delay_alu instid0(SALU_CYCLE_1) | instskip(SKIP_1) | instid1(VALU_DEP_3)
	v_add_co_u32 v1, vcc_lo, v1, s2
	v_add_co_ci_u32_e32 v2, vcc_lo, s3, v2, vcc_lo
	v_add_co_u32 v5, vcc_lo, s0, v5
	s_delay_alu instid0(VALU_DEP_4)
	v_add_co_ci_u32_e32 v6, vcc_lo, s4, v6, vcc_lo
	global_load_b64 v[1:2], v[1:2], off
	global_load_b64 v[5:6], v[5:6], off
	s_waitcnt vmcnt(0)
	v_fma_f64 v[3:4], v[1:2], v[5:6], v[3:4]
.LBB82_13:
	s_or_b32 exec_lo, exec_lo, s1
	v_lshlrev_b32_e32 v1, 3, v0
	s_mov_b32 s0, exec_lo
	ds_store_b64 v1, v[3:4]
	s_waitcnt lgkmcnt(0)
	s_barrier
	buffer_gl0_inv
	v_cmpx_gt_u32_e32 0x80, v0
	s_cbranch_execz .LBB82_15
; %bb.14:
	ds_load_2addr_stride64_b64 v[2:5], v1 offset1:2
	s_waitcnt lgkmcnt(0)
	v_add_f64 v[2:3], v[4:5], v[2:3]
	ds_store_b64 v1, v[2:3]
.LBB82_15:
	s_or_b32 exec_lo, exec_lo, s0
	s_delay_alu instid0(SALU_CYCLE_1)
	s_mov_b32 s0, exec_lo
	s_waitcnt lgkmcnt(0)
	s_barrier
	buffer_gl0_inv
	v_cmpx_gt_u32_e32 64, v0
	s_cbranch_execz .LBB82_17
; %bb.16:
	ds_load_2addr_stride64_b64 v[2:5], v1 offset1:1
	s_waitcnt lgkmcnt(0)
	v_add_f64 v[2:3], v[4:5], v[2:3]
	ds_store_b64 v1, v[2:3]
.LBB82_17:
	s_or_b32 exec_lo, exec_lo, s0
	s_delay_alu instid0(SALU_CYCLE_1)
	s_mov_b32 s0, exec_lo
	s_waitcnt lgkmcnt(0)
	s_barrier
	buffer_gl0_inv
	v_cmpx_gt_u32_e32 32, v0
	s_cbranch_execz .LBB82_19
; %bb.18:
	ds_load_2addr_b64 v[2:5], v1 offset1:32
	s_waitcnt lgkmcnt(0)
	v_add_f64 v[2:3], v[4:5], v[2:3]
	ds_store_b64 v1, v[2:3]
.LBB82_19:
	s_or_b32 exec_lo, exec_lo, s0
	s_delay_alu instid0(SALU_CYCLE_1)
	s_mov_b32 s0, exec_lo
	s_waitcnt lgkmcnt(0)
	s_barrier
	buffer_gl0_inv
	v_cmpx_gt_u32_e32 16, v0
	s_cbranch_execz .LBB82_21
; %bb.20:
	ds_load_2addr_b64 v[2:5], v1 offset1:16
	s_waitcnt lgkmcnt(0)
	v_add_f64 v[2:3], v[4:5], v[2:3]
	ds_store_b64 v1, v[2:3]
.LBB82_21:
	s_or_b32 exec_lo, exec_lo, s0
	s_delay_alu instid0(SALU_CYCLE_1)
	s_mov_b32 s0, exec_lo
	s_waitcnt lgkmcnt(0)
	s_barrier
	buffer_gl0_inv
	v_cmpx_gt_u32_e32 8, v0
	s_cbranch_execz .LBB82_23
; %bb.22:
	ds_load_2addr_b64 v[2:5], v1 offset1:8
	s_waitcnt lgkmcnt(0)
	v_add_f64 v[2:3], v[4:5], v[2:3]
	ds_store_b64 v1, v[2:3]
.LBB82_23:
	s_or_b32 exec_lo, exec_lo, s0
	s_delay_alu instid0(SALU_CYCLE_1)
	s_mov_b32 s0, exec_lo
	s_waitcnt lgkmcnt(0)
	s_barrier
	buffer_gl0_inv
	v_cmpx_gt_u32_e32 4, v0
	s_cbranch_execz .LBB82_25
; %bb.24:
	ds_load_2addr_b64 v[2:5], v1 offset1:4
	s_waitcnt lgkmcnt(0)
	v_add_f64 v[2:3], v[4:5], v[2:3]
	ds_store_b64 v1, v[2:3]
.LBB82_25:
	s_or_b32 exec_lo, exec_lo, s0
	s_delay_alu instid0(SALU_CYCLE_1)
	s_mov_b32 s0, exec_lo
	s_waitcnt lgkmcnt(0)
	s_barrier
	buffer_gl0_inv
	v_cmpx_gt_u32_e32 2, v0
	s_cbranch_execz .LBB82_27
; %bb.26:
	ds_load_2addr_b64 v[2:5], v1 offset1:2
	s_waitcnt lgkmcnt(0)
	v_add_f64 v[2:3], v[4:5], v[2:3]
	ds_store_b64 v1, v[2:3]
.LBB82_27:
	s_or_b32 exec_lo, exec_lo, s0
	v_cmp_eq_u32_e32 vcc_lo, 0, v0
	s_waitcnt lgkmcnt(0)
	s_barrier
	buffer_gl0_inv
	s_and_saveexec_b32 s0, vcc_lo
	s_cbranch_execz .LBB82_29
; %bb.28:
	v_mov_b32_e32 v4, 0
	ds_load_b128 v[0:3], v4
	s_waitcnt lgkmcnt(0)
	v_add_f64 v[0:1], v[2:3], v[0:1]
	ds_store_b64 v4, v[0:1]
.LBB82_29:
	s_or_b32 exec_lo, exec_lo, s0
	s_waitcnt lgkmcnt(0)
	s_barrier
	buffer_gl0_inv
                                        ; implicit-def: $vgpr1_vgpr2
                                        ; implicit-def: $sgpr8_sgpr9
	s_and_saveexec_b32 s0, vcc_lo
	s_cbranch_execz .LBB82_33
; %bb.30:
	v_mov_b32_e32 v0, 0
	v_cmp_eq_f64_e64 s1, s[6:7], 0
	s_mul_hi_i32 s9, s24, s14
	s_mul_i32 s8, s24, s14
	ds_load_b64 v[0:1], v0
	s_waitcnt lgkmcnt(0)
	v_mul_f64 v[1:2], s[12:13], v[0:1]
	s_and_b32 vcc_lo, exec_lo, s1
	s_cbranch_vccnz .LBB82_32
; %bb.31:
	s_lshl_b64 s[2:3], s[8:9], 3
	s_delay_alu instid0(SALU_CYCLE_1) | instskip(SKIP_3) | instid1(VALU_DEP_1)
	s_add_u32 s2, s18, s2
	s_addc_u32 s3, s19, s3
	s_load_b64 s[2:3], s[2:3], 0x0
	s_waitcnt lgkmcnt(0)
	v_fma_f64 v[1:2], s[6:7], s[2:3], v[1:2]
.LBB82_32:
	s_or_b32 s25, s25, exec_lo
.LBB82_33:
	s_or_b32 exec_lo, exec_lo, s0
.LBB82_34:
	s_and_saveexec_b32 s0, s25
	s_cbranch_execz .LBB82_36
; %bb.35:
	s_lshl_b64 s[0:1], s[8:9], 3
	v_mov_b32_e32 v0, 0
	s_add_u32 s0, s18, s0
	s_addc_u32 s1, s19, s1
	global_store_b64 v0, v[1:2], s[0:1]
.LBB82_36:
	s_nop 0
	s_sendmsg sendmsg(MSG_DEALLOC_VGPRS)
	s_endpgm
	.section	.rodata,"a",@progbits
	.p2align	6, 0x0
	.amdhsa_kernel _ZL20rocblas_gemvt_kernelILb0ELi256EdPKddEviiT2_lPKT1_lilS5_lilS2_lPT3_lili
		.amdhsa_group_segment_fixed_size 2048
		.amdhsa_private_segment_fixed_size 0
		.amdhsa_kernarg_size 140
		.amdhsa_user_sgpr_count 14
		.amdhsa_user_sgpr_dispatch_ptr 0
		.amdhsa_user_sgpr_queue_ptr 0
		.amdhsa_user_sgpr_kernarg_segment_ptr 1
		.amdhsa_user_sgpr_dispatch_id 0
		.amdhsa_user_sgpr_private_segment_size 0
		.amdhsa_wavefront_size32 1
		.amdhsa_uses_dynamic_stack 0
		.amdhsa_enable_private_segment 0
		.amdhsa_system_sgpr_workgroup_id_x 1
		.amdhsa_system_sgpr_workgroup_id_y 0
		.amdhsa_system_sgpr_workgroup_id_z 1
		.amdhsa_system_sgpr_workgroup_info 0
		.amdhsa_system_vgpr_workitem_id 0
		.amdhsa_next_free_vgpr 13
		.amdhsa_next_free_sgpr 27
		.amdhsa_reserve_vcc 1
		.amdhsa_float_round_mode_32 0
		.amdhsa_float_round_mode_16_64 0
		.amdhsa_float_denorm_mode_32 3
		.amdhsa_float_denorm_mode_16_64 3
		.amdhsa_dx10_clamp 1
		.amdhsa_ieee_mode 1
		.amdhsa_fp16_overflow 0
		.amdhsa_workgroup_processor_mode 1
		.amdhsa_memory_ordered 1
		.amdhsa_forward_progress 0
		.amdhsa_shared_vgpr_count 0
		.amdhsa_exception_fp_ieee_invalid_op 0
		.amdhsa_exception_fp_denorm_src 0
		.amdhsa_exception_fp_ieee_div_zero 0
		.amdhsa_exception_fp_ieee_overflow 0
		.amdhsa_exception_fp_ieee_underflow 0
		.amdhsa_exception_fp_ieee_inexact 0
		.amdhsa_exception_int_div_zero 0
	.end_amdhsa_kernel
	.section	.text._ZL20rocblas_gemvt_kernelILb0ELi256EdPKddEviiT2_lPKT1_lilS5_lilS2_lPT3_lili,"axG",@progbits,_ZL20rocblas_gemvt_kernelILb0ELi256EdPKddEviiT2_lPKT1_lilS5_lilS2_lPT3_lili,comdat
.Lfunc_end82:
	.size	_ZL20rocblas_gemvt_kernelILb0ELi256EdPKddEviiT2_lPKT1_lilS5_lilS2_lPT3_lili, .Lfunc_end82-_ZL20rocblas_gemvt_kernelILb0ELi256EdPKddEviiT2_lPKT1_lilS5_lilS2_lPT3_lili
                                        ; -- End function
	.section	.AMDGPU.csdata,"",@progbits
; Kernel info:
; codeLenInByte = 1552
; NumSgprs: 29
; NumVgprs: 13
; ScratchSize: 0
; MemoryBound: 0
; FloatMode: 240
; IeeeMode: 1
; LDSByteSize: 2048 bytes/workgroup (compile time only)
; SGPRBlocks: 3
; VGPRBlocks: 1
; NumSGPRsForWavesPerEU: 29
; NumVGPRsForWavesPerEU: 13
; Occupancy: 16
; WaveLimiterHint : 1
; COMPUTE_PGM_RSRC2:SCRATCH_EN: 0
; COMPUTE_PGM_RSRC2:USER_SGPR: 14
; COMPUTE_PGM_RSRC2:TRAP_HANDLER: 0
; COMPUTE_PGM_RSRC2:TGID_X_EN: 1
; COMPUTE_PGM_RSRC2:TGID_Y_EN: 0
; COMPUTE_PGM_RSRC2:TGID_Z_EN: 1
; COMPUTE_PGM_RSRC2:TIDIG_COMP_CNT: 0
	.section	.text._ZL20rocblas_gemvt_kernelILb0ELi256EdddEviiT2_lPKT1_lilS3_lilS0_lPT3_lili,"axG",@progbits,_ZL20rocblas_gemvt_kernelILb0ELi256EdddEviiT2_lPKT1_lilS3_lilS0_lPT3_lili,comdat
	.globl	_ZL20rocblas_gemvt_kernelILb0ELi256EdddEviiT2_lPKT1_lilS3_lilS0_lPT3_lili ; -- Begin function _ZL20rocblas_gemvt_kernelILb0ELi256EdddEviiT2_lPKT1_lilS3_lilS0_lPT3_lili
	.p2align	8
	.type	_ZL20rocblas_gemvt_kernelILb0ELi256EdddEviiT2_lPKT1_lilS3_lilS0_lPT3_lili,@function
_ZL20rocblas_gemvt_kernelILb0ELi256EdddEviiT2_lPKT1_lilS3_lilS0_lPT3_lili: ; @_ZL20rocblas_gemvt_kernelILb0ELi256EdddEviiT2_lPKT1_lilS3_lilS0_lPT3_lili
; %bb.0:
	s_clause 0x1
	s_load_b64 s[12:13], s[0:1], 0x8
	s_load_b128 s[4:7], s[0:1], 0x50
	s_waitcnt lgkmcnt(0)
	v_cmp_eq_f64_e64 s2, s[12:13], 0
	v_cmp_eq_f64_e64 s3, s[6:7], 1.0
	s_delay_alu instid0(VALU_DEP_1) | instskip(NEXT) | instid1(SALU_CYCLE_1)
	s_and_b32 s2, s2, s3
	s_and_b32 vcc_lo, exec_lo, s2
	s_cbranch_vccnz .LBB83_36
; %bb.1:
	v_cmp_neq_f64_e64 s16, s[12:13], 0
	s_clause 0x2
	s_load_b64 s[2:3], s[0:1], 0x80
	s_load_b128 s[8:11], s[0:1], 0x68
	s_load_b32 s20, s[0:1], 0x78
	s_mov_b32 s21, 0
	s_waitcnt lgkmcnt(0)
	s_mul_i32 s3, s15, s3
	s_mul_hi_u32 s17, s15, s2
	s_mul_i32 s2, s15, s2
	s_add_i32 s3, s17, s3
	s_delay_alu instid0(SALU_CYCLE_1) | instskip(NEXT) | instid1(SALU_CYCLE_1)
	s_lshl_b64 s[2:3], s[2:3], 3
	s_add_u32 s8, s8, s2
	s_addc_u32 s9, s9, s3
	s_lshl_b64 s[2:3], s[10:11], 3
	s_delay_alu instid0(SALU_CYCLE_1) | instskip(SKIP_2) | instid1(VALU_DEP_2)
	s_add_u32 s18, s8, s2
	v_cmp_eq_u32_e64 s2, 0, v0
	s_addc_u32 s19, s9, s3
	s_and_b32 vcc_lo, exec_lo, s16
	s_cbranch_vccnz .LBB83_6
; %bb.2:
	s_mov_b32 s3, 0
                                        ; implicit-def: $vgpr1_vgpr2
                                        ; implicit-def: $sgpr8_sgpr9
	s_and_saveexec_b32 s10, s2
	s_cbranch_execz .LBB83_7
; %bb.3:
	v_cmp_eq_f64_e64 s2, s[6:7], 0
	v_mov_b32_e32 v1, 0
	v_mov_b32_e32 v2, 0
	s_mul_hi_i32 s9, s20, s14
	s_mul_i32 s8, s20, s14
	s_delay_alu instid0(VALU_DEP_3)
	s_and_b32 vcc_lo, exec_lo, s2
	s_cbranch_vccnz .LBB83_5
; %bb.4:
	s_lshl_b64 s[16:17], s[8:9], 3
	s_delay_alu instid0(SALU_CYCLE_1)
	s_add_u32 s16, s18, s16
	s_addc_u32 s17, s19, s17
	s_load_b64 s[16:17], s[16:17], 0x0
	s_waitcnt lgkmcnt(0)
	v_mul_f64 v[1:2], s[16:17], s[6:7]
.LBB83_5:
	s_mov_b32 s21, exec_lo
	s_or_b32 exec_lo, exec_lo, s10
	s_delay_alu instid0(SALU_CYCLE_1)
	s_and_b32 vcc_lo, exec_lo, s3
	s_cbranch_vccnz .LBB83_8
	s_branch .LBB83_34
.LBB83_6:
                                        ; implicit-def: $vgpr1_vgpr2
                                        ; implicit-def: $sgpr8_sgpr9
	s_cbranch_execnz .LBB83_8
	s_branch .LBB83_34
.LBB83_7:
	s_or_b32 exec_lo, exec_lo, s10
	s_delay_alu instid0(SALU_CYCLE_1)
	s_and_b32 vcc_lo, exec_lo, s3
	s_cbranch_vccz .LBB83_34
.LBB83_8:
	s_clause 0x5
	s_load_b128 s[8:11], s[0:1], 0x30
	s_load_b32 s22, s[0:1], 0x0
	s_load_b32 s16, s[0:1], 0x28
	s_load_b128 s[24:27], s[0:1], 0x18
	s_load_b64 s[2:3], s[0:1], 0x40
	s_load_b32 s0, s[0:1], 0x48
	s_mul_i32 s5, s15, s5
	s_mul_hi_u32 s17, s15, s4
	v_mov_b32_e32 v3, 0
	s_add_i32 s5, s17, s5
	s_mul_i32 s4, s15, s4
	v_mov_b32_e32 v4, 0
	s_waitcnt lgkmcnt(0)
	s_mul_i32 s1, s15, s9
	s_mul_hi_u32 s9, s15, s8
	v_cmp_gt_i32_e32 vcc_lo, s22, v0
	s_mul_i32 s8, s15, s8
	s_add_i32 s9, s9, s1
	s_mul_hi_i32 s17, s16, s14
	s_lshl_b64 s[8:9], s[8:9], 3
	v_cndmask_b32_e32 v1, 0, v0, vcc_lo
	s_add_u32 s1, s24, s8
	s_addc_u32 s23, s25, s9
	s_lshl_b64 s[8:9], s[26:27], 3
	s_mul_i32 s16, s16, s14
	s_add_u32 s1, s1, s8
	s_addc_u32 s23, s23, s9
	s_lshl_b64 s[8:9], s[16:17], 3
	v_lshlrev_b32_e32 v1, 3, v1
	s_add_u32 s1, s8, s1
	s_addc_u32 s8, s9, s23
	s_ashr_i32 s9, s22, 31
	s_delay_alu instid0(SALU_CYCLE_1)
	s_lshr_b32 s9, s9, 24
	v_add_co_u32 v1, s1, s1, v1
	s_add_i32 s9, s22, s9
	v_add_co_ci_u32_e64 v2, null, s8, 0, s1
	s_and_b32 s8, s9, 0xffffff00
	s_cmpk_lt_i32 s22, 0x100
	s_mov_b32 s9, 0
	s_cbranch_scc1 .LBB83_11
; %bb.9:
	v_mad_i64_i32 v[5:6], null, s0, v0, 0
	s_lshl_b64 s[24:25], s[2:3], 3
	s_ashr_i32 s1, s0, 31
	s_lshl_b64 s[16:17], s[4:5], 3
	s_add_u32 s15, s10, s24
	s_addc_u32 s23, s11, s25
	s_add_u32 s15, s15, s16
	s_delay_alu instid0(VALU_DEP_1) | instskip(SKIP_3) | instid1(VALU_DEP_3)
	v_lshlrev_b64 v[5:6], 3, v[5:6]
	s_addc_u32 s16, s23, s17
	v_dual_mov_b32 v3, 0 :: v_dual_mov_b32 v8, v2
	v_dual_mov_b32 v4, 0 :: v_dual_mov_b32 v7, v1
	v_add_co_u32 v5, vcc_lo, s15, v5
	s_delay_alu instid0(VALU_DEP_4)
	v_add_co_ci_u32_e32 v6, vcc_lo, s16, v6, vcc_lo
	s_lshl_b64 s[16:17], s[0:1], 11
.LBB83_10:                              ; =>This Inner Loop Header: Depth=1
	global_load_b64 v[9:10], v[7:8], off
	global_load_b64 v[11:12], v[5:6], off
	v_add_co_u32 v5, vcc_lo, v5, s16
	v_add_co_ci_u32_e32 v6, vcc_lo, s17, v6, vcc_lo
	v_add_co_u32 v7, vcc_lo, 0x800, v7
	v_add_co_ci_u32_e32 v8, vcc_lo, 0, v8, vcc_lo
	s_addk_i32 s9, 0x100
	s_delay_alu instid0(SALU_CYCLE_1)
	s_cmp_ge_i32 s9, s8
	s_waitcnt vmcnt(0)
	v_fma_f64 v[3:4], v[9:10], v[11:12], v[3:4]
	s_cbranch_scc0 .LBB83_10
.LBB83_11:
	v_add_nc_u32_e32 v5, s8, v0
	s_mov_b32 s1, exec_lo
	s_delay_alu instid0(VALU_DEP_1)
	v_cmpx_gt_i32_e64 s22, v5
	s_cbranch_execz .LBB83_13
; %bb.12:
	v_mad_i64_i32 v[6:7], null, s0, v5, 0
	s_lshl_b64 s[4:5], s[4:5], 3
	s_delay_alu instid0(SALU_CYCLE_1) | instskip(SKIP_2) | instid1(SALU_CYCLE_1)
	s_add_u32 s4, s10, s4
	s_addc_u32 s5, s11, s5
	s_lshl_b64 s[2:3], s[2:3], 3
	s_add_u32 s0, s4, s2
	s_addc_u32 s4, s5, s3
	s_ashr_i32 s9, s8, 31
	v_lshlrev_b64 v[5:6], 3, v[6:7]
	s_lshl_b64 s[2:3], s[8:9], 3
	s_delay_alu instid0(SALU_CYCLE_1) | instskip(SKIP_1) | instid1(VALU_DEP_3)
	v_add_co_u32 v1, vcc_lo, v1, s2
	v_add_co_ci_u32_e32 v2, vcc_lo, s3, v2, vcc_lo
	v_add_co_u32 v5, vcc_lo, s0, v5
	s_delay_alu instid0(VALU_DEP_4)
	v_add_co_ci_u32_e32 v6, vcc_lo, s4, v6, vcc_lo
	global_load_b64 v[1:2], v[1:2], off
	global_load_b64 v[5:6], v[5:6], off
	s_waitcnt vmcnt(0)
	v_fma_f64 v[3:4], v[1:2], v[5:6], v[3:4]
.LBB83_13:
	s_or_b32 exec_lo, exec_lo, s1
	v_lshlrev_b32_e32 v1, 3, v0
	s_mov_b32 s0, exec_lo
	ds_store_b64 v1, v[3:4]
	s_waitcnt lgkmcnt(0)
	s_barrier
	buffer_gl0_inv
	v_cmpx_gt_u32_e32 0x80, v0
	s_cbranch_execz .LBB83_15
; %bb.14:
	ds_load_2addr_stride64_b64 v[2:5], v1 offset1:2
	s_waitcnt lgkmcnt(0)
	v_add_f64 v[2:3], v[4:5], v[2:3]
	ds_store_b64 v1, v[2:3]
.LBB83_15:
	s_or_b32 exec_lo, exec_lo, s0
	s_delay_alu instid0(SALU_CYCLE_1)
	s_mov_b32 s0, exec_lo
	s_waitcnt lgkmcnt(0)
	s_barrier
	buffer_gl0_inv
	v_cmpx_gt_u32_e32 64, v0
	s_cbranch_execz .LBB83_17
; %bb.16:
	ds_load_2addr_stride64_b64 v[2:5], v1 offset1:1
	s_waitcnt lgkmcnt(0)
	v_add_f64 v[2:3], v[4:5], v[2:3]
	ds_store_b64 v1, v[2:3]
.LBB83_17:
	s_or_b32 exec_lo, exec_lo, s0
	s_delay_alu instid0(SALU_CYCLE_1)
	s_mov_b32 s0, exec_lo
	s_waitcnt lgkmcnt(0)
	s_barrier
	buffer_gl0_inv
	v_cmpx_gt_u32_e32 32, v0
	s_cbranch_execz .LBB83_19
; %bb.18:
	ds_load_2addr_b64 v[2:5], v1 offset1:32
	s_waitcnt lgkmcnt(0)
	v_add_f64 v[2:3], v[4:5], v[2:3]
	ds_store_b64 v1, v[2:3]
.LBB83_19:
	s_or_b32 exec_lo, exec_lo, s0
	s_delay_alu instid0(SALU_CYCLE_1)
	s_mov_b32 s0, exec_lo
	s_waitcnt lgkmcnt(0)
	s_barrier
	buffer_gl0_inv
	v_cmpx_gt_u32_e32 16, v0
	s_cbranch_execz .LBB83_21
; %bb.20:
	ds_load_2addr_b64 v[2:5], v1 offset1:16
	s_waitcnt lgkmcnt(0)
	v_add_f64 v[2:3], v[4:5], v[2:3]
	ds_store_b64 v1, v[2:3]
.LBB83_21:
	;; [unrolled: 14-line block ×5, first 2 shown]
	s_or_b32 exec_lo, exec_lo, s0
	v_cmp_eq_u32_e32 vcc_lo, 0, v0
	s_waitcnt lgkmcnt(0)
	s_barrier
	buffer_gl0_inv
	s_and_saveexec_b32 s0, vcc_lo
	s_cbranch_execz .LBB83_29
; %bb.28:
	v_mov_b32_e32 v4, 0
	ds_load_b128 v[0:3], v4
	s_waitcnt lgkmcnt(0)
	v_add_f64 v[0:1], v[2:3], v[0:1]
	ds_store_b64 v4, v[0:1]
.LBB83_29:
	s_or_b32 exec_lo, exec_lo, s0
	s_waitcnt lgkmcnt(0)
	s_barrier
	buffer_gl0_inv
                                        ; implicit-def: $vgpr1_vgpr2
                                        ; implicit-def: $sgpr8_sgpr9
	s_and_saveexec_b32 s0, vcc_lo
	s_cbranch_execz .LBB83_33
; %bb.30:
	v_mov_b32_e32 v0, 0
	v_cmp_eq_f64_e64 s1, s[6:7], 0
	s_mul_hi_i32 s9, s20, s14
	s_mul_i32 s8, s20, s14
	ds_load_b64 v[0:1], v0
	s_waitcnt lgkmcnt(0)
	v_mul_f64 v[1:2], v[0:1], s[12:13]
	s_and_b32 vcc_lo, exec_lo, s1
	s_cbranch_vccnz .LBB83_32
; %bb.31:
	s_lshl_b64 s[2:3], s[8:9], 3
	s_delay_alu instid0(SALU_CYCLE_1) | instskip(SKIP_3) | instid1(VALU_DEP_1)
	s_add_u32 s2, s18, s2
	s_addc_u32 s3, s19, s3
	s_load_b64 s[2:3], s[2:3], 0x0
	s_waitcnt lgkmcnt(0)
	v_fma_f64 v[1:2], s[2:3], s[6:7], v[1:2]
.LBB83_32:
	s_or_b32 s21, s21, exec_lo
.LBB83_33:
	s_or_b32 exec_lo, exec_lo, s0
.LBB83_34:
	s_and_saveexec_b32 s0, s21
	s_cbranch_execz .LBB83_36
; %bb.35:
	s_lshl_b64 s[0:1], s[8:9], 3
	v_mov_b32_e32 v0, 0
	s_add_u32 s0, s18, s0
	s_addc_u32 s1, s19, s1
	global_store_b64 v0, v[1:2], s[0:1]
.LBB83_36:
	s_nop 0
	s_sendmsg sendmsg(MSG_DEALLOC_VGPRS)
	s_endpgm
	.section	.rodata,"a",@progbits
	.p2align	6, 0x0
	.amdhsa_kernel _ZL20rocblas_gemvt_kernelILb0ELi256EdddEviiT2_lPKT1_lilS3_lilS0_lPT3_lili
		.amdhsa_group_segment_fixed_size 2048
		.amdhsa_private_segment_fixed_size 0
		.amdhsa_kernarg_size 140
		.amdhsa_user_sgpr_count 14
		.amdhsa_user_sgpr_dispatch_ptr 0
		.amdhsa_user_sgpr_queue_ptr 0
		.amdhsa_user_sgpr_kernarg_segment_ptr 1
		.amdhsa_user_sgpr_dispatch_id 0
		.amdhsa_user_sgpr_private_segment_size 0
		.amdhsa_wavefront_size32 1
		.amdhsa_uses_dynamic_stack 0
		.amdhsa_enable_private_segment 0
		.amdhsa_system_sgpr_workgroup_id_x 1
		.amdhsa_system_sgpr_workgroup_id_y 0
		.amdhsa_system_sgpr_workgroup_id_z 1
		.amdhsa_system_sgpr_workgroup_info 0
		.amdhsa_system_vgpr_workitem_id 0
		.amdhsa_next_free_vgpr 13
		.amdhsa_next_free_sgpr 28
		.amdhsa_reserve_vcc 1
		.amdhsa_float_round_mode_32 0
		.amdhsa_float_round_mode_16_64 0
		.amdhsa_float_denorm_mode_32 3
		.amdhsa_float_denorm_mode_16_64 3
		.amdhsa_dx10_clamp 1
		.amdhsa_ieee_mode 1
		.amdhsa_fp16_overflow 0
		.amdhsa_workgroup_processor_mode 1
		.amdhsa_memory_ordered 1
		.amdhsa_forward_progress 0
		.amdhsa_shared_vgpr_count 0
		.amdhsa_exception_fp_ieee_invalid_op 0
		.amdhsa_exception_fp_denorm_src 0
		.amdhsa_exception_fp_ieee_div_zero 0
		.amdhsa_exception_fp_ieee_overflow 0
		.amdhsa_exception_fp_ieee_underflow 0
		.amdhsa_exception_fp_ieee_inexact 0
		.amdhsa_exception_int_div_zero 0
	.end_amdhsa_kernel
	.section	.text._ZL20rocblas_gemvt_kernelILb0ELi256EdddEviiT2_lPKT1_lilS3_lilS0_lPT3_lili,"axG",@progbits,_ZL20rocblas_gemvt_kernelILb0ELi256EdddEviiT2_lPKT1_lilS3_lilS0_lPT3_lili,comdat
.Lfunc_end83:
	.size	_ZL20rocblas_gemvt_kernelILb0ELi256EdddEviiT2_lPKT1_lilS3_lilS0_lPT3_lili, .Lfunc_end83-_ZL20rocblas_gemvt_kernelILb0ELi256EdddEviiT2_lPKT1_lilS3_lilS0_lPT3_lili
                                        ; -- End function
	.section	.AMDGPU.csdata,"",@progbits
; Kernel info:
; codeLenInByte = 1480
; NumSgprs: 30
; NumVgprs: 13
; ScratchSize: 0
; MemoryBound: 0
; FloatMode: 240
; IeeeMode: 1
; LDSByteSize: 2048 bytes/workgroup (compile time only)
; SGPRBlocks: 3
; VGPRBlocks: 1
; NumSGPRsForWavesPerEU: 30
; NumVGPRsForWavesPerEU: 13
; Occupancy: 16
; WaveLimiterHint : 1
; COMPUTE_PGM_RSRC2:SCRATCH_EN: 0
; COMPUTE_PGM_RSRC2:USER_SGPR: 14
; COMPUTE_PGM_RSRC2:TRAP_HANDLER: 0
; COMPUTE_PGM_RSRC2:TGID_X_EN: 1
; COMPUTE_PGM_RSRC2:TGID_Y_EN: 0
; COMPUTE_PGM_RSRC2:TGID_Z_EN: 1
; COMPUTE_PGM_RSRC2:TIDIG_COMP_CNT: 0
	.section	.text._ZL32rocblas_gemvt_warp_reduce_kernelILb0ELi1024EidPKddEviiT3_lPKT2_lT1_lS5_lS6_lS2_lPT4_lS6_li,"axG",@progbits,_ZL32rocblas_gemvt_warp_reduce_kernelILb0ELi1024EidPKddEviiT3_lPKT2_lT1_lS5_lS6_lS2_lPT4_lS6_li,comdat
	.globl	_ZL32rocblas_gemvt_warp_reduce_kernelILb0ELi1024EidPKddEviiT3_lPKT2_lT1_lS5_lS6_lS2_lPT4_lS6_li ; -- Begin function _ZL32rocblas_gemvt_warp_reduce_kernelILb0ELi1024EidPKddEviiT3_lPKT2_lT1_lS5_lS6_lS2_lPT4_lS6_li
	.p2align	8
	.type	_ZL32rocblas_gemvt_warp_reduce_kernelILb0ELi1024EidPKddEviiT3_lPKT2_lT1_lS5_lS6_lS2_lPT4_lS6_li,@function
_ZL32rocblas_gemvt_warp_reduce_kernelILb0ELi1024EidPKddEviiT3_lPKT2_lT1_lS5_lS6_lS2_lPT4_lS6_li: ; @_ZL32rocblas_gemvt_warp_reduce_kernelILb0ELi1024EidPKddEviiT3_lPKT2_lT1_lS5_lS6_lS2_lPT4_lS6_li
; %bb.0:
	s_clause 0x1
	s_load_b256 s[4:11], s[0:1], 0x8
	s_load_b256 s[16:23], s[0:1], 0x50
	s_waitcnt lgkmcnt(0)
	s_mul_i32 s3, s15, s7
	s_mul_hi_u32 s7, s15, s6
	s_mul_i32 s2, s15, s6
	s_add_i32 s3, s7, s3
	s_mul_i32 s6, s15, s21
	s_lshl_b64 s[2:3], s[2:3], 3
	s_mul_hi_u32 s7, s15, s20
	s_add_u32 s2, s4, s2
	s_addc_u32 s3, s5, s3
	s_add_i32 s5, s7, s6
	s_mul_i32 s4, s15, s20
	s_delay_alu instid0(SALU_CYCLE_1) | instskip(NEXT) | instid1(SALU_CYCLE_1)
	s_lshl_b64 s[4:5], s[4:5], 3
	s_add_u32 s4, s18, s4
	s_addc_u32 s5, s19, s5
	s_load_b64 s[6:7], s[2:3], 0x0
	s_load_b64 s[4:5], s[4:5], 0x0
	s_waitcnt lgkmcnt(0)
	v_cmp_eq_f64_e64 s2, s[6:7], 0
	v_cmp_eq_f64_e64 s3, s[4:5], 1.0
	s_delay_alu instid0(VALU_DEP_1) | instskip(NEXT) | instid1(SALU_CYCLE_1)
	s_and_b32 s2, s2, s3
	s_and_b32 vcc_lo, exec_lo, s2
	s_cbranch_vccnz .LBB84_29
; %bb.1:
	v_cmp_neq_f64_e64 s20, s[6:7], 0
	s_clause 0x2
	s_load_b64 s[2:3], s[0:1], 0x80
	s_load_b64 s[12:13], s[0:1], 0x70
	s_load_b32 s21, s[0:1], 0x78
	s_waitcnt lgkmcnt(0)
	s_mul_i32 s3, s15, s3
	s_mul_hi_u32 s18, s15, s2
	s_mul_i32 s2, s15, s2
	s_add_i32 s3, s18, s3
	s_delay_alu instid0(SALU_CYCLE_1) | instskip(NEXT) | instid1(SALU_CYCLE_1)
	s_lshl_b64 s[2:3], s[2:3], 3
	s_add_u32 s18, s22, s2
	s_addc_u32 s19, s23, s3
	s_lshl_b64 s[2:3], s[12:13], 3
	s_delay_alu instid0(SALU_CYCLE_1) | instskip(SKIP_2) | instid1(VALU_DEP_2)
	s_add_u32 s18, s18, s2
	v_cmp_eq_u32_e64 s2, 0, v0
	s_addc_u32 s19, s19, s3
	s_and_b32 vcc_lo, exec_lo, s20
	s_mov_b32 s20, 0
	s_cbranch_vccnz .LBB84_6
; %bb.2:
	s_mov_b32 s3, 0
                                        ; implicit-def: $vgpr1_vgpr2
                                        ; implicit-def: $sgpr12_sgpr13
	s_and_saveexec_b32 s22, s2
	s_cbranch_execz .LBB84_7
; %bb.3:
	v_cmp_eq_f64_e64 s2, s[4:5], 0
	v_mov_b32_e32 v1, 0
	v_mov_b32_e32 v2, 0
	s_mul_i32 s12, s14, s21
	s_delay_alu instid0(SALU_CYCLE_1) | instskip(NEXT) | instid1(VALU_DEP_3)
	s_ashr_i32 s13, s12, 31
	s_and_b32 vcc_lo, exec_lo, s2
	s_cbranch_vccnz .LBB84_5
; %bb.4:
	s_lshl_b64 s[24:25], s[12:13], 3
	s_delay_alu instid0(SALU_CYCLE_1)
	s_add_u32 s24, s18, s24
	s_addc_u32 s25, s19, s25
	s_load_b64 s[24:25], s[24:25], 0x0
	s_waitcnt lgkmcnt(0)
	v_mul_f64 v[1:2], s[4:5], s[24:25]
.LBB84_5:
	s_mov_b32 s20, exec_lo
	s_or_b32 exec_lo, exec_lo, s22
	s_delay_alu instid0(SALU_CYCLE_1)
	s_and_b32 vcc_lo, exec_lo, s3
	s_cbranch_vccnz .LBB84_8
	s_branch .LBB84_27
.LBB84_6:
                                        ; implicit-def: $vgpr1_vgpr2
                                        ; implicit-def: $sgpr12_sgpr13
	s_cbranch_execnz .LBB84_8
	s_branch .LBB84_27
.LBB84_7:
	s_or_b32 exec_lo, exec_lo, s22
	s_delay_alu instid0(SALU_CYCLE_1)
	s_and_b32 vcc_lo, exec_lo, s3
	s_cbranch_vccz .LBB84_27
.LBB84_8:
	s_mul_i32 s3, s15, s17
	s_mul_hi_u32 s17, s15, s16
	s_mul_i32 s2, s15, s16
	s_add_i32 s3, s17, s3
	s_clause 0x2
	s_load_b128 s[24:27], s[0:1], 0x30
	s_load_b64 s[12:13], s[0:1], 0x40
	s_load_b32 s22, s[0:1], 0x28
	s_lshl_b64 s[16:17], s[2:3], 3
	s_clause 0x1
	s_load_b32 s3, s[0:1], 0x0
	s_load_b32 s1, s[0:1], 0x48
	s_waitcnt lgkmcnt(0)
	s_add_u32 s2, s26, s16
	s_addc_u32 s17, s27, s17
	s_lshl_b64 s[12:13], s[12:13], 3
	s_mul_i32 s23, s15, s25
	s_mul_hi_u32 s25, s15, s24
	s_add_u32 s12, s2, s12
	v_cmp_gt_i32_e32 vcc_lo, s3, v0
	s_mul_i32 s16, s15, s24
	s_addc_u32 s13, s17, s13
	s_add_i32 s17, s25, s23
	s_delay_alu instid0(SALU_CYCLE_1)
	s_lshl_b64 s[16:17], s[16:17], 3
	v_cndmask_b32_e32 v1, 0, v0, vcc_lo
	s_add_u32 s0, s8, s16
	s_addc_u32 s2, s9, s17
	s_lshl_b64 s[8:9], s[10:11], 3
	s_mul_i32 s10, s14, s22
	s_add_u32 s0, s0, s8
	s_addc_u32 s2, s2, s9
	s_ashr_i32 s11, s10, 31
	v_lshlrev_b32_e32 v1, 3, v1
	s_lshl_b64 s[8:9], s[10:11], 3
	s_delay_alu instid0(SALU_CYCLE_1)
	s_add_u32 s0, s8, s0
	s_addc_u32 s2, s9, s2
	s_ashr_i32 s8, s3, 31
	v_add_co_u32 v3, s0, s0, v1
	s_lshr_b32 s8, s8, 22
	v_mov_b32_e32 v1, 0
	v_add_co_ci_u32_e64 v4, null, s2, 0, s0
	v_mov_b32_e32 v2, 0
	s_add_i32 s8, s3, s8
	s_mov_b32 s9, 0
	s_and_b32 s2, s8, 0xfffffc00
	s_mov_b32 s8, exec_lo
	v_cmpx_gt_i32_e64 s2, v0
	s_cbranch_execz .LBB84_12
; %bb.9:
	v_mul_lo_u32 v5, v0, s1
	v_dual_mov_b32 v1, 0 :: v_dual_mov_b32 v8, v4
	v_dual_mov_b32 v2, 0 :: v_dual_mov_b32 v7, v3
	v_mov_b32_e32 v9, v0
	s_lshl_b32 s10, s1, 10
	.p2align	6
.LBB84_10:                              ; =>This Inner Loop Header: Depth=1
	s_delay_alu instid0(VALU_DEP_4) | instskip(NEXT) | instid1(VALU_DEP_2)
	v_ashrrev_i32_e32 v6, 31, v5
	v_add_nc_u32_e32 v9, 0x400, v9
	s_delay_alu instid0(VALU_DEP_2) | instskip(NEXT) | instid1(VALU_DEP_2)
	v_lshlrev_b64 v[10:11], 3, v[5:6]
	v_cmp_le_i32_e64 s0, s2, v9
	v_add_nc_u32_e32 v5, s10, v5
	s_delay_alu instid0(VALU_DEP_2) | instskip(NEXT) | instid1(VALU_DEP_3)
	s_or_b32 s9, s0, s9
	v_add_co_u32 v10, vcc_lo, s12, v10
	s_delay_alu instid0(VALU_DEP_4)
	v_add_co_ci_u32_e32 v11, vcc_lo, s13, v11, vcc_lo
	global_load_b64 v[12:13], v[7:8], off
	global_load_b64 v[10:11], v[10:11], off
	v_add_co_u32 v7, vcc_lo, 0x2000, v7
	v_add_co_ci_u32_e32 v8, vcc_lo, 0, v8, vcc_lo
	s_waitcnt vmcnt(0)
	v_fma_f64 v[1:2], v[12:13], v[10:11], v[1:2]
	s_and_not1_b32 exec_lo, exec_lo, s9
	s_cbranch_execnz .LBB84_10
; %bb.11:
	s_or_b32 exec_lo, exec_lo, s9
.LBB84_12:
	s_delay_alu instid0(SALU_CYCLE_1) | instskip(SKIP_2) | instid1(VALU_DEP_1)
	s_or_b32 exec_lo, exec_lo, s8
	v_or_b32_e32 v5, s2, v0
	s_mov_b32 s0, exec_lo
	v_cmpx_gt_i32_e64 s3, v5
	s_cbranch_execz .LBB84_14
; %bb.13:
	v_mul_lo_u32 v5, v5, s1
	s_ashr_i32 s3, s2, 31
	s_delay_alu instid0(SALU_CYCLE_1) | instskip(NEXT) | instid1(SALU_CYCLE_1)
	s_lshl_b64 s[2:3], s[2:3], 3
	v_add_co_u32 v3, vcc_lo, v3, s2
	v_add_co_ci_u32_e32 v4, vcc_lo, s3, v4, vcc_lo
	s_delay_alu instid0(VALU_DEP_3) | instskip(NEXT) | instid1(VALU_DEP_1)
	v_ashrrev_i32_e32 v6, 31, v5
	v_lshlrev_b64 v[5:6], 3, v[5:6]
	s_delay_alu instid0(VALU_DEP_1) | instskip(NEXT) | instid1(VALU_DEP_2)
	v_add_co_u32 v5, vcc_lo, s12, v5
	v_add_co_ci_u32_e32 v6, vcc_lo, s13, v6, vcc_lo
	global_load_b64 v[3:4], v[3:4], off
	global_load_b64 v[5:6], v[5:6], off
	s_waitcnt vmcnt(0)
	v_fma_f64 v[1:2], v[3:4], v[5:6], v[1:2]
.LBB84_14:
	s_or_b32 exec_lo, exec_lo, s0
	v_and_b32_e32 v11, 31, v0
	v_cmp_gt_u32_e32 vcc_lo, 32, v0
	s_delay_alu instid0(VALU_DEP_2)
	v_lshlrev_b32_e32 v5, 3, v11
	s_and_saveexec_b32 s0, vcc_lo
	s_cbranch_execz .LBB84_16
; %bb.15:
	v_mov_b32_e32 v3, 0
	s_delay_alu instid0(VALU_DEP_1)
	v_mov_b32_e32 v4, v3
	ds_store_b64 v5, v[3:4]
.LBB84_16:
	s_or_b32 exec_lo, exec_lo, s0
	v_mbcnt_lo_u32_b32 v10, -1, 0
	s_mov_b32 s1, exec_lo
	s_waitcnt lgkmcnt(0)
	s_barrier
	buffer_gl0_inv
	v_cmp_gt_u32_e64 s0, 16, v10
	s_delay_alu instid0(VALU_DEP_1) | instskip(SKIP_1) | instid1(VALU_DEP_2)
	v_cndmask_b32_e64 v3, 0, 1, s0
	v_cmp_gt_u32_e64 s0, 24, v10
	v_lshlrev_b32_e32 v3, 4, v3
	s_delay_alu instid0(VALU_DEP_1)
	v_add_lshl_u32 v6, v3, v10, 2
	ds_bpermute_b32 v3, v6, v1
	ds_bpermute_b32 v4, v6, v2
	s_waitcnt lgkmcnt(0)
	v_add_f64 v[1:2], v[1:2], v[3:4]
	v_cndmask_b32_e64 v3, 0, 1, s0
	v_cmp_gt_u32_e64 s0, 28, v10
	s_delay_alu instid0(VALU_DEP_2) | instskip(NEXT) | instid1(VALU_DEP_1)
	v_lshlrev_b32_e32 v3, 3, v3
	v_add_lshl_u32 v7, v3, v10, 2
	ds_bpermute_b32 v3, v7, v1
	ds_bpermute_b32 v4, v7, v2
	s_waitcnt lgkmcnt(0)
	v_add_f64 v[1:2], v[1:2], v[3:4]
	v_cndmask_b32_e64 v3, 0, 1, s0
	v_cmp_gt_u32_e64 s0, 30, v10
	s_delay_alu instid0(VALU_DEP_2) | instskip(NEXT) | instid1(VALU_DEP_1)
	v_lshlrev_b32_e32 v3, 2, v3
	v_add_lshl_u32 v8, v3, v10, 2
	ds_bpermute_b32 v3, v8, v1
	ds_bpermute_b32 v4, v8, v2
	s_waitcnt lgkmcnt(0)
	v_add_f64 v[1:2], v[1:2], v[3:4]
	v_cndmask_b32_e64 v3, 0, 1, s0
	v_cmp_ne_u32_e64 s0, 31, v10
	s_delay_alu instid0(VALU_DEP_2) | instskip(NEXT) | instid1(VALU_DEP_1)
	v_lshlrev_b32_e32 v3, 1, v3
	v_add_lshl_u32 v9, v3, v10, 2
	ds_bpermute_b32 v3, v9, v1
	ds_bpermute_b32 v4, v9, v2
	s_waitcnt lgkmcnt(0)
	v_add_f64 v[1:2], v[1:2], v[3:4]
	v_add_co_ci_u32_e64 v3, s0, 0, v10, s0
	s_delay_alu instid0(VALU_DEP_1)
	v_lshlrev_b32_e32 v10, 2, v3
	ds_bpermute_b32 v3, v10, v1
	ds_bpermute_b32 v4, v10, v2
	v_cmpx_eq_u32_e32 0, v11
	s_cbranch_execz .LBB84_18
; %bb.17:
	s_waitcnt lgkmcnt(0)
	v_add_f64 v[1:2], v[1:2], v[3:4]
	v_lshrrev_b32_e32 v3, 2, v0
	s_delay_alu instid0(VALU_DEP_1)
	v_and_b32_e32 v3, 0xf8, v3
	ds_store_b64 v3, v[1:2]
.LBB84_18:
	s_or_b32 exec_lo, exec_lo, s1
	s_waitcnt lgkmcnt(0)
	v_mov_b32_e32 v3, 0
	v_mov_b32_e32 v4, 0
	s_barrier
	buffer_gl0_inv
	s_and_saveexec_b32 s0, vcc_lo
	s_cbranch_execz .LBB84_20
; %bb.19:
	ds_load_b64 v[3:4], v5
.LBB84_20:
	s_or_b32 exec_lo, exec_lo, s0
	s_and_saveexec_b32 s0, vcc_lo
	s_cbranch_execz .LBB84_22
; %bb.21:
	s_waitcnt lgkmcnt(0)
	ds_bpermute_b32 v1, v6, v3
	ds_bpermute_b32 v2, v6, v4
	s_waitcnt lgkmcnt(0)
	v_add_f64 v[1:2], v[3:4], v[1:2]
	ds_bpermute_b32 v3, v7, v1
	ds_bpermute_b32 v4, v7, v2
	s_waitcnt lgkmcnt(0)
	v_add_f64 v[1:2], v[1:2], v[3:4]
	ds_bpermute_b32 v3, v8, v1
	ds_bpermute_b32 v4, v8, v2
	s_waitcnt lgkmcnt(0)
	v_add_f64 v[1:2], v[1:2], v[3:4]
	ds_bpermute_b32 v3, v9, v1
	ds_bpermute_b32 v4, v9, v2
	s_waitcnt lgkmcnt(0)
	v_add_f64 v[1:2], v[1:2], v[3:4]
	ds_bpermute_b32 v3, v10, v1
	ds_bpermute_b32 v4, v10, v2
	s_waitcnt lgkmcnt(0)
	v_add_f64 v[3:4], v[1:2], v[3:4]
.LBB84_22:
	s_or_b32 exec_lo, exec_lo, s0
	s_delay_alu instid0(SALU_CYCLE_1)
	s_mov_b32 s0, exec_lo
                                        ; implicit-def: $vgpr1_vgpr2
                                        ; implicit-def: $sgpr12_sgpr13
	v_cmpx_eq_u32_e32 0, v0
	s_cbranch_execz .LBB84_26
; %bb.23:
	v_cmp_eq_f64_e64 s1, s[4:5], 0
	s_waitcnt lgkmcnt(0)
	s_delay_alu instid0(VALU_DEP_3) | instskip(SKIP_1) | instid1(SALU_CYCLE_1)
	v_mul_f64 v[1:2], s[6:7], v[3:4]
	s_mul_i32 s12, s14, s21
	s_ashr_i32 s13, s12, 31
	s_delay_alu instid0(VALU_DEP_2)
	s_and_b32 vcc_lo, exec_lo, s1
	s_cbranch_vccnz .LBB84_25
; %bb.24:
	s_lshl_b64 s[2:3], s[12:13], 3
	s_delay_alu instid0(SALU_CYCLE_1) | instskip(SKIP_3) | instid1(VALU_DEP_1)
	s_add_u32 s2, s18, s2
	s_addc_u32 s3, s19, s3
	s_load_b64 s[2:3], s[2:3], 0x0
	s_waitcnt lgkmcnt(0)
	v_fma_f64 v[1:2], s[4:5], s[2:3], v[1:2]
.LBB84_25:
	s_or_b32 s20, s20, exec_lo
.LBB84_26:
	s_or_b32 exec_lo, exec_lo, s0
.LBB84_27:
	s_and_saveexec_b32 s0, s20
	s_cbranch_execz .LBB84_29
; %bb.28:
	s_lshl_b64 s[0:1], s[12:13], 3
	v_mov_b32_e32 v0, 0
	s_add_u32 s0, s18, s0
	s_addc_u32 s1, s19, s1
	global_store_b64 v0, v[1:2], s[0:1]
.LBB84_29:
	s_nop 0
	s_sendmsg sendmsg(MSG_DEALLOC_VGPRS)
	s_endpgm
	.section	.rodata,"a",@progbits
	.p2align	6, 0x0
	.amdhsa_kernel _ZL32rocblas_gemvt_warp_reduce_kernelILb0ELi1024EidPKddEviiT3_lPKT2_lT1_lS5_lS6_lS2_lPT4_lS6_li
		.amdhsa_group_segment_fixed_size 256
		.amdhsa_private_segment_fixed_size 0
		.amdhsa_kernarg_size 140
		.amdhsa_user_sgpr_count 14
		.amdhsa_user_sgpr_dispatch_ptr 0
		.amdhsa_user_sgpr_queue_ptr 0
		.amdhsa_user_sgpr_kernarg_segment_ptr 1
		.amdhsa_user_sgpr_dispatch_id 0
		.amdhsa_user_sgpr_private_segment_size 0
		.amdhsa_wavefront_size32 1
		.amdhsa_uses_dynamic_stack 0
		.amdhsa_enable_private_segment 0
		.amdhsa_system_sgpr_workgroup_id_x 1
		.amdhsa_system_sgpr_workgroup_id_y 0
		.amdhsa_system_sgpr_workgroup_id_z 1
		.amdhsa_system_sgpr_workgroup_info 0
		.amdhsa_system_vgpr_workitem_id 0
		.amdhsa_next_free_vgpr 14
		.amdhsa_next_free_sgpr 28
		.amdhsa_reserve_vcc 1
		.amdhsa_float_round_mode_32 0
		.amdhsa_float_round_mode_16_64 0
		.amdhsa_float_denorm_mode_32 3
		.amdhsa_float_denorm_mode_16_64 3
		.amdhsa_dx10_clamp 1
		.amdhsa_ieee_mode 1
		.amdhsa_fp16_overflow 0
		.amdhsa_workgroup_processor_mode 1
		.amdhsa_memory_ordered 1
		.amdhsa_forward_progress 0
		.amdhsa_shared_vgpr_count 0
		.amdhsa_exception_fp_ieee_invalid_op 0
		.amdhsa_exception_fp_denorm_src 0
		.amdhsa_exception_fp_ieee_div_zero 0
		.amdhsa_exception_fp_ieee_overflow 0
		.amdhsa_exception_fp_ieee_underflow 0
		.amdhsa_exception_fp_ieee_inexact 0
		.amdhsa_exception_int_div_zero 0
	.end_amdhsa_kernel
	.section	.text._ZL32rocblas_gemvt_warp_reduce_kernelILb0ELi1024EidPKddEviiT3_lPKT2_lT1_lS5_lS6_lS2_lPT4_lS6_li,"axG",@progbits,_ZL32rocblas_gemvt_warp_reduce_kernelILb0ELi1024EidPKddEviiT3_lPKT2_lT1_lS5_lS6_lS2_lPT4_lS6_li,comdat
.Lfunc_end84:
	.size	_ZL32rocblas_gemvt_warp_reduce_kernelILb0ELi1024EidPKddEviiT3_lPKT2_lT1_lS5_lS6_lS2_lPT4_lS6_li, .Lfunc_end84-_ZL32rocblas_gemvt_warp_reduce_kernelILb0ELi1024EidPKddEviiT3_lPKT2_lT1_lS5_lS6_lS2_lPT4_lS6_li
                                        ; -- End function
	.section	.AMDGPU.csdata,"",@progbits
; Kernel info:
; codeLenInByte = 1644
; NumSgprs: 30
; NumVgprs: 14
; ScratchSize: 0
; MemoryBound: 0
; FloatMode: 240
; IeeeMode: 1
; LDSByteSize: 256 bytes/workgroup (compile time only)
; SGPRBlocks: 3
; VGPRBlocks: 1
; NumSGPRsForWavesPerEU: 30
; NumVGPRsForWavesPerEU: 14
; Occupancy: 16
; WaveLimiterHint : 1
; COMPUTE_PGM_RSRC2:SCRATCH_EN: 0
; COMPUTE_PGM_RSRC2:USER_SGPR: 14
; COMPUTE_PGM_RSRC2:TRAP_HANDLER: 0
; COMPUTE_PGM_RSRC2:TGID_X_EN: 1
; COMPUTE_PGM_RSRC2:TGID_Y_EN: 0
; COMPUTE_PGM_RSRC2:TGID_Z_EN: 1
; COMPUTE_PGM_RSRC2:TIDIG_COMP_CNT: 0
	.section	.text._ZL32rocblas_gemvt_warp_reduce_kernelILb0ELi1024EldPKddEviiT3_lPKT2_lT1_lS5_lS6_lS2_lPT4_lS6_li,"axG",@progbits,_ZL32rocblas_gemvt_warp_reduce_kernelILb0ELi1024EldPKddEviiT3_lPKT2_lT1_lS5_lS6_lS2_lPT4_lS6_li,comdat
	.globl	_ZL32rocblas_gemvt_warp_reduce_kernelILb0ELi1024EldPKddEviiT3_lPKT2_lT1_lS5_lS6_lS2_lPT4_lS6_li ; -- Begin function _ZL32rocblas_gemvt_warp_reduce_kernelILb0ELi1024EldPKddEviiT3_lPKT2_lT1_lS5_lS6_lS2_lPT4_lS6_li
	.p2align	8
	.type	_ZL32rocblas_gemvt_warp_reduce_kernelILb0ELi1024EldPKddEviiT3_lPKT2_lT1_lS5_lS6_lS2_lPT4_lS6_li,@function
_ZL32rocblas_gemvt_warp_reduce_kernelILb0ELi1024EldPKddEviiT3_lPKT2_lT1_lS5_lS6_lS2_lPT4_lS6_li: ; @_ZL32rocblas_gemvt_warp_reduce_kernelILb0ELi1024EldPKddEviiT3_lPKT2_lT1_lS5_lS6_lS2_lPT4_lS6_li
; %bb.0:
	s_clause 0x1
	s_load_b512 s[36:51], s[0:1], 0x8
	s_load_b512 s[16:31], s[0:1], 0x48
	s_waitcnt lgkmcnt(0)
	s_mul_i32 s3, s15, s39
	s_mul_hi_u32 s4, s15, s38
	s_mul_i32 s2, s15, s38
	s_add_i32 s3, s4, s3
	s_mul_i32 s4, s15, s23
	s_lshl_b64 s[2:3], s[2:3], 3
	s_mul_hi_u32 s5, s15, s22
	s_add_u32 s2, s36, s2
	s_addc_u32 s3, s37, s3
	s_add_i32 s5, s5, s4
	s_mul_i32 s4, s15, s22
	s_delay_alu instid0(SALU_CYCLE_1) | instskip(NEXT) | instid1(SALU_CYCLE_1)
	s_lshl_b64 s[4:5], s[4:5], 3
	s_add_u32 s4, s20, s4
	s_addc_u32 s5, s21, s5
	s_load_b64 s[6:7], s[2:3], 0x0
	s_load_b64 s[4:5], s[4:5], 0x0
	s_waitcnt lgkmcnt(0)
	v_cmp_eq_f64_e64 s2, s[6:7], 0
	v_cmp_eq_f64_e64 s3, s[4:5], 1.0
	s_delay_alu instid0(VALU_DEP_1) | instskip(NEXT) | instid1(SALU_CYCLE_1)
	s_and_b32 s2, s2, s3
	s_and_b32 vcc_lo, exec_lo, s2
	s_cbranch_vccnz .LBB85_29
; %bb.1:
	v_cmp_neq_f64_e64 s8, s[6:7], 0
	s_mul_i32 s3, s15, s31
	s_mul_hi_u32 s9, s15, s30
	s_mul_i32 s2, s15, s30
	s_add_i32 s3, s9, s3
	s_mov_b32 s20, 0
	s_lshl_b64 s[2:3], s[2:3], 3
	s_delay_alu instid0(SALU_CYCLE_1) | instskip(SKIP_2) | instid1(SALU_CYCLE_1)
	s_add_u32 s9, s24, s2
	s_addc_u32 s10, s25, s3
	s_lshl_b64 s[2:3], s[26:27], 3
	s_add_u32 s12, s9, s2
	v_cmp_eq_u32_e64 s2, 0, v0
	s_addc_u32 s13, s10, s3
	s_delay_alu instid0(VALU_DEP_2)
	s_and_b32 vcc_lo, exec_lo, s8
	s_cbranch_vccnz .LBB85_6
; %bb.2:
	s_mov_b32 s3, 0
                                        ; implicit-def: $vgpr1_vgpr2
                                        ; implicit-def: $sgpr8_sgpr9
	s_and_saveexec_b32 s10, s2
	s_cbranch_execz .LBB85_7
; %bb.3:
	v_cmp_eq_f64_e64 s2, s[4:5], 0
	s_mul_i32 s8, s14, s29
	s_mul_hi_u32 s9, s14, s28
	s_ashr_i32 s11, s14, 31
	v_mov_b32_e32 v1, 0
	v_mov_b32_e32 v2, 0
	s_add_i32 s8, s9, s8
	s_mul_i32 s11, s11, s28
	s_delay_alu instid0(SALU_CYCLE_1) | instskip(SKIP_1) | instid1(VALU_DEP_3)
	s_add_i32 s9, s8, s11
	s_mul_i32 s8, s14, s28
	s_and_b32 vcc_lo, exec_lo, s2
	s_cbranch_vccnz .LBB85_5
; %bb.4:
	s_lshl_b64 s[20:21], s[8:9], 3
	s_delay_alu instid0(SALU_CYCLE_1)
	s_add_u32 s20, s12, s20
	s_addc_u32 s21, s13, s21
	s_load_b64 s[20:21], s[20:21], 0x0
	s_waitcnt lgkmcnt(0)
	v_mul_f64 v[1:2], s[4:5], s[20:21]
.LBB85_5:
	s_mov_b32 s20, exec_lo
	s_or_b32 exec_lo, exec_lo, s10
	s_delay_alu instid0(SALU_CYCLE_1)
	s_and_b32 vcc_lo, exec_lo, s3
	s_cbranch_vccnz .LBB85_8
	s_branch .LBB85_27
.LBB85_6:
                                        ; implicit-def: $vgpr1_vgpr2
                                        ; implicit-def: $sgpr8_sgpr9
	s_cbranch_execnz .LBB85_8
	s_branch .LBB85_27
.LBB85_7:
	s_or_b32 exec_lo, exec_lo, s10
	s_delay_alu instid0(SALU_CYCLE_1)
	s_and_b32 vcc_lo, exec_lo, s3
	s_cbranch_vccz .LBB85_27
.LBB85_8:
	s_load_b32 s9, s[0:1], 0x0
	s_mul_i32 s3, s15, s47
	s_mul_hi_u32 s8, s15, s46
	s_mul_i32 s0, s15, s46
	s_add_i32 s1, s8, s3
	s_mul_i32 s2, s15, s19
	s_mul_hi_u32 s3, s15, s18
	s_lshl_b64 s[0:1], s[0:1], 3
	s_add_i32 s3, s3, s2
	s_add_u32 s2, s40, s0
	s_addc_u32 s8, s41, s1
	s_lshl_b64 s[0:1], s[42:43], 3
	s_mul_hi_u32 s10, s14, s44
	s_add_u32 s0, s2, s0
	s_addc_u32 s2, s8, s1
	s_mul_i32 s8, s14, s45
	s_ashr_i32 s1, s14, 31
	s_add_i32 s8, s10, s8
	s_mul_i32 s10, s1, s44
	s_delay_alu instid0(SALU_CYCLE_1) | instskip(SKIP_3) | instid1(SALU_CYCLE_1)
	s_add_i32 s11, s8, s10
	s_waitcnt lgkmcnt(0)
	v_cmp_gt_i32_e32 vcc_lo, s9, v0
	s_mul_i32 s10, s14, s44
	s_lshl_b64 s[10:11], s[10:11], 3
	v_cndmask_b32_e32 v1, 0, v0, vcc_lo
	s_add_u32 s0, s10, s0
	s_addc_u32 s2, s11, s2
	s_ashr_i32 s8, s9, 31
	s_delay_alu instid0(VALU_DEP_1) | instskip(SKIP_1) | instid1(SALU_CYCLE_1)
	v_lshlrev_b32_e32 v1, 3, v1
	s_lshr_b32 s8, s8, 22
	s_add_i32 s8, s9, s8
	s_delay_alu instid0(VALU_DEP_1)
	v_add_co_u32 v3, s0, s0, v1
	v_mov_b32_e32 v1, 0
	v_add_co_ci_u32_e64 v4, null, s2, 0, s0
	v_mov_b32_e32 v2, 0
	s_and_b32 s8, s8, 0xfffffc00
	s_mul_i32 s2, s15, s18
	s_mov_b32 s18, 0
	s_mov_b32 s15, exec_lo
	v_cmpx_gt_i32_e64 s8, v0
	s_cbranch_execz .LBB85_12
; %bb.9:
	v_mad_u64_u32 v[7:8], null, s16, v0, 0
	s_lshl_b64 s[22:23], s[50:51], 3
	s_lshl_b64 s[10:11], s[2:3], 3
	s_add_u32 s0, s48, s22
	s_addc_u32 s19, s49, s23
	s_add_u32 s0, s0, s10
	s_addc_u32 s10, s19, s11
	s_delay_alu instid0(VALU_DEP_1) | instskip(SKIP_1) | instid1(VALU_DEP_2)
	v_mov_b32_e32 v1, v8
	v_mov_b32_e32 v9, v0
	v_mad_u64_u32 v[5:6], null, s17, v0, v[1:2]
	v_mov_b32_e32 v1, 0
	v_mov_b32_e32 v2, 0
	s_delay_alu instid0(VALU_DEP_3) | instskip(SKIP_1) | instid1(VALU_DEP_2)
	v_mov_b32_e32 v8, v5
	v_dual_mov_b32 v6, v4 :: v_dual_mov_b32 v5, v3
	v_lshlrev_b64 v[7:8], 3, v[7:8]
	s_delay_alu instid0(VALU_DEP_1) | instskip(NEXT) | instid1(VALU_DEP_2)
	v_add_co_u32 v7, vcc_lo, s0, v7
	v_add_co_ci_u32_e32 v8, vcc_lo, s10, v8, vcc_lo
	s_lshl_b64 s[10:11], s[16:17], 13
	.p2align	6
.LBB85_10:                              ; =>This Inner Loop Header: Depth=1
	global_load_b64 v[10:11], v[5:6], off
	global_load_b64 v[12:13], v[7:8], off
	v_add_nc_u32_e32 v9, 0x400, v9
	v_add_co_u32 v5, vcc_lo, 0x2000, v5
	v_add_co_ci_u32_e32 v6, vcc_lo, 0, v6, vcc_lo
	s_delay_alu instid0(VALU_DEP_3) | instskip(SKIP_1) | instid1(VALU_DEP_1)
	v_cmp_le_i32_e32 vcc_lo, s8, v9
	v_add_co_u32 v7, s0, v7, s10
	v_add_co_ci_u32_e64 v8, s0, s11, v8, s0
	s_or_b32 s18, vcc_lo, s18
	s_waitcnt vmcnt(0)
	v_fma_f64 v[1:2], v[10:11], v[12:13], v[1:2]
	s_and_not1_b32 exec_lo, exec_lo, s18
	s_cbranch_execnz .LBB85_10
; %bb.11:
	s_or_b32 exec_lo, exec_lo, s18
.LBB85_12:
	s_delay_alu instid0(SALU_CYCLE_1) | instskip(SKIP_2) | instid1(VALU_DEP_1)
	s_or_b32 exec_lo, exec_lo, s15
	v_or_b32_e32 v5, s8, v0
	s_mov_b32 s0, exec_lo
	v_cmpx_gt_i32_e64 s9, v5
	s_cbranch_execz .LBB85_14
; %bb.13:
	v_ashrrev_i32_e32 v8, 31, v5
	v_mul_lo_u32 v9, v5, s17
	v_mad_u64_u32 v[6:7], null, v5, s16, 0
	s_lshl_b64 s[2:3], s[2:3], 3
	s_delay_alu instid0(VALU_DEP_3) | instskip(SKIP_3) | instid1(SALU_CYCLE_1)
	v_mul_lo_u32 v5, v8, s16
	s_add_u32 s9, s48, s2
	s_addc_u32 s10, s49, s3
	s_lshl_b64 s[2:3], s[50:51], 3
	s_add_u32 s11, s9, s2
	s_addc_u32 s10, s10, s3
	s_ashr_i32 s9, s8, 31
	s_delay_alu instid0(VALU_DEP_1) | instskip(SKIP_1) | instid1(SALU_CYCLE_1)
	v_add3_u32 v7, v7, v9, v5
	s_lshl_b64 s[2:3], s[8:9], 3
	v_add_co_u32 v3, vcc_lo, v3, s2
	s_delay_alu instid0(VALU_DEP_2) | instskip(SKIP_1) | instid1(VALU_DEP_2)
	v_lshlrev_b64 v[5:6], 3, v[6:7]
	v_add_co_ci_u32_e32 v4, vcc_lo, s3, v4, vcc_lo
	v_add_co_u32 v5, vcc_lo, s11, v5
	s_delay_alu instid0(VALU_DEP_3)
	v_add_co_ci_u32_e32 v6, vcc_lo, s10, v6, vcc_lo
	global_load_b64 v[3:4], v[3:4], off
	global_load_b64 v[5:6], v[5:6], off
	s_waitcnt vmcnt(0)
	v_fma_f64 v[1:2], v[3:4], v[5:6], v[1:2]
.LBB85_14:
	s_or_b32 exec_lo, exec_lo, s0
	v_and_b32_e32 v11, 31, v0
	v_cmp_gt_u32_e32 vcc_lo, 32, v0
	s_delay_alu instid0(VALU_DEP_2)
	v_lshlrev_b32_e32 v5, 3, v11
	s_and_saveexec_b32 s0, vcc_lo
	s_cbranch_execz .LBB85_16
; %bb.15:
	v_mov_b32_e32 v3, 0
	s_delay_alu instid0(VALU_DEP_1)
	v_mov_b32_e32 v4, v3
	ds_store_b64 v5, v[3:4]
.LBB85_16:
	s_or_b32 exec_lo, exec_lo, s0
	v_mbcnt_lo_u32_b32 v10, -1, 0
	s_mov_b32 s2, exec_lo
	s_waitcnt lgkmcnt(0)
	s_barrier
	buffer_gl0_inv
	v_cmp_gt_u32_e64 s0, 16, v10
	s_delay_alu instid0(VALU_DEP_1) | instskip(SKIP_1) | instid1(VALU_DEP_2)
	v_cndmask_b32_e64 v3, 0, 1, s0
	v_cmp_gt_u32_e64 s0, 24, v10
	v_lshlrev_b32_e32 v3, 4, v3
	s_delay_alu instid0(VALU_DEP_1)
	v_add_lshl_u32 v6, v3, v10, 2
	ds_bpermute_b32 v3, v6, v1
	ds_bpermute_b32 v4, v6, v2
	s_waitcnt lgkmcnt(0)
	v_add_f64 v[1:2], v[1:2], v[3:4]
	v_cndmask_b32_e64 v3, 0, 1, s0
	v_cmp_gt_u32_e64 s0, 28, v10
	s_delay_alu instid0(VALU_DEP_2) | instskip(NEXT) | instid1(VALU_DEP_1)
	v_lshlrev_b32_e32 v3, 3, v3
	v_add_lshl_u32 v7, v3, v10, 2
	ds_bpermute_b32 v3, v7, v1
	ds_bpermute_b32 v4, v7, v2
	s_waitcnt lgkmcnt(0)
	v_add_f64 v[1:2], v[1:2], v[3:4]
	v_cndmask_b32_e64 v3, 0, 1, s0
	v_cmp_gt_u32_e64 s0, 30, v10
	s_delay_alu instid0(VALU_DEP_2) | instskip(NEXT) | instid1(VALU_DEP_1)
	v_lshlrev_b32_e32 v3, 2, v3
	v_add_lshl_u32 v8, v3, v10, 2
	ds_bpermute_b32 v3, v8, v1
	ds_bpermute_b32 v4, v8, v2
	s_waitcnt lgkmcnt(0)
	v_add_f64 v[1:2], v[1:2], v[3:4]
	v_cndmask_b32_e64 v3, 0, 1, s0
	v_cmp_ne_u32_e64 s0, 31, v10
	s_delay_alu instid0(VALU_DEP_2) | instskip(NEXT) | instid1(VALU_DEP_1)
	v_lshlrev_b32_e32 v3, 1, v3
	v_add_lshl_u32 v9, v3, v10, 2
	ds_bpermute_b32 v3, v9, v1
	ds_bpermute_b32 v4, v9, v2
	s_waitcnt lgkmcnt(0)
	v_add_f64 v[1:2], v[1:2], v[3:4]
	v_add_co_ci_u32_e64 v3, s0, 0, v10, s0
	s_delay_alu instid0(VALU_DEP_1)
	v_lshlrev_b32_e32 v10, 2, v3
	ds_bpermute_b32 v3, v10, v1
	ds_bpermute_b32 v4, v10, v2
	v_cmpx_eq_u32_e32 0, v11
	s_cbranch_execz .LBB85_18
; %bb.17:
	s_waitcnt lgkmcnt(0)
	v_add_f64 v[1:2], v[1:2], v[3:4]
	v_lshrrev_b32_e32 v3, 2, v0
	s_delay_alu instid0(VALU_DEP_1)
	v_and_b32_e32 v3, 0xf8, v3
	ds_store_b64 v3, v[1:2]
.LBB85_18:
	s_or_b32 exec_lo, exec_lo, s2
	s_waitcnt lgkmcnt(0)
	v_mov_b32_e32 v3, 0
	v_mov_b32_e32 v4, 0
	s_barrier
	buffer_gl0_inv
	s_and_saveexec_b32 s0, vcc_lo
	s_cbranch_execz .LBB85_20
; %bb.19:
	ds_load_b64 v[3:4], v5
.LBB85_20:
	s_or_b32 exec_lo, exec_lo, s0
	s_and_saveexec_b32 s0, vcc_lo
	s_cbranch_execz .LBB85_22
; %bb.21:
	s_waitcnt lgkmcnt(0)
	ds_bpermute_b32 v1, v6, v3
	ds_bpermute_b32 v2, v6, v4
	s_waitcnt lgkmcnt(0)
	v_add_f64 v[1:2], v[3:4], v[1:2]
	ds_bpermute_b32 v3, v7, v1
	ds_bpermute_b32 v4, v7, v2
	s_waitcnt lgkmcnt(0)
	v_add_f64 v[1:2], v[1:2], v[3:4]
	;; [unrolled: 4-line block ×5, first 2 shown]
.LBB85_22:
	s_or_b32 exec_lo, exec_lo, s0
	s_delay_alu instid0(SALU_CYCLE_1)
	s_mov_b32 s0, exec_lo
                                        ; implicit-def: $vgpr1_vgpr2
                                        ; implicit-def: $sgpr8_sgpr9
	v_cmpx_eq_u32_e32 0, v0
	s_cbranch_execz .LBB85_26
; %bb.23:
	v_cmp_eq_f64_e64 s2, s[4:5], 0
	s_waitcnt lgkmcnt(0)
	s_delay_alu instid0(VALU_DEP_3)
	v_mul_f64 v[1:2], s[6:7], v[3:4]
	s_mul_i32 s3, s14, s29
	s_mul_hi_u32 s6, s14, s28
	s_mul_i32 s1, s1, s28
	s_add_i32 s3, s6, s3
	s_mul_i32 s8, s14, s28
	s_add_i32 s9, s3, s1
	s_delay_alu instid0(VALU_DEP_2)
	s_and_b32 vcc_lo, exec_lo, s2
	s_cbranch_vccnz .LBB85_25
; %bb.24:
	s_lshl_b64 s[2:3], s[8:9], 3
	s_delay_alu instid0(SALU_CYCLE_1) | instskip(SKIP_3) | instid1(VALU_DEP_1)
	s_add_u32 s2, s12, s2
	s_addc_u32 s3, s13, s3
	s_load_b64 s[2:3], s[2:3], 0x0
	s_waitcnt lgkmcnt(0)
	v_fma_f64 v[1:2], s[4:5], s[2:3], v[1:2]
.LBB85_25:
	s_or_b32 s20, s20, exec_lo
.LBB85_26:
	s_or_b32 exec_lo, exec_lo, s0
.LBB85_27:
	s_and_saveexec_b32 s0, s20
	s_cbranch_execz .LBB85_29
; %bb.28:
	s_lshl_b64 s[0:1], s[8:9], 3
	v_mov_b32_e32 v0, 0
	s_add_u32 s0, s12, s0
	s_addc_u32 s1, s13, s1
	global_store_b64 v0, v[1:2], s[0:1]
.LBB85_29:
	s_nop 0
	s_sendmsg sendmsg(MSG_DEALLOC_VGPRS)
	s_endpgm
	.section	.rodata,"a",@progbits
	.p2align	6, 0x0
	.amdhsa_kernel _ZL32rocblas_gemvt_warp_reduce_kernelILb0ELi1024EldPKddEviiT3_lPKT2_lT1_lS5_lS6_lS2_lPT4_lS6_li
		.amdhsa_group_segment_fixed_size 256
		.amdhsa_private_segment_fixed_size 0
		.amdhsa_kernarg_size 140
		.amdhsa_user_sgpr_count 14
		.amdhsa_user_sgpr_dispatch_ptr 0
		.amdhsa_user_sgpr_queue_ptr 0
		.amdhsa_user_sgpr_kernarg_segment_ptr 1
		.amdhsa_user_sgpr_dispatch_id 0
		.amdhsa_user_sgpr_private_segment_size 0
		.amdhsa_wavefront_size32 1
		.amdhsa_uses_dynamic_stack 0
		.amdhsa_enable_private_segment 0
		.amdhsa_system_sgpr_workgroup_id_x 1
		.amdhsa_system_sgpr_workgroup_id_y 0
		.amdhsa_system_sgpr_workgroup_id_z 1
		.amdhsa_system_sgpr_workgroup_info 0
		.amdhsa_system_vgpr_workitem_id 0
		.amdhsa_next_free_vgpr 14
		.amdhsa_next_free_sgpr 52
		.amdhsa_reserve_vcc 1
		.amdhsa_float_round_mode_32 0
		.amdhsa_float_round_mode_16_64 0
		.amdhsa_float_denorm_mode_32 3
		.amdhsa_float_denorm_mode_16_64 3
		.amdhsa_dx10_clamp 1
		.amdhsa_ieee_mode 1
		.amdhsa_fp16_overflow 0
		.amdhsa_workgroup_processor_mode 1
		.amdhsa_memory_ordered 1
		.amdhsa_forward_progress 0
		.amdhsa_shared_vgpr_count 0
		.amdhsa_exception_fp_ieee_invalid_op 0
		.amdhsa_exception_fp_denorm_src 0
		.amdhsa_exception_fp_ieee_div_zero 0
		.amdhsa_exception_fp_ieee_overflow 0
		.amdhsa_exception_fp_ieee_underflow 0
		.amdhsa_exception_fp_ieee_inexact 0
		.amdhsa_exception_int_div_zero 0
	.end_amdhsa_kernel
	.section	.text._ZL32rocblas_gemvt_warp_reduce_kernelILb0ELi1024EldPKddEviiT3_lPKT2_lT1_lS5_lS6_lS2_lPT4_lS6_li,"axG",@progbits,_ZL32rocblas_gemvt_warp_reduce_kernelILb0ELi1024EldPKddEviiT3_lPKT2_lT1_lS5_lS6_lS2_lPT4_lS6_li,comdat
.Lfunc_end85:
	.size	_ZL32rocblas_gemvt_warp_reduce_kernelILb0ELi1024EldPKddEviiT3_lPKT2_lT1_lS5_lS6_lS2_lPT4_lS6_li, .Lfunc_end85-_ZL32rocblas_gemvt_warp_reduce_kernelILb0ELi1024EldPKddEviiT3_lPKT2_lT1_lS5_lS6_lS2_lPT4_lS6_li
                                        ; -- End function
	.section	.AMDGPU.csdata,"",@progbits
; Kernel info:
; codeLenInByte = 1704
; NumSgprs: 54
; NumVgprs: 14
; ScratchSize: 0
; MemoryBound: 0
; FloatMode: 240
; IeeeMode: 1
; LDSByteSize: 256 bytes/workgroup (compile time only)
; SGPRBlocks: 6
; VGPRBlocks: 1
; NumSGPRsForWavesPerEU: 54
; NumVGPRsForWavesPerEU: 14
; Occupancy: 16
; WaveLimiterHint : 0
; COMPUTE_PGM_RSRC2:SCRATCH_EN: 0
; COMPUTE_PGM_RSRC2:USER_SGPR: 14
; COMPUTE_PGM_RSRC2:TRAP_HANDLER: 0
; COMPUTE_PGM_RSRC2:TGID_X_EN: 1
; COMPUTE_PGM_RSRC2:TGID_Y_EN: 0
; COMPUTE_PGM_RSRC2:TGID_Z_EN: 1
; COMPUTE_PGM_RSRC2:TIDIG_COMP_CNT: 0
	.section	.text._ZL32rocblas_gemvt_warp_reduce_kernelILb0ELi1024EidddEviiT3_lPKT2_lT1_lS3_lS4_lS0_lPT4_lS4_li,"axG",@progbits,_ZL32rocblas_gemvt_warp_reduce_kernelILb0ELi1024EidddEviiT3_lPKT2_lT1_lS3_lS4_lS0_lPT4_lS4_li,comdat
	.globl	_ZL32rocblas_gemvt_warp_reduce_kernelILb0ELi1024EidddEviiT3_lPKT2_lT1_lS3_lS4_lS0_lPT4_lS4_li ; -- Begin function _ZL32rocblas_gemvt_warp_reduce_kernelILb0ELi1024EidddEviiT3_lPKT2_lT1_lS3_lS4_lS0_lPT4_lS4_li
	.p2align	8
	.type	_ZL32rocblas_gemvt_warp_reduce_kernelILb0ELi1024EidddEviiT3_lPKT2_lT1_lS3_lS4_lS0_lPT4_lS4_li,@function
_ZL32rocblas_gemvt_warp_reduce_kernelILb0ELi1024EidddEviiT3_lPKT2_lT1_lS3_lS4_lS0_lPT4_lS4_li: ; @_ZL32rocblas_gemvt_warp_reduce_kernelILb0ELi1024EidddEviiT3_lPKT2_lT1_lS3_lS4_lS0_lPT4_lS4_li
; %bb.0:
	s_clause 0x1
	s_load_b64 s[8:9], s[0:1], 0x8
	s_load_b128 s[4:7], s[0:1], 0x50
	s_waitcnt lgkmcnt(0)
	v_cmp_eq_f64_e64 s2, s[8:9], 0
	v_cmp_eq_f64_e64 s3, s[6:7], 1.0
	s_delay_alu instid0(VALU_DEP_1) | instskip(NEXT) | instid1(SALU_CYCLE_1)
	s_and_b32 s2, s2, s3
	s_and_b32 vcc_lo, exec_lo, s2
	s_cbranch_vccnz .LBB86_29
; %bb.1:
	v_cmp_neq_f64_e64 s10, s[8:9], 0
	s_clause 0x2
	s_load_b64 s[2:3], s[0:1], 0x80
	s_load_b128 s[20:23], s[0:1], 0x68
	s_load_b32 s17, s[0:1], 0x78
	s_mov_b32 s16, 0
	s_waitcnt lgkmcnt(0)
	s_mul_i32 s3, s15, s3
	s_mul_hi_u32 s11, s15, s2
	s_mul_i32 s2, s15, s2
	s_add_i32 s3, s11, s3
	s_delay_alu instid0(SALU_CYCLE_1) | instskip(NEXT) | instid1(SALU_CYCLE_1)
	s_lshl_b64 s[2:3], s[2:3], 3
	s_add_u32 s11, s20, s2
	s_addc_u32 s13, s21, s3
	s_lshl_b64 s[2:3], s[22:23], 3
	s_delay_alu instid0(SALU_CYCLE_1) | instskip(SKIP_2) | instid1(VALU_DEP_2)
	s_add_u32 s12, s11, s2
	v_cmp_eq_u32_e64 s2, 0, v0
	s_addc_u32 s13, s13, s3
	s_and_b32 vcc_lo, exec_lo, s10
	s_cbranch_vccnz .LBB86_6
; %bb.2:
	s_mov_b32 s3, 0
                                        ; implicit-def: $vgpr1_vgpr2
                                        ; implicit-def: $sgpr10_sgpr11
	s_and_saveexec_b32 s18, s2
	s_cbranch_execz .LBB86_7
; %bb.3:
	v_cmp_eq_f64_e64 s2, s[6:7], 0
	v_mov_b32_e32 v1, 0
	v_mov_b32_e32 v2, 0
	s_mul_i32 s10, s14, s17
	s_delay_alu instid0(SALU_CYCLE_1) | instskip(NEXT) | instid1(VALU_DEP_3)
	s_ashr_i32 s11, s10, 31
	s_and_b32 vcc_lo, exec_lo, s2
	s_cbranch_vccnz .LBB86_5
; %bb.4:
	s_lshl_b64 s[20:21], s[10:11], 3
	s_delay_alu instid0(SALU_CYCLE_1)
	s_add_u32 s20, s12, s20
	s_addc_u32 s21, s13, s21
	s_load_b64 s[20:21], s[20:21], 0x0
	s_waitcnt lgkmcnt(0)
	v_mul_f64 v[1:2], s[20:21], s[6:7]
.LBB86_5:
	s_mov_b32 s16, exec_lo
	s_or_b32 exec_lo, exec_lo, s18
	s_delay_alu instid0(SALU_CYCLE_1)
	s_and_b32 vcc_lo, exec_lo, s3
	s_cbranch_vccnz .LBB86_8
	s_branch .LBB86_27
.LBB86_6:
                                        ; implicit-def: $vgpr1_vgpr2
                                        ; implicit-def: $sgpr10_sgpr11
	s_cbranch_execnz .LBB86_8
	s_branch .LBB86_27
.LBB86_7:
	s_or_b32 exec_lo, exec_lo, s18
	s_delay_alu instid0(SALU_CYCLE_1)
	s_and_b32 vcc_lo, exec_lo, s3
	s_cbranch_vccz .LBB86_27
.LBB86_8:
	s_mul_i32 s3, s15, s5
	s_mul_hi_u32 s5, s15, s4
	s_mul_i32 s2, s15, s4
	s_add_i32 s3, s5, s3
	s_clause 0x3
	s_load_b128 s[20:23], s[0:1], 0x30
	s_load_b64 s[10:11], s[0:1], 0x40
	s_load_b128 s[24:27], s[0:1], 0x18
	s_load_b32 s18, s[0:1], 0x28
	s_lshl_b64 s[4:5], s[2:3], 3
	s_clause 0x1
	s_load_b32 s3, s[0:1], 0x0
	s_load_b32 s1, s[0:1], 0x48
	s_waitcnt lgkmcnt(0)
	s_add_u32 s2, s22, s4
	s_addc_u32 s22, s23, s5
	s_lshl_b64 s[4:5], s[10:11], 3
	s_mul_i32 s19, s15, s21
	s_mul_hi_u32 s21, s15, s20
	s_add_u32 s4, s2, s4
	v_cmp_gt_i32_e32 vcc_lo, s3, v0
	s_mul_i32 s10, s15, s20
	s_addc_u32 s5, s22, s5
	s_add_i32 s11, s21, s19
	s_mul_i32 s18, s14, s18
	s_lshl_b64 s[10:11], s[10:11], 3
	v_cndmask_b32_e32 v1, 0, v0, vcc_lo
	s_add_u32 s0, s24, s10
	s_addc_u32 s2, s25, s11
	s_lshl_b64 s[10:11], s[26:27], 3
	s_delay_alu instid0(SALU_CYCLE_1) | instskip(SKIP_4) | instid1(SALU_CYCLE_1)
	s_add_u32 s0, s0, s10
	s_addc_u32 s2, s2, s11
	s_ashr_i32 s19, s18, 31
	v_lshlrev_b32_e32 v1, 3, v1
	s_lshl_b64 s[10:11], s[18:19], 3
	s_add_u32 s0, s10, s0
	s_addc_u32 s2, s11, s2
	s_ashr_i32 s10, s3, 31
	v_add_co_u32 v3, s0, s0, v1
	s_lshr_b32 s10, s10, 22
	v_mov_b32_e32 v1, 0
	v_add_co_ci_u32_e64 v4, null, s2, 0, s0
	v_mov_b32_e32 v2, 0
	s_add_i32 s10, s3, s10
	s_mov_b32 s11, 0
	s_and_b32 s2, s10, 0xfffffc00
	s_mov_b32 s10, exec_lo
	v_cmpx_gt_i32_e64 s2, v0
	s_cbranch_execz .LBB86_12
; %bb.9:
	v_mul_lo_u32 v5, v0, s1
	v_dual_mov_b32 v1, 0 :: v_dual_mov_b32 v8, v4
	v_dual_mov_b32 v2, 0 :: v_dual_mov_b32 v7, v3
	v_mov_b32_e32 v9, v0
	s_lshl_b32 s15, s1, 10
	.p2align	6
.LBB86_10:                              ; =>This Inner Loop Header: Depth=1
	s_delay_alu instid0(VALU_DEP_4) | instskip(NEXT) | instid1(VALU_DEP_2)
	v_ashrrev_i32_e32 v6, 31, v5
	v_add_nc_u32_e32 v9, 0x400, v9
	s_delay_alu instid0(VALU_DEP_2) | instskip(NEXT) | instid1(VALU_DEP_2)
	v_lshlrev_b64 v[10:11], 3, v[5:6]
	v_cmp_le_i32_e64 s0, s2, v9
	v_add_nc_u32_e32 v5, s15, v5
	s_delay_alu instid0(VALU_DEP_2) | instskip(NEXT) | instid1(VALU_DEP_3)
	s_or_b32 s11, s0, s11
	v_add_co_u32 v10, vcc_lo, s4, v10
	s_delay_alu instid0(VALU_DEP_4)
	v_add_co_ci_u32_e32 v11, vcc_lo, s5, v11, vcc_lo
	global_load_b64 v[12:13], v[7:8], off
	global_load_b64 v[10:11], v[10:11], off
	v_add_co_u32 v7, vcc_lo, 0x2000, v7
	v_add_co_ci_u32_e32 v8, vcc_lo, 0, v8, vcc_lo
	s_waitcnt vmcnt(0)
	v_fma_f64 v[1:2], v[12:13], v[10:11], v[1:2]
	s_and_not1_b32 exec_lo, exec_lo, s11
	s_cbranch_execnz .LBB86_10
; %bb.11:
	s_or_b32 exec_lo, exec_lo, s11
.LBB86_12:
	s_delay_alu instid0(SALU_CYCLE_1) | instskip(SKIP_2) | instid1(VALU_DEP_1)
	s_or_b32 exec_lo, exec_lo, s10
	v_or_b32_e32 v5, s2, v0
	s_mov_b32 s0, exec_lo
	v_cmpx_gt_i32_e64 s3, v5
	s_cbranch_execz .LBB86_14
; %bb.13:
	v_mul_lo_u32 v5, v5, s1
	s_ashr_i32 s3, s2, 31
	s_delay_alu instid0(SALU_CYCLE_1) | instskip(NEXT) | instid1(SALU_CYCLE_1)
	s_lshl_b64 s[2:3], s[2:3], 3
	v_add_co_u32 v3, vcc_lo, v3, s2
	v_add_co_ci_u32_e32 v4, vcc_lo, s3, v4, vcc_lo
	s_delay_alu instid0(VALU_DEP_3) | instskip(NEXT) | instid1(VALU_DEP_1)
	v_ashrrev_i32_e32 v6, 31, v5
	v_lshlrev_b64 v[5:6], 3, v[5:6]
	s_delay_alu instid0(VALU_DEP_1) | instskip(NEXT) | instid1(VALU_DEP_2)
	v_add_co_u32 v5, vcc_lo, s4, v5
	v_add_co_ci_u32_e32 v6, vcc_lo, s5, v6, vcc_lo
	global_load_b64 v[3:4], v[3:4], off
	global_load_b64 v[5:6], v[5:6], off
	s_waitcnt vmcnt(0)
	v_fma_f64 v[1:2], v[3:4], v[5:6], v[1:2]
.LBB86_14:
	s_or_b32 exec_lo, exec_lo, s0
	v_and_b32_e32 v11, 31, v0
	v_cmp_gt_u32_e32 vcc_lo, 32, v0
	s_delay_alu instid0(VALU_DEP_2)
	v_lshlrev_b32_e32 v5, 3, v11
	s_and_saveexec_b32 s0, vcc_lo
	s_cbranch_execz .LBB86_16
; %bb.15:
	v_mov_b32_e32 v3, 0
	s_delay_alu instid0(VALU_DEP_1)
	v_mov_b32_e32 v4, v3
	ds_store_b64 v5, v[3:4]
.LBB86_16:
	s_or_b32 exec_lo, exec_lo, s0
	v_mbcnt_lo_u32_b32 v10, -1, 0
	s_mov_b32 s1, exec_lo
	s_waitcnt lgkmcnt(0)
	s_barrier
	buffer_gl0_inv
	v_cmp_gt_u32_e64 s0, 16, v10
	s_delay_alu instid0(VALU_DEP_1) | instskip(SKIP_1) | instid1(VALU_DEP_2)
	v_cndmask_b32_e64 v3, 0, 1, s0
	v_cmp_gt_u32_e64 s0, 24, v10
	v_lshlrev_b32_e32 v3, 4, v3
	s_delay_alu instid0(VALU_DEP_1)
	v_add_lshl_u32 v6, v3, v10, 2
	ds_bpermute_b32 v3, v6, v1
	ds_bpermute_b32 v4, v6, v2
	s_waitcnt lgkmcnt(0)
	v_add_f64 v[1:2], v[1:2], v[3:4]
	v_cndmask_b32_e64 v3, 0, 1, s0
	v_cmp_gt_u32_e64 s0, 28, v10
	s_delay_alu instid0(VALU_DEP_2) | instskip(NEXT) | instid1(VALU_DEP_1)
	v_lshlrev_b32_e32 v3, 3, v3
	v_add_lshl_u32 v7, v3, v10, 2
	ds_bpermute_b32 v3, v7, v1
	ds_bpermute_b32 v4, v7, v2
	s_waitcnt lgkmcnt(0)
	v_add_f64 v[1:2], v[1:2], v[3:4]
	v_cndmask_b32_e64 v3, 0, 1, s0
	v_cmp_gt_u32_e64 s0, 30, v10
	s_delay_alu instid0(VALU_DEP_2) | instskip(NEXT) | instid1(VALU_DEP_1)
	v_lshlrev_b32_e32 v3, 2, v3
	v_add_lshl_u32 v8, v3, v10, 2
	ds_bpermute_b32 v3, v8, v1
	ds_bpermute_b32 v4, v8, v2
	s_waitcnt lgkmcnt(0)
	v_add_f64 v[1:2], v[1:2], v[3:4]
	v_cndmask_b32_e64 v3, 0, 1, s0
	v_cmp_ne_u32_e64 s0, 31, v10
	s_delay_alu instid0(VALU_DEP_2) | instskip(NEXT) | instid1(VALU_DEP_1)
	v_lshlrev_b32_e32 v3, 1, v3
	v_add_lshl_u32 v9, v3, v10, 2
	ds_bpermute_b32 v3, v9, v1
	ds_bpermute_b32 v4, v9, v2
	s_waitcnt lgkmcnt(0)
	v_add_f64 v[1:2], v[1:2], v[3:4]
	v_add_co_ci_u32_e64 v3, s0, 0, v10, s0
	s_delay_alu instid0(VALU_DEP_1)
	v_lshlrev_b32_e32 v10, 2, v3
	ds_bpermute_b32 v3, v10, v1
	ds_bpermute_b32 v4, v10, v2
	v_cmpx_eq_u32_e32 0, v11
	s_cbranch_execz .LBB86_18
; %bb.17:
	s_waitcnt lgkmcnt(0)
	v_add_f64 v[1:2], v[1:2], v[3:4]
	v_lshrrev_b32_e32 v3, 2, v0
	s_delay_alu instid0(VALU_DEP_1)
	v_and_b32_e32 v3, 0xf8, v3
	ds_store_b64 v3, v[1:2]
.LBB86_18:
	s_or_b32 exec_lo, exec_lo, s1
	s_waitcnt lgkmcnt(0)
	v_mov_b32_e32 v3, 0
	v_mov_b32_e32 v4, 0
	s_barrier
	buffer_gl0_inv
	s_and_saveexec_b32 s0, vcc_lo
	s_cbranch_execz .LBB86_20
; %bb.19:
	ds_load_b64 v[3:4], v5
.LBB86_20:
	s_or_b32 exec_lo, exec_lo, s0
	s_and_saveexec_b32 s0, vcc_lo
	s_cbranch_execz .LBB86_22
; %bb.21:
	s_waitcnt lgkmcnt(0)
	ds_bpermute_b32 v1, v6, v3
	ds_bpermute_b32 v2, v6, v4
	s_waitcnt lgkmcnt(0)
	v_add_f64 v[1:2], v[3:4], v[1:2]
	ds_bpermute_b32 v3, v7, v1
	ds_bpermute_b32 v4, v7, v2
	s_waitcnt lgkmcnt(0)
	v_add_f64 v[1:2], v[1:2], v[3:4]
	;; [unrolled: 4-line block ×5, first 2 shown]
.LBB86_22:
	s_or_b32 exec_lo, exec_lo, s0
	s_delay_alu instid0(SALU_CYCLE_1)
	s_mov_b32 s0, exec_lo
                                        ; implicit-def: $vgpr1_vgpr2
                                        ; implicit-def: $sgpr10_sgpr11
	v_cmpx_eq_u32_e32 0, v0
	s_cbranch_execz .LBB86_26
; %bb.23:
	v_cmp_eq_f64_e64 s1, s[6:7], 0
	s_waitcnt lgkmcnt(0)
	s_delay_alu instid0(VALU_DEP_3) | instskip(SKIP_1) | instid1(SALU_CYCLE_1)
	v_mul_f64 v[1:2], v[3:4], s[8:9]
	s_mul_i32 s10, s14, s17
	s_ashr_i32 s11, s10, 31
	s_delay_alu instid0(VALU_DEP_2)
	s_and_b32 vcc_lo, exec_lo, s1
	s_cbranch_vccnz .LBB86_25
; %bb.24:
	s_lshl_b64 s[2:3], s[10:11], 3
	s_delay_alu instid0(SALU_CYCLE_1) | instskip(SKIP_3) | instid1(VALU_DEP_1)
	s_add_u32 s2, s12, s2
	s_addc_u32 s3, s13, s3
	s_load_b64 s[2:3], s[2:3], 0x0
	s_waitcnt lgkmcnt(0)
	v_fma_f64 v[1:2], s[2:3], s[6:7], v[1:2]
.LBB86_25:
	s_or_b32 s16, s16, exec_lo
.LBB86_26:
	s_or_b32 exec_lo, exec_lo, s0
.LBB86_27:
	s_and_saveexec_b32 s0, s16
	s_cbranch_execz .LBB86_29
; %bb.28:
	s_lshl_b64 s[0:1], s[10:11], 3
	v_mov_b32_e32 v0, 0
	s_add_u32 s0, s12, s0
	s_addc_u32 s1, s13, s1
	global_store_b64 v0, v[1:2], s[0:1]
.LBB86_29:
	s_nop 0
	s_sendmsg sendmsg(MSG_DEALLOC_VGPRS)
	s_endpgm
	.section	.rodata,"a",@progbits
	.p2align	6, 0x0
	.amdhsa_kernel _ZL32rocblas_gemvt_warp_reduce_kernelILb0ELi1024EidddEviiT3_lPKT2_lT1_lS3_lS4_lS0_lPT4_lS4_li
		.amdhsa_group_segment_fixed_size 256
		.amdhsa_private_segment_fixed_size 0
		.amdhsa_kernarg_size 140
		.amdhsa_user_sgpr_count 14
		.amdhsa_user_sgpr_dispatch_ptr 0
		.amdhsa_user_sgpr_queue_ptr 0
		.amdhsa_user_sgpr_kernarg_segment_ptr 1
		.amdhsa_user_sgpr_dispatch_id 0
		.amdhsa_user_sgpr_private_segment_size 0
		.amdhsa_wavefront_size32 1
		.amdhsa_uses_dynamic_stack 0
		.amdhsa_enable_private_segment 0
		.amdhsa_system_sgpr_workgroup_id_x 1
		.amdhsa_system_sgpr_workgroup_id_y 0
		.amdhsa_system_sgpr_workgroup_id_z 1
		.amdhsa_system_sgpr_workgroup_info 0
		.amdhsa_system_vgpr_workitem_id 0
		.amdhsa_next_free_vgpr 14
		.amdhsa_next_free_sgpr 28
		.amdhsa_reserve_vcc 1
		.amdhsa_float_round_mode_32 0
		.amdhsa_float_round_mode_16_64 0
		.amdhsa_float_denorm_mode_32 3
		.amdhsa_float_denorm_mode_16_64 3
		.amdhsa_dx10_clamp 1
		.amdhsa_ieee_mode 1
		.amdhsa_fp16_overflow 0
		.amdhsa_workgroup_processor_mode 1
		.amdhsa_memory_ordered 1
		.amdhsa_forward_progress 0
		.amdhsa_shared_vgpr_count 0
		.amdhsa_exception_fp_ieee_invalid_op 0
		.amdhsa_exception_fp_denorm_src 0
		.amdhsa_exception_fp_ieee_div_zero 0
		.amdhsa_exception_fp_ieee_overflow 0
		.amdhsa_exception_fp_ieee_underflow 0
		.amdhsa_exception_fp_ieee_inexact 0
		.amdhsa_exception_int_div_zero 0
	.end_amdhsa_kernel
	.section	.text._ZL32rocblas_gemvt_warp_reduce_kernelILb0ELi1024EidddEviiT3_lPKT2_lT1_lS3_lS4_lS0_lPT4_lS4_li,"axG",@progbits,_ZL32rocblas_gemvt_warp_reduce_kernelILb0ELi1024EidddEviiT3_lPKT2_lT1_lS3_lS4_lS0_lPT4_lS4_li,comdat
.Lfunc_end86:
	.size	_ZL32rocblas_gemvt_warp_reduce_kernelILb0ELi1024EidddEviiT3_lPKT2_lT1_lS3_lS4_lS0_lPT4_lS4_li, .Lfunc_end86-_ZL32rocblas_gemvt_warp_reduce_kernelILb0ELi1024EidddEviiT3_lPKT2_lT1_lS3_lS4_lS0_lPT4_lS4_li
                                        ; -- End function
	.section	.AMDGPU.csdata,"",@progbits
; Kernel info:
; codeLenInByte = 1568
; NumSgprs: 30
; NumVgprs: 14
; ScratchSize: 0
; MemoryBound: 0
; FloatMode: 240
; IeeeMode: 1
; LDSByteSize: 256 bytes/workgroup (compile time only)
; SGPRBlocks: 3
; VGPRBlocks: 1
; NumSGPRsForWavesPerEU: 30
; NumVGPRsForWavesPerEU: 14
; Occupancy: 16
; WaveLimiterHint : 1
; COMPUTE_PGM_RSRC2:SCRATCH_EN: 0
; COMPUTE_PGM_RSRC2:USER_SGPR: 14
; COMPUTE_PGM_RSRC2:TRAP_HANDLER: 0
; COMPUTE_PGM_RSRC2:TGID_X_EN: 1
; COMPUTE_PGM_RSRC2:TGID_Y_EN: 0
; COMPUTE_PGM_RSRC2:TGID_Z_EN: 1
; COMPUTE_PGM_RSRC2:TIDIG_COMP_CNT: 0
	.section	.text._ZL32rocblas_gemvt_warp_reduce_kernelILb0ELi1024EldddEviiT3_lPKT2_lT1_lS3_lS4_lS0_lPT4_lS4_li,"axG",@progbits,_ZL32rocblas_gemvt_warp_reduce_kernelILb0ELi1024EldddEviiT3_lPKT2_lT1_lS3_lS4_lS0_lPT4_lS4_li,comdat
	.globl	_ZL32rocblas_gemvt_warp_reduce_kernelILb0ELi1024EldddEviiT3_lPKT2_lT1_lS3_lS4_lS0_lPT4_lS4_li ; -- Begin function _ZL32rocblas_gemvt_warp_reduce_kernelILb0ELi1024EldddEviiT3_lPKT2_lT1_lS3_lS4_lS0_lPT4_lS4_li
	.p2align	8
	.type	_ZL32rocblas_gemvt_warp_reduce_kernelILb0ELi1024EldddEviiT3_lPKT2_lT1_lS3_lS4_lS0_lPT4_lS4_li,@function
_ZL32rocblas_gemvt_warp_reduce_kernelILb0ELi1024EldddEviiT3_lPKT2_lT1_lS3_lS4_lS0_lPT4_lS4_li: ; @_ZL32rocblas_gemvt_warp_reduce_kernelILb0ELi1024EldddEviiT3_lPKT2_lT1_lS3_lS4_lS0_lPT4_lS4_li
; %bb.0:
	s_clause 0x1
	s_load_b64 s[34:35], s[0:1], 0x8
	s_load_b64 s[12:13], s[0:1], 0x58
	s_waitcnt lgkmcnt(0)
	v_cmp_eq_f64_e64 s2, s[34:35], 0
	v_cmp_eq_f64_e64 s3, s[12:13], 1.0
	s_delay_alu instid0(VALU_DEP_1) | instskip(NEXT) | instid1(SALU_CYCLE_1)
	s_and_b32 s2, s2, s3
	s_and_b32 vcc_lo, exec_lo, s2
	s_cbranch_vccnz .LBB87_29
; %bb.1:
	v_cmp_neq_f64_e64 s16, s[34:35], 0
	s_load_b256 s[4:11], s[0:1], 0x68
	s_mov_b32 s33, 0
	s_waitcnt lgkmcnt(0)
	s_mul_i32 s3, s15, s11
	s_mul_hi_u32 s11, s15, s10
	s_mul_i32 s2, s15, s10
	s_add_i32 s3, s11, s3
	s_delay_alu instid0(SALU_CYCLE_1) | instskip(NEXT) | instid1(SALU_CYCLE_1)
	s_lshl_b64 s[2:3], s[2:3], 3
	s_add_u32 s4, s4, s2
	s_addc_u32 s5, s5, s3
	s_lshl_b64 s[2:3], s[6:7], 3
	s_delay_alu instid0(SALU_CYCLE_1) | instskip(SKIP_2) | instid1(VALU_DEP_2)
	s_add_u32 s10, s4, s2
	v_cmp_eq_u32_e64 s2, 0, v0
	s_addc_u32 s11, s5, s3
	s_and_b32 vcc_lo, exec_lo, s16
	s_cbranch_vccnz .LBB87_6
; %bb.2:
	s_mov_b32 s3, 0
                                        ; implicit-def: $vgpr1_vgpr2
                                        ; implicit-def: $sgpr4_sgpr5
	s_and_saveexec_b32 s6, s2
	s_cbranch_execz .LBB87_7
; %bb.3:
	v_cmp_eq_f64_e64 s2, s[12:13], 0
	s_mul_i32 s4, s14, s9
	s_mul_hi_u32 s5, s14, s8
	s_ashr_i32 s7, s14, 31
	v_mov_b32_e32 v1, 0
	v_mov_b32_e32 v2, 0
	s_add_i32 s4, s5, s4
	s_mul_i32 s7, s7, s8
	s_delay_alu instid0(SALU_CYCLE_1) | instskip(SKIP_1) | instid1(VALU_DEP_3)
	s_add_i32 s5, s4, s7
	s_mul_i32 s4, s14, s8
	s_and_b32 vcc_lo, exec_lo, s2
	s_cbranch_vccnz .LBB87_5
; %bb.4:
	s_lshl_b64 s[16:17], s[4:5], 3
	s_delay_alu instid0(SALU_CYCLE_1)
	s_add_u32 s16, s10, s16
	s_addc_u32 s17, s11, s17
	s_load_b64 s[16:17], s[16:17], 0x0
	s_waitcnt lgkmcnt(0)
	v_mul_f64 v[1:2], s[16:17], s[12:13]
.LBB87_5:
	s_mov_b32 s33, exec_lo
	s_or_b32 exec_lo, exec_lo, s6
	s_delay_alu instid0(SALU_CYCLE_1)
	s_and_b32 vcc_lo, exec_lo, s3
	s_cbranch_vccnz .LBB87_8
	s_branch .LBB87_27
.LBB87_6:
                                        ; implicit-def: $vgpr1_vgpr2
                                        ; implicit-def: $sgpr4_sgpr5
	s_cbranch_execnz .LBB87_8
	s_branch .LBB87_27
.LBB87_7:
	s_or_b32 exec_lo, exec_lo, s6
	s_delay_alu instid0(SALU_CYCLE_1)
	s_and_b32 vcc_lo, exec_lo, s3
	s_cbranch_vccz .LBB87_27
.LBB87_8:
	s_clause 0x1
	s_load_b512 s[16:31], s[0:1], 0x18
	s_load_b32 s5, s[0:1], 0x0
	s_waitcnt lgkmcnt(0)
	s_mul_i32 s1, s15, s23
	s_mul_hi_u32 s4, s15, s22
	s_mul_i32 s0, s15, s22
	s_add_i32 s1, s4, s1
	s_mul_i32 s2, s15, s31
	s_mul_hi_u32 s3, s15, s30
	s_lshl_b64 s[0:1], s[0:1], 3
	s_add_i32 s3, s3, s2
	v_cmp_gt_i32_e32 vcc_lo, s5, v0
	s_add_u32 s2, s16, s0
	s_addc_u32 s6, s17, s1
	s_lshl_b64 s[0:1], s[18:19], 3
	s_mul_i32 s4, s14, s21
	s_add_u32 s0, s2, s0
	s_mul_hi_u32 s7, s14, s20
	s_addc_u32 s2, s6, s1
	s_ashr_i32 s1, s14, 31
	v_cndmask_b32_e32 v1, 0, v0, vcc_lo
	s_add_i32 s4, s7, s4
	s_mul_i32 s7, s1, s20
	s_mul_i32 s6, s14, s20
	s_add_i32 s7, s4, s7
	v_lshlrev_b32_e32 v1, 3, v1
	s_lshl_b64 s[6:7], s[6:7], 3
	s_mov_b32 s16, 0
	s_add_u32 s0, s6, s0
	s_addc_u32 s2, s7, s2
	s_ashr_i32 s4, s5, 31
	v_add_co_u32 v3, s0, s0, v1
	s_lshr_b32 s4, s4, 22
	v_mov_b32_e32 v1, 0
	v_add_co_ci_u32_e64 v4, null, s2, 0, s0
	v_mov_b32_e32 v2, 0
	s_add_i32 s4, s5, s4
	s_mul_i32 s2, s15, s30
	s_and_b32 s4, s4, 0xfffffc00
	s_mov_b32 s15, exec_lo
	v_cmpx_gt_i32_e64 s4, v0
	s_cbranch_execz .LBB87_12
; %bb.9:
	v_mad_u64_u32 v[7:8], null, s28, v0, 0
	s_lshl_b64 s[18:19], s[26:27], 3
	s_lshl_b64 s[6:7], s[2:3], 3
	s_add_u32 s0, s24, s18
	s_addc_u32 s17, s25, s19
	s_add_u32 s0, s0, s6
	s_addc_u32 s6, s17, s7
	s_delay_alu instid0(VALU_DEP_1) | instskip(SKIP_1) | instid1(VALU_DEP_2)
	v_mov_b32_e32 v1, v8
	v_mov_b32_e32 v9, v0
	v_mad_u64_u32 v[5:6], null, s29, v0, v[1:2]
	v_mov_b32_e32 v1, 0
	v_mov_b32_e32 v2, 0
	s_delay_alu instid0(VALU_DEP_3) | instskip(SKIP_1) | instid1(VALU_DEP_2)
	v_mov_b32_e32 v8, v5
	v_dual_mov_b32 v6, v4 :: v_dual_mov_b32 v5, v3
	v_lshlrev_b64 v[7:8], 3, v[7:8]
	s_delay_alu instid0(VALU_DEP_1) | instskip(NEXT) | instid1(VALU_DEP_2)
	v_add_co_u32 v7, vcc_lo, s0, v7
	v_add_co_ci_u32_e32 v8, vcc_lo, s6, v8, vcc_lo
	s_lshl_b64 s[6:7], s[28:29], 13
	.p2align	6
.LBB87_10:                              ; =>This Inner Loop Header: Depth=1
	global_load_b64 v[10:11], v[5:6], off
	global_load_b64 v[12:13], v[7:8], off
	v_add_nc_u32_e32 v9, 0x400, v9
	v_add_co_u32 v5, vcc_lo, 0x2000, v5
	v_add_co_ci_u32_e32 v6, vcc_lo, 0, v6, vcc_lo
	s_delay_alu instid0(VALU_DEP_3) | instskip(SKIP_1) | instid1(VALU_DEP_1)
	v_cmp_le_i32_e32 vcc_lo, s4, v9
	v_add_co_u32 v7, s0, v7, s6
	v_add_co_ci_u32_e64 v8, s0, s7, v8, s0
	s_or_b32 s16, vcc_lo, s16
	s_waitcnt vmcnt(0)
	v_fma_f64 v[1:2], v[10:11], v[12:13], v[1:2]
	s_and_not1_b32 exec_lo, exec_lo, s16
	s_cbranch_execnz .LBB87_10
; %bb.11:
	s_or_b32 exec_lo, exec_lo, s16
.LBB87_12:
	s_delay_alu instid0(SALU_CYCLE_1) | instskip(SKIP_2) | instid1(VALU_DEP_1)
	s_or_b32 exec_lo, exec_lo, s15
	v_or_b32_e32 v5, s4, v0
	s_mov_b32 s0, exec_lo
	v_cmpx_gt_i32_e64 s5, v5
	s_cbranch_execz .LBB87_14
; %bb.13:
	v_ashrrev_i32_e32 v8, 31, v5
	v_mul_lo_u32 v9, v5, s29
	v_mad_u64_u32 v[6:7], null, v5, s28, 0
	s_lshl_b64 s[2:3], s[2:3], 3
	s_delay_alu instid0(VALU_DEP_3) | instskip(SKIP_3) | instid1(SALU_CYCLE_1)
	v_mul_lo_u32 v5, v8, s28
	s_add_u32 s5, s24, s2
	s_addc_u32 s6, s25, s3
	s_lshl_b64 s[2:3], s[26:27], 3
	s_add_u32 s7, s5, s2
	s_addc_u32 s6, s6, s3
	s_ashr_i32 s5, s4, 31
	s_delay_alu instid0(VALU_DEP_1) | instskip(SKIP_1) | instid1(SALU_CYCLE_1)
	v_add3_u32 v7, v7, v9, v5
	s_lshl_b64 s[2:3], s[4:5], 3
	v_add_co_u32 v3, vcc_lo, v3, s2
	s_delay_alu instid0(VALU_DEP_2) | instskip(SKIP_1) | instid1(VALU_DEP_2)
	v_lshlrev_b64 v[5:6], 3, v[6:7]
	v_add_co_ci_u32_e32 v4, vcc_lo, s3, v4, vcc_lo
	v_add_co_u32 v5, vcc_lo, s7, v5
	s_delay_alu instid0(VALU_DEP_3)
	v_add_co_ci_u32_e32 v6, vcc_lo, s6, v6, vcc_lo
	global_load_b64 v[3:4], v[3:4], off
	global_load_b64 v[5:6], v[5:6], off
	s_waitcnt vmcnt(0)
	v_fma_f64 v[1:2], v[3:4], v[5:6], v[1:2]
.LBB87_14:
	s_or_b32 exec_lo, exec_lo, s0
	v_and_b32_e32 v11, 31, v0
	v_cmp_gt_u32_e32 vcc_lo, 32, v0
	s_delay_alu instid0(VALU_DEP_2)
	v_lshlrev_b32_e32 v5, 3, v11
	s_and_saveexec_b32 s0, vcc_lo
	s_cbranch_execz .LBB87_16
; %bb.15:
	v_mov_b32_e32 v3, 0
	s_delay_alu instid0(VALU_DEP_1)
	v_mov_b32_e32 v4, v3
	ds_store_b64 v5, v[3:4]
.LBB87_16:
	s_or_b32 exec_lo, exec_lo, s0
	v_mbcnt_lo_u32_b32 v10, -1, 0
	s_mov_b32 s2, exec_lo
	s_waitcnt lgkmcnt(0)
	s_barrier
	buffer_gl0_inv
	v_cmp_gt_u32_e64 s0, 16, v10
	s_delay_alu instid0(VALU_DEP_1) | instskip(SKIP_1) | instid1(VALU_DEP_2)
	v_cndmask_b32_e64 v3, 0, 1, s0
	v_cmp_gt_u32_e64 s0, 24, v10
	v_lshlrev_b32_e32 v3, 4, v3
	s_delay_alu instid0(VALU_DEP_1)
	v_add_lshl_u32 v6, v3, v10, 2
	ds_bpermute_b32 v3, v6, v1
	ds_bpermute_b32 v4, v6, v2
	s_waitcnt lgkmcnt(0)
	v_add_f64 v[1:2], v[1:2], v[3:4]
	v_cndmask_b32_e64 v3, 0, 1, s0
	v_cmp_gt_u32_e64 s0, 28, v10
	s_delay_alu instid0(VALU_DEP_2) | instskip(NEXT) | instid1(VALU_DEP_1)
	v_lshlrev_b32_e32 v3, 3, v3
	v_add_lshl_u32 v7, v3, v10, 2
	ds_bpermute_b32 v3, v7, v1
	ds_bpermute_b32 v4, v7, v2
	s_waitcnt lgkmcnt(0)
	v_add_f64 v[1:2], v[1:2], v[3:4]
	v_cndmask_b32_e64 v3, 0, 1, s0
	v_cmp_gt_u32_e64 s0, 30, v10
	s_delay_alu instid0(VALU_DEP_2) | instskip(NEXT) | instid1(VALU_DEP_1)
	v_lshlrev_b32_e32 v3, 2, v3
	v_add_lshl_u32 v8, v3, v10, 2
	ds_bpermute_b32 v3, v8, v1
	ds_bpermute_b32 v4, v8, v2
	s_waitcnt lgkmcnt(0)
	v_add_f64 v[1:2], v[1:2], v[3:4]
	v_cndmask_b32_e64 v3, 0, 1, s0
	v_cmp_ne_u32_e64 s0, 31, v10
	s_delay_alu instid0(VALU_DEP_2) | instskip(NEXT) | instid1(VALU_DEP_1)
	v_lshlrev_b32_e32 v3, 1, v3
	v_add_lshl_u32 v9, v3, v10, 2
	ds_bpermute_b32 v3, v9, v1
	ds_bpermute_b32 v4, v9, v2
	s_waitcnt lgkmcnt(0)
	v_add_f64 v[1:2], v[1:2], v[3:4]
	v_add_co_ci_u32_e64 v3, s0, 0, v10, s0
	s_delay_alu instid0(VALU_DEP_1)
	v_lshlrev_b32_e32 v10, 2, v3
	ds_bpermute_b32 v3, v10, v1
	ds_bpermute_b32 v4, v10, v2
	v_cmpx_eq_u32_e32 0, v11
	s_cbranch_execz .LBB87_18
; %bb.17:
	s_waitcnt lgkmcnt(0)
	v_add_f64 v[1:2], v[1:2], v[3:4]
	v_lshrrev_b32_e32 v3, 2, v0
	s_delay_alu instid0(VALU_DEP_1)
	v_and_b32_e32 v3, 0xf8, v3
	ds_store_b64 v3, v[1:2]
.LBB87_18:
	s_or_b32 exec_lo, exec_lo, s2
	s_waitcnt lgkmcnt(0)
	v_mov_b32_e32 v3, 0
	v_mov_b32_e32 v4, 0
	s_barrier
	buffer_gl0_inv
	s_and_saveexec_b32 s0, vcc_lo
	s_cbranch_execz .LBB87_20
; %bb.19:
	ds_load_b64 v[3:4], v5
.LBB87_20:
	s_or_b32 exec_lo, exec_lo, s0
	s_and_saveexec_b32 s0, vcc_lo
	s_cbranch_execz .LBB87_22
; %bb.21:
	s_waitcnt lgkmcnt(0)
	ds_bpermute_b32 v1, v6, v3
	ds_bpermute_b32 v2, v6, v4
	s_waitcnt lgkmcnt(0)
	v_add_f64 v[1:2], v[3:4], v[1:2]
	ds_bpermute_b32 v3, v7, v1
	ds_bpermute_b32 v4, v7, v2
	s_waitcnt lgkmcnt(0)
	v_add_f64 v[1:2], v[1:2], v[3:4]
	;; [unrolled: 4-line block ×5, first 2 shown]
.LBB87_22:
	s_or_b32 exec_lo, exec_lo, s0
	s_delay_alu instid0(SALU_CYCLE_1)
	s_mov_b32 s0, exec_lo
                                        ; implicit-def: $vgpr1_vgpr2
                                        ; implicit-def: $sgpr4_sgpr5
	v_cmpx_eq_u32_e32 0, v0
	s_cbranch_execz .LBB87_26
; %bb.23:
	v_cmp_eq_f64_e64 s2, s[12:13], 0
	s_waitcnt lgkmcnt(0)
	s_delay_alu instid0(VALU_DEP_3)
	v_mul_f64 v[1:2], v[3:4], s[34:35]
	s_mul_i32 s3, s14, s9
	s_mul_hi_u32 s4, s14, s8
	s_mul_i32 s1, s1, s8
	s_add_i32 s3, s4, s3
	s_mul_i32 s4, s14, s8
	s_add_i32 s5, s3, s1
	s_delay_alu instid0(VALU_DEP_2)
	s_and_b32 vcc_lo, exec_lo, s2
	s_cbranch_vccnz .LBB87_25
; %bb.24:
	s_lshl_b64 s[2:3], s[4:5], 3
	s_delay_alu instid0(SALU_CYCLE_1) | instskip(SKIP_3) | instid1(VALU_DEP_1)
	s_add_u32 s2, s10, s2
	s_addc_u32 s3, s11, s3
	s_load_b64 s[2:3], s[2:3], 0x0
	s_waitcnt lgkmcnt(0)
	v_fma_f64 v[1:2], s[2:3], s[12:13], v[1:2]
.LBB87_25:
	s_or_b32 s33, s33, exec_lo
.LBB87_26:
	s_or_b32 exec_lo, exec_lo, s0
.LBB87_27:
	s_and_saveexec_b32 s0, s33
	s_cbranch_execz .LBB87_29
; %bb.28:
	s_lshl_b64 s[0:1], s[4:5], 3
	v_mov_b32_e32 v0, 0
	s_add_u32 s0, s10, s0
	s_addc_u32 s1, s11, s1
	global_store_b64 v0, v[1:2], s[0:1]
.LBB87_29:
	s_nop 0
	s_sendmsg sendmsg(MSG_DEALLOC_VGPRS)
	s_endpgm
	.section	.rodata,"a",@progbits
	.p2align	6, 0x0
	.amdhsa_kernel _ZL32rocblas_gemvt_warp_reduce_kernelILb0ELi1024EldddEviiT3_lPKT2_lT1_lS3_lS4_lS0_lPT4_lS4_li
		.amdhsa_group_segment_fixed_size 256
		.amdhsa_private_segment_fixed_size 0
		.amdhsa_kernarg_size 140
		.amdhsa_user_sgpr_count 14
		.amdhsa_user_sgpr_dispatch_ptr 0
		.amdhsa_user_sgpr_queue_ptr 0
		.amdhsa_user_sgpr_kernarg_segment_ptr 1
		.amdhsa_user_sgpr_dispatch_id 0
		.amdhsa_user_sgpr_private_segment_size 0
		.amdhsa_wavefront_size32 1
		.amdhsa_uses_dynamic_stack 0
		.amdhsa_enable_private_segment 0
		.amdhsa_system_sgpr_workgroup_id_x 1
		.amdhsa_system_sgpr_workgroup_id_y 0
		.amdhsa_system_sgpr_workgroup_id_z 1
		.amdhsa_system_sgpr_workgroup_info 0
		.amdhsa_system_vgpr_workitem_id 0
		.amdhsa_next_free_vgpr 14
		.amdhsa_next_free_sgpr 36
		.amdhsa_reserve_vcc 1
		.amdhsa_float_round_mode_32 0
		.amdhsa_float_round_mode_16_64 0
		.amdhsa_float_denorm_mode_32 3
		.amdhsa_float_denorm_mode_16_64 3
		.amdhsa_dx10_clamp 1
		.amdhsa_ieee_mode 1
		.amdhsa_fp16_overflow 0
		.amdhsa_workgroup_processor_mode 1
		.amdhsa_memory_ordered 1
		.amdhsa_forward_progress 0
		.amdhsa_shared_vgpr_count 0
		.amdhsa_exception_fp_ieee_invalid_op 0
		.amdhsa_exception_fp_denorm_src 0
		.amdhsa_exception_fp_ieee_div_zero 0
		.amdhsa_exception_fp_ieee_overflow 0
		.amdhsa_exception_fp_ieee_underflow 0
		.amdhsa_exception_fp_ieee_inexact 0
		.amdhsa_exception_int_div_zero 0
	.end_amdhsa_kernel
	.section	.text._ZL32rocblas_gemvt_warp_reduce_kernelILb0ELi1024EldddEviiT3_lPKT2_lT1_lS3_lS4_lS0_lPT4_lS4_li,"axG",@progbits,_ZL32rocblas_gemvt_warp_reduce_kernelILb0ELi1024EldddEviiT3_lPKT2_lT1_lS3_lS4_lS0_lPT4_lS4_li,comdat
.Lfunc_end87:
	.size	_ZL32rocblas_gemvt_warp_reduce_kernelILb0ELi1024EldddEviiT3_lPKT2_lT1_lS3_lS4_lS0_lPT4_lS4_li, .Lfunc_end87-_ZL32rocblas_gemvt_warp_reduce_kernelILb0ELi1024EldddEviiT3_lPKT2_lT1_lS3_lS4_lS0_lPT4_lS4_li
                                        ; -- End function
	.section	.AMDGPU.csdata,"",@progbits
; Kernel info:
; codeLenInByte = 1636
; NumSgprs: 38
; NumVgprs: 14
; ScratchSize: 0
; MemoryBound: 0
; FloatMode: 240
; IeeeMode: 1
; LDSByteSize: 256 bytes/workgroup (compile time only)
; SGPRBlocks: 4
; VGPRBlocks: 1
; NumSGPRsForWavesPerEU: 38
; NumVGPRsForWavesPerEU: 14
; Occupancy: 16
; WaveLimiterHint : 1
; COMPUTE_PGM_RSRC2:SCRATCH_EN: 0
; COMPUTE_PGM_RSRC2:USER_SGPR: 14
; COMPUTE_PGM_RSRC2:TRAP_HANDLER: 0
; COMPUTE_PGM_RSRC2:TGID_X_EN: 1
; COMPUTE_PGM_RSRC2:TGID_Y_EN: 0
; COMPUTE_PGM_RSRC2:TGID_Z_EN: 1
; COMPUTE_PGM_RSRC2:TIDIG_COMP_CNT: 0
	.section	.text._ZL22rocblas_gemvtsm_kernelILb1ELi256EdPKddEviiT2_lPKT1_lilS5_lilS2_lPT3_lil,"axG",@progbits,_ZL22rocblas_gemvtsm_kernelILb1ELi256EdPKddEviiT2_lPKT1_lilS5_lilS2_lPT3_lil,comdat
	.globl	_ZL22rocblas_gemvtsm_kernelILb1ELi256EdPKddEviiT2_lPKT1_lilS5_lilS2_lPT3_lil ; -- Begin function _ZL22rocblas_gemvtsm_kernelILb1ELi256EdPKddEviiT2_lPKT1_lilS5_lilS2_lPT3_lil
	.p2align	8
	.type	_ZL22rocblas_gemvtsm_kernelILb1ELi256EdPKddEviiT2_lPKT1_lilS5_lilS2_lPT3_lil,@function
_ZL22rocblas_gemvtsm_kernelILb1ELi256EdPKddEviiT2_lPKT1_lilS5_lilS2_lPT3_lil: ; @_ZL22rocblas_gemvtsm_kernelILb1ELi256EdPKddEviiT2_lPKT1_lilS5_lilS2_lPT3_lil
; %bb.0:
	s_clause 0x1
	s_load_b256 s[4:11], s[0:1], 0x8
	s_load_b256 s[16:23], s[0:1], 0x50
	s_waitcnt lgkmcnt(0)
	s_mul_i32 s3, s15, s7
	s_mul_hi_u32 s7, s15, s6
	s_mul_i32 s2, s15, s6
	s_add_i32 s3, s7, s3
	s_mul_i32 s6, s15, s21
	s_lshl_b64 s[2:3], s[2:3], 3
	s_mul_hi_u32 s7, s15, s20
	s_add_u32 s2, s4, s2
	s_addc_u32 s3, s5, s3
	s_add_i32 s5, s7, s6
	s_mul_i32 s4, s15, s20
	s_delay_alu instid0(SALU_CYCLE_1) | instskip(NEXT) | instid1(SALU_CYCLE_1)
	s_lshl_b64 s[4:5], s[4:5], 3
	s_add_u32 s4, s18, s4
	s_addc_u32 s5, s19, s5
	s_load_b64 s[26:27], s[2:3], 0x0
	s_load_b64 s[12:13], s[4:5], 0x0
	s_waitcnt lgkmcnt(0)
	v_cmp_eq_f64_e64 s2, s[26:27], 0
	v_cmp_eq_f64_e64 s3, s[12:13], 1.0
	s_delay_alu instid0(VALU_DEP_1) | instskip(NEXT) | instid1(SALU_CYCLE_1)
	s_and_b32 s2, s2, s3
	s_and_b32 vcc_lo, exec_lo, s2
	s_cbranch_vccnz .LBB88_34
; %bb.1:
	v_cmp_neq_f64_e64 s4, s[26:27], 0
	s_clause 0x3
	s_load_b64 s[2:3], s[0:1], 0x80
	s_load_b32 s18, s[0:1], 0x78
	s_load_b64 s[24:25], s[0:1], 0x70
	s_load_b64 s[20:21], s[0:1], 0x0
	s_waitcnt lgkmcnt(0)
	s_mul_i32 s3, s15, s3
	s_mul_hi_u32 s5, s15, s2
	s_mul_i32 s28, s15, s2
	s_add_i32 s29, s5, s3
	s_delay_alu instid0(VALU_DEP_1)
	s_and_b32 vcc_lo, exec_lo, s4
	s_cbranch_vccnz .LBB88_9
; %bb.2:
	v_cmp_neq_f64_e64 s2, s[12:13], 0
	s_cmp_gt_i32 s21, 0
	s_cselect_b32 s4, -1, 0
	s_delay_alu instid0(SALU_CYCLE_1) | instskip(NEXT) | instid1(VALU_DEP_2)
	v_cndmask_b32_e64 v1, 0, 1, s4
	s_and_b32 vcc_lo, exec_lo, s2
	s_delay_alu instid0(VALU_DEP_1)
	v_cmp_ne_u32_e64 s2, 1, v1
	s_cbranch_vccnz .LBB88_10
; %bb.3:
	s_delay_alu instid0(VALU_DEP_1)
	s_and_b32 vcc_lo, exec_lo, s2
	s_cbranch_vccnz .LBB88_8
; %bb.4:
	v_mad_i64_i32 v[1:2], null, s18, v0, 0
	s_lshl_b64 s[6:7], s[24:25], 3
	s_ashr_i32 s19, s18, 31
	s_lshl_b64 s[2:3], s[28:29], 3
	s_add_u32 s5, s22, s6
	s_addc_u32 s6, s23, s7
	s_add_u32 s2, s5, s2
	s_delay_alu instid0(VALU_DEP_1) | instskip(SKIP_3) | instid1(VALU_DEP_2)
	v_lshlrev_b64 v[1:2], 3, v[1:2]
	s_addc_u32 s3, s6, s3
	v_mov_b32_e32 v3, 0
	s_mov_b32 s5, 0
	v_add_co_u32 v1, vcc_lo, s2, v1
	s_delay_alu instid0(VALU_DEP_3)
	v_add_co_ci_u32_e32 v2, vcc_lo, s3, v2, vcc_lo
	s_lshl_b64 s[2:3], s[18:19], 11
	s_branch .LBB88_6
.LBB88_5:                               ;   in Loop: Header=BB88_6 Depth=1
	s_or_b32 exec_lo, exec_lo, s6
	v_add_co_u32 v1, vcc_lo, v1, s2
	v_add_co_ci_u32_e32 v2, vcc_lo, s3, v2, vcc_lo
	s_addk_i32 s5, 0x100
	s_delay_alu instid0(SALU_CYCLE_1)
	s_cmp_ge_i32 s5, s21
	s_cbranch_scc1 .LBB88_8
.LBB88_6:                               ; =>This Inner Loop Header: Depth=1
	v_add_nc_u32_e32 v4, s5, v0
	s_mov_b32 s6, exec_lo
	s_delay_alu instid0(VALU_DEP_1)
	v_cmpx_gt_i32_e64 s21, v4
	s_cbranch_execz .LBB88_5
; %bb.7:                                ;   in Loop: Header=BB88_6 Depth=1
	v_mov_b32_e32 v4, v3
	global_store_b64 v[1:2], v[3:4], off
	s_branch .LBB88_5
.LBB88_8:
	s_cbranch_execz .LBB88_11
	s_branch .LBB88_16
.LBB88_9:
	s_branch .LBB88_17
.LBB88_10:
.LBB88_11:
	s_and_not1_b32 vcc_lo, exec_lo, s4
	s_cbranch_vccnz .LBB88_16
; %bb.12:
	v_mad_i64_i32 v[1:2], null, s18, v0, 0
	s_lshl_b64 s[4:5], s[24:25], 3
	s_ashr_i32 s19, s18, 31
	s_lshl_b64 s[2:3], s[28:29], 3
	s_add_u32 s4, s22, s4
	s_addc_u32 s5, s23, s5
	s_add_u32 s2, s4, s2
	s_delay_alu instid0(VALU_DEP_1) | instskip(SKIP_2) | instid1(VALU_DEP_1)
	v_lshlrev_b64 v[1:2], 3, v[1:2]
	s_addc_u32 s3, s5, s3
	s_mov_b32 s4, 0
	v_add_co_u32 v1, vcc_lo, s2, v1
	s_delay_alu instid0(VALU_DEP_2)
	v_add_co_ci_u32_e32 v2, vcc_lo, s3, v2, vcc_lo
	s_lshl_b64 s[2:3], s[18:19], 11
	s_branch .LBB88_14
	.p2align	6
.LBB88_13:                              ;   in Loop: Header=BB88_14 Depth=1
	s_or_b32 exec_lo, exec_lo, s5
	v_add_co_u32 v1, vcc_lo, v1, s2
	v_add_co_ci_u32_e32 v2, vcc_lo, s3, v2, vcc_lo
	s_addk_i32 s4, 0x100
	s_delay_alu instid0(SALU_CYCLE_1)
	s_cmp_ge_i32 s4, s21
	s_cbranch_scc1 .LBB88_16
.LBB88_14:                              ; =>This Inner Loop Header: Depth=1
	v_add_nc_u32_e32 v3, s4, v0
	s_mov_b32 s5, exec_lo
	s_delay_alu instid0(VALU_DEP_1)
	v_cmpx_gt_i32_e64 s21, v3
	s_cbranch_execz .LBB88_13
; %bb.15:                               ;   in Loop: Header=BB88_14 Depth=1
	global_load_b64 v[3:4], v[1:2], off
	s_waitcnt vmcnt(0)
	v_mul_f64 v[3:4], s[12:13], v[3:4]
	global_store_b64 v[1:2], v[3:4], off
	s_branch .LBB88_13
.LBB88_16:
	s_cbranch_execnz .LBB88_34
.LBB88_17:
	s_clause 0x1
	s_load_b128 s[4:7], s[0:1], 0x30
	s_load_b64 s[2:3], s[0:1], 0x40
	s_mov_b32 s14, exec_lo
	v_cmpx_gt_i32_e64 s20, v0
	s_cbranch_execz .LBB88_19
; %bb.18:
	s_load_b32 s19, s[0:1], 0x48
	s_mul_i32 s17, s15, s17
	s_mul_hi_u32 s30, s15, s16
	s_mul_i32 s16, s15, s16
	s_add_i32 s17, s30, s17
	v_lshlrev_b32_e32 v3, 3, v0
	s_lshl_b64 s[16:17], s[16:17], 3
	s_waitcnt lgkmcnt(0)
	s_add_u32 s6, s6, s16
	s_addc_u32 s7, s7, s17
	s_lshl_b64 s[2:3], s[2:3], 3
	s_delay_alu instid0(SALU_CYCLE_1) | instskip(SKIP_2) | instid1(VALU_DEP_1)
	s_add_u32 s2, s6, s2
	s_addc_u32 s3, s7, s3
	v_mad_i64_i32 v[1:2], null, s19, v0, 0
	v_lshlrev_b64 v[1:2], 3, v[1:2]
	s_delay_alu instid0(VALU_DEP_1) | instskip(NEXT) | instid1(VALU_DEP_2)
	v_add_co_u32 v1, vcc_lo, s2, v1
	v_add_co_ci_u32_e32 v2, vcc_lo, s3, v2, vcc_lo
	global_load_b64 v[1:2], v[1:2], off
	s_waitcnt vmcnt(0)
	v_mul_f64 v[1:2], s[26:27], v[1:2]
	ds_store_b64 v3, v[1:2]
.LBB88_19:
	s_or_b32 exec_lo, exec_lo, s14
	s_cmp_lt_i32 s21, 1
	s_waitcnt lgkmcnt(0)
	s_waitcnt_vscnt null, 0x0
	s_barrier
	buffer_gl0_inv
	s_cbranch_scc1 .LBB88_34
; %bb.20:
	s_load_b32 s2, s[0:1], 0x28
	s_lshl_b64 s[0:1], s[28:29], 3
	s_mul_hi_u32 s28, s4, s15
	s_mul_i32 s26, s4, s15
	v_cmp_neq_f64_e64 s4, s[12:13], 0
	s_add_u32 s3, s22, s0
	s_addc_u32 s6, s23, s1
	s_lshl_b64 s[0:1], s[24:25], 3
	s_mul_i32 s27, s5, s15
	s_add_u32 s5, s3, s0
	s_addc_u32 s6, s6, s1
	s_ashr_i32 s7, s18, 31
	s_waitcnt lgkmcnt(0)
	s_ashr_i32 s3, s2, 31
	s_cmp_gt_i32 s20, 0
	v_mad_i64_i32 v[1:2], null, s2, v0, 0
	s_cselect_b32 s14, -1, 0
	s_and_b32 s15, s20, 7
	s_cmp_gt_u32 s20, 7
	s_cselect_b32 s16, -1, 0
	s_and_b32 s17, s20, 0x7ffffff8
	s_cmp_lg_u32 s15, 0
	s_delay_alu instid0(VALU_DEP_1)
	v_lshlrev_b64 v[1:2], 3, v[1:2]
	s_cselect_b32 s19, -1, 0
	s_add_i32 s27, s28, s27
	s_lshl_b64 s[0:1], s[10:11], 3
	s_lshl_b64 s[10:11], s[26:27], 3
	s_add_u32 s0, s8, s0
	s_addc_u32 s1, s9, s1
	s_add_u32 s0, s0, s10
	s_addc_u32 s1, s1, s11
	v_add_co_u32 v9, vcc_lo, s0, v1
	v_add_co_ci_u32_e32 v10, vcc_lo, s1, v2, vcc_lo
	s_mov_b32 s1, 0
	s_delay_alu instid0(VALU_DEP_2) | instskip(NEXT) | instid1(VALU_DEP_2)
	v_add_co_u32 v1, vcc_lo, v9, 56
	v_add_co_ci_u32_e32 v2, vcc_lo, 0, v10, vcc_lo
	s_lshl_b64 s[2:3], s[2:3], 11
	s_mov_b32 s8, 0
	s_branch .LBB88_23
.LBB88_21:                              ;   in Loop: Header=BB88_23 Depth=1
	v_add_co_u32 v3, vcc_lo, s5, v3
	v_add_co_ci_u32_e32 v4, vcc_lo, s6, v4, vcc_lo
	global_store_b64 v[3:4], v[5:6], off
.LBB88_22:                              ;   in Loop: Header=BB88_23 Depth=1
	s_or_b32 exec_lo, exec_lo, s9
	v_add_co_u32 v1, vcc_lo, v1, s2
	v_add_co_ci_u32_e32 v2, vcc_lo, s3, v2, vcc_lo
	v_add_co_u32 v9, vcc_lo, v9, s2
	v_add_co_ci_u32_e32 v10, vcc_lo, s3, v10, vcc_lo
	s_addk_i32 s8, 0x100
	s_delay_alu instid0(SALU_CYCLE_1)
	s_cmp_ge_i32 s8, s21
	s_cbranch_scc1 .LBB88_34
.LBB88_23:                              ; =>This Loop Header: Depth=1
                                        ;     Child Loop BB88_29 Depth 2
                                        ;     Child Loop BB88_33 Depth 2
	v_add_nc_u32_e32 v3, s8, v0
	s_mov_b32 s9, exec_lo
	s_delay_alu instid0(VALU_DEP_1)
	v_cmpx_gt_i32_e64 s21, v3
	s_cbranch_execz .LBB88_22
; %bb.24:                               ;   in Loop: Header=BB88_23 Depth=1
	v_mad_u64_u32 v[4:5], null, v3, s18, 0
	s_and_not1_b32 vcc_lo, exec_lo, s4
	s_delay_alu instid0(VALU_DEP_1) | instskip(NEXT) | instid1(VALU_DEP_1)
	v_mad_u64_u32 v[6:7], null, v3, s7, v[5:6]
	v_mov_b32_e32 v5, v6
	s_delay_alu instid0(VALU_DEP_1)
	v_lshlrev_b64 v[3:4], 3, v[4:5]
	s_cbranch_vccnz .LBB88_26
; %bb.25:                               ;   in Loop: Header=BB88_23 Depth=1
	s_delay_alu instid0(VALU_DEP_1) | instskip(NEXT) | instid1(VALU_DEP_2)
	v_add_co_u32 v5, vcc_lo, s5, v3
	v_add_co_ci_u32_e32 v6, vcc_lo, s6, v4, vcc_lo
	global_load_b64 v[5:6], v[5:6], off
	s_waitcnt vmcnt(0)
	v_mul_f64 v[5:6], s[12:13], v[5:6]
	s_and_not1_b32 vcc_lo, exec_lo, s14
	s_cbranch_vccz .LBB88_27
	s_branch .LBB88_21
.LBB88_26:                              ;   in Loop: Header=BB88_23 Depth=1
	v_mov_b32_e32 v5, 0
	v_mov_b32_e32 v6, 0
	s_and_not1_b32 vcc_lo, exec_lo, s14
	s_cbranch_vccnz .LBB88_21
.LBB88_27:                              ;   in Loop: Header=BB88_23 Depth=1
	s_and_not1_b32 vcc_lo, exec_lo, s16
	s_cbranch_vccnz .LBB88_31
; %bb.28:                               ;   in Loop: Header=BB88_23 Depth=1
	v_dual_mov_b32 v8, v2 :: v_dual_mov_b32 v7, v1
	s_mov_b32 s0, 0
	s_mov_b32 s10, 0
	s_set_inst_prefetch_distance 0x1
	.p2align	6
.LBB88_29:                              ;   Parent Loop BB88_23 Depth=1
                                        ; =>  This Inner Loop Header: Depth=2
	s_clause 0x3
	global_load_b128 v[11:14], v[7:8], off offset:-56
	global_load_b128 v[15:18], v[7:8], off offset:-40
	;; [unrolled: 1-line block ×4, first 2 shown]
	v_mov_b32_e32 v35, s0
	v_add_co_u32 v7, vcc_lo, v7, 64
	v_add_co_ci_u32_e32 v8, vcc_lo, 0, v8, vcc_lo
	ds_load_b128 v[27:30], v35
	ds_load_b128 v[31:34], v35 offset:16
	s_add_i32 s10, s10, 8
	s_add_i32 s0, s0, 64
	s_cmp_eq_u32 s17, s10
	s_waitcnt vmcnt(3) lgkmcnt(1)
	v_fma_f64 v[5:6], v[27:28], v[11:12], v[5:6]
	s_delay_alu instid0(VALU_DEP_1) | instskip(SKIP_1) | instid1(VALU_DEP_1)
	v_fma_f64 v[5:6], v[29:30], v[13:14], v[5:6]
	s_waitcnt vmcnt(2) lgkmcnt(0)
	v_fma_f64 v[5:6], v[31:32], v[15:16], v[5:6]
	s_delay_alu instid0(VALU_DEP_1) | instskip(SKIP_4) | instid1(VALU_DEP_1)
	v_fma_f64 v[5:6], v[33:34], v[17:18], v[5:6]
	ds_load_b128 v[11:14], v35 offset:32
	ds_load_b128 v[15:18], v35 offset:48
	s_waitcnt vmcnt(1) lgkmcnt(1)
	v_fma_f64 v[5:6], v[11:12], v[19:20], v[5:6]
	v_fma_f64 v[5:6], v[13:14], v[21:22], v[5:6]
	s_waitcnt vmcnt(0) lgkmcnt(0)
	s_delay_alu instid0(VALU_DEP_1) | instskip(NEXT) | instid1(VALU_DEP_1)
	v_fma_f64 v[5:6], v[15:16], v[23:24], v[5:6]
	v_fma_f64 v[5:6], v[17:18], v[25:26], v[5:6]
	s_cbranch_scc0 .LBB88_29
; %bb.30:                               ;   in Loop: Header=BB88_23 Depth=1
	s_set_inst_prefetch_distance 0x2
	s_mov_b32 s0, s17
	s_and_not1_b32 vcc_lo, exec_lo, s19
	s_cbranch_vccz .LBB88_32
	s_branch .LBB88_21
.LBB88_31:                              ;   in Loop: Header=BB88_23 Depth=1
	s_mov_b32 s0, 0
	s_and_not1_b32 vcc_lo, exec_lo, s19
	s_cbranch_vccnz .LBB88_21
.LBB88_32:                              ;   in Loop: Header=BB88_23 Depth=1
	s_lshl_b64 s[10:11], s[0:1], 3
	s_lshl_b32 s0, s0, 3
	v_add_co_u32 v7, vcc_lo, v9, s10
	v_add_co_ci_u32_e32 v8, vcc_lo, s11, v10, vcc_lo
	s_mov_b32 s10, s15
.LBB88_33:                              ;   Parent Loop BB88_23 Depth=1
                                        ; =>  This Inner Loop Header: Depth=2
	global_load_b64 v[11:12], v[7:8], off
	v_mov_b32_e32 v13, s0
	v_add_co_u32 v7, vcc_lo, v7, 8
	v_add_co_ci_u32_e32 v8, vcc_lo, 0, v8, vcc_lo
	ds_load_b64 v[13:14], v13
	s_add_i32 s10, s10, -1
	s_add_i32 s0, s0, 8
	s_cmp_lg_u32 s10, 0
	s_waitcnt vmcnt(0) lgkmcnt(0)
	v_fma_f64 v[5:6], v[13:14], v[11:12], v[5:6]
	s_cbranch_scc1 .LBB88_33
	s_branch .LBB88_21
.LBB88_34:
	s_nop 0
	s_sendmsg sendmsg(MSG_DEALLOC_VGPRS)
	s_endpgm
	.section	.rodata,"a",@progbits
	.p2align	6, 0x0
	.amdhsa_kernel _ZL22rocblas_gemvtsm_kernelILb1ELi256EdPKddEviiT2_lPKT1_lilS5_lilS2_lPT3_lil
		.amdhsa_group_segment_fixed_size 512
		.amdhsa_private_segment_fixed_size 0
		.amdhsa_kernarg_size 136
		.amdhsa_user_sgpr_count 15
		.amdhsa_user_sgpr_dispatch_ptr 0
		.amdhsa_user_sgpr_queue_ptr 0
		.amdhsa_user_sgpr_kernarg_segment_ptr 1
		.amdhsa_user_sgpr_dispatch_id 0
		.amdhsa_user_sgpr_private_segment_size 0
		.amdhsa_wavefront_size32 1
		.amdhsa_uses_dynamic_stack 0
		.amdhsa_enable_private_segment 0
		.amdhsa_system_sgpr_workgroup_id_x 1
		.amdhsa_system_sgpr_workgroup_id_y 0
		.amdhsa_system_sgpr_workgroup_id_z 0
		.amdhsa_system_sgpr_workgroup_info 0
		.amdhsa_system_vgpr_workitem_id 0
		.amdhsa_next_free_vgpr 36
		.amdhsa_next_free_sgpr 31
		.amdhsa_reserve_vcc 1
		.amdhsa_float_round_mode_32 0
		.amdhsa_float_round_mode_16_64 0
		.amdhsa_float_denorm_mode_32 3
		.amdhsa_float_denorm_mode_16_64 3
		.amdhsa_dx10_clamp 1
		.amdhsa_ieee_mode 1
		.amdhsa_fp16_overflow 0
		.amdhsa_workgroup_processor_mode 1
		.amdhsa_memory_ordered 1
		.amdhsa_forward_progress 0
		.amdhsa_shared_vgpr_count 0
		.amdhsa_exception_fp_ieee_invalid_op 0
		.amdhsa_exception_fp_denorm_src 0
		.amdhsa_exception_fp_ieee_div_zero 0
		.amdhsa_exception_fp_ieee_overflow 0
		.amdhsa_exception_fp_ieee_underflow 0
		.amdhsa_exception_fp_ieee_inexact 0
		.amdhsa_exception_int_div_zero 0
	.end_amdhsa_kernel
	.section	.text._ZL22rocblas_gemvtsm_kernelILb1ELi256EdPKddEviiT2_lPKT1_lilS5_lilS2_lPT3_lil,"axG",@progbits,_ZL22rocblas_gemvtsm_kernelILb1ELi256EdPKddEviiT2_lPKT1_lilS5_lilS2_lPT3_lil,comdat
.Lfunc_end88:
	.size	_ZL22rocblas_gemvtsm_kernelILb1ELi256EdPKddEviiT2_lPKT1_lilS5_lilS2_lPT3_lil, .Lfunc_end88-_ZL22rocblas_gemvtsm_kernelILb1ELi256EdPKddEviiT2_lPKT1_lilS5_lilS2_lPT3_lil
                                        ; -- End function
	.section	.AMDGPU.csdata,"",@progbits
; Kernel info:
; codeLenInByte = 1540
; NumSgprs: 33
; NumVgprs: 36
; ScratchSize: 0
; MemoryBound: 0
; FloatMode: 240
; IeeeMode: 1
; LDSByteSize: 512 bytes/workgroup (compile time only)
; SGPRBlocks: 4
; VGPRBlocks: 4
; NumSGPRsForWavesPerEU: 33
; NumVGPRsForWavesPerEU: 36
; Occupancy: 16
; WaveLimiterHint : 1
; COMPUTE_PGM_RSRC2:SCRATCH_EN: 0
; COMPUTE_PGM_RSRC2:USER_SGPR: 15
; COMPUTE_PGM_RSRC2:TRAP_HANDLER: 0
; COMPUTE_PGM_RSRC2:TGID_X_EN: 1
; COMPUTE_PGM_RSRC2:TGID_Y_EN: 0
; COMPUTE_PGM_RSRC2:TGID_Z_EN: 0
; COMPUTE_PGM_RSRC2:TIDIG_COMP_CNT: 0
	.section	.text._ZL22rocblas_gemvtsm_kernelILb1ELi256EdddEviiT2_lPKT1_lilS3_lilS0_lPT3_lil,"axG",@progbits,_ZL22rocblas_gemvtsm_kernelILb1ELi256EdddEviiT2_lPKT1_lilS3_lilS0_lPT3_lil,comdat
	.globl	_ZL22rocblas_gemvtsm_kernelILb1ELi256EdddEviiT2_lPKT1_lilS3_lilS0_lPT3_lil ; -- Begin function _ZL22rocblas_gemvtsm_kernelILb1ELi256EdddEviiT2_lPKT1_lilS3_lilS0_lPT3_lil
	.p2align	8
	.type	_ZL22rocblas_gemvtsm_kernelILb1ELi256EdddEviiT2_lPKT1_lilS3_lilS0_lPT3_lil,@function
_ZL22rocblas_gemvtsm_kernelILb1ELi256EdddEviiT2_lPKT1_lilS3_lilS0_lPT3_lil: ; @_ZL22rocblas_gemvtsm_kernelILb1ELi256EdddEviiT2_lPKT1_lilS3_lilS0_lPT3_lil
; %bb.0:
	s_clause 0x1
	s_load_b64 s[22:23], s[0:1], 0x8
	s_load_b128 s[4:7], s[0:1], 0x50
	s_waitcnt lgkmcnt(0)
	v_cmp_eq_f64_e64 s2, s[22:23], 0
	v_cmp_eq_f64_e64 s3, s[6:7], 1.0
	s_delay_alu instid0(VALU_DEP_1) | instskip(NEXT) | instid1(SALU_CYCLE_1)
	s_and_b32 s2, s2, s3
	s_and_b32 vcc_lo, exec_lo, s2
	s_cbranch_vccnz .LBB89_34
; %bb.1:
	v_cmp_neq_f64_e64 s13, s[22:23], 0
	s_clause 0x3
	s_load_b64 s[2:3], s[0:1], 0x80
	s_load_b32 s12, s[0:1], 0x78
	s_load_b64 s[20:21], s[0:1], 0x0
	s_load_b128 s[8:11], s[0:1], 0x68
	s_waitcnt lgkmcnt(0)
	s_mul_i32 s3, s15, s3
	s_mul_hi_u32 s14, s15, s2
	s_mul_i32 s24, s15, s2
	s_add_i32 s25, s14, s3
	s_delay_alu instid0(VALU_DEP_1)
	s_and_b32 vcc_lo, exec_lo, s13
	s_cbranch_vccnz .LBB89_9
; %bb.2:
	v_cmp_neq_f64_e64 s2, s[6:7], 0
	s_cmp_gt_i32 s21, 0
	s_cselect_b32 s14, -1, 0
	s_delay_alu instid0(SALU_CYCLE_1) | instskip(NEXT) | instid1(VALU_DEP_2)
	v_cndmask_b32_e64 v1, 0, 1, s14
	s_and_b32 vcc_lo, exec_lo, s2
	s_delay_alu instid0(VALU_DEP_1)
	v_cmp_ne_u32_e64 s2, 1, v1
	s_cbranch_vccnz .LBB89_10
; %bb.3:
	s_delay_alu instid0(VALU_DEP_1)
	s_and_b32 vcc_lo, exec_lo, s2
	s_cbranch_vccnz .LBB89_8
; %bb.4:
	v_mad_i64_i32 v[1:2], null, s12, v0, 0
	s_lshl_b64 s[16:17], s[10:11], 3
	s_ashr_i32 s13, s12, 31
	s_lshl_b64 s[2:3], s[24:25], 3
	s_add_u32 s16, s8, s16
	s_addc_u32 s17, s9, s17
	s_add_u32 s2, s16, s2
	s_delay_alu instid0(VALU_DEP_1) | instskip(SKIP_2) | instid1(VALU_DEP_2)
	v_lshlrev_b64 v[1:2], 3, v[1:2]
	s_addc_u32 s3, s17, s3
	v_mov_b32_e32 v3, 0
	v_add_co_u32 v1, vcc_lo, s2, v1
	s_delay_alu instid0(VALU_DEP_3)
	v_add_co_ci_u32_e32 v2, vcc_lo, s3, v2, vcc_lo
	s_lshl_b64 s[2:3], s[12:13], 11
	s_mov_b32 s13, 0
	s_branch .LBB89_6
.LBB89_5:                               ;   in Loop: Header=BB89_6 Depth=1
	s_or_b32 exec_lo, exec_lo, s16
	v_add_co_u32 v1, vcc_lo, v1, s2
	v_add_co_ci_u32_e32 v2, vcc_lo, s3, v2, vcc_lo
	s_addk_i32 s13, 0x100
	s_delay_alu instid0(SALU_CYCLE_1)
	s_cmp_ge_i32 s13, s21
	s_cbranch_scc1 .LBB89_8
.LBB89_6:                               ; =>This Inner Loop Header: Depth=1
	v_add_nc_u32_e32 v4, s13, v0
	s_mov_b32 s16, exec_lo
	s_delay_alu instid0(VALU_DEP_1)
	v_cmpx_gt_i32_e64 s21, v4
	s_cbranch_execz .LBB89_5
; %bb.7:                                ;   in Loop: Header=BB89_6 Depth=1
	v_mov_b32_e32 v4, v3
	global_store_b64 v[1:2], v[3:4], off
	s_branch .LBB89_5
.LBB89_8:
	s_cbranch_execz .LBB89_11
	s_branch .LBB89_16
.LBB89_9:
	s_branch .LBB89_17
.LBB89_10:
.LBB89_11:
	s_and_not1_b32 vcc_lo, exec_lo, s14
	s_cbranch_vccnz .LBB89_16
; %bb.12:
	v_mad_i64_i32 v[1:2], null, s12, v0, 0
	s_lshl_b64 s[16:17], s[10:11], 3
	s_ashr_i32 s13, s12, 31
	s_lshl_b64 s[2:3], s[24:25], 3
	s_add_u32 s14, s8, s16
	s_addc_u32 s16, s9, s17
	s_add_u32 s2, s14, s2
	s_delay_alu instid0(VALU_DEP_1) | instskip(SKIP_1) | instid1(VALU_DEP_1)
	v_lshlrev_b64 v[1:2], 3, v[1:2]
	s_addc_u32 s3, s16, s3
	v_add_co_u32 v1, vcc_lo, s2, v1
	s_delay_alu instid0(VALU_DEP_2)
	v_add_co_ci_u32_e32 v2, vcc_lo, s3, v2, vcc_lo
	s_lshl_b64 s[2:3], s[12:13], 11
	s_mov_b32 s13, 0
	s_branch .LBB89_14
	.p2align	6
.LBB89_13:                              ;   in Loop: Header=BB89_14 Depth=1
	s_or_b32 exec_lo, exec_lo, s14
	v_add_co_u32 v1, vcc_lo, v1, s2
	v_add_co_ci_u32_e32 v2, vcc_lo, s3, v2, vcc_lo
	s_addk_i32 s13, 0x100
	s_delay_alu instid0(SALU_CYCLE_1)
	s_cmp_ge_i32 s13, s21
	s_cbranch_scc1 .LBB89_16
.LBB89_14:                              ; =>This Inner Loop Header: Depth=1
	v_add_nc_u32_e32 v3, s13, v0
	s_mov_b32 s14, exec_lo
	s_delay_alu instid0(VALU_DEP_1)
	v_cmpx_gt_i32_e64 s21, v3
	s_cbranch_execz .LBB89_13
; %bb.15:                               ;   in Loop: Header=BB89_14 Depth=1
	global_load_b64 v[3:4], v[1:2], off
	s_waitcnt vmcnt(0)
	v_mul_f64 v[3:4], v[3:4], s[6:7]
	global_store_b64 v[1:2], v[3:4], off
	s_branch .LBB89_13
.LBB89_16:
	s_cbranch_execnz .LBB89_34
.LBB89_17:
	s_clause 0x1
	s_load_b128 s[16:19], s[0:1], 0x30
	s_load_b64 s[2:3], s[0:1], 0x40
	s_mov_b32 s13, exec_lo
	v_cmpx_gt_i32_e64 s20, v0
	s_cbranch_execz .LBB89_19
; %bb.18:
	s_load_b32 s14, s[0:1], 0x48
	s_mul_i32 s5, s15, s5
	s_mul_hi_u32 s26, s15, s4
	s_mul_i32 s4, s15, s4
	s_add_i32 s5, s26, s5
	v_lshlrev_b32_e32 v3, 3, v0
	s_lshl_b64 s[4:5], s[4:5], 3
	s_waitcnt lgkmcnt(0)
	s_add_u32 s4, s18, s4
	s_addc_u32 s5, s19, s5
	s_lshl_b64 s[2:3], s[2:3], 3
	s_delay_alu instid0(SALU_CYCLE_1) | instskip(SKIP_2) | instid1(VALU_DEP_1)
	s_add_u32 s2, s4, s2
	s_addc_u32 s3, s5, s3
	v_mad_i64_i32 v[1:2], null, s14, v0, 0
	v_lshlrev_b64 v[1:2], 3, v[1:2]
	s_delay_alu instid0(VALU_DEP_1) | instskip(NEXT) | instid1(VALU_DEP_2)
	v_add_co_u32 v1, vcc_lo, s2, v1
	v_add_co_ci_u32_e32 v2, vcc_lo, s3, v2, vcc_lo
	global_load_b64 v[1:2], v[1:2], off
	s_waitcnt vmcnt(0)
	v_mul_f64 v[1:2], v[1:2], s[22:23]
	ds_store_b64 v3, v[1:2]
.LBB89_19:
	s_or_b32 exec_lo, exec_lo, s13
	s_cmp_lt_i32 s21, 1
	s_waitcnt lgkmcnt(0)
	s_waitcnt_vscnt null, 0x0
	s_barrier
	buffer_gl0_inv
	s_cbranch_scc1 .LBB89_34
; %bb.20:
	s_clause 0x1
	s_load_b32 s18, s[0:1], 0x28
	s_load_b128 s[0:3], s[0:1], 0x18
	s_lshl_b64 s[4:5], s[24:25], 3
	s_mul_i32 s17, s17, s15
	s_add_u32 s13, s8, s4
	v_cmp_neq_f64_e64 s4, s[6:7], 0
	s_addc_u32 s14, s9, s5
	s_lshl_b64 s[8:9], s[10:11], 3
	s_mul_hi_u32 s22, s16, s15
	s_add_u32 s5, s13, s8
	s_addc_u32 s8, s14, s9
	s_ashr_i32 s9, s12, 31
	s_mul_i32 s16, s16, s15
	s_waitcnt lgkmcnt(0)
	s_ashr_i32 s19, s18, 31
	s_cmp_gt_i32 s20, 0
	v_mad_i64_i32 v[1:2], null, s18, v0, 0
	s_cselect_b32 s10, -1, 0
	s_and_b32 s11, s20, 7
	s_cmp_gt_u32 s20, 7
	s_cselect_b32 s13, -1, 0
	s_and_b32 s14, s20, 0x7ffffff8
	s_cmp_lg_u32 s11, 0
	s_delay_alu instid0(VALU_DEP_1)
	v_lshlrev_b64 v[1:2], 3, v[1:2]
	s_cselect_b32 s15, -1, 0
	s_add_i32 s17, s22, s17
	s_lshl_b64 s[2:3], s[2:3], 3
	s_lshl_b64 s[16:17], s[16:17], 3
	s_add_u32 s0, s0, s2
	s_addc_u32 s1, s1, s3
	s_add_u32 s0, s0, s16
	s_addc_u32 s1, s1, s17
	v_add_co_u32 v9, vcc_lo, s0, v1
	v_add_co_ci_u32_e32 v10, vcc_lo, s1, v2, vcc_lo
	s_mov_b32 s1, 0
	s_delay_alu instid0(VALU_DEP_2) | instskip(NEXT) | instid1(VALU_DEP_2)
	v_add_co_u32 v1, vcc_lo, v9, 56
	v_add_co_ci_u32_e32 v2, vcc_lo, 0, v10, vcc_lo
	s_lshl_b64 s[2:3], s[18:19], 11
	s_mov_b32 s16, 0
	s_branch .LBB89_23
.LBB89_21:                              ;   in Loop: Header=BB89_23 Depth=1
	v_add_co_u32 v3, vcc_lo, s5, v3
	v_add_co_ci_u32_e32 v4, vcc_lo, s8, v4, vcc_lo
	global_store_b64 v[3:4], v[5:6], off
.LBB89_22:                              ;   in Loop: Header=BB89_23 Depth=1
	s_or_b32 exec_lo, exec_lo, s17
	v_add_co_u32 v1, vcc_lo, v1, s2
	v_add_co_ci_u32_e32 v2, vcc_lo, s3, v2, vcc_lo
	v_add_co_u32 v9, vcc_lo, v9, s2
	v_add_co_ci_u32_e32 v10, vcc_lo, s3, v10, vcc_lo
	s_addk_i32 s16, 0x100
	s_delay_alu instid0(SALU_CYCLE_1)
	s_cmp_ge_i32 s16, s21
	s_cbranch_scc1 .LBB89_34
.LBB89_23:                              ; =>This Loop Header: Depth=1
                                        ;     Child Loop BB89_29 Depth 2
                                        ;     Child Loop BB89_33 Depth 2
	v_add_nc_u32_e32 v3, s16, v0
	s_mov_b32 s17, exec_lo
	s_delay_alu instid0(VALU_DEP_1)
	v_cmpx_gt_i32_e64 s21, v3
	s_cbranch_execz .LBB89_22
; %bb.24:                               ;   in Loop: Header=BB89_23 Depth=1
	v_mad_u64_u32 v[4:5], null, v3, s12, 0
	s_and_not1_b32 vcc_lo, exec_lo, s4
	s_delay_alu instid0(VALU_DEP_1) | instskip(NEXT) | instid1(VALU_DEP_1)
	v_mad_u64_u32 v[6:7], null, v3, s9, v[5:6]
	v_mov_b32_e32 v5, v6
	s_delay_alu instid0(VALU_DEP_1)
	v_lshlrev_b64 v[3:4], 3, v[4:5]
	s_cbranch_vccnz .LBB89_26
; %bb.25:                               ;   in Loop: Header=BB89_23 Depth=1
	s_delay_alu instid0(VALU_DEP_1) | instskip(NEXT) | instid1(VALU_DEP_2)
	v_add_co_u32 v5, vcc_lo, s5, v3
	v_add_co_ci_u32_e32 v6, vcc_lo, s8, v4, vcc_lo
	global_load_b64 v[5:6], v[5:6], off
	s_waitcnt vmcnt(0)
	v_mul_f64 v[5:6], v[5:6], s[6:7]
	s_and_not1_b32 vcc_lo, exec_lo, s10
	s_cbranch_vccz .LBB89_27
	s_branch .LBB89_21
.LBB89_26:                              ;   in Loop: Header=BB89_23 Depth=1
	v_mov_b32_e32 v5, 0
	v_mov_b32_e32 v6, 0
	s_and_not1_b32 vcc_lo, exec_lo, s10
	s_cbranch_vccnz .LBB89_21
.LBB89_27:                              ;   in Loop: Header=BB89_23 Depth=1
	s_and_not1_b32 vcc_lo, exec_lo, s13
	s_cbranch_vccnz .LBB89_31
; %bb.28:                               ;   in Loop: Header=BB89_23 Depth=1
	v_dual_mov_b32 v8, v2 :: v_dual_mov_b32 v7, v1
	s_mov_b32 s0, 0
	s_mov_b32 s18, 0
	s_set_inst_prefetch_distance 0x1
	.p2align	6
.LBB89_29:                              ;   Parent Loop BB89_23 Depth=1
                                        ; =>  This Inner Loop Header: Depth=2
	s_clause 0x3
	global_load_b128 v[11:14], v[7:8], off offset:-56
	global_load_b128 v[15:18], v[7:8], off offset:-40
	;; [unrolled: 1-line block ×4, first 2 shown]
	v_mov_b32_e32 v35, s0
	v_add_co_u32 v7, vcc_lo, v7, 64
	v_add_co_ci_u32_e32 v8, vcc_lo, 0, v8, vcc_lo
	ds_load_b128 v[27:30], v35
	ds_load_b128 v[31:34], v35 offset:16
	s_add_i32 s18, s18, 8
	s_add_i32 s0, s0, 64
	s_cmp_eq_u32 s14, s18
	s_waitcnt vmcnt(3) lgkmcnt(1)
	v_fma_f64 v[5:6], v[27:28], v[11:12], v[5:6]
	s_delay_alu instid0(VALU_DEP_1) | instskip(SKIP_1) | instid1(VALU_DEP_1)
	v_fma_f64 v[5:6], v[29:30], v[13:14], v[5:6]
	s_waitcnt vmcnt(2) lgkmcnt(0)
	v_fma_f64 v[5:6], v[31:32], v[15:16], v[5:6]
	s_delay_alu instid0(VALU_DEP_1) | instskip(SKIP_4) | instid1(VALU_DEP_1)
	v_fma_f64 v[5:6], v[33:34], v[17:18], v[5:6]
	ds_load_b128 v[11:14], v35 offset:32
	ds_load_b128 v[15:18], v35 offset:48
	s_waitcnt vmcnt(1) lgkmcnt(1)
	v_fma_f64 v[5:6], v[11:12], v[19:20], v[5:6]
	v_fma_f64 v[5:6], v[13:14], v[21:22], v[5:6]
	s_waitcnt vmcnt(0) lgkmcnt(0)
	s_delay_alu instid0(VALU_DEP_1) | instskip(NEXT) | instid1(VALU_DEP_1)
	v_fma_f64 v[5:6], v[15:16], v[23:24], v[5:6]
	v_fma_f64 v[5:6], v[17:18], v[25:26], v[5:6]
	s_cbranch_scc0 .LBB89_29
; %bb.30:                               ;   in Loop: Header=BB89_23 Depth=1
	s_set_inst_prefetch_distance 0x2
	s_mov_b32 s0, s14
	s_and_not1_b32 vcc_lo, exec_lo, s15
	s_cbranch_vccz .LBB89_32
	s_branch .LBB89_21
.LBB89_31:                              ;   in Loop: Header=BB89_23 Depth=1
	s_mov_b32 s0, 0
	s_and_not1_b32 vcc_lo, exec_lo, s15
	s_cbranch_vccnz .LBB89_21
.LBB89_32:                              ;   in Loop: Header=BB89_23 Depth=1
	s_lshl_b64 s[18:19], s[0:1], 3
	s_lshl_b32 s0, s0, 3
	v_add_co_u32 v7, vcc_lo, v9, s18
	v_add_co_ci_u32_e32 v8, vcc_lo, s19, v10, vcc_lo
	s_mov_b32 s18, s11
.LBB89_33:                              ;   Parent Loop BB89_23 Depth=1
                                        ; =>  This Inner Loop Header: Depth=2
	global_load_b64 v[11:12], v[7:8], off
	v_mov_b32_e32 v13, s0
	v_add_co_u32 v7, vcc_lo, v7, 8
	v_add_co_ci_u32_e32 v8, vcc_lo, 0, v8, vcc_lo
	ds_load_b64 v[13:14], v13
	s_add_i32 s18, s18, -1
	s_add_i32 s0, s0, 8
	s_cmp_lg_u32 s18, 0
	s_waitcnt vmcnt(0) lgkmcnt(0)
	v_fma_f64 v[5:6], v[13:14], v[11:12], v[5:6]
	s_cbranch_scc1 .LBB89_33
	s_branch .LBB89_21
.LBB89_34:
	s_nop 0
	s_sendmsg sendmsg(MSG_DEALLOC_VGPRS)
	s_endpgm
	.section	.rodata,"a",@progbits
	.p2align	6, 0x0
	.amdhsa_kernel _ZL22rocblas_gemvtsm_kernelILb1ELi256EdddEviiT2_lPKT1_lilS3_lilS0_lPT3_lil
		.amdhsa_group_segment_fixed_size 512
		.amdhsa_private_segment_fixed_size 0
		.amdhsa_kernarg_size 136
		.amdhsa_user_sgpr_count 15
		.amdhsa_user_sgpr_dispatch_ptr 0
		.amdhsa_user_sgpr_queue_ptr 0
		.amdhsa_user_sgpr_kernarg_segment_ptr 1
		.amdhsa_user_sgpr_dispatch_id 0
		.amdhsa_user_sgpr_private_segment_size 0
		.amdhsa_wavefront_size32 1
		.amdhsa_uses_dynamic_stack 0
		.amdhsa_enable_private_segment 0
		.amdhsa_system_sgpr_workgroup_id_x 1
		.amdhsa_system_sgpr_workgroup_id_y 0
		.amdhsa_system_sgpr_workgroup_id_z 0
		.amdhsa_system_sgpr_workgroup_info 0
		.amdhsa_system_vgpr_workitem_id 0
		.amdhsa_next_free_vgpr 36
		.amdhsa_next_free_sgpr 27
		.amdhsa_reserve_vcc 1
		.amdhsa_float_round_mode_32 0
		.amdhsa_float_round_mode_16_64 0
		.amdhsa_float_denorm_mode_32 3
		.amdhsa_float_denorm_mode_16_64 3
		.amdhsa_dx10_clamp 1
		.amdhsa_ieee_mode 1
		.amdhsa_fp16_overflow 0
		.amdhsa_workgroup_processor_mode 1
		.amdhsa_memory_ordered 1
		.amdhsa_forward_progress 0
		.amdhsa_shared_vgpr_count 0
		.amdhsa_exception_fp_ieee_invalid_op 0
		.amdhsa_exception_fp_denorm_src 0
		.amdhsa_exception_fp_ieee_div_zero 0
		.amdhsa_exception_fp_ieee_overflow 0
		.amdhsa_exception_fp_ieee_underflow 0
		.amdhsa_exception_fp_ieee_inexact 0
		.amdhsa_exception_int_div_zero 0
	.end_amdhsa_kernel
	.section	.text._ZL22rocblas_gemvtsm_kernelILb1ELi256EdddEviiT2_lPKT1_lilS3_lilS0_lPT3_lil,"axG",@progbits,_ZL22rocblas_gemvtsm_kernelILb1ELi256EdddEviiT2_lPKT1_lilS3_lilS0_lPT3_lil,comdat
.Lfunc_end89:
	.size	_ZL22rocblas_gemvtsm_kernelILb1ELi256EdddEviiT2_lPKT1_lilS3_lilS0_lPT3_lil, .Lfunc_end89-_ZL22rocblas_gemvtsm_kernelILb1ELi256EdddEviiT2_lPKT1_lilS3_lilS0_lPT3_lil
                                        ; -- End function
	.section	.AMDGPU.csdata,"",@progbits
; Kernel info:
; codeLenInByte = 1472
; NumSgprs: 29
; NumVgprs: 36
; ScratchSize: 0
; MemoryBound: 0
; FloatMode: 240
; IeeeMode: 1
; LDSByteSize: 512 bytes/workgroup (compile time only)
; SGPRBlocks: 3
; VGPRBlocks: 4
; NumSGPRsForWavesPerEU: 29
; NumVGPRsForWavesPerEU: 36
; Occupancy: 16
; WaveLimiterHint : 1
; COMPUTE_PGM_RSRC2:SCRATCH_EN: 0
; COMPUTE_PGM_RSRC2:USER_SGPR: 15
; COMPUTE_PGM_RSRC2:TRAP_HANDLER: 0
; COMPUTE_PGM_RSRC2:TGID_X_EN: 1
; COMPUTE_PGM_RSRC2:TGID_Y_EN: 0
; COMPUTE_PGM_RSRC2:TGID_Z_EN: 0
; COMPUTE_PGM_RSRC2:TIDIG_COMP_CNT: 0
	.section	.text._ZL23rocblas_gemvt_sn_kernelILb1ELi256ELi4EidPKddEviiT4_lPKT3_lilS5_lilPT5_i,"axG",@progbits,_ZL23rocblas_gemvt_sn_kernelILb1ELi256ELi4EidPKddEviiT4_lPKT3_lilS5_lilPT5_i,comdat
	.globl	_ZL23rocblas_gemvt_sn_kernelILb1ELi256ELi4EidPKddEviiT4_lPKT3_lilS5_lilPT5_i ; -- Begin function _ZL23rocblas_gemvt_sn_kernelILb1ELi256ELi4EidPKddEviiT4_lPKT3_lilS5_lilPT5_i
	.p2align	8
	.type	_ZL23rocblas_gemvt_sn_kernelILb1ELi256ELi4EidPKddEviiT4_lPKT3_lilS5_lilPT5_i,@function
_ZL23rocblas_gemvt_sn_kernelILb1ELi256ELi4EidPKddEviiT4_lPKT3_lilS5_lilPT5_i: ; @_ZL23rocblas_gemvt_sn_kernelILb1ELi256ELi4EidPKddEviiT4_lPKT3_lilS5_lilPT5_i
; %bb.0:
	s_load_b256 s[16:23], s[0:1], 0x8
	s_waitcnt lgkmcnt(0)
	s_mul_i32 s3, s15, s19
	s_mul_hi_u32 s4, s15, s18
	s_mul_i32 s2, s15, s18
	s_add_i32 s3, s4, s3
	s_delay_alu instid0(SALU_CYCLE_1) | instskip(NEXT) | instid1(SALU_CYCLE_1)
	s_lshl_b64 s[2:3], s[2:3], 3
	s_add_u32 s2, s16, s2
	s_addc_u32 s3, s17, s3
	s_load_b64 s[10:11], s[2:3], 0x0
	s_clause 0x2
	s_load_b64 s[12:13], s[0:1], 0x0
	s_load_b32 s16, s[0:1], 0x68
	s_load_b128 s[4:7], s[0:1], 0x50
	s_waitcnt lgkmcnt(0)
	s_ashr_i32 s8, s13, 31
	v_cmp_neq_f64_e64 s9, s[10:11], 0
	s_mul_hi_u32 s2, s13, s15
	s_mul_i32 s3, s8, s15
	s_mul_i32 s17, s13, s15
	s_add_i32 s2, s2, s3
	s_mul_hi_u32 s3, s17, s16
	s_mul_i32 s18, s2, s16
	s_mul_i32 s2, s17, s16
	s_add_i32 s3, s3, s18
	s_mov_b32 s17, 0
	s_lshl_b64 s[2:3], s[2:3], 3
	s_delay_alu instid0(SALU_CYCLE_1) | instskip(SKIP_2) | instid1(VALU_DEP_2)
	s_add_u32 s42, s6, s2
	v_cmp_eq_u32_e64 s2, 0, v0
	s_addc_u32 s41, s7, s3
	s_and_b32 vcc_lo, exec_lo, s9
	s_cbranch_vccnz .LBB90_5
; %bb.1:
	s_cmp_gt_i32 s13, 0
	s_cselect_b32 s3, -1, 0
	s_delay_alu instid0(SALU_CYCLE_1) | instskip(NEXT) | instid1(SALU_CYCLE_1)
	s_and_b32 s2, s2, s3
	s_and_saveexec_b32 s9, s2
	s_cbranch_execz .LBB90_4
; %bb.2:
	v_mov_b32_e32 v1, 0
	s_mov_b32 s2, s15
	s_mov_b32 s15, 0
	s_delay_alu instid0(SALU_CYCLE_1) | instskip(NEXT) | instid1(VALU_DEP_1)
	s_lshl_b64 s[6:7], s[14:15], 3
	v_mov_b32_e32 v2, v1
	s_mov_b32 s15, s2
	s_add_u32 s2, s42, s6
	s_addc_u32 s3, s41, s7
	s_lshl_b64 s[6:7], s[16:17], 3
	s_mov_b32 s17, s13
.LBB90_3:                               ; =>This Inner Loop Header: Depth=1
	s_delay_alu instid0(SALU_CYCLE_1)
	s_add_i32 s17, s17, -1
	global_store_b64 v1, v[1:2], s[2:3]
	s_add_u32 s2, s2, s6
	s_addc_u32 s3, s3, s7
	s_cmp_eq_u32 s17, 0
	s_cbranch_scc0 .LBB90_3
.LBB90_4:
	s_or_b32 exec_lo, exec_lo, s9
	s_cbranch_execz .LBB90_6
	s_branch .LBB90_57
.LBB90_5:
.LBB90_6:
	s_clause 0x1
	s_load_b128 s[24:27], s[0:1], 0x30
	s_load_b64 s[2:3], s[0:1], 0x40
	s_mul_i32 s5, s15, s5
	s_mul_hi_u32 s6, s15, s4
	s_mul_i32 s4, s15, s4
	s_add_i32 s5, s6, s5
	s_load_b32 s9, s[0:1], 0x48
	s_lshl_b64 s[4:5], s[4:5], 3
	v_and_b32_e32 v18, 31, v0
	v_mbcnt_lo_u32_b32 v37, -1, 0
	v_lshrrev_b32_e32 v38, 2, v0
	s_waitcnt lgkmcnt(0)
	s_add_u32 s6, s26, s4
	s_addc_u32 s5, s27, s5
	s_lshl_b64 s[2:3], s[2:3], 3
	s_mul_i32 s7, s15, s25
	s_mul_hi_u32 s18, s15, s24
	s_add_u32 s17, s6, s2
	s_mul_i32 s4, s15, s24
	s_addc_u32 s33, s5, s3
	s_add_i32 s5, s18, s7
	s_load_b32 s18, s[0:1], 0x28
	s_lshl_b64 s[34:35], s[4:5], 3
	v_cmp_gt_u32_e64 s0, 32, v0
	s_add_u32 s1, s20, s34
	s_addc_u32 s2, s21, s35
	s_lshl_b64 s[22:23], s[22:23], 3
	s_delay_alu instid0(SALU_CYCLE_1)
	s_add_u32 s3, s1, s22
	s_addc_u32 s2, s2, s23
	s_lshl_b32 s1, s14, 10
	s_ashr_i32 s4, s12, 31
	v_lshl_or_b32 v1, v0, 2, s1
	s_lshr_b32 s4, s4, 30
	s_lshr_b32 s5, s8, 30
	s_add_i32 s4, s12, s4
	s_add_i32 s5, s13, s5
	v_ashrrev_i32_e32 v2, 31, v1
	s_and_b32 s4, s4, -4
	v_mul_lo_u32 v17, v1, s9
	s_sub_i32 s40, s12, s4
	v_cmp_gt_u32_e64 s1, 8, v0
	v_lshlrev_b64 v[19:20], 3, v[1:2]
	v_add_nc_u32_e32 v39, 4, v1
	v_add_nc_u32_e32 v40, s40, v1
	s_and_b32 s15, s5, -4
	s_delay_alu instid0(SALU_CYCLE_1) | instskip(NEXT) | instid1(VALU_DEP_3)
	s_cmp_lt_i32 s15, 1
	v_add_co_u32 v35, vcc_lo, s3, v19
	v_add_co_ci_u32_e32 v36, vcc_lo, s2, v20, vcc_lo
	s_cbranch_scc1 .LBB90_32
; %bb.7:
	v_cmp_gt_u32_e32 vcc_lo, 16, v37
	v_mul_lo_u32 v21, v1, s9
	s_cmp_gt_i32 s40, 0
	s_mov_b32 s24, 0
	s_cselect_b32 s43, -1, 0
	v_cndmask_b32_e64 v2, 0, 1, vcc_lo
	v_cmp_gt_u32_e32 vcc_lo, 24, v37
	s_waitcnt lgkmcnt(0)
	s_lshl_b32 s44, s18, 2
	s_lshl_b32 s45, s18, 1
	v_ashrrev_i32_e32 v22, 31, v21
	v_lshlrev_b32_e32 v2, 4, v2
	v_cndmask_b32_e64 v3, 0, 1, vcc_lo
	v_cmp_gt_u32_e32 vcc_lo, 28, v37
	s_add_u32 s6, s34, s22
	s_addc_u32 s7, s35, s23
	v_add_lshl_u32 v41, v2, v37, 2
	v_lshlrev_b32_e32 v2, 3, v3
	v_cndmask_b32_e64 v4, 0, 1, vcc_lo
	v_cmp_gt_u32_e32 vcc_lo, 30, v37
	s_add_u32 s6, s20, s6
	v_mov_b32_e32 v30, 0
	v_add_lshl_u32 v42, v2, v37, 2
	v_lshlrev_b32_e32 v3, 2, v4
	v_cndmask_b32_e64 v5, 0, 1, vcc_lo
	v_cmp_ne_u32_e32 vcc_lo, 31, v37
	s_addc_u32 s7, s21, s7
	v_cmp_ge_i32_e64 s2, s12, v39
	v_add_lshl_u32 v43, v3, v37, 2
	v_lshlrev_b32_e32 v1, 1, v5
	v_add_co_ci_u32_e32 v4, vcc_lo, 0, v37, vcc_lo
	v_lshlrev_b64 v[5:6], 3, v[21:22]
	v_cmp_ge_i32_e64 s3, s12, v40
	s_delay_alu instid0(VALU_DEP_4) | instskip(SKIP_4) | instid1(VALU_DEP_4)
	v_add_lshl_u32 v44, v1, v37, 2
	v_add_nc_u32_e32 v1, s9, v21
	v_lshlrev_b32_e32 v45, 2, v4
	v_cmp_eq_u32_e64 s4, 0, v18
	v_add_co_u32 v22, vcc_lo, s17, v5
	v_add_nc_u32_e32 v3, s9, v1
	v_ashrrev_i32_e32 v2, 31, v1
	v_add_co_ci_u32_e32 v23, vcc_lo, s33, v6, vcc_lo
	v_lshlrev_b32_e32 v46, 3, v18
	s_delay_alu instid0(VALU_DEP_4) | instskip(NEXT) | instid1(VALU_DEP_4)
	v_add_nc_u32_e32 v7, s9, v3
	v_lshlrev_b64 v[1:2], 3, v[1:2]
	v_ashrrev_i32_e32 v4, 31, v3
	v_and_b32_e32 v47, 56, v38
	v_cmp_eq_u32_e64 s5, 0, v0
	v_ashrrev_i32_e32 v8, 31, v7
	s_mov_b32 s19, s24
	v_lshlrev_b64 v[3:4], 3, v[3:4]
	v_add_co_u32 v24, vcc_lo, s17, v1
	v_add_co_ci_u32_e32 v25, vcc_lo, s33, v2, vcc_lo
	v_lshlrev_b64 v[1:2], 3, v[7:8]
	s_delay_alu instid0(VALU_DEP_4) | instskip(SKIP_2) | instid1(VALU_DEP_3)
	v_add_co_u32 v26, vcc_lo, s17, v3
	v_add_co_ci_u32_e32 v27, vcc_lo, s33, v4, vcc_lo
	s_mov_b32 s46, s24
	v_add_co_u32 v28, vcc_lo, s17, v1
	s_delay_alu instid0(VALU_DEP_4)
	v_add_co_ci_u32_e32 v29, vcc_lo, s33, v2, vcc_lo
	v_add_co_u32 v48, vcc_lo, s6, v19
	v_add_co_ci_u32_e32 v49, vcc_lo, s7, v20, vcc_lo
	s_mul_i32 s47, s18, 3
	s_mov_b32 s48, s24
	s_mov_b32 s36, 0
	s_mov_b64 s[38:39], s[18:19]
	s_mov_b32 s19, 0
                                        ; implicit-def: $vgpr1_vgpr2_vgpr3_vgpr4_vgpr5_vgpr6_vgpr7_vgpr8
	s_branch .LBB90_9
.LBB90_8:                               ;   in Loop: Header=BB90_9 Depth=1
	s_or_b32 exec_lo, exec_lo, s6
	s_add_i32 s19, s19, 4
	s_add_u32 s38, s38, s44
	s_addc_u32 s39, s39, 0
	s_add_u32 s45, s45, s44
	s_addc_u32 s46, s46, 0
	;; [unrolled: 2-line block ×3, first 2 shown]
	s_add_i32 s36, s36, s44
	s_cmp_ge_i32 s19, s15
	s_cbranch_scc1 .LBB90_33
.LBB90_9:                               ; =>This Loop Header: Depth=1
                                        ;     Child Loop BB90_15 Depth 2
                                        ;     Child Loop BB90_18 Depth 2
	;; [unrolled: 1-line block ×3, first 2 shown]
                                        ; implicit-def: $vgpr9_vgpr10_vgpr11_vgpr12_vgpr13_vgpr14_vgpr15_vgpr16
	s_and_saveexec_b32 s6, s2
	s_delay_alu instid0(SALU_CYCLE_1)
	s_xor_b32 s6, exec_lo, s6
	s_cbranch_execz .LBB90_11
; %bb.10:                               ;   in Loop: Header=BB90_9 Depth=1
	s_mul_i32 s26, s19, s18
	s_delay_alu instid0(SALU_CYCLE_1)
	s_ashr_i32 s27, s26, 31
	s_add_i32 s28, s26, s18
	s_lshl_b64 s[26:27], s[26:27], 3
	s_ashr_i32 s29, s28, 31
	v_add_co_u32 v5, vcc_lo, v35, s26
	v_add_co_ci_u32_e32 v6, vcc_lo, s27, v36, vcc_lo
	s_lshl_b64 s[26:27], s[28:29], 3
	s_add_i32 s28, s28, s18
	v_add_co_u32 v7, vcc_lo, v35, s26
	s_ashr_i32 s29, s28, 31
	s_add_i32 s26, s28, s18
	s_lshl_b64 s[28:29], s[28:29], 3
	v_add_co_ci_u32_e32 v8, vcc_lo, s27, v36, vcc_lo
	s_ashr_i32 s27, s26, 31
	v_add_co_u32 v62, vcc_lo, v35, s28
	s_lshl_b64 s[26:27], s[26:27], 3
	v_add_co_ci_u32_e32 v63, vcc_lo, s29, v36, vcc_lo
	v_add_co_u32 v66, vcc_lo, v35, s26
	v_add_co_ci_u32_e32 v67, vcc_lo, s27, v36, vcc_lo
	global_load_b64 v[1:2], v[22:23], off
	s_clause 0x3
	global_load_b128 v[9:12], v[5:6], off
	global_load_b128 v[13:16], v[7:8], off
	;; [unrolled: 1-line block ×4, first 2 shown]
	global_load_b64 v[3:4], v[24:25], off
	global_load_b128 v[54:57], v[5:6], off offset:16
	global_load_b64 v[5:6], v[26:27], off
	s_clause 0x2
	global_load_b128 v[58:61], v[7:8], off offset:16
	global_load_b128 v[62:65], v[62:63], off offset:16
	;; [unrolled: 1-line block ×3, first 2 shown]
	global_load_b64 v[7:8], v[28:29], off
	s_waitcnt vmcnt(10)
	v_fma_f64 v[9:10], v[1:2], v[9:10], 0
	s_waitcnt vmcnt(9)
	v_fma_f64 v[13:14], v[1:2], v[13:14], 0
	;; [unrolled: 2-line block ×4, first 2 shown]
	s_waitcnt vmcnt(6)
	s_delay_alu instid0(VALU_DEP_4) | instskip(NEXT) | instid1(VALU_DEP_4)
	v_fma_f64 v[9:10], v[3:4], v[11:12], v[9:10]
	v_fma_f64 v[11:12], v[3:4], v[15:16], v[13:14]
	s_delay_alu instid0(VALU_DEP_4) | instskip(NEXT) | instid1(VALU_DEP_4)
	v_fma_f64 v[13:14], v[3:4], v[33:34], v[31:32]
	v_fma_f64 v[15:16], v[3:4], v[52:53], v[50:51]
	s_waitcnt vmcnt(4)
	s_delay_alu instid0(VALU_DEP_4) | instskip(SKIP_1) | instid1(VALU_DEP_4)
	v_fma_f64 v[9:10], v[5:6], v[54:55], v[9:10]
	s_waitcnt vmcnt(3)
	v_fma_f64 v[11:12], v[5:6], v[58:59], v[11:12]
	s_waitcnt vmcnt(2)
	s_delay_alu instid0(VALU_DEP_4) | instskip(SKIP_1) | instid1(VALU_DEP_4)
	v_fma_f64 v[13:14], v[5:6], v[62:63], v[13:14]
	s_waitcnt vmcnt(1)
	v_fma_f64 v[15:16], v[5:6], v[66:67], v[15:16]
	s_waitcnt vmcnt(0)
	s_delay_alu instid0(VALU_DEP_4) | instskip(NEXT) | instid1(VALU_DEP_4)
	v_fma_f64 v[9:10], v[7:8], v[56:57], v[9:10]
	v_fma_f64 v[11:12], v[7:8], v[60:61], v[11:12]
	s_delay_alu instid0(VALU_DEP_4) | instskip(NEXT) | instid1(VALU_DEP_4)
	v_fma_f64 v[13:14], v[7:8], v[64:65], v[13:14]
	v_fma_f64 v[15:16], v[7:8], v[68:69], v[15:16]
.LBB90_11:                              ;   in Loop: Header=BB90_9 Depth=1
	s_and_not1_saveexec_b32 s49, s6
	s_cbranch_execz .LBB90_20
; %bb.12:                               ;   in Loop: Header=BB90_9 Depth=1
	s_mov_b32 s25, s24
	s_mov_b32 s26, s24
	;; [unrolled: 1-line block ×7, first 2 shown]
	v_dual_mov_b32 v9, s24 :: v_dual_mov_b32 v10, s25
	v_dual_mov_b32 v11, s26 :: v_dual_mov_b32 v12, s27
	;; [unrolled: 1-line block ×4, first 2 shown]
	s_and_saveexec_b32 s50, s3
	s_cbranch_execz .LBB90_19
; %bb.13:                               ;   in Loop: Header=BB90_9 Depth=1
	s_and_not1_b32 vcc_lo, exec_lo, s43
	s_cbranch_vccnz .LBB90_16
; %bb.14:                               ;   in Loop: Header=BB90_9 Depth=1
	v_mov_b32_e32 v9, v21
	s_mov_b64 s[26:27], 0
	s_set_inst_prefetch_distance 0x1
	.p2align	6
.LBB90_15:                              ;   Parent Loop BB90_9 Depth=1
                                        ; =>  This Inner Loop Header: Depth=2
	s_delay_alu instid0(VALU_DEP_1) | instskip(SKIP_1) | instid1(VALU_DEP_1)
	v_ashrrev_i32_e32 v10, 31, v9
	s_cmp_eq_u32 s26, 3
	v_lshlrev_b64 v[10:11], 3, v[9:10]
	s_delay_alu instid0(VALU_DEP_1) | instskip(NEXT) | instid1(VALU_DEP_2)
	v_add_co_u32 v10, vcc_lo, s17, v10
	v_add_co_ci_u32_e32 v11, vcc_lo, s33, v11, vcc_lo
	s_cselect_b32 vcc_lo, -1, 0
	s_cmp_eq_u32 s26, 2
	s_cselect_b32 s6, -1, 0
	global_load_b64 v[10:11], v[10:11], off
	s_cmp_eq_u32 s26, 1
	v_add_nc_u32_e32 v9, s9, v9
	s_cselect_b32 s7, -1, 0
	s_cmp_eq_u32 s26, 0
	s_cselect_b32 s8, -1, 0
	s_add_u32 s26, s26, 1
	s_addc_u32 s27, s27, 0
	s_cmp_eq_u32 s40, s26
	s_waitcnt vmcnt(0)
	v_dual_cndmask_b32 v8, v8, v11 :: v_dual_cndmask_b32 v7, v7, v10
	v_cndmask_b32_e64 v6, v6, v11, s6
	v_cndmask_b32_e64 v5, v5, v10, s6
	;; [unrolled: 1-line block ×6, first 2 shown]
	s_cbranch_scc0 .LBB90_15
.LBB90_16:                              ;   in Loop: Header=BB90_9 Depth=1
	s_set_inst_prefetch_distance 0x2
	s_mov_b32 s25, s24
	s_mov_b32 s26, s24
	;; [unrolled: 1-line block ×7, first 2 shown]
	v_dual_mov_b32 v9, s24 :: v_dual_mov_b32 v10, s25
	v_dual_mov_b32 v11, s26 :: v_dual_mov_b32 v12, s27
	;; [unrolled: 1-line block ×4, first 2 shown]
	s_and_not1_b32 vcc_lo, exec_lo, s43
	s_cbranch_vccnz .LBB90_19
; %bb.17:                               ;   in Loop: Header=BB90_9 Depth=1
	s_ashr_i32 s37, s36, 31
	v_mov_b32_e32 v9, 0
	v_mov_b32_e32 v10, 0
	s_lshl_b64 s[6:7], s[36:37], 3
	s_mov_b64 s[26:27], 0
	v_add_co_u32 v31, vcc_lo, v48, s6
	v_add_co_ci_u32_e32 v32, vcc_lo, s7, v49, vcc_lo
	v_dual_mov_b32 v12, v10 :: v_dual_mov_b32 v11, v9
	v_dual_mov_b32 v14, v10 :: v_dual_mov_b32 v13, v9
	;; [unrolled: 1-line block ×3, first 2 shown]
.LBB90_18:                              ;   Parent Loop BB90_9 Depth=1
                                        ; =>  This Inner Loop Header: Depth=2
	s_cmp_eq_u32 s26, 1
	s_cselect_b32 vcc_lo, -1, 0
	s_cmp_eq_u32 s26, 2
	v_cndmask_b32_e32 v33, v2, v4, vcc_lo
	s_cselect_b32 s6, -1, 0
	s_cmp_eq_u32 s26, 3
	v_cndmask_b32_e32 v57, v1, v3, vcc_lo
	s_cselect_b32 s7, -1, 0
	s_add_i32 s28, s38, s26
	s_add_i32 s30, s45, s26
	s_ashr_i32 s29, s28, 31
	s_ashr_i32 s31, s30, 31
	s_lshl_b64 s[28:29], s[28:29], 3
	v_cndmask_b32_e64 v56, v33, v6, s6
	s_add_i32 s52, s47, s26
	v_add_co_u32 v33, s8, v35, s28
	s_lshl_b64 s[30:31], s[30:31], 3
	s_ashr_i32 s53, s52, 31
	v_add_co_ci_u32_e64 v34, s8, s29, v36, s8
	v_add_co_u32 v50, s8, v35, s30
	s_lshl_b64 s[52:53], s[52:53], 3
	v_add_co_ci_u32_e64 v51, s8, s31, v36, s8
	v_add_co_u32 v52, s8, v35, s52
	s_delay_alu instid0(VALU_DEP_1)
	v_add_co_ci_u32_e64 v53, s8, s53, v36, s8
	global_load_b64 v[54:55], v[31:32], off
	s_clause 0x2
	global_load_b64 v[33:34], v[33:34], off
	global_load_b64 v[50:51], v[50:51], off
	;; [unrolled: 1-line block ×3, first 2 shown]
	v_cndmask_b32_e64 v58, v57, v5, s6
	v_cndmask_b32_e64 v57, v56, v8, s7
	v_add_co_u32 v31, vcc_lo, v31, 8
	v_add_co_ci_u32_e32 v32, vcc_lo, 0, v32, vcc_lo
	s_delay_alu instid0(VALU_DEP_4)
	v_cndmask_b32_e64 v56, v58, v7, s7
	s_add_u32 s26, s26, 1
	s_addc_u32 s27, s27, 0
	s_cmp_lg_u32 s40, s26
	s_waitcnt vmcnt(3)
	v_fma_f64 v[9:10], v[56:57], v[54:55], v[9:10]
	s_waitcnt vmcnt(2)
	v_fma_f64 v[11:12], v[56:57], v[33:34], v[11:12]
	;; [unrolled: 2-line block ×4, first 2 shown]
	s_cbranch_scc1 .LBB90_18
.LBB90_19:                              ;   in Loop: Header=BB90_9 Depth=1
	s_or_b32 exec_lo, exec_lo, s50
.LBB90_20:                              ;   in Loop: Header=BB90_9 Depth=1
	s_delay_alu instid0(SALU_CYCLE_1)
	s_or_b32 exec_lo, exec_lo, s49
	s_mov_b64 s[6:7], 0
	s_branch .LBB90_22
.LBB90_21:                              ;   in Loop: Header=BB90_22 Depth=2
	s_or_b32 exec_lo, exec_lo, s8
	s_cmp_eq_u32 s6, 3
	s_cselect_b32 vcc_lo, -1, 0
	s_cmp_eq_u32 s6, 2
	s_waitcnt lgkmcnt(0)
	s_delay_alu instid0(VALU_DEP_1)
	v_dual_cndmask_b32 v16, v16, v32 :: v_dual_cndmask_b32 v15, v15, v31
	s_cselect_b32 vcc_lo, -1, 0
	s_cmp_eq_u32 s6, 1
	v_dual_cndmask_b32 v14, v14, v32 :: v_dual_cndmask_b32 v13, v13, v31
	s_cselect_b32 vcc_lo, -1, 0
	s_cmp_eq_u32 s6, 0
	v_dual_cndmask_b32 v12, v12, v32 :: v_dual_cndmask_b32 v11, v11, v31
	s_cselect_b32 vcc_lo, -1, 0
	s_add_u32 s6, s6, 1
	v_dual_cndmask_b32 v10, v10, v32 :: v_dual_cndmask_b32 v9, v9, v31
	s_addc_u32 s7, s7, 0
	s_cmp_eq_u32 s6, 4
	s_cbranch_scc1 .LBB90_30
.LBB90_22:                              ;   Parent Loop BB90_9 Depth=1
                                        ; =>  This Inner Loop Header: Depth=2
	s_and_saveexec_b32 s8, s0
	s_cbranch_execz .LBB90_24
; %bb.23:                               ;   in Loop: Header=BB90_22 Depth=2
	v_mov_b32_e32 v31, v30
	ds_store_b64 v46, v[30:31]
.LBB90_24:                              ;   in Loop: Header=BB90_22 Depth=2
	s_or_b32 exec_lo, exec_lo, s8
	s_cmp_eq_u32 s6, 1
	s_waitcnt lgkmcnt(0)
	s_waitcnt_vscnt null, 0x0
	s_cselect_b32 vcc_lo, -1, 0
	s_cmp_eq_u32 s6, 2
	s_delay_alu instid0(VALU_DEP_1) | instskip(SKIP_3) | instid1(VALU_DEP_1)
	v_dual_cndmask_b32 v31, v10, v12 :: v_dual_cndmask_b32 v32, v9, v11
	s_cselect_b32 vcc_lo, -1, 0
	s_cmp_eq_u32 s6, 3
	s_barrier
	v_cndmask_b32_e32 v31, v31, v14, vcc_lo
	s_delay_alu instid0(VALU_DEP_4)
	v_cndmask_b32_e32 v33, v32, v13, vcc_lo
	s_cselect_b32 vcc_lo, -1, 0
	buffer_gl0_inv
	v_dual_cndmask_b32 v32, v31, v16 :: v_dual_cndmask_b32 v31, v33, v15
	ds_bpermute_b32 v34, v41, v32
	ds_bpermute_b32 v33, v41, v31
	s_waitcnt lgkmcnt(0)
	v_add_f64 v[31:32], v[31:32], v[33:34]
	ds_bpermute_b32 v33, v42, v31
	ds_bpermute_b32 v34, v42, v32
	s_waitcnt lgkmcnt(0)
	v_add_f64 v[31:32], v[31:32], v[33:34]
	;; [unrolled: 4-line block ×4, first 2 shown]
	ds_bpermute_b32 v33, v45, v31
	ds_bpermute_b32 v34, v45, v32
	s_and_saveexec_b32 s8, s4
	s_cbranch_execz .LBB90_26
; %bb.25:                               ;   in Loop: Header=BB90_22 Depth=2
	s_waitcnt lgkmcnt(0)
	v_add_f64 v[31:32], v[31:32], v[33:34]
	ds_store_b64 v47, v[31:32]
.LBB90_26:                              ;   in Loop: Header=BB90_22 Depth=2
	s_or_b32 exec_lo, exec_lo, s8
	v_mov_b32_e32 v31, 0
	v_mov_b32_e32 v32, 0
	s_waitcnt lgkmcnt(0)
	s_barrier
	buffer_gl0_inv
	s_and_saveexec_b32 s8, s1
	s_cbranch_execz .LBB90_28
; %bb.27:                               ;   in Loop: Header=BB90_22 Depth=2
	ds_load_b64 v[31:32], v46
.LBB90_28:                              ;   in Loop: Header=BB90_22 Depth=2
	s_or_b32 exec_lo, exec_lo, s8
	s_and_saveexec_b32 s8, s0
	s_cbranch_execz .LBB90_21
; %bb.29:                               ;   in Loop: Header=BB90_22 Depth=2
	s_waitcnt lgkmcnt(0)
	ds_bpermute_b32 v33, v43, v31
	ds_bpermute_b32 v34, v43, v32
	s_waitcnt lgkmcnt(0)
	v_add_f64 v[31:32], v[31:32], v[33:34]
	ds_bpermute_b32 v33, v44, v31
	ds_bpermute_b32 v34, v44, v32
	s_waitcnt lgkmcnt(0)
	v_add_f64 v[31:32], v[31:32], v[33:34]
	;; [unrolled: 4-line block ×3, first 2 shown]
	s_branch .LBB90_21
.LBB90_30:                              ;   in Loop: Header=BB90_9 Depth=1
	s_and_saveexec_b32 s6, s5
	s_cbranch_execz .LBB90_8
; %bb.31:                               ;   in Loop: Header=BB90_9 Depth=1
	v_mul_f64 v[9:10], s[10:11], v[9:10]
	v_mul_f64 v[11:12], s[10:11], v[11:12]
	v_mul_f64 v[13:14], s[10:11], v[13:14]
	v_mul_f64 v[15:16], s[10:11], v[15:16]
	s_mul_i32 s7, s19, s16
	s_mov_b32 s27, s24
	s_add_i32 s26, s7, s14
	s_delay_alu instid0(SALU_CYCLE_1) | instskip(NEXT) | instid1(SALU_CYCLE_1)
	s_lshl_b64 s[28:29], s[26:27], 3
	s_add_u32 s28, s42, s28
	s_addc_u32 s29, s41, s29
	s_add_i32 s26, s26, s16
	s_delay_alu instid0(SALU_CYCLE_1) | instskip(NEXT) | instid1(SALU_CYCLE_1)
	s_lshl_b64 s[30:31], s[26:27], 3
	s_add_u32 s30, s42, s30
	s_addc_u32 s31, s41, s31
	;; [unrolled: 5-line block ×4, first 2 shown]
	s_clause 0x3
	global_store_b64 v30, v[9:10], s[28:29]
	global_store_b64 v30, v[11:12], s[30:31]
	;; [unrolled: 1-line block ×4, first 2 shown]
	s_branch .LBB90_8
.LBB90_32:
	s_mov_b32 s19, 0
                                        ; implicit-def: $vgpr1_vgpr2_vgpr3_vgpr4_vgpr5_vgpr6_vgpr7_vgpr8
.LBB90_33:
	s_delay_alu instid0(SALU_CYCLE_1)
	s_cmp_ge_i32 s19, s13
	s_cbranch_scc1 .LBB90_57
; %bb.34:
	v_cmp_gt_u32_e32 vcc_lo, 16, v37
	v_lshlrev_b32_e32 v24, 3, v18
	v_cmp_eq_u32_e64 s3, 0, v18
	v_ashrrev_i32_e32 v18, 31, v17
	s_cmp_gt_i32 s40, 0
	v_cndmask_b32_e64 v9, 0, 1, vcc_lo
	v_cmp_gt_u32_e32 vcc_lo, 24, v37
	s_mov_b32 s15, 0
	v_cmp_ge_i32_e64 s0, s12, v39
	v_cmp_ge_i32_e64 s1, s12, v40
	v_lshlrev_b32_e32 v9, 4, v9
	v_cndmask_b32_e64 v10, 0, 1, vcc_lo
	v_cmp_gt_u32_e32 vcc_lo, 28, v37
	s_cselect_b32 s12, -1, 0
	s_lshl_b64 s[6:7], s[14:15], 3
	v_cmp_gt_u32_e64 s2, 32, v0
	v_lshlrev_b32_e32 v10, 3, v10
	v_cndmask_b32_e64 v11, 0, 1, vcc_lo
	v_cmp_gt_u32_e32 vcc_lo, 30, v37
	s_add_u32 s14, s42, s6
	s_addc_u32 s24, s41, s7
	v_add_lshl_u32 v26, v10, v37, 2
	v_lshlrev_b32_e32 v11, 2, v11
	v_cndmask_b32_e64 v12, 0, 1, vcc_lo
	v_cmp_ne_u32_e32 vcc_lo, 31, v37
	s_add_u32 s6, s34, s22
	s_addc_u32 s7, s35, s23
	v_add_lshl_u32 v27, v11, v37, 2
	v_lshlrev_b32_e32 v12, 1, v12
	v_add_co_ci_u32_e32 v13, vcc_lo, 0, v37, vcc_lo
	s_add_u32 s6, s20, s6
	v_cmp_gt_u32_e64 s4, 8, v0
	s_delay_alu instid0(VALU_DEP_3) | instskip(NEXT) | instid1(VALU_DEP_3)
	v_add_lshl_u32 v28, v12, v37, 2
	v_lshlrev_b32_e32 v29, 2, v13
	v_lshlrev_b64 v[13:14], 3, v[17:18]
	v_mov_b32_e32 v18, 0
	v_add_lshl_u32 v25, v9, v37, 2
	v_add_nc_u32_e32 v9, s9, v17
	v_cmp_eq_u32_e64 s5, 0, v0
	s_addc_u32 s7, s21, s7
	v_and_b32_e32 v30, 56, v38
	s_waitcnt lgkmcnt(0)
	s_mul_i32 s20, s19, s18
	v_add_nc_u32_e32 v11, s9, v9
	v_ashrrev_i32_e32 v10, 31, v9
	s_delay_alu instid0(VALU_DEP_2) | instskip(NEXT) | instid1(VALU_DEP_2)
	v_add_nc_u32_e32 v21, s9, v11
	v_lshlrev_b64 v[15:16], 3, v[9:10]
	v_ashrrev_i32_e32 v12, 31, v11
	v_add_co_u32 v9, vcc_lo, s17, v13
	s_delay_alu instid0(VALU_DEP_4) | instskip(SKIP_1) | instid1(VALU_DEP_4)
	v_ashrrev_i32_e32 v22, 31, v21
	v_add_co_ci_u32_e32 v10, vcc_lo, s33, v14, vcc_lo
	v_lshlrev_b64 v[13:14], 3, v[11:12]
	v_add_co_u32 v11, vcc_lo, s17, v15
	v_add_co_ci_u32_e32 v12, vcc_lo, s33, v16, vcc_lo
	v_lshlrev_b64 v[15:16], 3, v[21:22]
	s_delay_alu instid0(VALU_DEP_4) | instskip(SKIP_1) | instid1(VALU_DEP_3)
	v_add_co_u32 v13, vcc_lo, s17, v13
	v_add_co_ci_u32_e32 v14, vcc_lo, s33, v14, vcc_lo
	v_add_co_u32 v15, vcc_lo, s17, v15
	s_delay_alu instid0(VALU_DEP_4)
	v_add_co_ci_u32_e32 v16, vcc_lo, s33, v16, vcc_lo
	v_add_co_u32 v0, vcc_lo, s6, v19
	v_add_co_ci_u32_e32 v31, vcc_lo, s7, v20, vcc_lo
	s_branch .LBB90_36
.LBB90_35:                              ;   in Loop: Header=BB90_36 Depth=1
	s_or_b32 exec_lo, exec_lo, s6
	s_add_i32 s19, s19, 1
	s_add_i32 s20, s20, s18
	s_cmp_ge_i32 s19, s13
	s_cbranch_scc1 .LBB90_57
.LBB90_36:                              ; =>This Loop Header: Depth=1
                                        ;     Child Loop BB90_49 Depth 2
                                        ;     Child Loop BB90_52 Depth 2
	s_waitcnt lgkmcnt(0)
	v_dual_mov_b32 v20, s15 :: v_dual_mov_b32 v21, s15
	s_and_saveexec_b32 s6, s0
	s_delay_alu instid0(SALU_CYCLE_1)
	s_xor_b32 s6, exec_lo, s6
	s_cbranch_execnz .LBB90_45
; %bb.37:                               ;   in Loop: Header=BB90_36 Depth=1
	s_and_not1_saveexec_b32 s25, s6
	s_cbranch_execnz .LBB90_46
.LBB90_38:                              ;   in Loop: Header=BB90_36 Depth=1
	s_or_b32 exec_lo, exec_lo, s25
	s_and_saveexec_b32 s6, s2
	s_cbranch_execz .LBB90_40
.LBB90_39:                              ;   in Loop: Header=BB90_36 Depth=1
	v_mov_b32_e32 v19, v18
	ds_store_b64 v24, v[18:19]
.LBB90_40:                              ;   in Loop: Header=BB90_36 Depth=1
	s_or_b32 exec_lo, exec_lo, s6
	ds_bpermute_b32 v22, v25, v20
	ds_bpermute_b32 v23, v25, v21
	s_waitcnt lgkmcnt(0)
	s_waitcnt_vscnt null, 0x0
	s_barrier
	buffer_gl0_inv
	v_add_f64 v[19:20], v[20:21], v[22:23]
	ds_bpermute_b32 v21, v26, v19
	ds_bpermute_b32 v22, v26, v20
	s_waitcnt lgkmcnt(0)
	v_add_f64 v[19:20], v[19:20], v[21:22]
	ds_bpermute_b32 v21, v27, v19
	ds_bpermute_b32 v22, v27, v20
	s_waitcnt lgkmcnt(0)
	;; [unrolled: 4-line block ×3, first 2 shown]
	v_add_f64 v[19:20], v[19:20], v[21:22]
	ds_bpermute_b32 v21, v29, v19
	ds_bpermute_b32 v22, v29, v20
	s_and_saveexec_b32 s6, s3
	s_cbranch_execz .LBB90_42
; %bb.41:                               ;   in Loop: Header=BB90_36 Depth=1
	s_waitcnt lgkmcnt(0)
	v_add_f64 v[19:20], v[19:20], v[21:22]
	ds_store_b64 v30, v[19:20]
.LBB90_42:                              ;   in Loop: Header=BB90_36 Depth=1
	s_or_b32 exec_lo, exec_lo, s6
	v_mov_b32_e32 v19, 0
	v_mov_b32_e32 v20, 0
	s_waitcnt lgkmcnt(0)
	s_barrier
	buffer_gl0_inv
	s_and_saveexec_b32 s6, s4
	s_cbranch_execnz .LBB90_54
; %bb.43:                               ;   in Loop: Header=BB90_36 Depth=1
	s_or_b32 exec_lo, exec_lo, s6
	s_and_saveexec_b32 s6, s2
	s_cbranch_execnz .LBB90_55
.LBB90_44:                              ;   in Loop: Header=BB90_36 Depth=1
	s_or_b32 exec_lo, exec_lo, s6
	s_and_saveexec_b32 s6, s5
	s_cbranch_execz .LBB90_35
	s_branch .LBB90_56
.LBB90_45:                              ;   in Loop: Header=BB90_36 Depth=1
	s_mul_i32 s22, s19, s18
	s_delay_alu instid0(SALU_CYCLE_1) | instskip(NEXT) | instid1(SALU_CYCLE_1)
	s_ashr_i32 s23, s22, 31
	s_lshl_b64 s[22:23], s[22:23], 3
	s_delay_alu instid0(SALU_CYCLE_1)
	v_add_co_u32 v5, vcc_lo, v35, s22
	v_add_co_ci_u32_e32 v6, vcc_lo, s23, v36, vcc_lo
	global_load_b128 v[19:22], v[5:6], off
	s_clause 0x1
	global_load_b64 v[1:2], v[9:10], off
	global_load_b64 v[3:4], v[11:12], off
	global_load_b128 v[37:40], v[5:6], off offset:16
	s_clause 0x1
	global_load_b64 v[5:6], v[13:14], off
	global_load_b64 v[7:8], v[15:16], off
	s_waitcnt vmcnt(4)
	v_fma_f64 v[19:20], v[1:2], v[19:20], 0
	s_waitcnt vmcnt(3)
	s_delay_alu instid0(VALU_DEP_1) | instskip(SKIP_1) | instid1(VALU_DEP_1)
	v_fma_f64 v[19:20], v[3:4], v[21:22], v[19:20]
	s_waitcnt vmcnt(1)
	v_fma_f64 v[19:20], v[5:6], v[37:38], v[19:20]
	s_waitcnt vmcnt(0)
	s_delay_alu instid0(VALU_DEP_1)
	v_fma_f64 v[20:21], v[7:8], v[39:40], v[19:20]
	s_and_not1_saveexec_b32 s25, s6
	s_cbranch_execz .LBB90_38
.LBB90_46:                              ;   in Loop: Header=BB90_36 Depth=1
	s_and_saveexec_b32 s26, s1
	s_cbranch_execz .LBB90_53
; %bb.47:                               ;   in Loop: Header=BB90_36 Depth=1
	s_and_not1_b32 vcc_lo, exec_lo, s12
	s_cbranch_vccnz .LBB90_50
; %bb.48:                               ;   in Loop: Header=BB90_36 Depth=1
	v_mov_b32_e32 v22, v17
	s_mov_b64 s[22:23], 0
	s_set_inst_prefetch_distance 0x1
	.p2align	6
.LBB90_49:                              ;   Parent Loop BB90_36 Depth=1
                                        ; =>  This Inner Loop Header: Depth=2
	s_delay_alu instid0(VALU_DEP_1) | instskip(SKIP_1) | instid1(VALU_DEP_1)
	v_ashrrev_i32_e32 v23, 31, v22
	s_cmp_eq_u32 s22, 3
	v_lshlrev_b64 v[32:33], 3, v[22:23]
	s_delay_alu instid0(VALU_DEP_1) | instskip(NEXT) | instid1(VALU_DEP_2)
	v_add_co_u32 v32, vcc_lo, s17, v32
	v_add_co_ci_u32_e32 v33, vcc_lo, s33, v33, vcc_lo
	s_cselect_b32 vcc_lo, -1, 0
	s_cmp_eq_u32 s22, 2
	s_cselect_b32 s6, -1, 0
	global_load_b64 v[32:33], v[32:33], off
	s_cmp_eq_u32 s22, 1
	v_add_nc_u32_e32 v22, s9, v22
	s_cselect_b32 s7, -1, 0
	s_cmp_eq_u32 s22, 0
	s_cselect_b32 s8, -1, 0
	s_add_u32 s22, s22, 1
	s_addc_u32 s23, s23, 0
	s_cmp_eq_u32 s40, s22
	s_waitcnt vmcnt(0)
	v_dual_cndmask_b32 v7, v7, v32 :: v_dual_cndmask_b32 v8, v8, v33
	v_cndmask_b32_e64 v6, v6, v33, s6
	v_cndmask_b32_e64 v5, v5, v32, s6
	;; [unrolled: 1-line block ×6, first 2 shown]
	s_cbranch_scc0 .LBB90_49
.LBB90_50:                              ;   in Loop: Header=BB90_36 Depth=1
	s_set_inst_prefetch_distance 0x2
	s_and_not1_b32 vcc_lo, exec_lo, s12
	s_cbranch_vccnz .LBB90_53
; %bb.51:                               ;   in Loop: Header=BB90_36 Depth=1
	s_ashr_i32 s21, s20, 31
	s_delay_alu instid0(SALU_CYCLE_1) | instskip(NEXT) | instid1(SALU_CYCLE_1)
	s_lshl_b64 s[6:7], s[20:21], 3
	v_add_co_u32 v22, vcc_lo, v0, s6
	v_add_co_ci_u32_e32 v23, vcc_lo, s7, v31, vcc_lo
	s_mov_b64 s[6:7], 0
	.p2align	6
.LBB90_52:                              ;   Parent Loop BB90_36 Depth=1
                                        ; =>  This Inner Loop Header: Depth=2
	global_load_b64 v[32:33], v[22:23], off
	s_cmp_eq_u32 s6, 1
	s_cselect_b32 vcc_lo, -1, 0
	s_cmp_eq_u32 s6, 2
	v_dual_cndmask_b32 v19, v2, v4 :: v_dual_cndmask_b32 v34, v1, v3
	s_cselect_b32 vcc_lo, -1, 0
	s_cmp_eq_u32 s6, 3
	s_delay_alu instid0(VALU_DEP_1) | instskip(SKIP_3) | instid1(VALU_DEP_1)
	v_dual_cndmask_b32 v19, v19, v6 :: v_dual_cndmask_b32 v34, v34, v5
	s_cselect_b32 vcc_lo, -1, 0
	s_add_u32 s6, s6, 1
	s_addc_u32 s7, s7, 0
	v_dual_cndmask_b32 v38, v19, v8 :: v_dual_cndmask_b32 v37, v34, v7
	v_add_co_u32 v22, vcc_lo, v22, 8
	v_add_co_ci_u32_e32 v23, vcc_lo, 0, v23, vcc_lo
	s_cmp_lg_u32 s40, s6
	s_waitcnt vmcnt(0)
	v_fma_f64 v[20:21], v[37:38], v[32:33], v[20:21]
	s_cbranch_scc1 .LBB90_52
.LBB90_53:                              ;   in Loop: Header=BB90_36 Depth=1
	s_or_b32 exec_lo, exec_lo, s26
	s_delay_alu instid0(SALU_CYCLE_1)
	s_or_b32 exec_lo, exec_lo, s25
	s_and_saveexec_b32 s6, s2
	s_cbranch_execnz .LBB90_39
	s_branch .LBB90_40
.LBB90_54:                              ;   in Loop: Header=BB90_36 Depth=1
	ds_load_b64 v[19:20], v24
	s_or_b32 exec_lo, exec_lo, s6
	s_and_saveexec_b32 s6, s2
	s_cbranch_execz .LBB90_44
.LBB90_55:                              ;   in Loop: Header=BB90_36 Depth=1
	s_waitcnt lgkmcnt(0)
	ds_bpermute_b32 v21, v27, v19
	ds_bpermute_b32 v22, v27, v20
	s_waitcnt lgkmcnt(0)
	v_add_f64 v[19:20], v[19:20], v[21:22]
	ds_bpermute_b32 v21, v28, v19
	ds_bpermute_b32 v22, v28, v20
	s_waitcnt lgkmcnt(0)
	v_add_f64 v[19:20], v[19:20], v[21:22]
	;; [unrolled: 4-line block ×3, first 2 shown]
	s_or_b32 exec_lo, exec_lo, s6
	s_and_saveexec_b32 s6, s5
	s_cbranch_execz .LBB90_35
.LBB90_56:                              ;   in Loop: Header=BB90_36 Depth=1
	s_waitcnt lgkmcnt(0)
	s_delay_alu instid0(VALU_DEP_1) | instskip(SKIP_2) | instid1(SALU_CYCLE_1)
	v_mul_f64 v[19:20], s[10:11], v[19:20]
	s_mul_hi_u32 s23, s19, s16
	s_mul_i32 s22, s19, s16
	s_lshl_b64 s[22:23], s[22:23], 3
	s_delay_alu instid0(SALU_CYCLE_1)
	s_add_u32 s22, s14, s22
	s_addc_u32 s23, s24, s23
	global_store_b64 v18, v[19:20], s[22:23]
	s_branch .LBB90_35
.LBB90_57:
	s_nop 0
	s_sendmsg sendmsg(MSG_DEALLOC_VGPRS)
	s_endpgm
	.section	.rodata,"a",@progbits
	.p2align	6, 0x0
	.amdhsa_kernel _ZL23rocblas_gemvt_sn_kernelILb1ELi256ELi4EidPKddEviiT4_lPKT3_lilS5_lilPT5_i
		.amdhsa_group_segment_fixed_size 256
		.amdhsa_private_segment_fixed_size 0
		.amdhsa_kernarg_size 360
		.amdhsa_user_sgpr_count 14
		.amdhsa_user_sgpr_dispatch_ptr 0
		.amdhsa_user_sgpr_queue_ptr 0
		.amdhsa_user_sgpr_kernarg_segment_ptr 1
		.amdhsa_user_sgpr_dispatch_id 0
		.amdhsa_user_sgpr_private_segment_size 0
		.amdhsa_wavefront_size32 1
		.amdhsa_uses_dynamic_stack 0
		.amdhsa_enable_private_segment 0
		.amdhsa_system_sgpr_workgroup_id_x 1
		.amdhsa_system_sgpr_workgroup_id_y 0
		.amdhsa_system_sgpr_workgroup_id_z 1
		.amdhsa_system_sgpr_workgroup_info 0
		.amdhsa_system_vgpr_workitem_id 0
		.amdhsa_next_free_vgpr 70
		.amdhsa_next_free_sgpr 54
		.amdhsa_reserve_vcc 1
		.amdhsa_float_round_mode_32 0
		.amdhsa_float_round_mode_16_64 0
		.amdhsa_float_denorm_mode_32 3
		.amdhsa_float_denorm_mode_16_64 3
		.amdhsa_dx10_clamp 1
		.amdhsa_ieee_mode 1
		.amdhsa_fp16_overflow 0
		.amdhsa_workgroup_processor_mode 1
		.amdhsa_memory_ordered 1
		.amdhsa_forward_progress 0
		.amdhsa_shared_vgpr_count 0
		.amdhsa_exception_fp_ieee_invalid_op 0
		.amdhsa_exception_fp_denorm_src 0
		.amdhsa_exception_fp_ieee_div_zero 0
		.amdhsa_exception_fp_ieee_overflow 0
		.amdhsa_exception_fp_ieee_underflow 0
		.amdhsa_exception_fp_ieee_inexact 0
		.amdhsa_exception_int_div_zero 0
	.end_amdhsa_kernel
	.section	.text._ZL23rocblas_gemvt_sn_kernelILb1ELi256ELi4EidPKddEviiT4_lPKT3_lilS5_lilPT5_i,"axG",@progbits,_ZL23rocblas_gemvt_sn_kernelILb1ELi256ELi4EidPKddEviiT4_lPKT3_lilS5_lilPT5_i,comdat
.Lfunc_end90:
	.size	_ZL23rocblas_gemvt_sn_kernelILb1ELi256ELi4EidPKddEviiT4_lPKT3_lilS5_lilPT5_i, .Lfunc_end90-_ZL23rocblas_gemvt_sn_kernelILb1ELi256ELi4EidPKddEviiT4_lPKT3_lilS5_lilPT5_i
                                        ; -- End function
	.section	.AMDGPU.csdata,"",@progbits
; Kernel info:
; codeLenInByte = 4056
; NumSgprs: 56
; NumVgprs: 70
; ScratchSize: 0
; MemoryBound: 1
; FloatMode: 240
; IeeeMode: 1
; LDSByteSize: 256 bytes/workgroup (compile time only)
; SGPRBlocks: 6
; VGPRBlocks: 8
; NumSGPRsForWavesPerEU: 56
; NumVGPRsForWavesPerEU: 70
; Occupancy: 16
; WaveLimiterHint : 1
; COMPUTE_PGM_RSRC2:SCRATCH_EN: 0
; COMPUTE_PGM_RSRC2:USER_SGPR: 14
; COMPUTE_PGM_RSRC2:TRAP_HANDLER: 0
; COMPUTE_PGM_RSRC2:TGID_X_EN: 1
; COMPUTE_PGM_RSRC2:TGID_Y_EN: 0
; COMPUTE_PGM_RSRC2:TGID_Z_EN: 1
; COMPUTE_PGM_RSRC2:TIDIG_COMP_CNT: 0
	.section	.text._ZL23rocblas_gemvt_sn_kernelILb1ELi256ELi4EldPKddEviiT4_lPKT3_lilS5_lilPT5_i,"axG",@progbits,_ZL23rocblas_gemvt_sn_kernelILb1ELi256ELi4EldPKddEviiT4_lPKT3_lilS5_lilPT5_i,comdat
	.globl	_ZL23rocblas_gemvt_sn_kernelILb1ELi256ELi4EldPKddEviiT4_lPKT3_lilS5_lilPT5_i ; -- Begin function _ZL23rocblas_gemvt_sn_kernelILb1ELi256ELi4EldPKddEviiT4_lPKT3_lilS5_lilPT5_i
	.p2align	8
	.type	_ZL23rocblas_gemvt_sn_kernelILb1ELi256ELi4EldPKddEviiT4_lPKT3_lilS5_lilPT5_i,@function
_ZL23rocblas_gemvt_sn_kernelILb1ELi256ELi4EldPKddEviiT4_lPKT3_lilS5_lilPT5_i: ; @_ZL23rocblas_gemvt_sn_kernelILb1ELi256ELi4EldPKddEviiT4_lPKT3_lilS5_lilPT5_i
; %bb.0:
	s_load_b256 s[16:23], s[0:1], 0x8
	s_waitcnt lgkmcnt(0)
	s_mul_i32 s3, s15, s19
	s_mul_hi_u32 s4, s15, s18
	s_mul_i32 s2, s15, s18
	s_add_i32 s3, s4, s3
	s_mov_b32 s19, 0
	s_lshl_b64 s[2:3], s[2:3], 3
	s_delay_alu instid0(SALU_CYCLE_1)
	s_add_u32 s2, s16, s2
	s_addc_u32 s3, s17, s3
	s_load_b64 s[12:13], s[2:3], 0x0
	s_clause 0x2
	s_load_b64 s[16:17], s[0:1], 0x0
	s_load_b32 s18, s[0:1], 0x68
	s_load_b128 s[4:7], s[0:1], 0x50
	s_waitcnt lgkmcnt(0)
	s_ashr_i32 s24, s17, 31
	v_cmp_neq_f64_e64 s8, s[12:13], 0
	s_mul_hi_u32 s2, s17, s15
	s_mul_i32 s3, s24, s15
	s_mul_i32 s9, s17, s15
	s_add_i32 s2, s2, s3
	s_mul_hi_u32 s3, s9, s18
	s_mul_i32 s10, s2, s18
	s_mul_i32 s2, s9, s18
	s_add_i32 s3, s3, s10
	s_delay_alu instid0(SALU_CYCLE_1) | instskip(NEXT) | instid1(SALU_CYCLE_1)
	s_lshl_b64 s[2:3], s[2:3], 3
	s_add_u32 s52, s6, s2
	v_cmp_eq_u32_e64 s2, 0, v0
	s_addc_u32 s53, s7, s3
	s_delay_alu instid0(VALU_DEP_2)
	s_and_b32 vcc_lo, exec_lo, s8
	s_cbranch_vccnz .LBB91_5
; %bb.1:
	s_cmp_gt_i32 s17, 0
	s_cselect_b32 s3, -1, 0
	s_delay_alu instid0(SALU_CYCLE_1) | instskip(NEXT) | instid1(SALU_CYCLE_1)
	s_and_b32 s2, s2, s3
	s_and_saveexec_b32 s8, s2
	s_cbranch_execz .LBB91_4
; %bb.2:
	v_mov_b32_e32 v1, 0
	s_mov_b32 s2, s15
	s_mov_b32 s15, 0
	;; [unrolled: 1-line block ×3, first 2 shown]
	s_lshl_b64 s[6:7], s[14:15], 3
	v_mov_b32_e32 v2, v1
	s_mov_b32 s15, s2
	s_add_u32 s2, s52, s6
	s_addc_u32 s3, s53, s7
	s_lshl_b64 s[6:7], s[18:19], 3
.LBB91_3:                               ; =>This Inner Loop Header: Depth=1
	s_add_i32 s9, s9, -1
	global_store_b64 v1, v[1:2], s[2:3]
	s_add_u32 s2, s2, s6
	s_addc_u32 s3, s3, s7
	s_cmp_eq_u32 s9, 0
	s_cbranch_scc0 .LBB91_3
.LBB91_4:
	s_or_b32 exec_lo, exec_lo, s8
	s_cbranch_execz .LBB91_6
	s_branch .LBB91_57
.LBB91_5:
.LBB91_6:
	s_clause 0x3
	s_load_b32 s34, s[0:1], 0x28
	s_load_b32 s36, s[0:1], 0x48
	s_load_b128 s[8:11], s[0:1], 0x30
	s_load_b64 s[0:1], s[0:1], 0x40
	s_mul_i32 s3, s15, s5
	s_mul_hi_u32 s5, s15, s4
	s_mul_i32 s2, s15, s4
	s_add_i32 s3, s5, s3
	v_and_b32_e32 v40, 31, v0
	s_lshl_b64 s[38:39], s[2:3], 3
	v_mbcnt_lo_u32_b32 v43, -1, 0
	v_lshrrev_b32_e32 v45, 2, v0
	s_waitcnt lgkmcnt(0)
	s_ashr_i32 s35, s34, 31
	s_ashr_i32 s37, s36, 31
	s_add_u32 s5, s10, s38
	s_addc_u32 s6, s11, s39
	s_lshl_b64 s[42:43], s[0:1], 3
	s_mul_i32 s3, s15, s9
	s_mul_hi_u32 s4, s15, s8
	s_add_u32 s54, s5, s42
	s_mul_i32 s2, s15, s8
	s_addc_u32 s55, s6, s43
	s_add_i32 s3, s4, s3
	v_cmp_gt_u32_e64 s0, 32, v0
	s_lshl_b64 s[40:41], s[2:3], 3
	v_cmp_gt_u32_e64 s1, 8, v0
	s_add_u32 s2, s20, s40
	s_addc_u32 s3, s21, s41
	s_lshl_b64 s[22:23], s[22:23], 3
	s_delay_alu instid0(SALU_CYCLE_1)
	s_add_u32 s2, s2, s22
	s_addc_u32 s3, s3, s23
	s_lshl_b32 s4, s14, 10
	s_ashr_i32 s5, s16, 31
	v_lshl_or_b32 v21, v0, 2, s4
	s_lshr_b32 s4, s24, 30
	s_lshr_b32 s5, s5, 30
	s_add_i32 s4, s17, s4
	s_add_i32 s5, s16, s5
	v_ashrrev_i32_e32 v22, 31, v21
	s_and_b32 s56, s4, -4
	s_and_b32 s4, s5, -4
	v_add_nc_u32_e32 v46, 4, v21
	s_sub_i32 s19, s16, s4
	v_lshlrev_b64 v[19:20], 3, v[21:22]
	v_or_b32_e32 v44, 1, v21
	v_or_b32_e32 v42, 2, v21
	v_add_nc_u32_e32 v47, s19, v21
	v_or_b32_e32 v41, 3, v21
	s_cmp_lt_i32 s56, 1
	v_add_co_u32 v17, vcc_lo, s2, v19
	v_add_co_ci_u32_e32 v18, vcc_lo, s3, v20, vcc_lo
	s_cbranch_scc1 .LBB91_32
; %bb.7:
	v_cmp_gt_u32_e32 vcc_lo, 16, v43
	v_mad_i64_i32 v[7:8], null, s36, v41, 0
	s_mov_b32 s24, 0
	s_cmp_gt_i32 s19, 0
	v_cndmask_b32_e64 v1, 0, 1, vcc_lo
	v_cmp_gt_u32_e32 vcc_lo, 24, v43
	s_mov_b32 s15, s24
	s_cselect_b32 s57, -1, 0
	s_lshl_b64 s[6:7], s[14:15], 3
	v_dual_mov_b32 v32, 0 :: v_dual_lshlrev_b32 v1, 4, v1
	v_cndmask_b32_e64 v2, 0, 1, vcc_lo
	v_cmp_gt_u32_e32 vcc_lo, 28, v43
	s_add_u32 s15, s52, s6
	s_delay_alu instid0(VALU_DEP_3) | instskip(NEXT) | instid1(VALU_DEP_3)
	v_add_lshl_u32 v48, v1, v43, 2
	v_dual_mov_b32 v35, v18 :: v_dual_lshlrev_b32 v2, 3, v2
	v_cndmask_b32_e64 v3, 0, 1, vcc_lo
	v_cmp_gt_u32_e32 vcc_lo, 30, v43
	v_mov_b32_e32 v34, v17
	s_addc_u32 s58, s53, s7
	v_add_lshl_u32 v49, v2, v43, 2
	v_lshlrev_b32_e32 v3, 2, v3
	v_cndmask_b32_e64 v4, 0, 1, vcc_lo
	v_cmp_ne_u32_e32 vcc_lo, 31, v43
	v_mad_i64_i32 v[1:2], null, s36, v21, 0
	s_delay_alu instid0(VALU_DEP_4) | instskip(NEXT) | instid1(VALU_DEP_4)
	v_add_lshl_u32 v50, v3, v43, 2
	v_lshlrev_b32_e32 v4, 1, v4
	v_add_co_ci_u32_e32 v5, vcc_lo, 0, v43, vcc_lo
	s_add_u32 s6, s10, s42
	s_addc_u32 s7, s11, s43
	s_delay_alu instid0(VALU_DEP_2)
	v_add_lshl_u32 v51, v4, v43, 2
	v_mad_i64_i32 v[3:4], null, s36, v44, 0
	v_lshlrev_b32_e32 v52, 2, v5
	v_lshlrev_b64 v[1:2], 3, v[1:2]
	v_mad_i64_i32 v[5:6], null, s36, v42, 0
	s_add_u32 s6, s6, s38
	s_addc_u32 s7, s7, s39
	s_delay_alu instid0(VALU_DEP_4) | instskip(NEXT) | instid1(VALU_DEP_3)
	v_lshlrev_b64 v[3:4], 3, v[3:4]
	v_add_co_u32 v22, vcc_lo, s54, v1
	v_add_co_ci_u32_e32 v23, vcc_lo, s55, v2, vcc_lo
	s_delay_alu instid0(VALU_DEP_4) | instskip(NEXT) | instid1(VALU_DEP_4)
	v_lshlrev_b64 v[5:6], 3, v[5:6]
	v_add_co_u32 v24, vcc_lo, s54, v3
	v_add_co_ci_u32_e32 v25, vcc_lo, s55, v4, vcc_lo
	v_lshlrev_b64 v[3:4], 3, v[7:8]
	s_delay_alu instid0(VALU_DEP_4) | instskip(SKIP_2) | instid1(VALU_DEP_4)
	v_add_co_u32 v26, vcc_lo, s54, v5
	v_add_co_ci_u32_e32 v27, vcc_lo, s55, v6, vcc_lo
	v_cmp_ge_i32_e64 s2, s16, v46
	v_add_co_u32 v28, vcc_lo, s54, v3
	v_add_co_ci_u32_e32 v29, vcc_lo, s55, v4, vcc_lo
	v_add_co_u32 v30, vcc_lo, s6, v1
	v_cmp_ge_i32_e64 s3, s16, v47
	v_cmp_eq_u32_e64 s4, 0, v40
	v_lshlrev_b32_e32 v53, 3, v40
	v_and_b32_e32 v54, 56, v45
	v_cmp_eq_u32_e64 s5, 0, v0
	v_add_co_ci_u32_e32 v31, vcc_lo, s7, v2, vcc_lo
	s_lshl_b64 s[44:45], s[36:37], 3
	s_lshl_b64 s[46:47], s[34:35], 5
	;; [unrolled: 1-line block ×4, first 2 shown]
	s_mul_hi_i32 s59, s34, 24
	s_mul_i32 s60, s34, 24
	s_mov_b32 s33, 0
                                        ; implicit-def: $vgpr1_vgpr2_vgpr3_vgpr4_vgpr5_vgpr6_vgpr7_vgpr8
	s_branch .LBB91_9
.LBB91_8:                               ;   in Loop: Header=BB91_9 Depth=1
	s_or_b32 exec_lo, exec_lo, s6
	v_add_co_u32 v34, vcc_lo, v34, s46
	v_add_co_ci_u32_e32 v35, vcc_lo, s47, v35, vcc_lo
	s_add_i32 s33, s33, 4
	s_delay_alu instid0(SALU_CYCLE_1)
	s_cmp_ge_i32 s33, s56
	s_cbranch_scc1 .LBB91_33
.LBB91_9:                               ; =>This Loop Header: Depth=1
                                        ;     Child Loop BB91_15 Depth 2
                                        ;     Child Loop BB91_18 Depth 2
	;; [unrolled: 1-line block ×3, first 2 shown]
                                        ; implicit-def: $vgpr9_vgpr10_vgpr11_vgpr12_vgpr13_vgpr14_vgpr15_vgpr16
	s_and_saveexec_b32 s6, s2
	s_delay_alu instid0(SALU_CYCLE_1)
	s_xor_b32 s6, exec_lo, s6
	s_cbranch_execz .LBB91_11
; %bb.10:                               ;   in Loop: Header=BB91_9 Depth=1
	s_mul_i32 s7, s33, s35
	s_mul_hi_u32 s8, s33, s34
	s_delay_alu instid0(SALU_CYCLE_1)
	s_add_i32 s9, s8, s7
	s_mul_i32 s8, s33, s34
	s_or_b32 s7, s33, 1
	s_lshl_b64 s[8:9], s[8:9], 3
	s_mul_i32 s25, s7, s35
	s_mul_hi_u32 s26, s7, s34
	v_add_co_u32 v5, vcc_lo, v17, s8
	v_add_co_ci_u32_e32 v6, vcc_lo, s9, v18, vcc_lo
	s_add_i32 s9, s26, s25
	s_mul_i32 s8, s7, s34
	s_or_b32 s7, s33, 2
	s_lshl_b64 s[8:9], s[8:9], 3
	s_mul_i32 s25, s7, s35
	s_mul_hi_u32 s26, s7, s34
	v_add_co_u32 v7, vcc_lo, v17, s8
	v_add_co_ci_u32_e32 v8, vcc_lo, s9, v18, vcc_lo
	s_add_i32 s9, s26, s25
	s_or_b32 s25, s33, 3
	s_mul_i32 s8, s7, s34
	s_mul_i32 s7, s25, s35
	s_mul_hi_u32 s26, s25, s34
	s_lshl_b64 s[8:9], s[8:9], 3
	s_add_i32 s27, s26, s7
	s_mul_i32 s26, s25, s34
	v_add_co_u32 v67, vcc_lo, v17, s8
	v_add_co_ci_u32_e32 v68, vcc_lo, s9, v18, vcc_lo
	s_lshl_b64 s[8:9], s[26:27], 3
	s_delay_alu instid0(SALU_CYCLE_1)
	v_add_co_u32 v71, vcc_lo, v17, s8
	v_add_co_ci_u32_e32 v72, vcc_lo, s9, v18, vcc_lo
	global_load_b64 v[1:2], v[22:23], off
	s_clause 0x3
	global_load_b128 v[9:12], v[5:6], off
	global_load_b128 v[13:16], v[7:8], off
	;; [unrolled: 1-line block ×4, first 2 shown]
	global_load_b64 v[3:4], v[24:25], off
	global_load_b128 v[59:62], v[5:6], off offset:16
	global_load_b64 v[5:6], v[26:27], off
	s_clause 0x2
	global_load_b128 v[63:66], v[7:8], off offset:16
	global_load_b128 v[67:70], v[67:68], off offset:16
	;; [unrolled: 1-line block ×3, first 2 shown]
	global_load_b64 v[7:8], v[28:29], off
	s_waitcnt vmcnt(10)
	v_fma_f64 v[9:10], v[1:2], v[9:10], 0
	s_waitcnt vmcnt(9)
	v_fma_f64 v[13:14], v[1:2], v[13:14], 0
	;; [unrolled: 2-line block ×4, first 2 shown]
	s_waitcnt vmcnt(6)
	s_delay_alu instid0(VALU_DEP_4) | instskip(NEXT) | instid1(VALU_DEP_4)
	v_fma_f64 v[9:10], v[3:4], v[11:12], v[9:10]
	v_fma_f64 v[11:12], v[3:4], v[15:16], v[13:14]
	s_delay_alu instid0(VALU_DEP_4) | instskip(NEXT) | instid1(VALU_DEP_4)
	v_fma_f64 v[13:14], v[3:4], v[38:39], v[36:37]
	v_fma_f64 v[15:16], v[3:4], v[57:58], v[55:56]
	s_waitcnt vmcnt(4)
	s_delay_alu instid0(VALU_DEP_4) | instskip(SKIP_1) | instid1(VALU_DEP_4)
	v_fma_f64 v[9:10], v[5:6], v[59:60], v[9:10]
	s_waitcnt vmcnt(3)
	v_fma_f64 v[11:12], v[5:6], v[63:64], v[11:12]
	s_waitcnt vmcnt(2)
	s_delay_alu instid0(VALU_DEP_4) | instskip(SKIP_1) | instid1(VALU_DEP_4)
	v_fma_f64 v[13:14], v[5:6], v[67:68], v[13:14]
	s_waitcnt vmcnt(1)
	v_fma_f64 v[15:16], v[5:6], v[71:72], v[15:16]
	s_waitcnt vmcnt(0)
	s_delay_alu instid0(VALU_DEP_4) | instskip(NEXT) | instid1(VALU_DEP_4)
	v_fma_f64 v[9:10], v[7:8], v[61:62], v[9:10]
	v_fma_f64 v[11:12], v[7:8], v[65:66], v[11:12]
	s_delay_alu instid0(VALU_DEP_4) | instskip(NEXT) | instid1(VALU_DEP_4)
	v_fma_f64 v[13:14], v[7:8], v[69:70], v[13:14]
	v_fma_f64 v[15:16], v[7:8], v[73:74], v[15:16]
.LBB91_11:                              ;   in Loop: Header=BB91_9 Depth=1
	s_and_not1_saveexec_b32 s61, s6
	s_cbranch_execz .LBB91_20
; %bb.12:                               ;   in Loop: Header=BB91_9 Depth=1
	s_mov_b32 s25, s24
	s_mov_b32 s26, s24
	;; [unrolled: 1-line block ×7, first 2 shown]
	v_dual_mov_b32 v9, s24 :: v_dual_mov_b32 v10, s25
	v_dual_mov_b32 v11, s26 :: v_dual_mov_b32 v12, s27
	;; [unrolled: 1-line block ×4, first 2 shown]
	s_and_saveexec_b32 s62, s3
	s_cbranch_execz .LBB91_19
; %bb.13:                               ;   in Loop: Header=BB91_9 Depth=1
	s_and_not1_b32 vcc_lo, exec_lo, s57
	s_cbranch_vccnz .LBB91_16
; %bb.14:                               ;   in Loop: Header=BB91_9 Depth=1
	v_dual_mov_b32 v9, v30 :: v_dual_mov_b32 v10, v31
	s_mov_b64 s[26:27], 0
	.p2align	6
.LBB91_15:                              ;   Parent Loop BB91_9 Depth=1
                                        ; =>  This Inner Loop Header: Depth=2
	global_load_b64 v[11:12], v[9:10], off
	v_add_co_u32 v9, vcc_lo, v9, s44
	s_cmp_eq_u32 s26, 3
	v_add_co_ci_u32_e32 v10, vcc_lo, s45, v10, vcc_lo
	s_cselect_b32 vcc_lo, -1, 0
	s_cmp_eq_u32 s26, 2
	s_cselect_b32 s6, -1, 0
	s_cmp_eq_u32 s26, 1
	s_cselect_b32 s7, -1, 0
	;; [unrolled: 2-line block ×3, first 2 shown]
	s_add_u32 s26, s26, 1
	s_addc_u32 s27, s27, 0
	s_cmp_eq_u32 s19, s26
	s_waitcnt vmcnt(0)
	v_dual_cndmask_b32 v8, v8, v12 :: v_dual_cndmask_b32 v7, v7, v11
	v_cndmask_b32_e64 v6, v6, v12, s6
	v_cndmask_b32_e64 v5, v5, v11, s6
	;; [unrolled: 1-line block ×6, first 2 shown]
	s_cbranch_scc0 .LBB91_15
.LBB91_16:                              ;   in Loop: Header=BB91_9 Depth=1
	s_mov_b32 s25, s24
	s_mov_b32 s26, s24
	;; [unrolled: 1-line block ×7, first 2 shown]
	v_dual_mov_b32 v9, s24 :: v_dual_mov_b32 v10, s25
	v_dual_mov_b32 v11, s26 :: v_dual_mov_b32 v12, s27
	;; [unrolled: 1-line block ×4, first 2 shown]
	s_and_not1_b32 vcc_lo, exec_lo, s57
	s_cbranch_vccnz .LBB91_19
; %bb.17:                               ;   in Loop: Header=BB91_9 Depth=1
	v_mov_b32_e32 v9, 0
	v_dual_mov_b32 v10, 0 :: v_dual_mov_b32 v37, v35
	v_mov_b32_e32 v36, v34
	s_mov_b64 s[8:9], 0
	s_delay_alu instid0(VALU_DEP_2)
	v_dual_mov_b32 v12, v10 :: v_dual_mov_b32 v11, v9
	v_dual_mov_b32 v14, v10 :: v_dual_mov_b32 v13, v9
	;; [unrolled: 1-line block ×3, first 2 shown]
	s_set_inst_prefetch_distance 0x1
	.p2align	6
.LBB91_18:                              ;   Parent Loop BB91_9 Depth=1
                                        ; =>  This Inner Loop Header: Depth=2
	v_add_co_u32 v38, vcc_lo, v36, s48
	v_add_co_ci_u32_e32 v39, vcc_lo, s49, v37, vcc_lo
	v_add_co_u32 v55, vcc_lo, v36, s50
	v_add_co_ci_u32_e32 v56, vcc_lo, s51, v37, vcc_lo
	;; [unrolled: 2-line block ×3, first 2 shown]
	s_clause 0x3
	global_load_b64 v[59:60], v[36:37], off
	global_load_b64 v[38:39], v[38:39], off
	;; [unrolled: 1-line block ×4, first 2 shown]
	s_cmp_eq_u32 s8, 1
	s_cselect_b32 vcc_lo, -1, 0
	s_cmp_eq_u32 s8, 2
	v_cndmask_b32_e32 v33, v2, v4, vcc_lo
	v_cndmask_b32_e32 v61, v1, v3, vcc_lo
	s_cselect_b32 vcc_lo, -1, 0
	s_cmp_eq_u32 s8, 3
	s_delay_alu instid0(VALU_DEP_2) | instskip(NEXT) | instid1(VALU_DEP_2)
	v_cndmask_b32_e32 v33, v33, v6, vcc_lo
	v_cndmask_b32_e32 v61, v61, v5, vcc_lo
	s_cselect_b32 s6, -1, 0
	v_add_co_u32 v36, vcc_lo, v36, 8
	s_delay_alu instid0(VALU_DEP_3) | instskip(NEXT) | instid1(VALU_DEP_3)
	v_cndmask_b32_e64 v62, v33, v8, s6
	v_cndmask_b32_e64 v61, v61, v7, s6
	v_add_co_ci_u32_e32 v37, vcc_lo, 0, v37, vcc_lo
	s_add_u32 s8, s8, 1
	s_addc_u32 s9, s9, 0
	s_cmp_lg_u32 s19, s8
	s_waitcnt vmcnt(3)
	v_fma_f64 v[9:10], v[61:62], v[59:60], v[9:10]
	s_waitcnt vmcnt(2)
	v_fma_f64 v[11:12], v[61:62], v[38:39], v[11:12]
	;; [unrolled: 2-line block ×4, first 2 shown]
	s_cbranch_scc1 .LBB91_18
.LBB91_19:                              ;   in Loop: Header=BB91_9 Depth=1
	s_set_inst_prefetch_distance 0x2
	s_or_b32 exec_lo, exec_lo, s62
.LBB91_20:                              ;   in Loop: Header=BB91_9 Depth=1
	s_delay_alu instid0(SALU_CYCLE_1)
	s_or_b32 exec_lo, exec_lo, s61
	s_mov_b64 s[6:7], 0
	s_branch .LBB91_22
.LBB91_21:                              ;   in Loop: Header=BB91_22 Depth=2
	s_or_b32 exec_lo, exec_lo, s8
	s_cmp_eq_u32 s6, 3
	s_cselect_b32 vcc_lo, -1, 0
	s_cmp_eq_u32 s6, 2
	s_waitcnt lgkmcnt(0)
	s_delay_alu instid0(VALU_DEP_1)
	v_dual_cndmask_b32 v16, v16, v37 :: v_dual_cndmask_b32 v15, v15, v36
	s_cselect_b32 vcc_lo, -1, 0
	s_cmp_eq_u32 s6, 1
	v_dual_cndmask_b32 v14, v14, v37 :: v_dual_cndmask_b32 v13, v13, v36
	s_cselect_b32 vcc_lo, -1, 0
	s_cmp_eq_u32 s6, 0
	v_dual_cndmask_b32 v12, v12, v37 :: v_dual_cndmask_b32 v11, v11, v36
	s_cselect_b32 vcc_lo, -1, 0
	s_add_u32 s6, s6, 1
	v_dual_cndmask_b32 v10, v10, v37 :: v_dual_cndmask_b32 v9, v9, v36
	s_addc_u32 s7, s7, 0
	s_cmp_eq_u32 s6, 4
	s_cbranch_scc1 .LBB91_30
.LBB91_22:                              ;   Parent Loop BB91_9 Depth=1
                                        ; =>  This Inner Loop Header: Depth=2
	s_and_saveexec_b32 s8, s0
	s_cbranch_execz .LBB91_24
; %bb.23:                               ;   in Loop: Header=BB91_22 Depth=2
	v_mov_b32_e32 v33, v32
	ds_store_b64 v53, v[32:33]
.LBB91_24:                              ;   in Loop: Header=BB91_22 Depth=2
	s_or_b32 exec_lo, exec_lo, s8
	s_cmp_eq_u32 s6, 1
	s_waitcnt lgkmcnt(0)
	s_waitcnt_vscnt null, 0x0
	s_cselect_b32 vcc_lo, -1, 0
	s_cmp_eq_u32 s6, 2
	s_delay_alu instid0(VALU_DEP_1) | instskip(SKIP_3) | instid1(VALU_DEP_1)
	v_dual_cndmask_b32 v33, v10, v12 :: v_dual_cndmask_b32 v36, v9, v11
	s_cselect_b32 vcc_lo, -1, 0
	s_cmp_eq_u32 s6, 3
	s_barrier
	v_dual_cndmask_b32 v33, v33, v14 :: v_dual_cndmask_b32 v36, v36, v13
	s_cselect_b32 vcc_lo, -1, 0
	buffer_gl0_inv
	v_dual_cndmask_b32 v37, v33, v16 :: v_dual_cndmask_b32 v36, v36, v15
	ds_bpermute_b32 v39, v48, v37
	ds_bpermute_b32 v38, v48, v36
	s_waitcnt lgkmcnt(0)
	v_add_f64 v[36:37], v[36:37], v[38:39]
	ds_bpermute_b32 v38, v49, v36
	ds_bpermute_b32 v39, v49, v37
	s_waitcnt lgkmcnt(0)
	v_add_f64 v[36:37], v[36:37], v[38:39]
	;; [unrolled: 4-line block ×4, first 2 shown]
	ds_bpermute_b32 v38, v52, v36
	ds_bpermute_b32 v39, v52, v37
	s_and_saveexec_b32 s8, s4
	s_cbranch_execz .LBB91_26
; %bb.25:                               ;   in Loop: Header=BB91_22 Depth=2
	s_waitcnt lgkmcnt(0)
	v_add_f64 v[36:37], v[36:37], v[38:39]
	ds_store_b64 v54, v[36:37]
.LBB91_26:                              ;   in Loop: Header=BB91_22 Depth=2
	s_or_b32 exec_lo, exec_lo, s8
	v_mov_b32_e32 v36, 0
	v_mov_b32_e32 v37, 0
	s_waitcnt lgkmcnt(0)
	s_barrier
	buffer_gl0_inv
	s_and_saveexec_b32 s8, s1
	s_cbranch_execz .LBB91_28
; %bb.27:                               ;   in Loop: Header=BB91_22 Depth=2
	ds_load_b64 v[36:37], v53
.LBB91_28:                              ;   in Loop: Header=BB91_22 Depth=2
	s_or_b32 exec_lo, exec_lo, s8
	s_and_saveexec_b32 s8, s0
	s_cbranch_execz .LBB91_21
; %bb.29:                               ;   in Loop: Header=BB91_22 Depth=2
	s_waitcnt lgkmcnt(0)
	ds_bpermute_b32 v38, v50, v36
	ds_bpermute_b32 v39, v50, v37
	s_waitcnt lgkmcnt(0)
	v_add_f64 v[36:37], v[36:37], v[38:39]
	ds_bpermute_b32 v38, v51, v36
	ds_bpermute_b32 v39, v51, v37
	s_waitcnt lgkmcnt(0)
	v_add_f64 v[36:37], v[36:37], v[38:39]
	ds_bpermute_b32 v38, v52, v36
	ds_bpermute_b32 v39, v52, v37
	s_waitcnt lgkmcnt(0)
	v_add_f64 v[36:37], v[36:37], v[38:39]
	s_branch .LBB91_21
.LBB91_30:                              ;   in Loop: Header=BB91_9 Depth=1
	s_and_saveexec_b32 s6, s5
	s_cbranch_execz .LBB91_8
; %bb.31:                               ;   in Loop: Header=BB91_9 Depth=1
	v_mul_f64 v[9:10], s[12:13], v[9:10]
	v_mul_f64 v[11:12], s[12:13], v[11:12]
	;; [unrolled: 1-line block ×4, first 2 shown]
	s_mul_hi_u32 s9, s33, s18
	s_mul_i32 s8, s33, s18
	s_delay_alu instid0(SALU_CYCLE_1) | instskip(NEXT) | instid1(SALU_CYCLE_1)
	s_lshl_b64 s[8:9], s[8:9], 3
	s_add_u32 s8, s15, s8
	s_addc_u32 s9, s58, s9
	s_or_b32 s7, s33, 1
	s_delay_alu instid0(SALU_CYCLE_1) | instskip(SKIP_1) | instid1(SALU_CYCLE_1)
	s_mul_hi_u32 s27, s7, s18
	s_mul_i32 s26, s7, s18
	s_lshl_b64 s[26:27], s[26:27], 3
	s_delay_alu instid0(SALU_CYCLE_1) | instskip(SKIP_2) | instid1(SALU_CYCLE_1)
	s_add_u32 s26, s15, s26
	s_addc_u32 s27, s58, s27
	s_or_b32 s7, s33, 2
	s_mul_hi_u32 s29, s7, s18
	s_mul_i32 s28, s7, s18
	s_delay_alu instid0(SALU_CYCLE_1) | instskip(NEXT) | instid1(SALU_CYCLE_1)
	s_lshl_b64 s[28:29], s[28:29], 3
	s_add_u32 s28, s15, s28
	s_addc_u32 s29, s58, s29
	s_or_b32 s7, s33, 3
	s_delay_alu instid0(SALU_CYCLE_1) | instskip(SKIP_1) | instid1(SALU_CYCLE_1)
	s_mul_hi_u32 s31, s7, s18
	s_mul_i32 s30, s7, s18
	s_lshl_b64 s[30:31], s[30:31], 3
	s_delay_alu instid0(SALU_CYCLE_1)
	s_add_u32 s30, s15, s30
	s_addc_u32 s31, s58, s31
	s_clause 0x3
	global_store_b64 v32, v[9:10], s[8:9]
	global_store_b64 v32, v[11:12], s[26:27]
	;; [unrolled: 1-line block ×4, first 2 shown]
	s_branch .LBB91_8
.LBB91_32:
	s_mov_b32 s33, 0
                                        ; implicit-def: $vgpr1_vgpr2_vgpr3_vgpr4_vgpr5_vgpr6_vgpr7_vgpr8
.LBB91_33:
	s_delay_alu instid0(SALU_CYCLE_1)
	s_cmp_ge_i32 s33, s17
	s_cbranch_scc1 .LBB91_57
; %bb.34:
	v_cmp_gt_u32_e32 vcc_lo, 16, v43
	v_mad_i64_i32 v[15:16], null, s36, v41, 0
	s_cmp_gt_i32 s19, 0
	s_mov_b32 s15, 0
	v_cndmask_b32_e64 v9, 0, 1, vcc_lo
	v_cmp_gt_u32_e32 vcc_lo, 24, v43
	s_cselect_b32 s9, -1, 0
	s_lshl_b64 s[6:7], s[14:15], 3
	s_delay_alu instid0(VALU_DEP_3)
	v_lshlrev_b64 v[15:16], 3, v[15:16]
	v_lshlrev_b32_e32 v9, 4, v9
	v_cndmask_b32_e64 v10, 0, 1, vcc_lo
	v_cmp_gt_u32_e32 vcc_lo, 28, v43
	s_add_u32 s14, s52, s6
	v_cmp_ge_i32_e64 s0, s16, v46
	v_add_lshl_u32 v30, v9, v43, 2
	v_dual_mov_b32 v23, 0 :: v_dual_lshlrev_b32 v10, 3, v10
	v_cndmask_b32_e64 v11, 0, 1, vcc_lo
	v_cmp_gt_u32_e32 vcc_lo, 30, v43
	v_cmp_ge_i32_e64 s1, s16, v47
	s_delay_alu instid0(VALU_DEP_4)
	v_add_lshl_u32 v31, v10, v43, 2
	v_mad_i64_i32 v[9:10], null, s36, v21, 0
	v_cndmask_b32_e64 v12, 0, 1, vcc_lo
	v_cmp_ne_u32_e32 vcc_lo, 31, v43
	v_lshlrev_b32_e32 v11, 2, v11
	s_addc_u32 s16, s53, s7
	s_add_u32 s6, s10, s42
	v_lshlrev_b32_e32 v12, 1, v12
	v_add_co_ci_u32_e32 v13, vcc_lo, 0, v43, vcc_lo
	v_add_lshl_u32 v32, v11, v43, 2
	v_lshlrev_b64 v[21:22], 3, v[9:10]
	s_delay_alu instid0(VALU_DEP_4)
	v_add_lshl_u32 v33, v12, v43, 2
	v_mad_i64_i32 v[11:12], null, s36, v44, 0
	v_lshlrev_b32_e32 v34, 2, v13
	v_mad_i64_i32 v[13:14], null, s36, v42, 0
	v_add_co_u32 v9, vcc_lo, s54, v21
	v_add_co_ci_u32_e32 v10, vcc_lo, s55, v22, vcc_lo
	v_lshlrev_b64 v[11:12], 3, v[11:12]
	s_addc_u32 s7, s11, s43
	s_delay_alu instid0(VALU_DEP_4)
	v_lshlrev_b64 v[13:14], 3, v[13:14]
	s_add_u32 s8, s6, s38
	s_mul_i32 s6, s35, s33
	s_mul_hi_u32 s10, s34, s33
	v_add_co_u32 v11, vcc_lo, s54, v11
	v_add_co_ci_u32_e32 v12, vcc_lo, s55, v12, vcc_lo
	v_add_co_u32 v13, vcc_lo, s54, v13
	v_add_co_ci_u32_e32 v14, vcc_lo, s55, v14, vcc_lo
	;; [unrolled: 2-line block ×3, first 2 shown]
	s_addc_u32 s11, s7, s39
	s_add_i32 s7, s10, s6
	s_mul_i32 s6, s34, s33
	v_add_co_u32 v21, vcc_lo, s8, v21
	s_lshl_b64 s[6:7], s[6:7], 3
	v_add_co_ci_u32_e32 v22, vcc_lo, s11, v22, vcc_lo
	s_lshl_b64 s[10:11], s[36:37], 3
	s_add_u32 s6, s40, s6
	s_addc_u32 s7, s41, s7
	s_add_u32 s6, s6, s22
	s_addc_u32 s7, s7, s23
	;; [unrolled: 2-line block ×3, first 2 shown]
	v_add_co_u32 v19, vcc_lo, s6, v19
	v_cmp_gt_u32_e64 s2, 32, v0
	v_lshlrev_b32_e32 v29, 3, v40
	v_cmp_eq_u32_e64 s3, 0, v40
	v_and_b32_e32 v35, 56, v45
	v_cmp_gt_u32_e64 s4, 8, v0
	v_cmp_eq_u32_e64 s5, 0, v0
	v_add_co_ci_u32_e32 v20, vcc_lo, s7, v20, vcc_lo
	s_lshl_b64 s[20:21], s[34:35], 3
	s_branch .LBB91_36
.LBB91_35:                              ;   in Loop: Header=BB91_36 Depth=1
	s_or_b32 exec_lo, exec_lo, s6
	v_add_co_u32 v19, vcc_lo, v19, s20
	v_add_co_ci_u32_e32 v20, vcc_lo, s21, v20, vcc_lo
	s_add_i32 s33, s33, 1
	s_delay_alu instid0(SALU_CYCLE_1)
	s_cmp_ge_i32 s33, s17
	s_cbranch_scc1 .LBB91_57
.LBB91_36:                              ; =>This Loop Header: Depth=1
                                        ;     Child Loop BB91_49 Depth 2
                                        ;     Child Loop BB91_52 Depth 2
	s_waitcnt lgkmcnt(0)
	v_dual_mov_b32 v25, s15 :: v_dual_mov_b32 v26, s15
	s_and_saveexec_b32 s6, s0
	s_delay_alu instid0(SALU_CYCLE_1)
	s_xor_b32 s6, exec_lo, s6
	s_cbranch_execnz .LBB91_45
; %bb.37:                               ;   in Loop: Header=BB91_36 Depth=1
	s_and_not1_saveexec_b32 s24, s6
	s_cbranch_execnz .LBB91_46
.LBB91_38:                              ;   in Loop: Header=BB91_36 Depth=1
	s_or_b32 exec_lo, exec_lo, s24
	s_and_saveexec_b32 s6, s2
	s_cbranch_execz .LBB91_40
.LBB91_39:                              ;   in Loop: Header=BB91_36 Depth=1
	v_mov_b32_e32 v24, v23
	ds_store_b64 v29, v[23:24]
.LBB91_40:                              ;   in Loop: Header=BB91_36 Depth=1
	s_or_b32 exec_lo, exec_lo, s6
	ds_bpermute_b32 v27, v30, v25
	ds_bpermute_b32 v28, v30, v26
	s_waitcnt lgkmcnt(0)
	s_waitcnt_vscnt null, 0x0
	s_barrier
	buffer_gl0_inv
	v_add_f64 v[24:25], v[25:26], v[27:28]
	ds_bpermute_b32 v26, v31, v24
	ds_bpermute_b32 v27, v31, v25
	s_waitcnt lgkmcnt(0)
	v_add_f64 v[24:25], v[24:25], v[26:27]
	ds_bpermute_b32 v26, v32, v24
	ds_bpermute_b32 v27, v32, v25
	s_waitcnt lgkmcnt(0)
	v_add_f64 v[24:25], v[24:25], v[26:27]
	ds_bpermute_b32 v26, v33, v24
	ds_bpermute_b32 v27, v33, v25
	s_waitcnt lgkmcnt(0)
	v_add_f64 v[24:25], v[24:25], v[26:27]
	ds_bpermute_b32 v26, v34, v24
	ds_bpermute_b32 v27, v34, v25
	s_and_saveexec_b32 s6, s3
	s_cbranch_execz .LBB91_42
; %bb.41:                               ;   in Loop: Header=BB91_36 Depth=1
	s_waitcnt lgkmcnt(0)
	v_add_f64 v[24:25], v[24:25], v[26:27]
	ds_store_b64 v35, v[24:25]
.LBB91_42:                              ;   in Loop: Header=BB91_36 Depth=1
	s_or_b32 exec_lo, exec_lo, s6
	v_mov_b32_e32 v24, 0
	v_mov_b32_e32 v25, 0
	s_waitcnt lgkmcnt(0)
	s_barrier
	buffer_gl0_inv
	s_and_saveexec_b32 s6, s4
	s_cbranch_execnz .LBB91_54
; %bb.43:                               ;   in Loop: Header=BB91_36 Depth=1
	s_or_b32 exec_lo, exec_lo, s6
	s_and_saveexec_b32 s6, s2
	s_cbranch_execnz .LBB91_55
.LBB91_44:                              ;   in Loop: Header=BB91_36 Depth=1
	s_or_b32 exec_lo, exec_lo, s6
	s_and_saveexec_b32 s6, s5
	s_cbranch_execz .LBB91_35
	s_branch .LBB91_56
.LBB91_45:                              ;   in Loop: Header=BB91_36 Depth=1
	s_mul_i32 s7, s33, s35
	s_mul_hi_u32 s8, s33, s34
	s_mul_i32 s22, s33, s34
	s_add_i32 s23, s8, s7
	s_delay_alu instid0(SALU_CYCLE_1) | instskip(NEXT) | instid1(SALU_CYCLE_1)
	s_lshl_b64 s[22:23], s[22:23], 3
	v_add_co_u32 v5, vcc_lo, v17, s22
	v_add_co_ci_u32_e32 v6, vcc_lo, s23, v18, vcc_lo
	global_load_b128 v[24:27], v[5:6], off
	s_clause 0x1
	global_load_b64 v[1:2], v[9:10], off
	global_load_b64 v[3:4], v[11:12], off
	global_load_b128 v[36:39], v[5:6], off offset:16
	s_clause 0x1
	global_load_b64 v[5:6], v[13:14], off
	global_load_b64 v[7:8], v[15:16], off
	s_waitcnt vmcnt(4)
	v_fma_f64 v[24:25], v[1:2], v[24:25], 0
	s_waitcnt vmcnt(3)
	s_delay_alu instid0(VALU_DEP_1) | instskip(SKIP_1) | instid1(VALU_DEP_1)
	v_fma_f64 v[24:25], v[3:4], v[26:27], v[24:25]
	s_waitcnt vmcnt(1)
	v_fma_f64 v[24:25], v[5:6], v[36:37], v[24:25]
	s_waitcnt vmcnt(0)
	s_delay_alu instid0(VALU_DEP_1)
	v_fma_f64 v[25:26], v[7:8], v[38:39], v[24:25]
	s_and_not1_saveexec_b32 s24, s6
	s_cbranch_execz .LBB91_38
.LBB91_46:                              ;   in Loop: Header=BB91_36 Depth=1
	s_and_saveexec_b32 s25, s1
	s_cbranch_execz .LBB91_53
; %bb.47:                               ;   in Loop: Header=BB91_36 Depth=1
	s_and_not1_b32 vcc_lo, exec_lo, s9
	s_cbranch_vccnz .LBB91_50
; %bb.48:                               ;   in Loop: Header=BB91_36 Depth=1
	v_dual_mov_b32 v28, v22 :: v_dual_mov_b32 v27, v21
	s_mov_b64 s[22:23], 0
	.p2align	6
.LBB91_49:                              ;   Parent Loop BB91_36 Depth=1
                                        ; =>  This Inner Loop Header: Depth=2
	global_load_b64 v[36:37], v[27:28], off
	v_add_co_u32 v27, vcc_lo, v27, s10
	s_cmp_eq_u32 s22, 3
	v_add_co_ci_u32_e32 v28, vcc_lo, s11, v28, vcc_lo
	s_cselect_b32 vcc_lo, -1, 0
	s_cmp_eq_u32 s22, 2
	s_cselect_b32 s6, -1, 0
	s_cmp_eq_u32 s22, 1
	s_cselect_b32 s7, -1, 0
	;; [unrolled: 2-line block ×3, first 2 shown]
	s_add_u32 s22, s22, 1
	s_addc_u32 s23, s23, 0
	s_cmp_eq_u32 s19, s22
	s_waitcnt vmcnt(0)
	v_dual_cndmask_b32 v8, v8, v37 :: v_dual_cndmask_b32 v7, v7, v36
	v_cndmask_b32_e64 v6, v6, v37, s6
	v_cndmask_b32_e64 v5, v5, v36, s6
	;; [unrolled: 1-line block ×6, first 2 shown]
	s_cbranch_scc0 .LBB91_49
.LBB91_50:                              ;   in Loop: Header=BB91_36 Depth=1
	s_and_not1_b32 vcc_lo, exec_lo, s9
	s_cbranch_vccnz .LBB91_53
; %bb.51:                               ;   in Loop: Header=BB91_36 Depth=1
	v_dual_mov_b32 v28, v20 :: v_dual_mov_b32 v27, v19
	s_mov_b64 s[6:7], 0
	.p2align	6
.LBB91_52:                              ;   Parent Loop BB91_36 Depth=1
                                        ; =>  This Inner Loop Header: Depth=2
	global_load_b64 v[36:37], v[27:28], off
	s_cmp_eq_u32 s6, 1
	s_cselect_b32 vcc_lo, -1, 0
	s_cmp_eq_u32 s6, 2
	v_cndmask_b32_e32 v0, v2, v4, vcc_lo
	v_cndmask_b32_e32 v24, v1, v3, vcc_lo
	s_cselect_b32 vcc_lo, -1, 0
	s_cmp_eq_u32 s6, 3
	s_delay_alu instid0(VALU_DEP_2) | instskip(NEXT) | instid1(VALU_DEP_2)
	v_cndmask_b32_e32 v0, v0, v6, vcc_lo
	v_cndmask_b32_e32 v24, v24, v5, vcc_lo
	s_cselect_b32 vcc_lo, -1, 0
	s_add_u32 s6, s6, 1
	s_addc_u32 s7, s7, 0
	v_cndmask_b32_e32 v39, v0, v8, vcc_lo
	v_cndmask_b32_e32 v38, v24, v7, vcc_lo
	v_add_co_u32 v27, vcc_lo, v27, 8
	v_add_co_ci_u32_e32 v28, vcc_lo, 0, v28, vcc_lo
	s_cmp_lg_u32 s19, s6
	s_waitcnt vmcnt(0)
	v_fma_f64 v[25:26], v[38:39], v[36:37], v[25:26]
	s_cbranch_scc1 .LBB91_52
.LBB91_53:                              ;   in Loop: Header=BB91_36 Depth=1
	s_or_b32 exec_lo, exec_lo, s25
	s_delay_alu instid0(SALU_CYCLE_1)
	s_or_b32 exec_lo, exec_lo, s24
	s_and_saveexec_b32 s6, s2
	s_cbranch_execnz .LBB91_39
	s_branch .LBB91_40
.LBB91_54:                              ;   in Loop: Header=BB91_36 Depth=1
	ds_load_b64 v[24:25], v29
	s_or_b32 exec_lo, exec_lo, s6
	s_and_saveexec_b32 s6, s2
	s_cbranch_execz .LBB91_44
.LBB91_55:                              ;   in Loop: Header=BB91_36 Depth=1
	s_waitcnt lgkmcnt(0)
	ds_bpermute_b32 v26, v32, v24
	ds_bpermute_b32 v27, v32, v25
	s_waitcnt lgkmcnt(0)
	v_add_f64 v[24:25], v[24:25], v[26:27]
	ds_bpermute_b32 v26, v33, v24
	ds_bpermute_b32 v27, v33, v25
	s_waitcnt lgkmcnt(0)
	v_add_f64 v[24:25], v[24:25], v[26:27]
	;; [unrolled: 4-line block ×3, first 2 shown]
	s_or_b32 exec_lo, exec_lo, s6
	s_and_saveexec_b32 s6, s5
	s_cbranch_execz .LBB91_35
.LBB91_56:                              ;   in Loop: Header=BB91_36 Depth=1
	s_waitcnt lgkmcnt(0)
	s_delay_alu instid0(VALU_DEP_1) | instskip(SKIP_2) | instid1(SALU_CYCLE_1)
	v_mul_f64 v[24:25], s[12:13], v[24:25]
	s_mul_hi_u32 s23, s33, s18
	s_mul_i32 s22, s33, s18
	s_lshl_b64 s[22:23], s[22:23], 3
	s_delay_alu instid0(SALU_CYCLE_1)
	s_add_u32 s22, s14, s22
	s_addc_u32 s23, s16, s23
	global_store_b64 v23, v[24:25], s[22:23]
	s_branch .LBB91_35
.LBB91_57:
	s_nop 0
	s_sendmsg sendmsg(MSG_DEALLOC_VGPRS)
	s_endpgm
	.section	.rodata,"a",@progbits
	.p2align	6, 0x0
	.amdhsa_kernel _ZL23rocblas_gemvt_sn_kernelILb1ELi256ELi4EldPKddEviiT4_lPKT3_lilS5_lilPT5_i
		.amdhsa_group_segment_fixed_size 256
		.amdhsa_private_segment_fixed_size 0
		.amdhsa_kernarg_size 360
		.amdhsa_user_sgpr_count 14
		.amdhsa_user_sgpr_dispatch_ptr 0
		.amdhsa_user_sgpr_queue_ptr 0
		.amdhsa_user_sgpr_kernarg_segment_ptr 1
		.amdhsa_user_sgpr_dispatch_id 0
		.amdhsa_user_sgpr_private_segment_size 0
		.amdhsa_wavefront_size32 1
		.amdhsa_uses_dynamic_stack 0
		.amdhsa_enable_private_segment 0
		.amdhsa_system_sgpr_workgroup_id_x 1
		.amdhsa_system_sgpr_workgroup_id_y 0
		.amdhsa_system_sgpr_workgroup_id_z 1
		.amdhsa_system_sgpr_workgroup_info 0
		.amdhsa_system_vgpr_workitem_id 0
		.amdhsa_next_free_vgpr 75
		.amdhsa_next_free_sgpr 63
		.amdhsa_reserve_vcc 1
		.amdhsa_float_round_mode_32 0
		.amdhsa_float_round_mode_16_64 0
		.amdhsa_float_denorm_mode_32 3
		.amdhsa_float_denorm_mode_16_64 3
		.amdhsa_dx10_clamp 1
		.amdhsa_ieee_mode 1
		.amdhsa_fp16_overflow 0
		.amdhsa_workgroup_processor_mode 1
		.amdhsa_memory_ordered 1
		.amdhsa_forward_progress 0
		.amdhsa_shared_vgpr_count 0
		.amdhsa_exception_fp_ieee_invalid_op 0
		.amdhsa_exception_fp_denorm_src 0
		.amdhsa_exception_fp_ieee_div_zero 0
		.amdhsa_exception_fp_ieee_overflow 0
		.amdhsa_exception_fp_ieee_underflow 0
		.amdhsa_exception_fp_ieee_inexact 0
		.amdhsa_exception_int_div_zero 0
	.end_amdhsa_kernel
	.section	.text._ZL23rocblas_gemvt_sn_kernelILb1ELi256ELi4EldPKddEviiT4_lPKT3_lilS5_lilPT5_i,"axG",@progbits,_ZL23rocblas_gemvt_sn_kernelILb1ELi256ELi4EldPKddEviiT4_lPKT3_lilS5_lilPT5_i,comdat
.Lfunc_end91:
	.size	_ZL23rocblas_gemvt_sn_kernelILb1ELi256ELi4EldPKddEviiT4_lPKT3_lilS5_lilPT5_i, .Lfunc_end91-_ZL23rocblas_gemvt_sn_kernelILb1ELi256ELi4EldPKddEviiT4_lPKT3_lilS5_lilPT5_i
                                        ; -- End function
	.section	.AMDGPU.csdata,"",@progbits
; Kernel info:
; codeLenInByte = 4080
; NumSgprs: 65
; NumVgprs: 75
; ScratchSize: 0
; MemoryBound: 1
; FloatMode: 240
; IeeeMode: 1
; LDSByteSize: 256 bytes/workgroup (compile time only)
; SGPRBlocks: 8
; VGPRBlocks: 9
; NumSGPRsForWavesPerEU: 65
; NumVGPRsForWavesPerEU: 75
; Occupancy: 16
; WaveLimiterHint : 1
; COMPUTE_PGM_RSRC2:SCRATCH_EN: 0
; COMPUTE_PGM_RSRC2:USER_SGPR: 14
; COMPUTE_PGM_RSRC2:TRAP_HANDLER: 0
; COMPUTE_PGM_RSRC2:TGID_X_EN: 1
; COMPUTE_PGM_RSRC2:TGID_Y_EN: 0
; COMPUTE_PGM_RSRC2:TGID_Z_EN: 1
; COMPUTE_PGM_RSRC2:TIDIG_COMP_CNT: 0
	.section	.text._ZL23rocblas_gemvt_sn_kernelILb1ELi256ELi4EidddEviiT4_lPKT3_lilS3_lilPT5_i,"axG",@progbits,_ZL23rocblas_gemvt_sn_kernelILb1ELi256ELi4EidddEviiT4_lPKT3_lilS3_lilPT5_i,comdat
	.globl	_ZL23rocblas_gemvt_sn_kernelILb1ELi256ELi4EidddEviiT4_lPKT3_lilS3_lilPT5_i ; -- Begin function _ZL23rocblas_gemvt_sn_kernelILb1ELi256ELi4EidddEviiT4_lPKT3_lilS3_lilPT5_i
	.p2align	8
	.type	_ZL23rocblas_gemvt_sn_kernelILb1ELi256ELi4EidddEviiT4_lPKT3_lilS3_lilPT5_i,@function
_ZL23rocblas_gemvt_sn_kernelILb1ELi256ELi4EidddEviiT4_lPKT3_lilS3_lilPT5_i: ; @_ZL23rocblas_gemvt_sn_kernelILb1ELi256ELi4EidddEviiT4_lPKT3_lilS3_lilPT5_i
; %bb.0:
	s_clause 0x2
	s_load_b128 s[24:27], s[0:1], 0x0
	s_load_b128 s[4:7], s[0:1], 0x50
	s_load_b32 s10, s[0:1], 0x68
	s_waitcnt lgkmcnt(0)
	v_cmp_neq_f64_e64 s9, s[26:27], 0
	s_ashr_i32 s8, s25, 31
	s_mul_hi_u32 s2, s25, s15
	s_mul_i32 s3, s8, s15
	s_mul_i32 s11, s25, s15
	s_add_i32 s2, s2, s3
	s_mul_hi_u32 s3, s11, s10
	s_mul_i32 s12, s2, s10
	s_mul_i32 s2, s11, s10
	s_add_i32 s3, s3, s12
	s_mov_b32 s11, 0
	s_lshl_b64 s[2:3], s[2:3], 3
	s_delay_alu instid0(SALU_CYCLE_1) | instskip(SKIP_2) | instid1(VALU_DEP_2)
	s_add_u32 s42, s6, s2
	v_cmp_eq_u32_e64 s2, 0, v0
	s_addc_u32 s41, s7, s3
	s_and_b32 vcc_lo, exec_lo, s9
	s_cbranch_vccnz .LBB92_5
; %bb.1:
	s_cmp_gt_i32 s25, 0
	s_cselect_b32 s3, -1, 0
	s_delay_alu instid0(SALU_CYCLE_1) | instskip(NEXT) | instid1(SALU_CYCLE_1)
	s_and_b32 s2, s2, s3
	s_and_saveexec_b32 s9, s2
	s_cbranch_execz .LBB92_4
; %bb.2:
	v_mov_b32_e32 v1, 0
	s_mov_b32 s2, s15
	s_mov_b32 s15, 0
	s_delay_alu instid0(SALU_CYCLE_1) | instskip(NEXT) | instid1(VALU_DEP_1)
	s_lshl_b64 s[6:7], s[14:15], 3
	v_mov_b32_e32 v2, v1
	s_mov_b32 s15, s2
	s_add_u32 s2, s42, s6
	s_addc_u32 s3, s41, s7
	s_lshl_b64 s[6:7], s[10:11], 3
	s_mov_b32 s11, s25
.LBB92_3:                               ; =>This Inner Loop Header: Depth=1
	s_delay_alu instid0(SALU_CYCLE_1)
	s_add_i32 s11, s11, -1
	global_store_b64 v1, v[1:2], s[2:3]
	s_add_u32 s2, s2, s6
	s_addc_u32 s3, s3, s7
	s_cmp_eq_u32 s11, 0
	s_cbranch_scc0 .LBB92_3
.LBB92_4:
	s_or_b32 exec_lo, exec_lo, s9
	s_cbranch_execz .LBB92_6
	s_branch .LBB92_57
.LBB92_5:
.LBB92_6:
	s_clause 0x2
	s_load_b128 s[16:19], s[0:1], 0x30
	s_load_b64 s[2:3], s[0:1], 0x40
	s_load_b128 s[28:31], s[0:1], 0x18
	s_mul_i32 s5, s15, s5
	s_mul_hi_u32 s6, s15, s4
	s_mul_i32 s4, s15, s4
	s_add_i32 s5, s6, s5
	s_clause 0x1
	s_load_b32 s12, s[0:1], 0x28
	s_load_b32 s33, s[0:1], 0x48
	s_lshl_b64 s[4:5], s[4:5], 3
	v_and_b32_e32 v18, 31, v0
	v_cmp_gt_u32_e64 s0, 32, v0
	v_mbcnt_lo_u32_b32 v37, -1, 0
	v_lshrrev_b32_e32 v38, 2, v0
	s_waitcnt lgkmcnt(0)
	s_add_u32 s6, s18, s4
	s_addc_u32 s5, s19, s5
	s_lshl_b64 s[2:3], s[2:3], 3
	s_mul_i32 s7, s15, s17
	s_mul_hi_u32 s13, s15, s16
	s_add_u32 s9, s6, s2
	s_mul_i32 s4, s15, s16
	s_addc_u32 s11, s5, s3
	s_add_i32 s5, s13, s7
	s_delay_alu instid0(SALU_CYCLE_1) | instskip(NEXT) | instid1(SALU_CYCLE_1)
	s_lshl_b64 s[34:35], s[4:5], 3
	s_add_u32 s1, s28, s34
	s_addc_u32 s2, s29, s35
	s_lshl_b64 s[30:31], s[30:31], 3
	s_delay_alu instid0(SALU_CYCLE_1)
	s_add_u32 s3, s1, s30
	s_addc_u32 s2, s2, s31
	s_lshl_b32 s1, s14, 10
	s_ashr_i32 s4, s24, 31
	v_lshl_or_b32 v1, v0, 2, s1
	s_lshr_b32 s4, s4, 30
	s_lshr_b32 s5, s8, 30
	s_add_i32 s4, s24, s4
	s_add_i32 s5, s25, s5
	v_ashrrev_i32_e32 v2, 31, v1
	s_and_b32 s4, s4, -4
	v_mul_lo_u32 v17, v1, s33
	s_sub_i32 s40, s24, s4
	v_cmp_gt_u32_e64 s1, 8, v0
	v_lshlrev_b64 v[19:20], 3, v[1:2]
	v_add_nc_u32_e32 v39, 4, v1
	v_add_nc_u32_e32 v40, s40, v1
	s_and_b32 s15, s5, -4
	s_delay_alu instid0(SALU_CYCLE_1) | instskip(NEXT) | instid1(VALU_DEP_3)
	s_cmp_lt_i32 s15, 1
	v_add_co_u32 v35, vcc_lo, s3, v19
	v_add_co_ci_u32_e32 v36, vcc_lo, s2, v20, vcc_lo
	s_cbranch_scc1 .LBB92_32
; %bb.7:
	v_cmp_gt_u32_e32 vcc_lo, 16, v37
	v_mul_lo_u32 v21, v1, s33
	s_cmp_gt_i32 s40, 0
	s_mov_b32 s16, 0
	s_cselect_b32 s43, -1, 0
	v_cndmask_b32_e64 v2, 0, 1, vcc_lo
	v_cmp_gt_u32_e32 vcc_lo, 24, v37
	s_lshl_b32 s44, s12, 2
	s_lshl_b32 s45, s12, 1
	v_ashrrev_i32_e32 v22, 31, v21
	v_lshlrev_b32_e32 v2, 4, v2
	v_cndmask_b32_e64 v3, 0, 1, vcc_lo
	v_cmp_gt_u32_e32 vcc_lo, 28, v37
	s_add_u32 s6, s34, s30
	s_addc_u32 s7, s35, s31
	v_add_lshl_u32 v41, v2, v37, 2
	v_lshlrev_b32_e32 v2, 3, v3
	v_cndmask_b32_e64 v4, 0, 1, vcc_lo
	v_cmp_gt_u32_e32 vcc_lo, 30, v37
	s_add_u32 s6, s28, s6
	v_mov_b32_e32 v30, 0
	v_add_lshl_u32 v42, v2, v37, 2
	v_lshlrev_b32_e32 v3, 2, v4
	v_cndmask_b32_e64 v5, 0, 1, vcc_lo
	v_cmp_ne_u32_e32 vcc_lo, 31, v37
	s_addc_u32 s7, s29, s7
	v_cmp_ge_i32_e64 s2, s24, v39
	v_add_lshl_u32 v43, v3, v37, 2
	v_lshlrev_b32_e32 v1, 1, v5
	v_add_co_ci_u32_e32 v4, vcc_lo, 0, v37, vcc_lo
	v_lshlrev_b64 v[5:6], 3, v[21:22]
	v_cmp_ge_i32_e64 s3, s24, v40
	s_delay_alu instid0(VALU_DEP_4) | instskip(SKIP_4) | instid1(VALU_DEP_4)
	v_add_lshl_u32 v44, v1, v37, 2
	v_add_nc_u32_e32 v1, s33, v21
	v_lshlrev_b32_e32 v45, 2, v4
	v_cmp_eq_u32_e64 s4, 0, v18
	v_add_co_u32 v22, vcc_lo, s9, v5
	v_add_nc_u32_e32 v3, s33, v1
	v_ashrrev_i32_e32 v2, 31, v1
	v_add_co_ci_u32_e32 v23, vcc_lo, s11, v6, vcc_lo
	v_lshlrev_b32_e32 v46, 3, v18
	s_delay_alu instid0(VALU_DEP_4) | instskip(NEXT) | instid1(VALU_DEP_4)
	v_add_nc_u32_e32 v7, s33, v3
	v_lshlrev_b64 v[1:2], 3, v[1:2]
	v_ashrrev_i32_e32 v4, 31, v3
	v_and_b32_e32 v47, 56, v38
	v_cmp_eq_u32_e64 s5, 0, v0
	v_ashrrev_i32_e32 v8, 31, v7
	s_mov_b32 s13, s16
	v_lshlrev_b64 v[3:4], 3, v[3:4]
	v_add_co_u32 v24, vcc_lo, s9, v1
	v_add_co_ci_u32_e32 v25, vcc_lo, s11, v2, vcc_lo
	v_lshlrev_b64 v[1:2], 3, v[7:8]
	s_delay_alu instid0(VALU_DEP_4) | instskip(SKIP_2) | instid1(VALU_DEP_3)
	v_add_co_u32 v26, vcc_lo, s9, v3
	v_add_co_ci_u32_e32 v27, vcc_lo, s11, v4, vcc_lo
	s_mov_b32 s46, s16
	v_add_co_u32 v28, vcc_lo, s9, v1
	s_delay_alu instid0(VALU_DEP_4)
	v_add_co_ci_u32_e32 v29, vcc_lo, s11, v2, vcc_lo
	v_add_co_u32 v48, vcc_lo, s6, v19
	v_add_co_ci_u32_e32 v49, vcc_lo, s7, v20, vcc_lo
	s_mul_i32 s47, s12, 3
	s_mov_b32 s48, s16
	s_mov_b32 s36, 0
	s_mov_b64 s[38:39], s[12:13]
	s_mov_b32 s13, 0
                                        ; implicit-def: $vgpr1_vgpr2_vgpr3_vgpr4_vgpr5_vgpr6_vgpr7_vgpr8
	s_branch .LBB92_9
.LBB92_8:                               ;   in Loop: Header=BB92_9 Depth=1
	s_or_b32 exec_lo, exec_lo, s6
	s_add_i32 s13, s13, 4
	s_add_u32 s38, s38, s44
	s_addc_u32 s39, s39, 0
	s_add_u32 s45, s45, s44
	s_addc_u32 s46, s46, 0
	;; [unrolled: 2-line block ×3, first 2 shown]
	s_add_i32 s36, s36, s44
	s_cmp_ge_i32 s13, s15
	s_cbranch_scc1 .LBB92_33
.LBB92_9:                               ; =>This Loop Header: Depth=1
                                        ;     Child Loop BB92_15 Depth 2
                                        ;     Child Loop BB92_18 Depth 2
	;; [unrolled: 1-line block ×3, first 2 shown]
                                        ; implicit-def: $vgpr9_vgpr10_vgpr11_vgpr12_vgpr13_vgpr14_vgpr15_vgpr16
	s_and_saveexec_b32 s6, s2
	s_delay_alu instid0(SALU_CYCLE_1)
	s_xor_b32 s6, exec_lo, s6
	s_cbranch_execz .LBB92_11
; %bb.10:                               ;   in Loop: Header=BB92_9 Depth=1
	s_mul_i32 s18, s13, s12
	s_delay_alu instid0(SALU_CYCLE_1)
	s_ashr_i32 s19, s18, 31
	s_add_i32 s20, s18, s12
	s_lshl_b64 s[18:19], s[18:19], 3
	s_ashr_i32 s21, s20, 31
	v_add_co_u32 v5, vcc_lo, v35, s18
	v_add_co_ci_u32_e32 v6, vcc_lo, s19, v36, vcc_lo
	s_lshl_b64 s[18:19], s[20:21], 3
	s_add_i32 s20, s20, s12
	v_add_co_u32 v7, vcc_lo, v35, s18
	s_ashr_i32 s21, s20, 31
	s_add_i32 s18, s20, s12
	s_lshl_b64 s[20:21], s[20:21], 3
	v_add_co_ci_u32_e32 v8, vcc_lo, s19, v36, vcc_lo
	s_ashr_i32 s19, s18, 31
	v_add_co_u32 v62, vcc_lo, v35, s20
	s_lshl_b64 s[18:19], s[18:19], 3
	v_add_co_ci_u32_e32 v63, vcc_lo, s21, v36, vcc_lo
	v_add_co_u32 v66, vcc_lo, v35, s18
	v_add_co_ci_u32_e32 v67, vcc_lo, s19, v36, vcc_lo
	global_load_b64 v[1:2], v[22:23], off
	s_clause 0x3
	global_load_b128 v[9:12], v[5:6], off
	global_load_b128 v[13:16], v[7:8], off
	;; [unrolled: 1-line block ×4, first 2 shown]
	global_load_b64 v[3:4], v[24:25], off
	global_load_b128 v[54:57], v[5:6], off offset:16
	global_load_b64 v[5:6], v[26:27], off
	s_clause 0x2
	global_load_b128 v[58:61], v[7:8], off offset:16
	global_load_b128 v[62:65], v[62:63], off offset:16
	;; [unrolled: 1-line block ×3, first 2 shown]
	global_load_b64 v[7:8], v[28:29], off
	s_waitcnt vmcnt(10)
	v_fma_f64 v[9:10], v[1:2], v[9:10], 0
	s_waitcnt vmcnt(9)
	v_fma_f64 v[13:14], v[1:2], v[13:14], 0
	;; [unrolled: 2-line block ×4, first 2 shown]
	s_waitcnt vmcnt(6)
	s_delay_alu instid0(VALU_DEP_4) | instskip(NEXT) | instid1(VALU_DEP_4)
	v_fma_f64 v[9:10], v[3:4], v[11:12], v[9:10]
	v_fma_f64 v[11:12], v[3:4], v[15:16], v[13:14]
	s_delay_alu instid0(VALU_DEP_4) | instskip(NEXT) | instid1(VALU_DEP_4)
	v_fma_f64 v[13:14], v[3:4], v[33:34], v[31:32]
	v_fma_f64 v[15:16], v[3:4], v[52:53], v[50:51]
	s_waitcnt vmcnt(4)
	s_delay_alu instid0(VALU_DEP_4) | instskip(SKIP_1) | instid1(VALU_DEP_4)
	v_fma_f64 v[9:10], v[5:6], v[54:55], v[9:10]
	s_waitcnt vmcnt(3)
	v_fma_f64 v[11:12], v[5:6], v[58:59], v[11:12]
	s_waitcnt vmcnt(2)
	s_delay_alu instid0(VALU_DEP_4) | instskip(SKIP_1) | instid1(VALU_DEP_4)
	v_fma_f64 v[13:14], v[5:6], v[62:63], v[13:14]
	s_waitcnt vmcnt(1)
	v_fma_f64 v[15:16], v[5:6], v[66:67], v[15:16]
	s_waitcnt vmcnt(0)
	s_delay_alu instid0(VALU_DEP_4) | instskip(NEXT) | instid1(VALU_DEP_4)
	v_fma_f64 v[9:10], v[7:8], v[56:57], v[9:10]
	v_fma_f64 v[11:12], v[7:8], v[60:61], v[11:12]
	s_delay_alu instid0(VALU_DEP_4) | instskip(NEXT) | instid1(VALU_DEP_4)
	v_fma_f64 v[13:14], v[7:8], v[64:65], v[13:14]
	v_fma_f64 v[15:16], v[7:8], v[68:69], v[15:16]
.LBB92_11:                              ;   in Loop: Header=BB92_9 Depth=1
	s_and_not1_saveexec_b32 s49, s6
	s_cbranch_execz .LBB92_20
; %bb.12:                               ;   in Loop: Header=BB92_9 Depth=1
	s_mov_b32 s17, s16
	s_mov_b32 s18, s16
	;; [unrolled: 1-line block ×7, first 2 shown]
	v_dual_mov_b32 v9, s16 :: v_dual_mov_b32 v10, s17
	v_dual_mov_b32 v11, s18 :: v_dual_mov_b32 v12, s19
	;; [unrolled: 1-line block ×4, first 2 shown]
	s_and_saveexec_b32 s50, s3
	s_cbranch_execz .LBB92_19
; %bb.13:                               ;   in Loop: Header=BB92_9 Depth=1
	s_and_not1_b32 vcc_lo, exec_lo, s43
	s_cbranch_vccnz .LBB92_16
; %bb.14:                               ;   in Loop: Header=BB92_9 Depth=1
	v_mov_b32_e32 v9, v21
	s_mov_b64 s[18:19], 0
	s_set_inst_prefetch_distance 0x1
	.p2align	6
.LBB92_15:                              ;   Parent Loop BB92_9 Depth=1
                                        ; =>  This Inner Loop Header: Depth=2
	s_delay_alu instid0(VALU_DEP_1) | instskip(SKIP_1) | instid1(VALU_DEP_1)
	v_ashrrev_i32_e32 v10, 31, v9
	s_cmp_eq_u32 s18, 3
	v_lshlrev_b64 v[10:11], 3, v[9:10]
	s_delay_alu instid0(VALU_DEP_1) | instskip(NEXT) | instid1(VALU_DEP_2)
	v_add_co_u32 v10, vcc_lo, s9, v10
	v_add_co_ci_u32_e32 v11, vcc_lo, s11, v11, vcc_lo
	s_cselect_b32 vcc_lo, -1, 0
	s_cmp_eq_u32 s18, 2
	s_cselect_b32 s6, -1, 0
	global_load_b64 v[10:11], v[10:11], off
	s_cmp_eq_u32 s18, 1
	v_add_nc_u32_e32 v9, s33, v9
	s_cselect_b32 s7, -1, 0
	s_cmp_eq_u32 s18, 0
	s_cselect_b32 s8, -1, 0
	s_add_u32 s18, s18, 1
	s_addc_u32 s19, s19, 0
	s_cmp_eq_u32 s40, s18
	s_waitcnt vmcnt(0)
	v_dual_cndmask_b32 v8, v8, v11 :: v_dual_cndmask_b32 v7, v7, v10
	v_cndmask_b32_e64 v6, v6, v11, s6
	v_cndmask_b32_e64 v5, v5, v10, s6
	;; [unrolled: 1-line block ×6, first 2 shown]
	s_cbranch_scc0 .LBB92_15
.LBB92_16:                              ;   in Loop: Header=BB92_9 Depth=1
	s_set_inst_prefetch_distance 0x2
	s_mov_b32 s17, s16
	s_mov_b32 s18, s16
	;; [unrolled: 1-line block ×7, first 2 shown]
	v_dual_mov_b32 v9, s16 :: v_dual_mov_b32 v10, s17
	v_dual_mov_b32 v11, s18 :: v_dual_mov_b32 v12, s19
	;; [unrolled: 1-line block ×4, first 2 shown]
	s_and_not1_b32 vcc_lo, exec_lo, s43
	s_cbranch_vccnz .LBB92_19
; %bb.17:                               ;   in Loop: Header=BB92_9 Depth=1
	s_ashr_i32 s37, s36, 31
	v_mov_b32_e32 v9, 0
	v_mov_b32_e32 v10, 0
	s_lshl_b64 s[6:7], s[36:37], 3
	s_mov_b64 s[18:19], 0
	v_add_co_u32 v31, vcc_lo, v48, s6
	v_add_co_ci_u32_e32 v32, vcc_lo, s7, v49, vcc_lo
	v_dual_mov_b32 v12, v10 :: v_dual_mov_b32 v11, v9
	v_dual_mov_b32 v14, v10 :: v_dual_mov_b32 v13, v9
	;; [unrolled: 1-line block ×3, first 2 shown]
.LBB92_18:                              ;   Parent Loop BB92_9 Depth=1
                                        ; =>  This Inner Loop Header: Depth=2
	s_cmp_eq_u32 s18, 1
	s_cselect_b32 vcc_lo, -1, 0
	s_cmp_eq_u32 s18, 2
	v_cndmask_b32_e32 v33, v2, v4, vcc_lo
	s_cselect_b32 s6, -1, 0
	s_cmp_eq_u32 s18, 3
	v_cndmask_b32_e32 v57, v1, v3, vcc_lo
	s_cselect_b32 s7, -1, 0
	s_add_i32 s20, s38, s18
	s_add_i32 s22, s45, s18
	s_ashr_i32 s21, s20, 31
	s_ashr_i32 s23, s22, 31
	s_lshl_b64 s[20:21], s[20:21], 3
	v_cndmask_b32_e64 v56, v33, v6, s6
	s_add_i32 s52, s47, s18
	v_add_co_u32 v33, s8, v35, s20
	s_lshl_b64 s[22:23], s[22:23], 3
	s_ashr_i32 s53, s52, 31
	v_add_co_ci_u32_e64 v34, s8, s21, v36, s8
	v_add_co_u32 v50, s8, v35, s22
	s_lshl_b64 s[52:53], s[52:53], 3
	v_add_co_ci_u32_e64 v51, s8, s23, v36, s8
	v_add_co_u32 v52, s8, v35, s52
	s_delay_alu instid0(VALU_DEP_1)
	v_add_co_ci_u32_e64 v53, s8, s53, v36, s8
	global_load_b64 v[54:55], v[31:32], off
	s_clause 0x2
	global_load_b64 v[33:34], v[33:34], off
	global_load_b64 v[50:51], v[50:51], off
	;; [unrolled: 1-line block ×3, first 2 shown]
	v_cndmask_b32_e64 v58, v57, v5, s6
	v_cndmask_b32_e64 v57, v56, v8, s7
	v_add_co_u32 v31, vcc_lo, v31, 8
	v_add_co_ci_u32_e32 v32, vcc_lo, 0, v32, vcc_lo
	s_delay_alu instid0(VALU_DEP_4)
	v_cndmask_b32_e64 v56, v58, v7, s7
	s_add_u32 s18, s18, 1
	s_addc_u32 s19, s19, 0
	s_cmp_lg_u32 s40, s18
	s_waitcnt vmcnt(3)
	v_fma_f64 v[9:10], v[56:57], v[54:55], v[9:10]
	s_waitcnt vmcnt(2)
	v_fma_f64 v[11:12], v[56:57], v[33:34], v[11:12]
	;; [unrolled: 2-line block ×4, first 2 shown]
	s_cbranch_scc1 .LBB92_18
.LBB92_19:                              ;   in Loop: Header=BB92_9 Depth=1
	s_or_b32 exec_lo, exec_lo, s50
.LBB92_20:                              ;   in Loop: Header=BB92_9 Depth=1
	s_delay_alu instid0(SALU_CYCLE_1)
	s_or_b32 exec_lo, exec_lo, s49
	s_mov_b64 s[6:7], 0
	s_branch .LBB92_22
.LBB92_21:                              ;   in Loop: Header=BB92_22 Depth=2
	s_or_b32 exec_lo, exec_lo, s8
	s_cmp_eq_u32 s6, 3
	s_cselect_b32 vcc_lo, -1, 0
	s_cmp_eq_u32 s6, 2
	s_waitcnt lgkmcnt(0)
	s_delay_alu instid0(VALU_DEP_1)
	v_dual_cndmask_b32 v16, v16, v32 :: v_dual_cndmask_b32 v15, v15, v31
	s_cselect_b32 vcc_lo, -1, 0
	s_cmp_eq_u32 s6, 1
	v_dual_cndmask_b32 v14, v14, v32 :: v_dual_cndmask_b32 v13, v13, v31
	s_cselect_b32 vcc_lo, -1, 0
	s_cmp_eq_u32 s6, 0
	v_dual_cndmask_b32 v12, v12, v32 :: v_dual_cndmask_b32 v11, v11, v31
	s_cselect_b32 vcc_lo, -1, 0
	s_add_u32 s6, s6, 1
	v_dual_cndmask_b32 v10, v10, v32 :: v_dual_cndmask_b32 v9, v9, v31
	s_addc_u32 s7, s7, 0
	s_cmp_eq_u32 s6, 4
	s_cbranch_scc1 .LBB92_30
.LBB92_22:                              ;   Parent Loop BB92_9 Depth=1
                                        ; =>  This Inner Loop Header: Depth=2
	s_and_saveexec_b32 s8, s0
	s_cbranch_execz .LBB92_24
; %bb.23:                               ;   in Loop: Header=BB92_22 Depth=2
	v_mov_b32_e32 v31, v30
	ds_store_b64 v46, v[30:31]
.LBB92_24:                              ;   in Loop: Header=BB92_22 Depth=2
	s_or_b32 exec_lo, exec_lo, s8
	s_cmp_eq_u32 s6, 1
	s_waitcnt lgkmcnt(0)
	s_waitcnt_vscnt null, 0x0
	s_cselect_b32 vcc_lo, -1, 0
	s_cmp_eq_u32 s6, 2
	s_delay_alu instid0(VALU_DEP_1) | instskip(SKIP_3) | instid1(VALU_DEP_1)
	v_dual_cndmask_b32 v31, v10, v12 :: v_dual_cndmask_b32 v32, v9, v11
	s_cselect_b32 vcc_lo, -1, 0
	s_cmp_eq_u32 s6, 3
	s_barrier
	v_cndmask_b32_e32 v31, v31, v14, vcc_lo
	s_delay_alu instid0(VALU_DEP_4)
	v_cndmask_b32_e32 v33, v32, v13, vcc_lo
	s_cselect_b32 vcc_lo, -1, 0
	buffer_gl0_inv
	v_dual_cndmask_b32 v32, v31, v16 :: v_dual_cndmask_b32 v31, v33, v15
	ds_bpermute_b32 v34, v41, v32
	ds_bpermute_b32 v33, v41, v31
	s_waitcnt lgkmcnt(0)
	v_add_f64 v[31:32], v[31:32], v[33:34]
	ds_bpermute_b32 v33, v42, v31
	ds_bpermute_b32 v34, v42, v32
	s_waitcnt lgkmcnt(0)
	v_add_f64 v[31:32], v[31:32], v[33:34]
	;; [unrolled: 4-line block ×4, first 2 shown]
	ds_bpermute_b32 v33, v45, v31
	ds_bpermute_b32 v34, v45, v32
	s_and_saveexec_b32 s8, s4
	s_cbranch_execz .LBB92_26
; %bb.25:                               ;   in Loop: Header=BB92_22 Depth=2
	s_waitcnt lgkmcnt(0)
	v_add_f64 v[31:32], v[31:32], v[33:34]
	ds_store_b64 v47, v[31:32]
.LBB92_26:                              ;   in Loop: Header=BB92_22 Depth=2
	s_or_b32 exec_lo, exec_lo, s8
	v_mov_b32_e32 v31, 0
	v_mov_b32_e32 v32, 0
	s_waitcnt lgkmcnt(0)
	s_barrier
	buffer_gl0_inv
	s_and_saveexec_b32 s8, s1
	s_cbranch_execz .LBB92_28
; %bb.27:                               ;   in Loop: Header=BB92_22 Depth=2
	ds_load_b64 v[31:32], v46
.LBB92_28:                              ;   in Loop: Header=BB92_22 Depth=2
	s_or_b32 exec_lo, exec_lo, s8
	s_and_saveexec_b32 s8, s0
	s_cbranch_execz .LBB92_21
; %bb.29:                               ;   in Loop: Header=BB92_22 Depth=2
	s_waitcnt lgkmcnt(0)
	ds_bpermute_b32 v33, v43, v31
	ds_bpermute_b32 v34, v43, v32
	s_waitcnt lgkmcnt(0)
	v_add_f64 v[31:32], v[31:32], v[33:34]
	ds_bpermute_b32 v33, v44, v31
	ds_bpermute_b32 v34, v44, v32
	s_waitcnt lgkmcnt(0)
	v_add_f64 v[31:32], v[31:32], v[33:34]
	;; [unrolled: 4-line block ×3, first 2 shown]
	s_branch .LBB92_21
.LBB92_30:                              ;   in Loop: Header=BB92_9 Depth=1
	s_and_saveexec_b32 s6, s5
	s_cbranch_execz .LBB92_8
; %bb.31:                               ;   in Loop: Header=BB92_9 Depth=1
	v_mul_f64 v[9:10], v[9:10], s[26:27]
	v_mul_f64 v[11:12], v[11:12], s[26:27]
	;; [unrolled: 1-line block ×4, first 2 shown]
	s_mul_i32 s7, s13, s10
	s_mov_b32 s19, s16
	s_add_i32 s18, s7, s14
	s_delay_alu instid0(SALU_CYCLE_1) | instskip(NEXT) | instid1(SALU_CYCLE_1)
	s_lshl_b64 s[20:21], s[18:19], 3
	s_add_u32 s20, s42, s20
	s_addc_u32 s21, s41, s21
	s_add_i32 s18, s18, s10
	s_delay_alu instid0(SALU_CYCLE_1) | instskip(NEXT) | instid1(SALU_CYCLE_1)
	s_lshl_b64 s[22:23], s[18:19], 3
	s_add_u32 s22, s42, s22
	s_addc_u32 s23, s41, s23
	;; [unrolled: 5-line block ×4, first 2 shown]
	s_clause 0x3
	global_store_b64 v30, v[9:10], s[20:21]
	global_store_b64 v30, v[11:12], s[22:23]
	;; [unrolled: 1-line block ×4, first 2 shown]
	s_branch .LBB92_8
.LBB92_32:
	s_mov_b32 s13, 0
                                        ; implicit-def: $vgpr1_vgpr2_vgpr3_vgpr4_vgpr5_vgpr6_vgpr7_vgpr8
.LBB92_33:
	s_delay_alu instid0(SALU_CYCLE_1)
	s_cmp_ge_i32 s13, s25
	s_cbranch_scc1 .LBB92_57
; %bb.34:
	v_cmp_gt_u32_e32 vcc_lo, 16, v37
	v_lshlrev_b32_e32 v24, 3, v18
	v_cmp_eq_u32_e64 s3, 0, v18
	v_ashrrev_i32_e32 v18, 31, v17
	s_cmp_gt_i32 s40, 0
	v_cndmask_b32_e64 v9, 0, 1, vcc_lo
	v_cmp_gt_u32_e32 vcc_lo, 24, v37
	s_mov_b32 s15, 0
	s_cselect_b32 s20, -1, 0
	s_lshl_b64 s[6:7], s[14:15], 3
	v_lshlrev_b32_e32 v9, 4, v9
	v_cndmask_b32_e64 v10, 0, 1, vcc_lo
	v_cmp_gt_u32_e32 vcc_lo, 28, v37
	s_add_u32 s14, s42, s6
	s_addc_u32 s21, s41, s7
	s_add_u32 s6, s34, s30
	v_lshlrev_b32_e32 v10, 3, v10
	v_cndmask_b32_e64 v11, 0, 1, vcc_lo
	v_cmp_gt_u32_e32 vcc_lo, 30, v37
	s_addc_u32 s7, s35, s31
	s_add_u32 s6, s28, s6
	v_add_lshl_u32 v26, v10, v37, 2
	v_lshlrev_b32_e32 v11, 2, v11
	v_cndmask_b32_e64 v12, 0, 1, vcc_lo
	v_cmp_ne_u32_e32 vcc_lo, 31, v37
	v_cmp_gt_u32_e64 s2, 32, v0
	v_cmp_gt_u32_e64 s4, 8, v0
	v_add_lshl_u32 v27, v11, v37, 2
	v_lshlrev_b32_e32 v12, 1, v12
	v_add_co_ci_u32_e32 v13, vcc_lo, 0, v37, vcc_lo
	v_cmp_eq_u32_e64 s5, 0, v0
	s_addc_u32 s7, s29, s7
	s_delay_alu instid0(VALU_DEP_3) | instskip(NEXT) | instid1(VALU_DEP_3)
	v_add_lshl_u32 v28, v12, v37, 2
	v_lshlrev_b32_e32 v29, 2, v13
	v_lshlrev_b64 v[13:14], 3, v[17:18]
	v_mov_b32_e32 v18, 0
	v_add_lshl_u32 v25, v9, v37, 2
	v_add_nc_u32_e32 v9, s33, v17
	v_cmp_ge_i32_e64 s0, s24, v39
	v_cmp_ge_i32_e64 s1, s24, v40
	v_and_b32_e32 v30, 56, v38
	s_mul_i32 s16, s13, s12
	v_add_nc_u32_e32 v11, s33, v9
	v_ashrrev_i32_e32 v10, 31, v9
	s_delay_alu instid0(VALU_DEP_2) | instskip(NEXT) | instid1(VALU_DEP_2)
	v_add_nc_u32_e32 v21, s33, v11
	v_lshlrev_b64 v[15:16], 3, v[9:10]
	v_ashrrev_i32_e32 v12, 31, v11
	v_add_co_u32 v9, vcc_lo, s9, v13
	s_delay_alu instid0(VALU_DEP_4) | instskip(SKIP_1) | instid1(VALU_DEP_4)
	v_ashrrev_i32_e32 v22, 31, v21
	v_add_co_ci_u32_e32 v10, vcc_lo, s11, v14, vcc_lo
	v_lshlrev_b64 v[13:14], 3, v[11:12]
	v_add_co_u32 v11, vcc_lo, s9, v15
	v_add_co_ci_u32_e32 v12, vcc_lo, s11, v16, vcc_lo
	v_lshlrev_b64 v[15:16], 3, v[21:22]
	s_delay_alu instid0(VALU_DEP_4) | instskip(SKIP_1) | instid1(VALU_DEP_3)
	v_add_co_u32 v13, vcc_lo, s9, v13
	v_add_co_ci_u32_e32 v14, vcc_lo, s11, v14, vcc_lo
	v_add_co_u32 v15, vcc_lo, s9, v15
	s_delay_alu instid0(VALU_DEP_4)
	v_add_co_ci_u32_e32 v16, vcc_lo, s11, v16, vcc_lo
	v_add_co_u32 v0, vcc_lo, s6, v19
	v_add_co_ci_u32_e32 v31, vcc_lo, s7, v20, vcc_lo
	s_branch .LBB92_36
.LBB92_35:                              ;   in Loop: Header=BB92_36 Depth=1
	s_or_b32 exec_lo, exec_lo, s6
	s_add_i32 s13, s13, 1
	s_add_i32 s16, s16, s12
	s_cmp_ge_i32 s13, s25
	s_cbranch_scc1 .LBB92_57
.LBB92_36:                              ; =>This Loop Header: Depth=1
                                        ;     Child Loop BB92_49 Depth 2
                                        ;     Child Loop BB92_52 Depth 2
	s_waitcnt lgkmcnt(0)
	v_dual_mov_b32 v20, s15 :: v_dual_mov_b32 v21, s15
	s_and_saveexec_b32 s6, s0
	s_delay_alu instid0(SALU_CYCLE_1)
	s_xor_b32 s6, exec_lo, s6
	s_cbranch_execnz .LBB92_45
; %bb.37:                               ;   in Loop: Header=BB92_36 Depth=1
	s_and_not1_saveexec_b32 s22, s6
	s_cbranch_execnz .LBB92_46
.LBB92_38:                              ;   in Loop: Header=BB92_36 Depth=1
	s_or_b32 exec_lo, exec_lo, s22
	s_and_saveexec_b32 s6, s2
	s_cbranch_execz .LBB92_40
.LBB92_39:                              ;   in Loop: Header=BB92_36 Depth=1
	v_mov_b32_e32 v19, v18
	ds_store_b64 v24, v[18:19]
.LBB92_40:                              ;   in Loop: Header=BB92_36 Depth=1
	s_or_b32 exec_lo, exec_lo, s6
	ds_bpermute_b32 v22, v25, v20
	ds_bpermute_b32 v23, v25, v21
	s_waitcnt lgkmcnt(0)
	s_waitcnt_vscnt null, 0x0
	s_barrier
	buffer_gl0_inv
	v_add_f64 v[19:20], v[20:21], v[22:23]
	ds_bpermute_b32 v21, v26, v19
	ds_bpermute_b32 v22, v26, v20
	s_waitcnt lgkmcnt(0)
	v_add_f64 v[19:20], v[19:20], v[21:22]
	ds_bpermute_b32 v21, v27, v19
	ds_bpermute_b32 v22, v27, v20
	s_waitcnt lgkmcnt(0)
	;; [unrolled: 4-line block ×3, first 2 shown]
	v_add_f64 v[19:20], v[19:20], v[21:22]
	ds_bpermute_b32 v21, v29, v19
	ds_bpermute_b32 v22, v29, v20
	s_and_saveexec_b32 s6, s3
	s_cbranch_execz .LBB92_42
; %bb.41:                               ;   in Loop: Header=BB92_36 Depth=1
	s_waitcnt lgkmcnt(0)
	v_add_f64 v[19:20], v[19:20], v[21:22]
	ds_store_b64 v30, v[19:20]
.LBB92_42:                              ;   in Loop: Header=BB92_36 Depth=1
	s_or_b32 exec_lo, exec_lo, s6
	v_mov_b32_e32 v19, 0
	v_mov_b32_e32 v20, 0
	s_waitcnt lgkmcnt(0)
	s_barrier
	buffer_gl0_inv
	s_and_saveexec_b32 s6, s4
	s_cbranch_execnz .LBB92_54
; %bb.43:                               ;   in Loop: Header=BB92_36 Depth=1
	s_or_b32 exec_lo, exec_lo, s6
	s_and_saveexec_b32 s6, s2
	s_cbranch_execnz .LBB92_55
.LBB92_44:                              ;   in Loop: Header=BB92_36 Depth=1
	s_or_b32 exec_lo, exec_lo, s6
	s_and_saveexec_b32 s6, s5
	s_cbranch_execz .LBB92_35
	s_branch .LBB92_56
.LBB92_45:                              ;   in Loop: Header=BB92_36 Depth=1
	s_mul_i32 s18, s13, s12
	s_delay_alu instid0(SALU_CYCLE_1) | instskip(NEXT) | instid1(SALU_CYCLE_1)
	s_ashr_i32 s19, s18, 31
	s_lshl_b64 s[18:19], s[18:19], 3
	s_delay_alu instid0(SALU_CYCLE_1)
	v_add_co_u32 v5, vcc_lo, v35, s18
	v_add_co_ci_u32_e32 v6, vcc_lo, s19, v36, vcc_lo
	global_load_b128 v[19:22], v[5:6], off
	s_clause 0x1
	global_load_b64 v[1:2], v[9:10], off
	global_load_b64 v[3:4], v[11:12], off
	global_load_b128 v[37:40], v[5:6], off offset:16
	s_clause 0x1
	global_load_b64 v[5:6], v[13:14], off
	global_load_b64 v[7:8], v[15:16], off
	s_waitcnt vmcnt(4)
	v_fma_f64 v[19:20], v[1:2], v[19:20], 0
	s_waitcnt vmcnt(3)
	s_delay_alu instid0(VALU_DEP_1) | instskip(SKIP_1) | instid1(VALU_DEP_1)
	v_fma_f64 v[19:20], v[3:4], v[21:22], v[19:20]
	s_waitcnt vmcnt(1)
	v_fma_f64 v[19:20], v[5:6], v[37:38], v[19:20]
	s_waitcnt vmcnt(0)
	s_delay_alu instid0(VALU_DEP_1)
	v_fma_f64 v[20:21], v[7:8], v[39:40], v[19:20]
	s_and_not1_saveexec_b32 s22, s6
	s_cbranch_execz .LBB92_38
.LBB92_46:                              ;   in Loop: Header=BB92_36 Depth=1
	s_and_saveexec_b32 s23, s1
	s_cbranch_execz .LBB92_53
; %bb.47:                               ;   in Loop: Header=BB92_36 Depth=1
	s_and_not1_b32 vcc_lo, exec_lo, s20
	s_cbranch_vccnz .LBB92_50
; %bb.48:                               ;   in Loop: Header=BB92_36 Depth=1
	v_mov_b32_e32 v22, v17
	s_mov_b64 s[18:19], 0
	s_set_inst_prefetch_distance 0x1
	.p2align	6
.LBB92_49:                              ;   Parent Loop BB92_36 Depth=1
                                        ; =>  This Inner Loop Header: Depth=2
	s_delay_alu instid0(VALU_DEP_1) | instskip(SKIP_1) | instid1(VALU_DEP_1)
	v_ashrrev_i32_e32 v23, 31, v22
	s_cmp_eq_u32 s18, 3
	v_lshlrev_b64 v[32:33], 3, v[22:23]
	s_delay_alu instid0(VALU_DEP_1) | instskip(NEXT) | instid1(VALU_DEP_2)
	v_add_co_u32 v32, vcc_lo, s9, v32
	v_add_co_ci_u32_e32 v33, vcc_lo, s11, v33, vcc_lo
	s_cselect_b32 vcc_lo, -1, 0
	s_cmp_eq_u32 s18, 2
	s_cselect_b32 s6, -1, 0
	global_load_b64 v[32:33], v[32:33], off
	s_cmp_eq_u32 s18, 1
	v_add_nc_u32_e32 v22, s33, v22
	s_cselect_b32 s7, -1, 0
	s_cmp_eq_u32 s18, 0
	s_cselect_b32 s8, -1, 0
	s_add_u32 s18, s18, 1
	s_addc_u32 s19, s19, 0
	s_cmp_eq_u32 s40, s18
	s_waitcnt vmcnt(0)
	v_dual_cndmask_b32 v7, v7, v32 :: v_dual_cndmask_b32 v8, v8, v33
	v_cndmask_b32_e64 v6, v6, v33, s6
	v_cndmask_b32_e64 v5, v5, v32, s6
	;; [unrolled: 1-line block ×6, first 2 shown]
	s_cbranch_scc0 .LBB92_49
.LBB92_50:                              ;   in Loop: Header=BB92_36 Depth=1
	s_set_inst_prefetch_distance 0x2
	s_and_not1_b32 vcc_lo, exec_lo, s20
	s_cbranch_vccnz .LBB92_53
; %bb.51:                               ;   in Loop: Header=BB92_36 Depth=1
	s_ashr_i32 s17, s16, 31
	s_delay_alu instid0(SALU_CYCLE_1) | instskip(NEXT) | instid1(SALU_CYCLE_1)
	s_lshl_b64 s[6:7], s[16:17], 3
	v_add_co_u32 v22, vcc_lo, v0, s6
	v_add_co_ci_u32_e32 v23, vcc_lo, s7, v31, vcc_lo
	s_mov_b64 s[6:7], 0
	.p2align	6
.LBB92_52:                              ;   Parent Loop BB92_36 Depth=1
                                        ; =>  This Inner Loop Header: Depth=2
	global_load_b64 v[32:33], v[22:23], off
	s_cmp_eq_u32 s6, 1
	s_cselect_b32 vcc_lo, -1, 0
	s_cmp_eq_u32 s6, 2
	v_dual_cndmask_b32 v19, v2, v4 :: v_dual_cndmask_b32 v34, v1, v3
	s_cselect_b32 vcc_lo, -1, 0
	s_cmp_eq_u32 s6, 3
	s_delay_alu instid0(VALU_DEP_1) | instskip(SKIP_3) | instid1(VALU_DEP_1)
	v_dual_cndmask_b32 v19, v19, v6 :: v_dual_cndmask_b32 v34, v34, v5
	s_cselect_b32 vcc_lo, -1, 0
	s_add_u32 s6, s6, 1
	s_addc_u32 s7, s7, 0
	v_dual_cndmask_b32 v38, v19, v8 :: v_dual_cndmask_b32 v37, v34, v7
	v_add_co_u32 v22, vcc_lo, v22, 8
	v_add_co_ci_u32_e32 v23, vcc_lo, 0, v23, vcc_lo
	s_cmp_lg_u32 s40, s6
	s_waitcnt vmcnt(0)
	v_fma_f64 v[20:21], v[37:38], v[32:33], v[20:21]
	s_cbranch_scc1 .LBB92_52
.LBB92_53:                              ;   in Loop: Header=BB92_36 Depth=1
	s_or_b32 exec_lo, exec_lo, s23
	s_delay_alu instid0(SALU_CYCLE_1)
	s_or_b32 exec_lo, exec_lo, s22
	s_and_saveexec_b32 s6, s2
	s_cbranch_execnz .LBB92_39
	s_branch .LBB92_40
.LBB92_54:                              ;   in Loop: Header=BB92_36 Depth=1
	ds_load_b64 v[19:20], v24
	s_or_b32 exec_lo, exec_lo, s6
	s_and_saveexec_b32 s6, s2
	s_cbranch_execz .LBB92_44
.LBB92_55:                              ;   in Loop: Header=BB92_36 Depth=1
	s_waitcnt lgkmcnt(0)
	ds_bpermute_b32 v21, v27, v19
	ds_bpermute_b32 v22, v27, v20
	s_waitcnt lgkmcnt(0)
	v_add_f64 v[19:20], v[19:20], v[21:22]
	ds_bpermute_b32 v21, v28, v19
	ds_bpermute_b32 v22, v28, v20
	s_waitcnt lgkmcnt(0)
	v_add_f64 v[19:20], v[19:20], v[21:22]
	;; [unrolled: 4-line block ×3, first 2 shown]
	s_or_b32 exec_lo, exec_lo, s6
	s_and_saveexec_b32 s6, s5
	s_cbranch_execz .LBB92_35
.LBB92_56:                              ;   in Loop: Header=BB92_36 Depth=1
	s_waitcnt lgkmcnt(0)
	s_delay_alu instid0(VALU_DEP_1) | instskip(SKIP_2) | instid1(SALU_CYCLE_1)
	v_mul_f64 v[19:20], v[19:20], s[26:27]
	s_mul_hi_u32 s19, s13, s10
	s_mul_i32 s18, s13, s10
	s_lshl_b64 s[18:19], s[18:19], 3
	s_delay_alu instid0(SALU_CYCLE_1)
	s_add_u32 s18, s14, s18
	s_addc_u32 s19, s21, s19
	global_store_b64 v18, v[19:20], s[18:19]
	s_branch .LBB92_35
.LBB92_57:
	s_nop 0
	s_sendmsg sendmsg(MSG_DEALLOC_VGPRS)
	s_endpgm
	.section	.rodata,"a",@progbits
	.p2align	6, 0x0
	.amdhsa_kernel _ZL23rocblas_gemvt_sn_kernelILb1ELi256ELi4EidddEviiT4_lPKT3_lilS3_lilPT5_i
		.amdhsa_group_segment_fixed_size 256
		.amdhsa_private_segment_fixed_size 0
		.amdhsa_kernarg_size 360
		.amdhsa_user_sgpr_count 14
		.amdhsa_user_sgpr_dispatch_ptr 0
		.amdhsa_user_sgpr_queue_ptr 0
		.amdhsa_user_sgpr_kernarg_segment_ptr 1
		.amdhsa_user_sgpr_dispatch_id 0
		.amdhsa_user_sgpr_private_segment_size 0
		.amdhsa_wavefront_size32 1
		.amdhsa_uses_dynamic_stack 0
		.amdhsa_enable_private_segment 0
		.amdhsa_system_sgpr_workgroup_id_x 1
		.amdhsa_system_sgpr_workgroup_id_y 0
		.amdhsa_system_sgpr_workgroup_id_z 1
		.amdhsa_system_sgpr_workgroup_info 0
		.amdhsa_system_vgpr_workitem_id 0
		.amdhsa_next_free_vgpr 70
		.amdhsa_next_free_sgpr 54
		.amdhsa_reserve_vcc 1
		.amdhsa_float_round_mode_32 0
		.amdhsa_float_round_mode_16_64 0
		.amdhsa_float_denorm_mode_32 3
		.amdhsa_float_denorm_mode_16_64 3
		.amdhsa_dx10_clamp 1
		.amdhsa_ieee_mode 1
		.amdhsa_fp16_overflow 0
		.amdhsa_workgroup_processor_mode 1
		.amdhsa_memory_ordered 1
		.amdhsa_forward_progress 0
		.amdhsa_shared_vgpr_count 0
		.amdhsa_exception_fp_ieee_invalid_op 0
		.amdhsa_exception_fp_denorm_src 0
		.amdhsa_exception_fp_ieee_div_zero 0
		.amdhsa_exception_fp_ieee_overflow 0
		.amdhsa_exception_fp_ieee_underflow 0
		.amdhsa_exception_fp_ieee_inexact 0
		.amdhsa_exception_int_div_zero 0
	.end_amdhsa_kernel
	.section	.text._ZL23rocblas_gemvt_sn_kernelILb1ELi256ELi4EidddEviiT4_lPKT3_lilS3_lilPT5_i,"axG",@progbits,_ZL23rocblas_gemvt_sn_kernelILb1ELi256ELi4EidddEviiT4_lPKT3_lilS3_lilPT5_i,comdat
.Lfunc_end92:
	.size	_ZL23rocblas_gemvt_sn_kernelILb1ELi256ELi4EidddEviiT4_lPKT3_lilS3_lilPT5_i, .Lfunc_end92-_ZL23rocblas_gemvt_sn_kernelILb1ELi256ELi4EidddEviiT4_lPKT3_lilS3_lilPT5_i
                                        ; -- End function
	.section	.AMDGPU.csdata,"",@progbits
; Kernel info:
; codeLenInByte = 4012
; NumSgprs: 56
; NumVgprs: 70
; ScratchSize: 0
; MemoryBound: 1
; FloatMode: 240
; IeeeMode: 1
; LDSByteSize: 256 bytes/workgroup (compile time only)
; SGPRBlocks: 6
; VGPRBlocks: 8
; NumSGPRsForWavesPerEU: 56
; NumVGPRsForWavesPerEU: 70
; Occupancy: 16
; WaveLimiterHint : 1
; COMPUTE_PGM_RSRC2:SCRATCH_EN: 0
; COMPUTE_PGM_RSRC2:USER_SGPR: 14
; COMPUTE_PGM_RSRC2:TRAP_HANDLER: 0
; COMPUTE_PGM_RSRC2:TGID_X_EN: 1
; COMPUTE_PGM_RSRC2:TGID_Y_EN: 0
; COMPUTE_PGM_RSRC2:TGID_Z_EN: 1
; COMPUTE_PGM_RSRC2:TIDIG_COMP_CNT: 0
	.section	.text._ZL23rocblas_gemvt_sn_kernelILb1ELi256ELi4EldddEviiT4_lPKT3_lilS3_lilPT5_i,"axG",@progbits,_ZL23rocblas_gemvt_sn_kernelILb1ELi256ELi4EldddEviiT4_lPKT3_lilS3_lilPT5_i,comdat
	.globl	_ZL23rocblas_gemvt_sn_kernelILb1ELi256ELi4EldddEviiT4_lPKT3_lilS3_lilPT5_i ; -- Begin function _ZL23rocblas_gemvt_sn_kernelILb1ELi256ELi4EldddEviiT4_lPKT3_lilS3_lilPT5_i
	.p2align	8
	.type	_ZL23rocblas_gemvt_sn_kernelILb1ELi256ELi4EldddEviiT4_lPKT3_lilS3_lilPT5_i,@function
_ZL23rocblas_gemvt_sn_kernelILb1ELi256ELi4EldddEviiT4_lPKT3_lilS3_lilPT5_i: ; @_ZL23rocblas_gemvt_sn_kernelILb1ELi256ELi4EldddEviiT4_lPKT3_lilS3_lilPT5_i
; %bb.0:
	s_clause 0x2
	s_load_b128 s[24:27], s[0:1], 0x0
	s_load_b128 s[4:7], s[0:1], 0x50
	s_load_b32 s12, s[0:1], 0x68
	s_mov_b32 s13, 0
	s_waitcnt lgkmcnt(0)
	v_cmp_neq_f64_e64 s8, s[26:27], 0
	s_ashr_i32 s16, s25, 31
	s_mul_hi_u32 s2, s25, s15
	s_mul_i32 s3, s16, s15
	s_mul_i32 s9, s25, s15
	s_add_i32 s2, s2, s3
	s_mul_hi_u32 s3, s9, s12
	s_mul_i32 s10, s2, s12
	s_mul_i32 s2, s9, s12
	s_add_i32 s3, s3, s10
	s_delay_alu instid0(SALU_CYCLE_1) | instskip(NEXT) | instid1(SALU_CYCLE_1)
	s_lshl_b64 s[2:3], s[2:3], 3
	s_add_u32 s52, s6, s2
	v_cmp_eq_u32_e64 s2, 0, v0
	s_addc_u32 s53, s7, s3
	s_delay_alu instid0(VALU_DEP_2)
	s_and_b32 vcc_lo, exec_lo, s8
	s_cbranch_vccnz .LBB93_5
; %bb.1:
	s_cmp_gt_i32 s25, 0
	s_cselect_b32 s3, -1, 0
	s_delay_alu instid0(SALU_CYCLE_1) | instskip(NEXT) | instid1(SALU_CYCLE_1)
	s_and_b32 s2, s2, s3
	s_and_saveexec_b32 s8, s2
	s_cbranch_execz .LBB93_4
; %bb.2:
	v_mov_b32_e32 v1, 0
	s_mov_b32 s2, s15
	s_mov_b32 s15, 0
	;; [unrolled: 1-line block ×3, first 2 shown]
	s_lshl_b64 s[6:7], s[14:15], 3
	v_mov_b32_e32 v2, v1
	s_mov_b32 s15, s2
	s_add_u32 s2, s52, s6
	s_addc_u32 s3, s53, s7
	s_lshl_b64 s[6:7], s[12:13], 3
.LBB93_3:                               ; =>This Inner Loop Header: Depth=1
	s_add_i32 s9, s9, -1
	global_store_b64 v1, v[1:2], s[2:3]
	s_add_u32 s2, s2, s6
	s_addc_u32 s3, s3, s7
	s_cmp_eq_u32 s9, 0
	s_cbranch_scc0 .LBB93_3
.LBB93_4:
	s_or_b32 exec_lo, exec_lo, s8
	s_cbranch_execz .LBB93_6
	s_branch .LBB93_57
.LBB93_5:
.LBB93_6:
	s_clause 0x4
	s_load_b32 s34, s[0:1], 0x28
	s_load_b32 s36, s[0:1], 0x48
	s_load_b128 s[8:11], s[0:1], 0x30
	s_load_b64 s[2:3], s[0:1], 0x40
	s_load_b128 s[28:31], s[0:1], 0x18
	s_mul_i32 s1, s15, s5
	s_mul_hi_u32 s5, s15, s4
	s_mul_i32 s0, s15, s4
	s_add_i32 s1, s5, s1
	v_and_b32_e32 v40, 31, v0
	s_lshl_b64 s[38:39], s[0:1], 3
	v_mbcnt_lo_u32_b32 v43, -1, 0
	v_lshrrev_b32_e32 v45, 2, v0
	s_waitcnt lgkmcnt(0)
	s_ashr_i32 s35, s34, 31
	s_ashr_i32 s37, s36, 31
	s_add_u32 s4, s10, s38
	s_addc_u32 s5, s11, s39
	s_lshl_b64 s[42:43], s[2:3], 3
	s_mul_i32 s0, s15, s9
	s_mul_hi_u32 s1, s15, s8
	s_add_u32 s54, s4, s42
	s_mul_i32 s2, s15, s8
	s_addc_u32 s55, s5, s43
	s_add_i32 s3, s1, s0
	v_cmp_gt_u32_e64 s0, 32, v0
	s_lshl_b64 s[40:41], s[2:3], 3
	v_cmp_gt_u32_e64 s1, 8, v0
	s_add_u32 s2, s28, s40
	s_addc_u32 s3, s29, s41
	s_lshl_b64 s[30:31], s[30:31], 3
	s_delay_alu instid0(SALU_CYCLE_1)
	s_add_u32 s2, s2, s30
	s_addc_u32 s3, s3, s31
	s_lshl_b32 s4, s14, 10
	s_ashr_i32 s5, s24, 31
	v_lshl_or_b32 v21, v0, 2, s4
	s_lshr_b32 s4, s16, 30
	s_lshr_b32 s5, s5, 30
	s_add_i32 s4, s25, s4
	s_add_i32 s5, s24, s5
	v_ashrrev_i32_e32 v22, 31, v21
	s_and_b32 s56, s4, -4
	s_and_b32 s4, s5, -4
	v_add_nc_u32_e32 v46, 4, v21
	s_sub_i32 s13, s24, s4
	v_lshlrev_b64 v[19:20], 3, v[21:22]
	v_or_b32_e32 v44, 1, v21
	v_or_b32_e32 v42, 2, v21
	v_add_nc_u32_e32 v47, s13, v21
	v_or_b32_e32 v41, 3, v21
	s_cmp_lt_i32 s56, 1
	v_add_co_u32 v17, vcc_lo, s2, v19
	v_add_co_ci_u32_e32 v18, vcc_lo, s3, v20, vcc_lo
	s_cbranch_scc1 .LBB93_32
; %bb.7:
	v_cmp_gt_u32_e32 vcc_lo, 16, v43
	v_mad_i64_i32 v[7:8], null, s36, v41, 0
	s_mov_b32 s16, 0
	s_cmp_gt_i32 s13, 0
	v_cndmask_b32_e64 v1, 0, 1, vcc_lo
	v_cmp_gt_u32_e32 vcc_lo, 24, v43
	s_mov_b32 s15, s16
	s_cselect_b32 s57, -1, 0
	s_lshl_b64 s[6:7], s[14:15], 3
	v_dual_mov_b32 v32, 0 :: v_dual_lshlrev_b32 v1, 4, v1
	v_cndmask_b32_e64 v2, 0, 1, vcc_lo
	v_cmp_gt_u32_e32 vcc_lo, 28, v43
	s_add_u32 s15, s52, s6
	s_delay_alu instid0(VALU_DEP_3) | instskip(NEXT) | instid1(VALU_DEP_3)
	v_add_lshl_u32 v48, v1, v43, 2
	v_dual_mov_b32 v35, v18 :: v_dual_lshlrev_b32 v2, 3, v2
	v_cndmask_b32_e64 v3, 0, 1, vcc_lo
	v_cmp_gt_u32_e32 vcc_lo, 30, v43
	v_mov_b32_e32 v34, v17
	s_addc_u32 s58, s53, s7
	v_add_lshl_u32 v49, v2, v43, 2
	v_lshlrev_b32_e32 v3, 2, v3
	v_cndmask_b32_e64 v4, 0, 1, vcc_lo
	v_cmp_ne_u32_e32 vcc_lo, 31, v43
	v_mad_i64_i32 v[1:2], null, s36, v21, 0
	s_delay_alu instid0(VALU_DEP_4) | instskip(NEXT) | instid1(VALU_DEP_4)
	v_add_lshl_u32 v50, v3, v43, 2
	v_lshlrev_b32_e32 v4, 1, v4
	v_add_co_ci_u32_e32 v5, vcc_lo, 0, v43, vcc_lo
	s_add_u32 s6, s10, s42
	s_addc_u32 s7, s11, s43
	s_delay_alu instid0(VALU_DEP_2)
	v_add_lshl_u32 v51, v4, v43, 2
	v_mad_i64_i32 v[3:4], null, s36, v44, 0
	v_lshlrev_b32_e32 v52, 2, v5
	v_lshlrev_b64 v[1:2], 3, v[1:2]
	v_mad_i64_i32 v[5:6], null, s36, v42, 0
	s_add_u32 s6, s6, s38
	s_addc_u32 s7, s7, s39
	s_delay_alu instid0(VALU_DEP_4) | instskip(NEXT) | instid1(VALU_DEP_3)
	v_lshlrev_b64 v[3:4], 3, v[3:4]
	v_add_co_u32 v22, vcc_lo, s54, v1
	v_add_co_ci_u32_e32 v23, vcc_lo, s55, v2, vcc_lo
	s_delay_alu instid0(VALU_DEP_4) | instskip(NEXT) | instid1(VALU_DEP_4)
	v_lshlrev_b64 v[5:6], 3, v[5:6]
	v_add_co_u32 v24, vcc_lo, s54, v3
	v_add_co_ci_u32_e32 v25, vcc_lo, s55, v4, vcc_lo
	v_lshlrev_b64 v[3:4], 3, v[7:8]
	s_delay_alu instid0(VALU_DEP_4) | instskip(SKIP_2) | instid1(VALU_DEP_4)
	v_add_co_u32 v26, vcc_lo, s54, v5
	v_add_co_ci_u32_e32 v27, vcc_lo, s55, v6, vcc_lo
	v_cmp_ge_i32_e64 s2, s24, v46
	v_add_co_u32 v28, vcc_lo, s54, v3
	v_add_co_ci_u32_e32 v29, vcc_lo, s55, v4, vcc_lo
	v_add_co_u32 v30, vcc_lo, s6, v1
	v_cmp_ge_i32_e64 s3, s24, v47
	v_cmp_eq_u32_e64 s4, 0, v40
	v_lshlrev_b32_e32 v53, 3, v40
	v_and_b32_e32 v54, 56, v45
	v_cmp_eq_u32_e64 s5, 0, v0
	v_add_co_ci_u32_e32 v31, vcc_lo, s7, v2, vcc_lo
	s_lshl_b64 s[44:45], s[36:37], 3
	s_lshl_b64 s[46:47], s[34:35], 5
	;; [unrolled: 1-line block ×4, first 2 shown]
	s_mul_hi_i32 s59, s34, 24
	s_mul_i32 s60, s34, 24
	s_mov_b32 s33, 0
                                        ; implicit-def: $vgpr1_vgpr2_vgpr3_vgpr4_vgpr5_vgpr6_vgpr7_vgpr8
	s_branch .LBB93_9
.LBB93_8:                               ;   in Loop: Header=BB93_9 Depth=1
	s_or_b32 exec_lo, exec_lo, s6
	v_add_co_u32 v34, vcc_lo, v34, s46
	v_add_co_ci_u32_e32 v35, vcc_lo, s47, v35, vcc_lo
	s_add_i32 s33, s33, 4
	s_delay_alu instid0(SALU_CYCLE_1)
	s_cmp_ge_i32 s33, s56
	s_cbranch_scc1 .LBB93_33
.LBB93_9:                               ; =>This Loop Header: Depth=1
                                        ;     Child Loop BB93_15 Depth 2
                                        ;     Child Loop BB93_18 Depth 2
	;; [unrolled: 1-line block ×3, first 2 shown]
                                        ; implicit-def: $vgpr9_vgpr10_vgpr11_vgpr12_vgpr13_vgpr14_vgpr15_vgpr16
	s_and_saveexec_b32 s6, s2
	s_delay_alu instid0(SALU_CYCLE_1)
	s_xor_b32 s6, exec_lo, s6
	s_cbranch_execz .LBB93_11
; %bb.10:                               ;   in Loop: Header=BB93_9 Depth=1
	s_mul_i32 s7, s33, s35
	s_mul_hi_u32 s8, s33, s34
	s_delay_alu instid0(SALU_CYCLE_1)
	s_add_i32 s9, s8, s7
	s_mul_i32 s8, s33, s34
	s_or_b32 s7, s33, 1
	s_lshl_b64 s[8:9], s[8:9], 3
	s_mul_i32 s17, s7, s35
	s_mul_hi_u32 s18, s7, s34
	v_add_co_u32 v5, vcc_lo, v17, s8
	v_add_co_ci_u32_e32 v6, vcc_lo, s9, v18, vcc_lo
	s_add_i32 s9, s18, s17
	s_mul_i32 s8, s7, s34
	s_or_b32 s7, s33, 2
	s_lshl_b64 s[8:9], s[8:9], 3
	s_mul_i32 s17, s7, s35
	s_mul_hi_u32 s18, s7, s34
	v_add_co_u32 v7, vcc_lo, v17, s8
	v_add_co_ci_u32_e32 v8, vcc_lo, s9, v18, vcc_lo
	s_add_i32 s9, s18, s17
	s_or_b32 s17, s33, 3
	s_mul_i32 s8, s7, s34
	s_mul_i32 s7, s17, s35
	s_mul_hi_u32 s18, s17, s34
	s_lshl_b64 s[8:9], s[8:9], 3
	s_add_i32 s19, s18, s7
	s_mul_i32 s18, s17, s34
	v_add_co_u32 v67, vcc_lo, v17, s8
	v_add_co_ci_u32_e32 v68, vcc_lo, s9, v18, vcc_lo
	s_lshl_b64 s[8:9], s[18:19], 3
	s_delay_alu instid0(SALU_CYCLE_1)
	v_add_co_u32 v71, vcc_lo, v17, s8
	v_add_co_ci_u32_e32 v72, vcc_lo, s9, v18, vcc_lo
	global_load_b64 v[1:2], v[22:23], off
	s_clause 0x3
	global_load_b128 v[9:12], v[5:6], off
	global_load_b128 v[13:16], v[7:8], off
	;; [unrolled: 1-line block ×4, first 2 shown]
	global_load_b64 v[3:4], v[24:25], off
	global_load_b128 v[59:62], v[5:6], off offset:16
	global_load_b64 v[5:6], v[26:27], off
	s_clause 0x2
	global_load_b128 v[63:66], v[7:8], off offset:16
	global_load_b128 v[67:70], v[67:68], off offset:16
	;; [unrolled: 1-line block ×3, first 2 shown]
	global_load_b64 v[7:8], v[28:29], off
	s_waitcnt vmcnt(10)
	v_fma_f64 v[9:10], v[1:2], v[9:10], 0
	s_waitcnt vmcnt(9)
	v_fma_f64 v[13:14], v[1:2], v[13:14], 0
	;; [unrolled: 2-line block ×4, first 2 shown]
	s_waitcnt vmcnt(6)
	s_delay_alu instid0(VALU_DEP_4) | instskip(NEXT) | instid1(VALU_DEP_4)
	v_fma_f64 v[9:10], v[3:4], v[11:12], v[9:10]
	v_fma_f64 v[11:12], v[3:4], v[15:16], v[13:14]
	s_delay_alu instid0(VALU_DEP_4) | instskip(NEXT) | instid1(VALU_DEP_4)
	v_fma_f64 v[13:14], v[3:4], v[38:39], v[36:37]
	v_fma_f64 v[15:16], v[3:4], v[57:58], v[55:56]
	s_waitcnt vmcnt(4)
	s_delay_alu instid0(VALU_DEP_4) | instskip(SKIP_1) | instid1(VALU_DEP_4)
	v_fma_f64 v[9:10], v[5:6], v[59:60], v[9:10]
	s_waitcnt vmcnt(3)
	v_fma_f64 v[11:12], v[5:6], v[63:64], v[11:12]
	s_waitcnt vmcnt(2)
	s_delay_alu instid0(VALU_DEP_4) | instskip(SKIP_1) | instid1(VALU_DEP_4)
	v_fma_f64 v[13:14], v[5:6], v[67:68], v[13:14]
	s_waitcnt vmcnt(1)
	v_fma_f64 v[15:16], v[5:6], v[71:72], v[15:16]
	s_waitcnt vmcnt(0)
	s_delay_alu instid0(VALU_DEP_4) | instskip(NEXT) | instid1(VALU_DEP_4)
	v_fma_f64 v[9:10], v[7:8], v[61:62], v[9:10]
	v_fma_f64 v[11:12], v[7:8], v[65:66], v[11:12]
	s_delay_alu instid0(VALU_DEP_4) | instskip(NEXT) | instid1(VALU_DEP_4)
	v_fma_f64 v[13:14], v[7:8], v[69:70], v[13:14]
	v_fma_f64 v[15:16], v[7:8], v[73:74], v[15:16]
.LBB93_11:                              ;   in Loop: Header=BB93_9 Depth=1
	s_and_not1_saveexec_b32 s61, s6
	s_cbranch_execz .LBB93_20
; %bb.12:                               ;   in Loop: Header=BB93_9 Depth=1
	s_mov_b32 s17, s16
	s_mov_b32 s18, s16
	;; [unrolled: 1-line block ×7, first 2 shown]
	v_dual_mov_b32 v9, s16 :: v_dual_mov_b32 v10, s17
	v_dual_mov_b32 v11, s18 :: v_dual_mov_b32 v12, s19
	;; [unrolled: 1-line block ×4, first 2 shown]
	s_and_saveexec_b32 s62, s3
	s_cbranch_execz .LBB93_19
; %bb.13:                               ;   in Loop: Header=BB93_9 Depth=1
	s_and_not1_b32 vcc_lo, exec_lo, s57
	s_cbranch_vccnz .LBB93_16
; %bb.14:                               ;   in Loop: Header=BB93_9 Depth=1
	v_dual_mov_b32 v9, v30 :: v_dual_mov_b32 v10, v31
	s_mov_b64 s[18:19], 0
	.p2align	6
.LBB93_15:                              ;   Parent Loop BB93_9 Depth=1
                                        ; =>  This Inner Loop Header: Depth=2
	global_load_b64 v[11:12], v[9:10], off
	v_add_co_u32 v9, vcc_lo, v9, s44
	s_cmp_eq_u32 s18, 3
	v_add_co_ci_u32_e32 v10, vcc_lo, s45, v10, vcc_lo
	s_cselect_b32 vcc_lo, -1, 0
	s_cmp_eq_u32 s18, 2
	s_cselect_b32 s6, -1, 0
	s_cmp_eq_u32 s18, 1
	s_cselect_b32 s7, -1, 0
	;; [unrolled: 2-line block ×3, first 2 shown]
	s_add_u32 s18, s18, 1
	s_addc_u32 s19, s19, 0
	s_cmp_eq_u32 s13, s18
	s_waitcnt vmcnt(0)
	v_dual_cndmask_b32 v8, v8, v12 :: v_dual_cndmask_b32 v7, v7, v11
	v_cndmask_b32_e64 v6, v6, v12, s6
	v_cndmask_b32_e64 v5, v5, v11, s6
	;; [unrolled: 1-line block ×6, first 2 shown]
	s_cbranch_scc0 .LBB93_15
.LBB93_16:                              ;   in Loop: Header=BB93_9 Depth=1
	s_mov_b32 s17, s16
	s_mov_b32 s18, s16
	;; [unrolled: 1-line block ×7, first 2 shown]
	v_dual_mov_b32 v9, s16 :: v_dual_mov_b32 v10, s17
	v_dual_mov_b32 v11, s18 :: v_dual_mov_b32 v12, s19
	;; [unrolled: 1-line block ×4, first 2 shown]
	s_and_not1_b32 vcc_lo, exec_lo, s57
	s_cbranch_vccnz .LBB93_19
; %bb.17:                               ;   in Loop: Header=BB93_9 Depth=1
	v_mov_b32_e32 v9, 0
	v_dual_mov_b32 v10, 0 :: v_dual_mov_b32 v37, v35
	v_mov_b32_e32 v36, v34
	s_mov_b64 s[8:9], 0
	s_delay_alu instid0(VALU_DEP_2)
	v_dual_mov_b32 v12, v10 :: v_dual_mov_b32 v11, v9
	v_dual_mov_b32 v14, v10 :: v_dual_mov_b32 v13, v9
	;; [unrolled: 1-line block ×3, first 2 shown]
	s_set_inst_prefetch_distance 0x1
	.p2align	6
.LBB93_18:                              ;   Parent Loop BB93_9 Depth=1
                                        ; =>  This Inner Loop Header: Depth=2
	v_add_co_u32 v38, vcc_lo, v36, s48
	v_add_co_ci_u32_e32 v39, vcc_lo, s49, v37, vcc_lo
	v_add_co_u32 v55, vcc_lo, v36, s50
	v_add_co_ci_u32_e32 v56, vcc_lo, s51, v37, vcc_lo
	;; [unrolled: 2-line block ×3, first 2 shown]
	s_clause 0x3
	global_load_b64 v[59:60], v[36:37], off
	global_load_b64 v[38:39], v[38:39], off
	;; [unrolled: 1-line block ×4, first 2 shown]
	s_cmp_eq_u32 s8, 1
	s_cselect_b32 vcc_lo, -1, 0
	s_cmp_eq_u32 s8, 2
	v_cndmask_b32_e32 v33, v2, v4, vcc_lo
	v_cndmask_b32_e32 v61, v1, v3, vcc_lo
	s_cselect_b32 vcc_lo, -1, 0
	s_cmp_eq_u32 s8, 3
	s_delay_alu instid0(VALU_DEP_2) | instskip(NEXT) | instid1(VALU_DEP_2)
	v_cndmask_b32_e32 v33, v33, v6, vcc_lo
	v_cndmask_b32_e32 v61, v61, v5, vcc_lo
	s_cselect_b32 s6, -1, 0
	v_add_co_u32 v36, vcc_lo, v36, 8
	s_delay_alu instid0(VALU_DEP_3) | instskip(NEXT) | instid1(VALU_DEP_3)
	v_cndmask_b32_e64 v62, v33, v8, s6
	v_cndmask_b32_e64 v61, v61, v7, s6
	v_add_co_ci_u32_e32 v37, vcc_lo, 0, v37, vcc_lo
	s_add_u32 s8, s8, 1
	s_addc_u32 s9, s9, 0
	s_cmp_lg_u32 s13, s8
	s_waitcnt vmcnt(3)
	v_fma_f64 v[9:10], v[61:62], v[59:60], v[9:10]
	s_waitcnt vmcnt(2)
	v_fma_f64 v[11:12], v[61:62], v[38:39], v[11:12]
	s_waitcnt vmcnt(1)
	v_fma_f64 v[13:14], v[61:62], v[55:56], v[13:14]
	s_waitcnt vmcnt(0)
	v_fma_f64 v[15:16], v[61:62], v[57:58], v[15:16]
	s_cbranch_scc1 .LBB93_18
.LBB93_19:                              ;   in Loop: Header=BB93_9 Depth=1
	s_set_inst_prefetch_distance 0x2
	s_or_b32 exec_lo, exec_lo, s62
.LBB93_20:                              ;   in Loop: Header=BB93_9 Depth=1
	s_delay_alu instid0(SALU_CYCLE_1)
	s_or_b32 exec_lo, exec_lo, s61
	s_mov_b64 s[6:7], 0
	s_branch .LBB93_22
.LBB93_21:                              ;   in Loop: Header=BB93_22 Depth=2
	s_or_b32 exec_lo, exec_lo, s8
	s_cmp_eq_u32 s6, 3
	s_cselect_b32 vcc_lo, -1, 0
	s_cmp_eq_u32 s6, 2
	s_waitcnt lgkmcnt(0)
	s_delay_alu instid0(VALU_DEP_1)
	v_dual_cndmask_b32 v16, v16, v37 :: v_dual_cndmask_b32 v15, v15, v36
	s_cselect_b32 vcc_lo, -1, 0
	s_cmp_eq_u32 s6, 1
	v_dual_cndmask_b32 v14, v14, v37 :: v_dual_cndmask_b32 v13, v13, v36
	s_cselect_b32 vcc_lo, -1, 0
	s_cmp_eq_u32 s6, 0
	v_dual_cndmask_b32 v12, v12, v37 :: v_dual_cndmask_b32 v11, v11, v36
	s_cselect_b32 vcc_lo, -1, 0
	s_add_u32 s6, s6, 1
	v_dual_cndmask_b32 v10, v10, v37 :: v_dual_cndmask_b32 v9, v9, v36
	s_addc_u32 s7, s7, 0
	s_cmp_eq_u32 s6, 4
	s_cbranch_scc1 .LBB93_30
.LBB93_22:                              ;   Parent Loop BB93_9 Depth=1
                                        ; =>  This Inner Loop Header: Depth=2
	s_and_saveexec_b32 s8, s0
	s_cbranch_execz .LBB93_24
; %bb.23:                               ;   in Loop: Header=BB93_22 Depth=2
	v_mov_b32_e32 v33, v32
	ds_store_b64 v53, v[32:33]
.LBB93_24:                              ;   in Loop: Header=BB93_22 Depth=2
	s_or_b32 exec_lo, exec_lo, s8
	s_cmp_eq_u32 s6, 1
	s_waitcnt lgkmcnt(0)
	s_waitcnt_vscnt null, 0x0
	s_cselect_b32 vcc_lo, -1, 0
	s_cmp_eq_u32 s6, 2
	s_delay_alu instid0(VALU_DEP_1) | instskip(SKIP_3) | instid1(VALU_DEP_1)
	v_dual_cndmask_b32 v33, v10, v12 :: v_dual_cndmask_b32 v36, v9, v11
	s_cselect_b32 vcc_lo, -1, 0
	s_cmp_eq_u32 s6, 3
	s_barrier
	v_dual_cndmask_b32 v33, v33, v14 :: v_dual_cndmask_b32 v36, v36, v13
	s_cselect_b32 vcc_lo, -1, 0
	buffer_gl0_inv
	v_dual_cndmask_b32 v37, v33, v16 :: v_dual_cndmask_b32 v36, v36, v15
	ds_bpermute_b32 v39, v48, v37
	ds_bpermute_b32 v38, v48, v36
	s_waitcnt lgkmcnt(0)
	v_add_f64 v[36:37], v[36:37], v[38:39]
	ds_bpermute_b32 v38, v49, v36
	ds_bpermute_b32 v39, v49, v37
	s_waitcnt lgkmcnt(0)
	v_add_f64 v[36:37], v[36:37], v[38:39]
	;; [unrolled: 4-line block ×4, first 2 shown]
	ds_bpermute_b32 v38, v52, v36
	ds_bpermute_b32 v39, v52, v37
	s_and_saveexec_b32 s8, s4
	s_cbranch_execz .LBB93_26
; %bb.25:                               ;   in Loop: Header=BB93_22 Depth=2
	s_waitcnt lgkmcnt(0)
	v_add_f64 v[36:37], v[36:37], v[38:39]
	ds_store_b64 v54, v[36:37]
.LBB93_26:                              ;   in Loop: Header=BB93_22 Depth=2
	s_or_b32 exec_lo, exec_lo, s8
	v_mov_b32_e32 v36, 0
	v_mov_b32_e32 v37, 0
	s_waitcnt lgkmcnt(0)
	s_barrier
	buffer_gl0_inv
	s_and_saveexec_b32 s8, s1
	s_cbranch_execz .LBB93_28
; %bb.27:                               ;   in Loop: Header=BB93_22 Depth=2
	ds_load_b64 v[36:37], v53
.LBB93_28:                              ;   in Loop: Header=BB93_22 Depth=2
	s_or_b32 exec_lo, exec_lo, s8
	s_and_saveexec_b32 s8, s0
	s_cbranch_execz .LBB93_21
; %bb.29:                               ;   in Loop: Header=BB93_22 Depth=2
	s_waitcnt lgkmcnt(0)
	ds_bpermute_b32 v38, v50, v36
	ds_bpermute_b32 v39, v50, v37
	s_waitcnt lgkmcnt(0)
	v_add_f64 v[36:37], v[36:37], v[38:39]
	ds_bpermute_b32 v38, v51, v36
	ds_bpermute_b32 v39, v51, v37
	s_waitcnt lgkmcnt(0)
	v_add_f64 v[36:37], v[36:37], v[38:39]
	;; [unrolled: 4-line block ×3, first 2 shown]
	s_branch .LBB93_21
.LBB93_30:                              ;   in Loop: Header=BB93_9 Depth=1
	s_and_saveexec_b32 s6, s5
	s_cbranch_execz .LBB93_8
; %bb.31:                               ;   in Loop: Header=BB93_9 Depth=1
	v_mul_f64 v[9:10], v[9:10], s[26:27]
	v_mul_f64 v[11:12], v[11:12], s[26:27]
	;; [unrolled: 1-line block ×4, first 2 shown]
	s_mul_hi_u32 s9, s33, s12
	s_mul_i32 s8, s33, s12
	s_delay_alu instid0(SALU_CYCLE_1) | instskip(NEXT) | instid1(SALU_CYCLE_1)
	s_lshl_b64 s[8:9], s[8:9], 3
	s_add_u32 s8, s15, s8
	s_addc_u32 s9, s58, s9
	s_or_b32 s7, s33, 1
	s_delay_alu instid0(SALU_CYCLE_1) | instskip(SKIP_1) | instid1(SALU_CYCLE_1)
	s_mul_hi_u32 s19, s7, s12
	s_mul_i32 s18, s7, s12
	s_lshl_b64 s[18:19], s[18:19], 3
	s_delay_alu instid0(SALU_CYCLE_1) | instskip(SKIP_2) | instid1(SALU_CYCLE_1)
	s_add_u32 s18, s15, s18
	s_addc_u32 s19, s58, s19
	s_or_b32 s7, s33, 2
	s_mul_hi_u32 s21, s7, s12
	s_mul_i32 s20, s7, s12
	s_delay_alu instid0(SALU_CYCLE_1) | instskip(NEXT) | instid1(SALU_CYCLE_1)
	s_lshl_b64 s[20:21], s[20:21], 3
	s_add_u32 s20, s15, s20
	s_addc_u32 s21, s58, s21
	s_or_b32 s7, s33, 3
	s_delay_alu instid0(SALU_CYCLE_1) | instskip(SKIP_1) | instid1(SALU_CYCLE_1)
	s_mul_hi_u32 s23, s7, s12
	s_mul_i32 s22, s7, s12
	s_lshl_b64 s[22:23], s[22:23], 3
	s_delay_alu instid0(SALU_CYCLE_1)
	s_add_u32 s22, s15, s22
	s_addc_u32 s23, s58, s23
	s_clause 0x3
	global_store_b64 v32, v[9:10], s[8:9]
	global_store_b64 v32, v[11:12], s[18:19]
	;; [unrolled: 1-line block ×4, first 2 shown]
	s_branch .LBB93_8
.LBB93_32:
	s_mov_b32 s33, 0
                                        ; implicit-def: $vgpr1_vgpr2_vgpr3_vgpr4_vgpr5_vgpr6_vgpr7_vgpr8
.LBB93_33:
	s_delay_alu instid0(SALU_CYCLE_1)
	s_cmp_ge_i32 s33, s25
	s_cbranch_scc1 .LBB93_57
; %bb.34:
	v_cmp_gt_u32_e32 vcc_lo, 16, v43
	v_mad_i64_i32 v[15:16], null, s36, v41, 0
	s_cmp_gt_i32 s13, 0
	s_mov_b32 s15, 0
	v_cndmask_b32_e64 v9, 0, 1, vcc_lo
	v_cmp_gt_u32_e32 vcc_lo, 24, v43
	s_cselect_b32 s9, -1, 0
	s_lshl_b64 s[6:7], s[14:15], 3
	s_delay_alu instid0(VALU_DEP_3)
	v_lshlrev_b64 v[15:16], 3, v[15:16]
	v_lshlrev_b32_e32 v9, 4, v9
	v_cndmask_b32_e64 v10, 0, 1, vcc_lo
	v_cmp_gt_u32_e32 vcc_lo, 28, v43
	s_add_u32 s14, s52, s6
	s_addc_u32 s20, s53, s7
	v_add_lshl_u32 v30, v9, v43, 2
	v_dual_mov_b32 v23, 0 :: v_dual_lshlrev_b32 v10, 3, v10
	v_cndmask_b32_e64 v11, 0, 1, vcc_lo
	v_cmp_gt_u32_e32 vcc_lo, 30, v43
	s_add_u32 s6, s10, s42
	s_delay_alu instid0(VALU_DEP_3)
	v_add_lshl_u32 v31, v10, v43, 2
	v_mad_i64_i32 v[9:10], null, s36, v21, 0
	v_cndmask_b32_e64 v12, 0, 1, vcc_lo
	v_cmp_ne_u32_e32 vcc_lo, 31, v43
	v_lshlrev_b32_e32 v11, 2, v11
	s_addc_u32 s7, s11, s43
	s_add_u32 s8, s6, s38
	v_lshlrev_b32_e32 v12, 1, v12
	v_add_co_ci_u32_e32 v13, vcc_lo, 0, v43, vcc_lo
	v_add_lshl_u32 v32, v11, v43, 2
	v_lshlrev_b64 v[21:22], 3, v[9:10]
	s_delay_alu instid0(VALU_DEP_4)
	v_add_lshl_u32 v33, v12, v43, 2
	v_mad_i64_i32 v[11:12], null, s36, v44, 0
	v_lshlrev_b32_e32 v34, 2, v13
	v_mad_i64_i32 v[13:14], null, s36, v42, 0
	v_add_co_u32 v9, vcc_lo, s54, v21
	v_add_co_ci_u32_e32 v10, vcc_lo, s55, v22, vcc_lo
	v_lshlrev_b64 v[11:12], 3, v[11:12]
	s_mul_i32 s6, s35, s33
	s_delay_alu instid0(VALU_DEP_4)
	v_lshlrev_b64 v[13:14], 3, v[13:14]
	s_mul_hi_u32 s10, s34, s33
	s_addc_u32 s11, s7, s39
	s_add_i32 s7, s10, s6
	v_add_co_u32 v11, vcc_lo, s54, v11
	v_add_co_ci_u32_e32 v12, vcc_lo, s55, v12, vcc_lo
	v_add_co_u32 v13, vcc_lo, s54, v13
	v_add_co_ci_u32_e32 v14, vcc_lo, s55, v14, vcc_lo
	;; [unrolled: 2-line block ×3, first 2 shown]
	s_mul_i32 s6, s34, s33
	v_add_co_u32 v21, vcc_lo, s8, v21
	s_lshl_b64 s[6:7], s[6:7], 3
	v_add_co_ci_u32_e32 v22, vcc_lo, s11, v22, vcc_lo
	s_lshl_b64 s[10:11], s[36:37], 3
	s_add_u32 s6, s40, s6
	s_addc_u32 s7, s41, s7
	s_add_u32 s6, s6, s30
	s_addc_u32 s7, s7, s31
	;; [unrolled: 2-line block ×3, first 2 shown]
	v_add_co_u32 v19, vcc_lo, s6, v19
	v_cmp_ge_i32_e64 s0, s24, v46
	v_cmp_ge_i32_e64 s1, s24, v47
	v_cmp_gt_u32_e64 s2, 32, v0
	v_lshlrev_b32_e32 v29, 3, v40
	v_cmp_eq_u32_e64 s3, 0, v40
	v_and_b32_e32 v35, 56, v45
	v_cmp_gt_u32_e64 s4, 8, v0
	v_cmp_eq_u32_e64 s5, 0, v0
	v_add_co_ci_u32_e32 v20, vcc_lo, s7, v20, vcc_lo
	s_lshl_b64 s[16:17], s[34:35], 3
	s_branch .LBB93_36
.LBB93_35:                              ;   in Loop: Header=BB93_36 Depth=1
	s_or_b32 exec_lo, exec_lo, s6
	v_add_co_u32 v19, vcc_lo, v19, s16
	v_add_co_ci_u32_e32 v20, vcc_lo, s17, v20, vcc_lo
	s_add_i32 s33, s33, 1
	s_delay_alu instid0(SALU_CYCLE_1)
	s_cmp_ge_i32 s33, s25
	s_cbranch_scc1 .LBB93_57
.LBB93_36:                              ; =>This Loop Header: Depth=1
                                        ;     Child Loop BB93_49 Depth 2
                                        ;     Child Loop BB93_52 Depth 2
	s_waitcnt lgkmcnt(0)
	v_dual_mov_b32 v25, s15 :: v_dual_mov_b32 v26, s15
	s_and_saveexec_b32 s6, s0
	s_delay_alu instid0(SALU_CYCLE_1)
	s_xor_b32 s6, exec_lo, s6
	s_cbranch_execnz .LBB93_45
; %bb.37:                               ;   in Loop: Header=BB93_36 Depth=1
	s_and_not1_saveexec_b32 s21, s6
	s_cbranch_execnz .LBB93_46
.LBB93_38:                              ;   in Loop: Header=BB93_36 Depth=1
	s_or_b32 exec_lo, exec_lo, s21
	s_and_saveexec_b32 s6, s2
	s_cbranch_execz .LBB93_40
.LBB93_39:                              ;   in Loop: Header=BB93_36 Depth=1
	v_mov_b32_e32 v24, v23
	ds_store_b64 v29, v[23:24]
.LBB93_40:                              ;   in Loop: Header=BB93_36 Depth=1
	s_or_b32 exec_lo, exec_lo, s6
	ds_bpermute_b32 v27, v30, v25
	ds_bpermute_b32 v28, v30, v26
	s_waitcnt lgkmcnt(0)
	s_waitcnt_vscnt null, 0x0
	s_barrier
	buffer_gl0_inv
	v_add_f64 v[24:25], v[25:26], v[27:28]
	ds_bpermute_b32 v26, v31, v24
	ds_bpermute_b32 v27, v31, v25
	s_waitcnt lgkmcnt(0)
	v_add_f64 v[24:25], v[24:25], v[26:27]
	ds_bpermute_b32 v26, v32, v24
	ds_bpermute_b32 v27, v32, v25
	s_waitcnt lgkmcnt(0)
	;; [unrolled: 4-line block ×3, first 2 shown]
	v_add_f64 v[24:25], v[24:25], v[26:27]
	ds_bpermute_b32 v26, v34, v24
	ds_bpermute_b32 v27, v34, v25
	s_and_saveexec_b32 s6, s3
	s_cbranch_execz .LBB93_42
; %bb.41:                               ;   in Loop: Header=BB93_36 Depth=1
	s_waitcnt lgkmcnt(0)
	v_add_f64 v[24:25], v[24:25], v[26:27]
	ds_store_b64 v35, v[24:25]
.LBB93_42:                              ;   in Loop: Header=BB93_36 Depth=1
	s_or_b32 exec_lo, exec_lo, s6
	v_mov_b32_e32 v24, 0
	v_mov_b32_e32 v25, 0
	s_waitcnt lgkmcnt(0)
	s_barrier
	buffer_gl0_inv
	s_and_saveexec_b32 s6, s4
	s_cbranch_execnz .LBB93_54
; %bb.43:                               ;   in Loop: Header=BB93_36 Depth=1
	s_or_b32 exec_lo, exec_lo, s6
	s_and_saveexec_b32 s6, s2
	s_cbranch_execnz .LBB93_55
.LBB93_44:                              ;   in Loop: Header=BB93_36 Depth=1
	s_or_b32 exec_lo, exec_lo, s6
	s_and_saveexec_b32 s6, s5
	s_cbranch_execz .LBB93_35
	s_branch .LBB93_56
.LBB93_45:                              ;   in Loop: Header=BB93_36 Depth=1
	s_mul_i32 s7, s33, s35
	s_mul_hi_u32 s8, s33, s34
	s_mul_i32 s18, s33, s34
	s_add_i32 s19, s8, s7
	s_delay_alu instid0(SALU_CYCLE_1) | instskip(NEXT) | instid1(SALU_CYCLE_1)
	s_lshl_b64 s[18:19], s[18:19], 3
	v_add_co_u32 v5, vcc_lo, v17, s18
	v_add_co_ci_u32_e32 v6, vcc_lo, s19, v18, vcc_lo
	global_load_b128 v[24:27], v[5:6], off
	s_clause 0x1
	global_load_b64 v[1:2], v[9:10], off
	global_load_b64 v[3:4], v[11:12], off
	global_load_b128 v[36:39], v[5:6], off offset:16
	s_clause 0x1
	global_load_b64 v[5:6], v[13:14], off
	global_load_b64 v[7:8], v[15:16], off
	s_waitcnt vmcnt(4)
	v_fma_f64 v[24:25], v[1:2], v[24:25], 0
	s_waitcnt vmcnt(3)
	s_delay_alu instid0(VALU_DEP_1) | instskip(SKIP_1) | instid1(VALU_DEP_1)
	v_fma_f64 v[24:25], v[3:4], v[26:27], v[24:25]
	s_waitcnt vmcnt(1)
	v_fma_f64 v[24:25], v[5:6], v[36:37], v[24:25]
	s_waitcnt vmcnt(0)
	s_delay_alu instid0(VALU_DEP_1)
	v_fma_f64 v[25:26], v[7:8], v[38:39], v[24:25]
	s_and_not1_saveexec_b32 s21, s6
	s_cbranch_execz .LBB93_38
.LBB93_46:                              ;   in Loop: Header=BB93_36 Depth=1
	s_and_saveexec_b32 s22, s1
	s_cbranch_execz .LBB93_53
; %bb.47:                               ;   in Loop: Header=BB93_36 Depth=1
	s_and_not1_b32 vcc_lo, exec_lo, s9
	s_cbranch_vccnz .LBB93_50
; %bb.48:                               ;   in Loop: Header=BB93_36 Depth=1
	v_dual_mov_b32 v28, v22 :: v_dual_mov_b32 v27, v21
	s_mov_b64 s[18:19], 0
	.p2align	6
.LBB93_49:                              ;   Parent Loop BB93_36 Depth=1
                                        ; =>  This Inner Loop Header: Depth=2
	global_load_b64 v[36:37], v[27:28], off
	v_add_co_u32 v27, vcc_lo, v27, s10
	s_cmp_eq_u32 s18, 3
	v_add_co_ci_u32_e32 v28, vcc_lo, s11, v28, vcc_lo
	s_cselect_b32 vcc_lo, -1, 0
	s_cmp_eq_u32 s18, 2
	s_cselect_b32 s6, -1, 0
	s_cmp_eq_u32 s18, 1
	s_cselect_b32 s7, -1, 0
	;; [unrolled: 2-line block ×3, first 2 shown]
	s_add_u32 s18, s18, 1
	s_addc_u32 s19, s19, 0
	s_cmp_eq_u32 s13, s18
	s_waitcnt vmcnt(0)
	v_dual_cndmask_b32 v8, v8, v37 :: v_dual_cndmask_b32 v7, v7, v36
	v_cndmask_b32_e64 v6, v6, v37, s6
	v_cndmask_b32_e64 v5, v5, v36, s6
	;; [unrolled: 1-line block ×6, first 2 shown]
	s_cbranch_scc0 .LBB93_49
.LBB93_50:                              ;   in Loop: Header=BB93_36 Depth=1
	s_and_not1_b32 vcc_lo, exec_lo, s9
	s_cbranch_vccnz .LBB93_53
; %bb.51:                               ;   in Loop: Header=BB93_36 Depth=1
	v_dual_mov_b32 v28, v20 :: v_dual_mov_b32 v27, v19
	s_mov_b64 s[6:7], 0
	.p2align	6
.LBB93_52:                              ;   Parent Loop BB93_36 Depth=1
                                        ; =>  This Inner Loop Header: Depth=2
	global_load_b64 v[36:37], v[27:28], off
	s_cmp_eq_u32 s6, 1
	s_cselect_b32 vcc_lo, -1, 0
	s_cmp_eq_u32 s6, 2
	v_cndmask_b32_e32 v0, v2, v4, vcc_lo
	v_cndmask_b32_e32 v24, v1, v3, vcc_lo
	s_cselect_b32 vcc_lo, -1, 0
	s_cmp_eq_u32 s6, 3
	s_delay_alu instid0(VALU_DEP_2) | instskip(NEXT) | instid1(VALU_DEP_2)
	v_cndmask_b32_e32 v0, v0, v6, vcc_lo
	v_cndmask_b32_e32 v24, v24, v5, vcc_lo
	s_cselect_b32 vcc_lo, -1, 0
	s_add_u32 s6, s6, 1
	s_addc_u32 s7, s7, 0
	v_cndmask_b32_e32 v39, v0, v8, vcc_lo
	v_cndmask_b32_e32 v38, v24, v7, vcc_lo
	v_add_co_u32 v27, vcc_lo, v27, 8
	v_add_co_ci_u32_e32 v28, vcc_lo, 0, v28, vcc_lo
	s_cmp_lg_u32 s13, s6
	s_waitcnt vmcnt(0)
	v_fma_f64 v[25:26], v[38:39], v[36:37], v[25:26]
	s_cbranch_scc1 .LBB93_52
.LBB93_53:                              ;   in Loop: Header=BB93_36 Depth=1
	s_or_b32 exec_lo, exec_lo, s22
	s_delay_alu instid0(SALU_CYCLE_1)
	s_or_b32 exec_lo, exec_lo, s21
	s_and_saveexec_b32 s6, s2
	s_cbranch_execnz .LBB93_39
	s_branch .LBB93_40
.LBB93_54:                              ;   in Loop: Header=BB93_36 Depth=1
	ds_load_b64 v[24:25], v29
	s_or_b32 exec_lo, exec_lo, s6
	s_and_saveexec_b32 s6, s2
	s_cbranch_execz .LBB93_44
.LBB93_55:                              ;   in Loop: Header=BB93_36 Depth=1
	s_waitcnt lgkmcnt(0)
	ds_bpermute_b32 v26, v32, v24
	ds_bpermute_b32 v27, v32, v25
	s_waitcnt lgkmcnt(0)
	v_add_f64 v[24:25], v[24:25], v[26:27]
	ds_bpermute_b32 v26, v33, v24
	ds_bpermute_b32 v27, v33, v25
	s_waitcnt lgkmcnt(0)
	v_add_f64 v[24:25], v[24:25], v[26:27]
	;; [unrolled: 4-line block ×3, first 2 shown]
	s_or_b32 exec_lo, exec_lo, s6
	s_and_saveexec_b32 s6, s5
	s_cbranch_execz .LBB93_35
.LBB93_56:                              ;   in Loop: Header=BB93_36 Depth=1
	s_waitcnt lgkmcnt(0)
	s_delay_alu instid0(VALU_DEP_1) | instskip(SKIP_2) | instid1(SALU_CYCLE_1)
	v_mul_f64 v[24:25], v[24:25], s[26:27]
	s_mul_hi_u32 s19, s33, s12
	s_mul_i32 s18, s33, s12
	s_lshl_b64 s[18:19], s[18:19], 3
	s_delay_alu instid0(SALU_CYCLE_1)
	s_add_u32 s18, s14, s18
	s_addc_u32 s19, s20, s19
	global_store_b64 v23, v[24:25], s[18:19]
	s_branch .LBB93_35
.LBB93_57:
	s_nop 0
	s_sendmsg sendmsg(MSG_DEALLOC_VGPRS)
	s_endpgm
	.section	.rodata,"a",@progbits
	.p2align	6, 0x0
	.amdhsa_kernel _ZL23rocblas_gemvt_sn_kernelILb1ELi256ELi4EldddEviiT4_lPKT3_lilS3_lilPT5_i
		.amdhsa_group_segment_fixed_size 256
		.amdhsa_private_segment_fixed_size 0
		.amdhsa_kernarg_size 360
		.amdhsa_user_sgpr_count 14
		.amdhsa_user_sgpr_dispatch_ptr 0
		.amdhsa_user_sgpr_queue_ptr 0
		.amdhsa_user_sgpr_kernarg_segment_ptr 1
		.amdhsa_user_sgpr_dispatch_id 0
		.amdhsa_user_sgpr_private_segment_size 0
		.amdhsa_wavefront_size32 1
		.amdhsa_uses_dynamic_stack 0
		.amdhsa_enable_private_segment 0
		.amdhsa_system_sgpr_workgroup_id_x 1
		.amdhsa_system_sgpr_workgroup_id_y 0
		.amdhsa_system_sgpr_workgroup_id_z 1
		.amdhsa_system_sgpr_workgroup_info 0
		.amdhsa_system_vgpr_workitem_id 0
		.amdhsa_next_free_vgpr 75
		.amdhsa_next_free_sgpr 63
		.amdhsa_reserve_vcc 1
		.amdhsa_float_round_mode_32 0
		.amdhsa_float_round_mode_16_64 0
		.amdhsa_float_denorm_mode_32 3
		.amdhsa_float_denorm_mode_16_64 3
		.amdhsa_dx10_clamp 1
		.amdhsa_ieee_mode 1
		.amdhsa_fp16_overflow 0
		.amdhsa_workgroup_processor_mode 1
		.amdhsa_memory_ordered 1
		.amdhsa_forward_progress 0
		.amdhsa_shared_vgpr_count 0
		.amdhsa_exception_fp_ieee_invalid_op 0
		.amdhsa_exception_fp_denorm_src 0
		.amdhsa_exception_fp_ieee_div_zero 0
		.amdhsa_exception_fp_ieee_overflow 0
		.amdhsa_exception_fp_ieee_underflow 0
		.amdhsa_exception_fp_ieee_inexact 0
		.amdhsa_exception_int_div_zero 0
	.end_amdhsa_kernel
	.section	.text._ZL23rocblas_gemvt_sn_kernelILb1ELi256ELi4EldddEviiT4_lPKT3_lilS3_lilPT5_i,"axG",@progbits,_ZL23rocblas_gemvt_sn_kernelILb1ELi256ELi4EldddEviiT4_lPKT3_lilS3_lilPT5_i,comdat
.Lfunc_end93:
	.size	_ZL23rocblas_gemvt_sn_kernelILb1ELi256ELi4EldddEviiT4_lPKT3_lilS3_lilPT5_i, .Lfunc_end93-_ZL23rocblas_gemvt_sn_kernelILb1ELi256ELi4EldddEviiT4_lPKT3_lilS3_lilPT5_i
                                        ; -- End function
	.section	.AMDGPU.csdata,"",@progbits
; Kernel info:
; codeLenInByte = 4036
; NumSgprs: 65
; NumVgprs: 75
; ScratchSize: 0
; MemoryBound: 1
; FloatMode: 240
; IeeeMode: 1
; LDSByteSize: 256 bytes/workgroup (compile time only)
; SGPRBlocks: 8
; VGPRBlocks: 9
; NumSGPRsForWavesPerEU: 65
; NumVGPRsForWavesPerEU: 75
; Occupancy: 16
; WaveLimiterHint : 1
; COMPUTE_PGM_RSRC2:SCRATCH_EN: 0
; COMPUTE_PGM_RSRC2:USER_SGPR: 14
; COMPUTE_PGM_RSRC2:TRAP_HANDLER: 0
; COMPUTE_PGM_RSRC2:TGID_X_EN: 1
; COMPUTE_PGM_RSRC2:TGID_Y_EN: 0
; COMPUTE_PGM_RSRC2:TGID_Z_EN: 1
; COMPUTE_PGM_RSRC2:TIDIG_COMP_CNT: 0
	.section	.text._ZL36rocblas_gemvt_double_buffered_kernelILb1ELi128ELi4ELi16EdPKddEviiT4_lPKT3_lilS5_lilPT5_lili,"axG",@progbits,_ZL36rocblas_gemvt_double_buffered_kernelILb1ELi128ELi4ELi16EdPKddEviiT4_lPKT3_lilS5_lilPT5_lili,comdat
	.globl	_ZL36rocblas_gemvt_double_buffered_kernelILb1ELi128ELi4ELi16EdPKddEviiT4_lPKT3_lilS5_lilPT5_lili ; -- Begin function _ZL36rocblas_gemvt_double_buffered_kernelILb1ELi128ELi4ELi16EdPKddEviiT4_lPKT3_lilS5_lilPT5_lili
	.p2align	8
	.type	_ZL36rocblas_gemvt_double_buffered_kernelILb1ELi128ELi4ELi16EdPKddEviiT4_lPKT3_lilS5_lilPT5_lili,@function
_ZL36rocblas_gemvt_double_buffered_kernelILb1ELi128ELi4ELi16EdPKddEviiT4_lPKT3_lilS5_lilPT5_lili: ; @_ZL36rocblas_gemvt_double_buffered_kernelILb1ELi128ELi4ELi16EdPKddEviiT4_lPKT3_lilS5_lilPT5_lili
; %bb.0:
	s_load_b256 s[4:11], s[0:1], 0x8
	s_waitcnt lgkmcnt(0)
	s_mul_i32 s2, s15, s7
	s_mul_hi_u32 s3, s15, s6
	s_delay_alu instid0(SALU_CYCLE_1) | instskip(SKIP_1) | instid1(SALU_CYCLE_1)
	s_add_i32 s3, s3, s2
	s_mul_i32 s2, s15, s6
	s_lshl_b64 s[2:3], s[2:3], 3
	s_delay_alu instid0(SALU_CYCLE_1) | instskip(SKIP_4) | instid1(VALU_DEP_1)
	s_add_u32 s2, s4, s2
	s_addc_u32 s3, s5, s3
	s_load_b64 s[2:3], s[2:3], 0x0
	s_waitcnt lgkmcnt(0)
	v_cmp_eq_f64_e64 s4, s[2:3], 0
	s_and_b32 vcc_lo, exec_lo, s4
	s_cbranch_vccnz .LBB94_11
; %bb.1:
	s_clause 0x1
	s_load_b32 s4, s[0:1], 0x84
	s_load_b32 s5, s[0:1], 0x0
	s_waitcnt lgkmcnt(0)
	v_cvt_f32_u32_e32 v1, s4
	s_ashr_i32 s7, s5, 31
	s_sub_i32 s12, 0, s4
	s_lshr_b32 s7, s7, 25
	s_delay_alu instid0(SALU_CYCLE_1) | instskip(SKIP_4) | instid1(VALU_DEP_1)
	s_add_i32 s5, s5, s7
	v_rcp_iflag_f32_e32 v1, v1
	s_ashr_i32 s5, s5, 7
	s_waitcnt_depctr 0xfff
	v_mul_f32_e32 v1, 0x4f7ffffe, v1
	v_cvt_u32_f32_e32 v1, v1
	s_delay_alu instid0(VALU_DEP_1) | instskip(NEXT) | instid1(VALU_DEP_1)
	v_readfirstlane_b32 s6, v1
	s_mul_i32 s12, s12, s6
	s_delay_alu instid0(SALU_CYCLE_1) | instskip(NEXT) | instid1(SALU_CYCLE_1)
	s_mul_hi_u32 s7, s6, s12
	s_add_i32 s6, s6, s7
	s_delay_alu instid0(SALU_CYCLE_1) | instskip(NEXT) | instid1(SALU_CYCLE_1)
	s_mul_hi_u32 s6, s5, s6
	s_mul_i32 s7, s6, s4
	s_add_i32 s12, s6, 1
	s_sub_i32 s7, s5, s7
	s_delay_alu instid0(SALU_CYCLE_1)
	s_sub_i32 s16, s7, s4
	s_cmp_ge_u32 s7, s4
	s_cselect_b32 s6, s12, s6
	s_cselect_b32 s7, s16, s7
	s_add_i32 s12, s6, 1
	s_cmp_ge_u32 s7, s4
	s_cselect_b32 s18, s12, s6
	s_delay_alu instid0(SALU_CYCLE_1) | instskip(NEXT) | instid1(SALU_CYCLE_1)
	s_mul_i32 s4, s18, s4
	s_sub_i32 s19, s5, s4
	s_delay_alu instid0(SALU_CYCLE_1) | instskip(SKIP_1) | instid1(SALU_CYCLE_1)
	s_cmp_lt_u32 s14, s19
	s_cselect_b32 s4, -1, 0
	s_cmp_lg_u32 s4, 0
	s_addc_u32 s28, s18, 0
	s_delay_alu instid0(SALU_CYCLE_1)
	s_cmp_eq_u32 s28, 0
	s_cbranch_scc1 .LBB94_11
; %bb.2:
	v_and_b32_e32 v139, 0x3ff, v0
	v_bfe_u32 v140, v0, 10, 10
	s_clause 0x1
	s_load_b128 s[4:7], s[0:1], 0x50
	s_load_b64 s[16:17], s[0:1], 0x60
	v_mov_b32_e32 v35, 0
	v_mov_b32_e32 v36, 0
	v_and_b32_e32 v0, 63, v139
	v_lshl_add_u32 v65, v140, 7, v139
	s_lshl_b32 s12, s13, 7
	s_delay_alu instid0(VALU_DEP_3) | instskip(SKIP_1) | instid1(VALU_DEP_3)
	v_dual_mov_b32 v33, v35 :: v_dual_mov_b32 v34, v36
	v_dual_mov_b32 v38, v36 :: v_dual_mov_b32 v37, v35
	v_lshrrev_b32_e32 v141, 2, v65
	v_dual_mov_b32 v40, v36 :: v_dual_mov_b32 v39, v35
	v_mov_b32_e32 v50, v36
	v_dual_mov_b32 v42, v36 :: v_dual_mov_b32 v41, v35
	s_delay_alu instid0(VALU_DEP_4)
	v_dual_mov_b32 v46, v36 :: v_dual_and_b32 v143, 0x7ff0, v141
	v_dual_mov_b32 v45, v35 :: v_dual_mov_b32 v44, v36
	v_dual_mov_b32 v43, v35 :: v_dual_lshlrev_b32 v142, 3, v0
	v_dual_mov_b32 v49, v35 :: v_dual_mov_b32 v48, v36
	v_dual_mov_b32 v47, v35 :: v_dual_mov_b32 v54, v36
	;; [unrolled: 1-line block ×8, first 2 shown]
	v_mov_b32_e32 v63, v35
	s_ashr_i32 s13, s12, 31
	s_cmp_lt_i32 s28, 1
	s_cbranch_scc1 .LBB94_8
; %bb.3:
	v_cvt_f64_i32_e32 v[1:2], s14
	v_cvt_f64_u32_e32 v[3:4], s19
	s_mul_i32 s18, s18, s14
	s_waitcnt lgkmcnt(0)
	s_mul_i32 s5, s15, s5
	v_cvt_f64_u32_e32 v[5:6], s18
	s_clause 0x3
	s_load_b128 s[24:27], s[0:1], 0x30
	s_load_b32 s18, s[0:1], 0x28
	s_load_b32 s20, s[0:1], 0x48
	s_load_b64 s[30:31], s[0:1], 0x40
	s_mul_hi_u32 s14, s15, s4
	s_mul_i32 s4, s15, s4
	v_mov_b32_e32 v33, 0
	v_dual_mov_b32 v34, 0 :: v_dual_lshlrev_b32 v35, 1, v65
	s_delay_alu instid0(VALU_DEP_1) | instskip(NEXT) | instid1(VALU_DEP_3)
	v_dual_mov_b32 v64, v34 :: v_dual_and_b32 v65, 0x7ff80, v35
	v_dual_mov_b32 v60, v34 :: v_dual_mov_b32 v63, v33
	v_dual_mov_b32 v62, v34 :: v_dual_mov_b32 v59, v33
	v_dual_mov_b32 v56, v34 :: v_dual_mov_b32 v61, v33
	v_mov_b32_e32 v58, v34
	s_waitcnt lgkmcnt(0)
	s_mul_i32 s19, s15, s25
	s_mul_hi_u32 s21, s15, s24
	s_mul_i32 s22, s15, s24
	s_add_i32 s23, s21, s19
	s_ashr_i32 s19, s18, 31
	s_lshl_b64 s[22:23], s[22:23], 3
	s_ashr_i32 s21, s20, 31
	s_add_u32 s29, s8, s22
	s_addc_u32 s33, s9, s23
	s_lshl_b64 s[24:25], s[10:11], 3
	s_mul_hi_i32 s11, s18, s12
	s_add_u32 s34, s29, s24
	s_addc_u32 s33, s33, s25
	s_add_i32 s5, s14, s5
	s_mul_i32 s10, s18, s12
	v_min_f64 v[1:2], v[1:2], v[3:4]
	s_lshl_b64 s[4:5], s[4:5], 3
	v_dual_mov_b32 v55, v33 :: v_dual_mov_b32 v52, v34
	s_add_u32 s14, s26, s4
	s_addc_u32 s26, s27, s5
	s_lshl_b64 s[4:5], s[30:31], 3
	v_dual_mov_b32 v57, v33 :: v_dual_mov_b32 v54, v34
	s_add_u32 s14, s14, s4
	s_addc_u32 s29, s26, s5
	;; [unrolled: 4-line block ×3, first 2 shown]
	v_dual_mov_b32 v53, v33 :: v_dual_mov_b32 v50, v34
	v_dual_mov_b32 v47, v33 :: v_dual_mov_b32 v44, v34
	;; [unrolled: 1-line block ×7, first 2 shown]
	v_add_f64 v[1:2], v[1:2], v[5:6]
	s_delay_alu instid0(VALU_DEP_1) | instskip(SKIP_1) | instid1(VALU_DEP_1)
	v_cvt_i32_f64_e32 v4, v[1:2]
	v_mov_b32_e32 v1, 0
	v_mad_i64_i32 v[2:3], null, s18, v143, v[0:1]
	s_delay_alu instid0(VALU_DEP_1) | instskip(NEXT) | instid1(VALU_DEP_4)
	v_lshlrev_b64 v[1:2], 3, v[2:3]
	v_readfirstlane_b32 s26, v4
	s_delay_alu instid0(VALU_DEP_1) | instskip(NEXT) | instid1(SALU_CYCLE_1)
	s_lshl_b32 s4, s26, 7
	s_ashr_i32 s5, s4, 31
	s_delay_alu instid0(SALU_CYCLE_1) | instskip(NEXT) | instid1(SALU_CYCLE_1)
	s_lshl_b64 s[26:27], s[4:5], 3
	s_add_u32 s4, s10, s26
	s_addc_u32 s5, s11, s27
	v_add_co_u32 v1, vcc_lo, s4, v1
	v_add_co_ci_u32_e32 v2, vcc_lo, s5, v2, vcc_lo
	s_lshl_b64 s[4:5], s[18:19], 3
	s_lshl_b64 s[34:35], s[12:13], 3
	v_or_b32_e32 v67, s26, v142
	s_delay_alu instid0(VALU_DEP_2) | instskip(SKIP_2) | instid1(VALU_DEP_1)
	v_mad_i64_i32 v[31:32], null, 0x78, s18, v[1:2]
	global_load_b64 v[1:2], v[1:2], off
	v_add_co_u32 v69, s13, v65, s34
	v_add_co_ci_u32_e64 v68, null, 0, s35, s13
	s_add_i32 s30, s28, -1
	v_sub_co_u32 v3, vcc_lo, v31, s4
	v_subrev_co_ci_u32_e32 v4, vcc_lo, s5, v32, vcc_lo
	s_lshl_b64 s[10:11], s[20:21], 10
	s_delay_alu instid0(VALU_DEP_2) | instskip(NEXT) | instid1(VALU_DEP_2)
	v_sub_co_u32 v5, vcc_lo, v3, s4
	v_subrev_co_ci_u32_e32 v6, vcc_lo, s5, v4, vcc_lo
	global_load_b64 v[3:4], v[3:4], off
	v_sub_co_u32 v7, vcc_lo, v5, s4
	v_subrev_co_ci_u32_e32 v8, vcc_lo, s5, v6, vcc_lo
	global_load_b64 v[5:6], v[5:6], off
	;; [unrolled: 3-line block ×9, first 2 shown]
	v_sub_co_u32 v23, vcc_lo, v21, s4
	v_subrev_co_ci_u32_e32 v24, vcc_lo, s5, v22, vcc_lo
	s_add_u32 s8, s8, s26
	s_delay_alu instid0(VALU_DEP_2) | instskip(NEXT) | instid1(VALU_DEP_2)
	v_sub_co_u32 v25, vcc_lo, v23, s4
	v_subrev_co_ci_u32_e32 v26, vcc_lo, s5, v24, vcc_lo
	s_addc_u32 s9, s9, s27
	s_delay_alu instid0(VALU_DEP_2) | instskip(NEXT) | instid1(VALU_DEP_2)
	v_sub_co_u32 v27, vcc_lo, v25, s4
	v_subrev_co_ci_u32_e32 v28, vcc_lo, s5, v26, vcc_lo
	s_add_u32 s8, s8, s24
	s_delay_alu instid0(VALU_DEP_2) | instskip(NEXT) | instid1(VALU_DEP_2)
	v_sub_co_u32 v29, vcc_lo, v27, s4
	v_subrev_co_ci_u32_e32 v30, vcc_lo, s5, v28, vcc_lo
	global_load_b64 v[21:22], v[21:22], off
	global_load_b64 v[23:24], v[23:24], off
	;; [unrolled: 1-line block ×6, first 2 shown]
	v_add_co_u32 v73, vcc_lo, v69, 8
	v_add_co_ci_u32_e32 v74, vcc_lo, 0, v68, vcc_lo
	v_add_co_u32 v75, vcc_lo, v69, 16
	v_add_co_ci_u32_e32 v76, vcc_lo, 0, v68, vcc_lo
	;; [unrolled: 2-line block ×13, first 2 shown]
	v_or_b32_e32 v71, 0x200, v67
	v_add_co_u32 v99, vcc_lo, 0x70, v69
	s_addc_u32 s9, s9, s25
	s_add_u32 s8, s8, s22
	v_add_co_ci_u32_e32 v100, vcc_lo, 0, v68, vcc_lo
	s_addc_u32 s9, s9, s23
	v_add_co_u32 v102, vcc_lo, 0x78, v69
	v_mul_lo_u32 v101, v67, s21
	v_mad_u64_u32 v[65:66], null, v67, s20, 0
	v_add_co_ci_u32_e32 v103, vcc_lo, 0, v68, vcc_lo
	v_mul_lo_u32 v104, v69, s19
	v_mul_lo_u32 v105, v68, s18
	v_mad_u64_u32 v[67:68], null, v69, s18, s[8:9]
	v_mul_lo_u32 v106, v71, s21
	v_mad_u64_u32 v[69:70], null, v71, s20, 0
	v_mad_u64_u32 v[71:72], null, v73, s18, s[8:9]
	v_mul_lo_u32 v107, v73, s19
	v_mul_lo_u32 v108, v74, s18
	v_mad_u64_u32 v[73:74], null, v75, s18, s[8:9]
	v_mul_lo_u32 v109, v75, s19
	v_mul_lo_u32 v110, v76, s18
	;; [unrolled: 3-line block ×3, first 2 shown]
	v_add3_u32 v72, v108, v72, v107
	v_mad_u64_u32 v[77:78], null, v79, s18, s[8:9]
	v_mul_lo_u32 v113, v79, s19
	v_mul_lo_u32 v114, v80, s18
	v_add3_u32 v74, v110, v74, v109
	v_add_co_u32 v144, vcc_lo, 0x400, v71
	v_mad_u64_u32 v[79:80], null, v81, s18, s[8:9]
	v_mul_lo_u32 v115, v81, s19
	v_mul_lo_u32 v116, v82, s18
	v_add_co_ci_u32_e32 v145, vcc_lo, 0, v72, vcc_lo
	v_add3_u32 v76, v112, v76, v111
	v_add_co_u32 v146, vcc_lo, 0x400, v73
	v_mad_u64_u32 v[81:82], null, v83, s18, s[8:9]
	v_mul_lo_u32 v117, v83, s19
	v_mul_lo_u32 v118, v84, s18
	v_add_co_ci_u32_e32 v147, vcc_lo, 0, v74, vcc_lo
	;; [unrolled: 6-line block ×11, first 2 shown]
	v_add3_u32 v96, v132, v96, v131
	v_add_co_u32 v166, vcc_lo, 0x400, v93
	v_add_co_ci_u32_e32 v167, vcc_lo, 0, v94, vcc_lo
	v_add3_u32 v98, v134, v98, v133
	v_add_co_u32 v168, vcc_lo, 0x400, v95
	v_add_co_ci_u32_e32 v169, vcc_lo, 0, v96, vcc_lo
	;; [unrolled: 3-line block ×3, first 2 shown]
	v_add_co_u32 v172, vcc_lo, 0x400, v99
	v_mov_b32_e32 v37, v33
	v_mov_b32_e32 v35, v33
	v_add_co_ci_u32_e32 v173, vcc_lo, 0, v100, vcc_lo
	s_mul_i32 s31, s27, s20
	v_add3_u32 v68, v105, v68, v104
	v_add3_u32 v66, v66, v101, s31
	;; [unrolled: 1-line block ×3, first 2 shown]
	s_mov_b32 s8, 0
	s_waitcnt vmcnt(15)
	v_dual_mov_b32 v72, v2 :: v_dual_mov_b32 v71, v1
	s_waitcnt vmcnt(14)
	v_dual_mov_b32 v100, v4 :: v_dual_mov_b32 v99, v3
	;; [unrolled: 2-line block ×10, first 2 shown]
	s_waitcnt vmcnt(5)
	v_mov_b32_e32 v82, v22
	s_waitcnt vmcnt(4)
	v_mov_b32_e32 v80, v24
	s_waitcnt vmcnt(3)
	v_dual_mov_b32 v78, v26 :: v_dual_mov_b32 v81, v21
	s_waitcnt vmcnt(2)
	v_dual_mov_b32 v76, v28 :: v_dual_mov_b32 v79, v23
	;; [unrolled: 2-line block ×4, first 2 shown]
	v_mov_b32_e32 v73, v29
	v_mov_b32_e32 v101, v31
.LBB94_4:                               ; =>This Inner Loop Header: Depth=1
	v_add_co_u32 v137, vcc_lo, v67, v142
	v_add_co_ci_u32_e32 v138, vcc_lo, 0, v68, vcc_lo
	s_cmp_lg_u32 s30, s8
	s_delay_alu instid0(VALU_DEP_2) | instskip(NEXT) | instid1(VALU_DEP_2)
	v_add_co_u32 v103, vcc_lo, 0x200, v137
	v_add_co_ci_u32_e32 v104, vcc_lo, 0, v138, vcc_lo
	s_delay_alu instid0(VALU_DEP_2) | instskip(NEXT) | instid1(VALU_DEP_2)
	v_add_co_u32 v105, vcc_lo, v103, s4
	v_add_co_ci_u32_e32 v106, vcc_lo, s5, v104, vcc_lo
	;; [unrolled: 3-line block ×5, first 2 shown]
	s_clause 0x3
	global_load_b64 v[103:104], v[137:138], off offset:512
	global_load_b64 v[105:106], v[105:106], off
	global_load_b64 v[107:108], v[107:108], off
	;; [unrolled: 1-line block ×3, first 2 shown]
	v_add_co_u32 v113, vcc_lo, v111, s4
	v_add_co_ci_u32_e32 v114, vcc_lo, s5, v112, vcc_lo
	global_load_b64 v[111:112], v[111:112], off
	v_add_co_u32 v115, vcc_lo, v113, s4
	v_add_co_ci_u32_e32 v116, vcc_lo, s5, v114, vcc_lo
	global_load_b64 v[113:114], v[113:114], off
	;; [unrolled: 3-line block ×8, first 2 shown]
	v_add_co_u32 v129, vcc_lo, v127, s4
	v_add_co_ci_u32_e32 v130, vcc_lo, s5, v128, vcc_lo
	s_delay_alu instid0(VALU_DEP_2) | instskip(NEXT) | instid1(VALU_DEP_2)
	v_add_co_u32 v131, vcc_lo, v129, s4
	v_add_co_ci_u32_e32 v132, vcc_lo, s5, v130, vcc_lo
	s_delay_alu instid0(VALU_DEP_2) | instskip(NEXT) | instid1(VALU_DEP_2)
	v_add_co_u32 v133, vcc_lo, v131, s4
	v_add_co_ci_u32_e32 v134, vcc_lo, s5, v132, vcc_lo
	v_add_co_u32 v135, vcc_lo, s14, v65
	v_add_co_ci_u32_e32 v136, vcc_lo, s29, v66, vcc_lo
	global_load_b64 v[127:128], v[127:128], off
	global_load_b64 v[129:130], v[129:130], off
	;; [unrolled: 1-line block ×5, first 2 shown]
	s_cbranch_scc0 .LBB94_6
; %bb.5:                                ;   in Loop: Header=BB94_4 Depth=1
	v_add_co_u32 v73, vcc_lo, v144, v142
	v_add_co_ci_u32_e32 v74, vcc_lo, 0, v145, vcc_lo
	v_add_co_u32 v75, vcc_lo, v146, v142
	v_add_co_ci_u32_e32 v76, vcc_lo, 0, v147, vcc_lo
	;; [unrolled: 2-line block ×15, first 2 shown]
	global_load_b64 v[71:72], v[137:138], off offset:1024
	global_load_b64 v[73:74], v[73:74], off
	global_load_b64 v[75:76], v[75:76], off
	;; [unrolled: 1-line block ×15, first 2 shown]
.LBB94_6:                               ;   in Loop: Header=BB94_4 Depth=1
	v_add_co_u32 v137, vcc_lo, s14, v69
	v_add_co_ci_u32_e32 v138, vcc_lo, s29, v70, vcc_lo
	s_waitcnt vmcnt(0)
	v_fma_f64 v[1:2], v[1:2], v[135:136], v[33:34]
	v_fma_f64 v[29:30], v[29:30], v[135:136], v[63:64]
	;; [unrolled: 1-line block ×3, first 2 shown]
	global_load_b64 v[137:138], v[137:138], off
	v_fma_f64 v[25:26], v[25:26], v[135:136], v[61:62]
	v_fma_f64 v[23:24], v[23:24], v[135:136], v[55:56]
	;; [unrolled: 1-line block ×13, first 2 shown]
	v_add_co_u32 v144, vcc_lo, 0x400, v144
	v_add_co_ci_u32_e32 v145, vcc_lo, 0, v145, vcc_lo
	v_add_co_u32 v146, vcc_lo, 0x400, v146
	v_add_co_ci_u32_e32 v147, vcc_lo, 0, v147, vcc_lo
	;; [unrolled: 2-line block ×15, first 2 shown]
	v_add_co_u32 v67, vcc_lo, 0x400, v67
	s_add_i32 s8, s8, 1
	v_add_co_ci_u32_e32 v68, vcc_lo, 0, v68, vcc_lo
	s_add_u32 s14, s14, s10
	s_addc_u32 s29, s29, s11
	s_cmp_ge_i32 s8, s28
	s_waitcnt vmcnt(0)
	v_fma_f64 v[33:34], v[103:104], v[137:138], v[1:2]
	v_fma_f64 v[63:64], v[105:106], v[137:138], v[29:30]
	;; [unrolled: 1-line block ×16, first 2 shown]
	s_cbranch_scc1 .LBB94_8
; %bb.7:                                ;   in Loop: Header=BB94_4 Depth=1
	v_dual_mov_b32 v1, v71 :: v_dual_mov_b32 v2, v72
	v_dual_mov_b32 v29, v73 :: v_dual_mov_b32 v30, v74
	;; [unrolled: 1-line block ×16, first 2 shown]
	s_branch .LBB94_4
.LBB94_8:
	v_lshlrev_b32_e32 v2, 3, v139
	v_lshlrev_b32_e32 v3, 9, v141
	v_lshl_or_b32 v1, v143, 9, v142
	s_waitcnt lgkmcnt(0)
	s_mov_b32 s4, 0
	s_mov_b32 s5, exec_lo
	ds_store_2addr_stride64_b64 v1, v[33:34], v[63:64] offset1:1
	ds_store_2addr_stride64_b64 v1, v[59:60], v[61:62] offset0:2 offset1:3
	ds_store_2addr_stride64_b64 v1, v[55:56], v[57:58] offset0:4 offset1:5
	ds_store_2addr_stride64_b64 v1, v[51:52], v[53:54] offset0:6 offset1:7
	v_or3_b32 v2, v3, v2, 0x1e00
	ds_store_2addr_stride64_b64 v1, v[47:48], v[49:50] offset0:8 offset1:9
	ds_store_2addr_stride64_b64 v1, v[43:44], v[45:46] offset0:10 offset1:11
	;; [unrolled: 1-line block ×3, first 2 shown]
	ds_store_b64 v1, v[37:38] offset:7168
	ds_store_b64 v2, v[35:36]
	s_waitcnt lgkmcnt(0)
	s_barrier
	buffer_gl0_inv
	v_cmpx_eq_u32_e32 0, v140
	s_cbranch_execz .LBB94_11
; %bb.9:
	v_lshlrev_b32_e32 v12, 6, v139
	v_add_nc_u32_e32 v2, 1, v139
	v_add_nc_u32_e32 v3, 2, v139
	v_add_nc_u32_e32 v4, 3, v139
	s_clause 0x1
	s_load_b64 s[8:9], s[0:1], 0x70
	s_load_b32 s5, s[0:1], 0x68
	v_or_b32_e32 v10, v0, v12
	v_and_or_b32 v2, v2, 63, v12
	v_and_or_b32 v3, v3, 63, v12
	;; [unrolled: 1-line block ×3, first 2 shown]
	s_delay_alu instid0(VALU_DEP_4) | instskip(NEXT) | instid1(VALU_DEP_4)
	v_lshlrev_b32_e32 v0, 3, v10
	v_lshlrev_b32_e32 v2, 3, v2
	s_delay_alu instid0(VALU_DEP_4) | instskip(NEXT) | instid1(VALU_DEP_4)
	v_lshlrev_b32_e32 v5, 3, v3
	v_lshlrev_b32_e32 v6, 3, v4
	ds_load_b64 v[0:1], v0
	ds_load_b64 v[2:3], v2
	;; [unrolled: 1-line block ×4, first 2 shown]
	s_waitcnt lgkmcnt(0)
	s_mul_i32 s1, s15, s9
	s_mul_hi_u32 s9, s15, s8
	s_mul_i32 s0, s15, s8
	s_add_i32 s1, s9, s1
	s_delay_alu instid0(SALU_CYCLE_1) | instskip(NEXT) | instid1(SALU_CYCLE_1)
	s_lshl_b64 s[0:1], s[0:1], 3
	s_add_u32 s6, s6, s0
	s_addc_u32 s7, s7, s1
	s_lshl_b64 s[0:1], s[16:17], 3
	s_delay_alu instid0(SALU_CYCLE_1) | instskip(SKIP_4) | instid1(SALU_CYCLE_1)
	s_add_u32 s6, s6, s0
	v_add_f64 v[0:1], v[0:1], 0
	s_addc_u32 s7, s7, s1
	s_mul_hi_i32 s1, s5, s12
	s_mul_i32 s0, s5, s12
	s_lshl_b64 s[0:1], s[0:1], 3
	s_delay_alu instid0(SALU_CYCLE_1) | instskip(SKIP_1) | instid1(VALU_DEP_1)
	s_add_u32 s0, s6, s0
	s_addc_u32 s1, s7, s1
	v_add_f64 v[0:1], v[0:1], v[2:3]
	v_add_nc_u32_e32 v2, 4, v139
	s_delay_alu instid0(VALU_DEP_1) | instskip(NEXT) | instid1(VALU_DEP_1)
	v_and_or_b32 v2, v2, 63, v12
	v_lshlrev_b32_e32 v2, 3, v2
	ds_load_b64 v[2:3], v2
	v_add_f64 v[0:1], v[0:1], v[4:5]
	v_add_nc_u32_e32 v4, 5, v139
	v_add_nc_u32_e32 v5, 6, v139
	s_delay_alu instid0(VALU_DEP_2) | instskip(NEXT) | instid1(VALU_DEP_2)
	v_and_or_b32 v4, v4, 63, v12
	v_and_or_b32 v5, v5, 63, v12
	s_delay_alu instid0(VALU_DEP_2) | instskip(SKIP_2) | instid1(VALU_DEP_4)
	v_lshlrev_b32_e32 v4, 3, v4
	v_add_f64 v[0:1], v[0:1], v[6:7]
	v_add_nc_u32_e32 v6, 7, v139
	v_lshlrev_b32_e32 v7, 3, v5
	s_delay_alu instid0(VALU_DEP_2) | instskip(NEXT) | instid1(VALU_DEP_1)
	v_and_or_b32 v6, v6, 63, v12
	v_lshlrev_b32_e32 v8, 3, v6
	ds_load_b64 v[4:5], v4
	ds_load_b64 v[6:7], v7
	ds_load_b64 v[8:9], v8
	s_waitcnt lgkmcnt(3)
	v_add_f64 v[0:1], v[0:1], v[2:3]
	v_add_nc_u32_e32 v2, 8, v139
	s_delay_alu instid0(VALU_DEP_1) | instskip(NEXT) | instid1(VALU_DEP_1)
	v_and_or_b32 v2, v2, 63, v12
	v_lshlrev_b32_e32 v2, 3, v2
	ds_load_b64 v[2:3], v2
	s_waitcnt lgkmcnt(3)
	v_add_f64 v[0:1], v[0:1], v[4:5]
	v_add_nc_u32_e32 v4, 9, v139
	v_add_nc_u32_e32 v5, 10, v139
	s_delay_alu instid0(VALU_DEP_2) | instskip(NEXT) | instid1(VALU_DEP_2)
	v_and_or_b32 v4, v4, 63, v12
	v_and_or_b32 v5, v5, 63, v12
	s_delay_alu instid0(VALU_DEP_2) | instskip(SKIP_4) | instid1(VALU_DEP_2)
	v_lshlrev_b32_e32 v4, 3, v4
	s_waitcnt lgkmcnt(2)
	v_add_f64 v[0:1], v[0:1], v[6:7]
	v_add_nc_u32_e32 v6, 11, v139
	v_lshlrev_b32_e32 v7, 3, v5
	v_and_or_b32 v6, v6, 63, v12
	s_waitcnt lgkmcnt(1)
	s_delay_alu instid0(VALU_DEP_4) | instskip(NEXT) | instid1(VALU_DEP_2)
	v_add_f64 v[0:1], v[0:1], v[8:9]
	v_lshlrev_b32_e32 v8, 3, v6
	ds_load_b64 v[4:5], v4
	ds_load_b64 v[6:7], v7
	ds_load_b64 v[8:9], v8
	s_waitcnt lgkmcnt(3)
	v_add_f64 v[0:1], v[0:1], v[2:3]
	v_add_nc_u32_e32 v2, 12, v139
	s_delay_alu instid0(VALU_DEP_1) | instskip(NEXT) | instid1(VALU_DEP_1)
	v_and_or_b32 v2, v2, 63, v12
	v_lshlrev_b32_e32 v2, 3, v2
	ds_load_b64 v[2:3], v2
	s_waitcnt lgkmcnt(3)
	v_add_f64 v[0:1], v[0:1], v[4:5]
	v_add_nc_u32_e32 v4, 13, v139
	v_add_nc_u32_e32 v5, 14, v139
	s_delay_alu instid0(VALU_DEP_2) | instskip(NEXT) | instid1(VALU_DEP_2)
	v_and_or_b32 v4, v4, 63, v12
	v_and_or_b32 v5, v5, 63, v12
	s_delay_alu instid0(VALU_DEP_2) | instskip(SKIP_4) | instid1(VALU_DEP_2)
	v_lshlrev_b32_e32 v4, 3, v4
	s_waitcnt lgkmcnt(2)
	v_add_f64 v[0:1], v[0:1], v[6:7]
	v_add_nc_u32_e32 v6, 15, v139
	v_lshlrev_b32_e32 v7, 3, v5
	v_and_or_b32 v6, v6, 63, v12
	s_waitcnt lgkmcnt(1)
	s_delay_alu instid0(VALU_DEP_4) | instskip(NEXT) | instid1(VALU_DEP_2)
	v_add_f64 v[0:1], v[0:1], v[8:9]
	;; [unrolled: 28-line block ×6, first 2 shown]
	v_lshlrev_b32_e32 v8, 3, v6
	ds_load_b64 v[4:5], v4
	ds_load_b64 v[6:7], v7
	;; [unrolled: 1-line block ×3, first 2 shown]
	s_waitcnt lgkmcnt(3)
	v_add_f64 v[0:1], v[0:1], v[2:3]
	v_xor_b32_e32 v2, 32, v10
	s_delay_alu instid0(VALU_DEP_1)
	v_lshlrev_b32_e32 v2, 3, v2
	ds_load_b64 v[2:3], v2
	s_waitcnt lgkmcnt(3)
	v_add_f64 v[0:1], v[0:1], v[4:5]
	v_add_nc_u32_e32 v4, 33, v139
	v_add_nc_u32_e32 v5, 34, v139
	s_delay_alu instid0(VALU_DEP_2) | instskip(NEXT) | instid1(VALU_DEP_2)
	v_and_or_b32 v4, v4, 63, v12
	v_and_or_b32 v5, v5, 63, v12
	s_delay_alu instid0(VALU_DEP_2) | instskip(SKIP_4) | instid1(VALU_DEP_2)
	v_lshlrev_b32_e32 v4, 3, v4
	s_waitcnt lgkmcnt(2)
	v_add_f64 v[0:1], v[0:1], v[6:7]
	v_add_nc_u32_e32 v6, 35, v139
	v_lshlrev_b32_e32 v7, 3, v5
	v_and_or_b32 v6, v6, 63, v12
	s_waitcnt lgkmcnt(1)
	s_delay_alu instid0(VALU_DEP_4) | instskip(NEXT) | instid1(VALU_DEP_2)
	v_add_f64 v[0:1], v[0:1], v[8:9]
	v_lshlrev_b32_e32 v8, 3, v6
	ds_load_b64 v[4:5], v4
	ds_load_b64 v[6:7], v7
	ds_load_b64 v[8:9], v8
	s_waitcnt lgkmcnt(3)
	v_add_f64 v[0:1], v[0:1], v[2:3]
	v_add_nc_u32_e32 v2, 36, v139
	s_delay_alu instid0(VALU_DEP_1) | instskip(NEXT) | instid1(VALU_DEP_1)
	v_and_or_b32 v2, v2, 63, v12
	v_lshlrev_b32_e32 v2, 3, v2
	ds_load_b64 v[2:3], v2
	s_waitcnt lgkmcnt(3)
	v_add_f64 v[0:1], v[0:1], v[4:5]
	v_add_nc_u32_e32 v4, 37, v139
	v_add_nc_u32_e32 v5, 38, v139
	s_delay_alu instid0(VALU_DEP_2) | instskip(NEXT) | instid1(VALU_DEP_2)
	v_and_or_b32 v4, v4, 63, v12
	v_and_or_b32 v5, v5, 63, v12
	s_delay_alu instid0(VALU_DEP_2) | instskip(SKIP_4) | instid1(VALU_DEP_2)
	v_lshlrev_b32_e32 v4, 3, v4
	s_waitcnt lgkmcnt(2)
	v_add_f64 v[0:1], v[0:1], v[6:7]
	v_add_nc_u32_e32 v6, 39, v139
	v_lshlrev_b32_e32 v7, 3, v5
	v_and_or_b32 v6, v6, 63, v12
	s_waitcnt lgkmcnt(1)
	s_delay_alu instid0(VALU_DEP_4) | instskip(NEXT) | instid1(VALU_DEP_2)
	v_add_f64 v[0:1], v[0:1], v[8:9]
	v_lshlrev_b32_e32 v8, 3, v6
	ds_load_b64 v[4:5], v4
	ds_load_b64 v[6:7], v7
	ds_load_b64 v[8:9], v8
	s_waitcnt lgkmcnt(3)
	v_add_f64 v[0:1], v[0:1], v[2:3]
	v_add_nc_u32_e32 v2, 40, v139
	s_delay_alu instid0(VALU_DEP_1) | instskip(NEXT) | instid1(VALU_DEP_1)
	v_and_or_b32 v2, v2, 63, v12
	;; [unrolled: 28-line block ×6, first 2 shown]
	v_lshlrev_b32_e32 v2, 3, v2
	ds_load_b64 v[2:3], v2
	s_waitcnt lgkmcnt(3)
	v_add_f64 v[0:1], v[0:1], v[4:5]
	v_add_nc_u32_e32 v4, 57, v139
	v_add_nc_u32_e32 v5, 58, v139
	s_delay_alu instid0(VALU_DEP_2) | instskip(NEXT) | instid1(VALU_DEP_2)
	v_and_or_b32 v4, v4, 63, v12
	v_and_or_b32 v5, v5, 63, v12
	s_delay_alu instid0(VALU_DEP_2) | instskip(NEXT) | instid1(VALU_DEP_2)
	v_lshlrev_b32_e32 v4, 3, v4
	v_lshlrev_b32_e32 v5, 3, v5
	s_waitcnt lgkmcnt(2)
	v_add_f64 v[0:1], v[0:1], v[6:7]
	v_add_nc_u32_e32 v6, 59, v139
	s_delay_alu instid0(VALU_DEP_1) | instskip(NEXT) | instid1(VALU_DEP_1)
	v_and_or_b32 v6, v6, 63, v12
	v_lshlrev_b32_e32 v10, 3, v6
	s_waitcnt lgkmcnt(1)
	s_delay_alu instid0(VALU_DEP_4)
	v_add_f64 v[0:1], v[0:1], v[8:9]
	ds_load_b64 v[6:7], v4
	ds_load_b64 v[8:9], v5
	;; [unrolled: 1-line block ×3, first 2 shown]
	s_waitcnt lgkmcnt(3)
	v_add_f64 v[0:1], v[0:1], v[2:3]
	v_mad_i64_i32 v[2:3], null, s5, v139, 0
	s_delay_alu instid0(VALU_DEP_1) | instskip(NEXT) | instid1(VALU_DEP_1)
	v_lshlrev_b64 v[2:3], 3, v[2:3]
	v_add_co_u32 v4, vcc_lo, s0, v2
	s_delay_alu instid0(VALU_DEP_2) | instskip(SKIP_4) | instid1(VALU_DEP_1)
	v_add_co_ci_u32_e32 v5, vcc_lo, s1, v3, vcc_lo
	global_load_b64 v[2:3], v[4:5], off
	s_waitcnt lgkmcnt(2)
	v_add_f64 v[0:1], v[0:1], v[6:7]
	v_add_nc_u32_e32 v6, 60, v139
	v_and_or_b32 v6, v6, 63, v12
	s_delay_alu instid0(VALU_DEP_1)
	v_lshlrev_b32_e32 v6, 3, v6
	ds_load_b64 v[6:7], v6
	s_waitcnt lgkmcnt(2)
	v_add_f64 v[0:1], v[0:1], v[8:9]
	v_add_nc_u32_e32 v8, 61, v139
	v_add_nc_u32_e32 v9, 62, v139
	s_delay_alu instid0(VALU_DEP_2) | instskip(NEXT) | instid1(VALU_DEP_2)
	v_and_or_b32 v8, v8, 63, v12
	v_and_or_b32 v9, v9, 63, v12
	s_delay_alu instid0(VALU_DEP_2) | instskip(SKIP_4) | instid1(VALU_DEP_2)
	v_lshlrev_b32_e32 v8, 3, v8
	s_waitcnt lgkmcnt(1)
	v_add_f64 v[0:1], v[0:1], v[10:11]
	v_add_nc_u32_e32 v10, -1, v139
	v_lshlrev_b32_e32 v11, 3, v9
	v_and_or_b32 v10, v10, 63, v12
	s_delay_alu instid0(VALU_DEP_1)
	v_lshlrev_b32_e32 v12, 3, v10
	ds_load_b64 v[8:9], v8
	ds_load_b64 v[10:11], v11
	ds_load_b64 v[12:13], v12
	s_waitcnt lgkmcnt(3)
	v_add_f64 v[0:1], v[0:1], v[6:7]
	s_waitcnt lgkmcnt(2)
	s_delay_alu instid0(VALU_DEP_1) | instskip(SKIP_1) | instid1(VALU_DEP_1)
	v_add_f64 v[0:1], v[0:1], v[8:9]
	s_waitcnt lgkmcnt(1)
	v_add_f64 v[0:1], v[0:1], v[10:11]
	s_waitcnt lgkmcnt(0)
	s_delay_alu instid0(VALU_DEP_1) | instskip(NEXT) | instid1(VALU_DEP_1)
	v_add_f64 v[0:1], v[0:1], v[12:13]
	v_mul_f64 v[6:7], s[2:3], v[0:1]
.LBB94_10:                              ; =>This Inner Loop Header: Depth=1
	s_waitcnt vmcnt(0)
	s_delay_alu instid0(VALU_DEP_1)
	v_add_f64 v[0:1], v[2:3], v[6:7]
	global_atomic_cmpswap_b64 v[0:1], v[4:5], v[0:3], off glc
	s_waitcnt vmcnt(0)
	v_cmp_eq_u64_e32 vcc_lo, v[0:1], v[2:3]
	v_dual_mov_b32 v3, v1 :: v_dual_mov_b32 v2, v0
	s_or_b32 s4, vcc_lo, s4
	s_delay_alu instid0(SALU_CYCLE_1)
	s_and_not1_b32 exec_lo, exec_lo, s4
	s_cbranch_execnz .LBB94_10
.LBB94_11:
	s_endpgm
	.section	.rodata,"a",@progbits
	.p2align	6, 0x0
	.amdhsa_kernel _ZL36rocblas_gemvt_double_buffered_kernelILb1ELi128ELi4ELi16EdPKddEviiT4_lPKT3_lilS5_lilPT5_lili
		.amdhsa_group_segment_fixed_size 65536
		.amdhsa_private_segment_fixed_size 0
		.amdhsa_kernarg_size 384
		.amdhsa_user_sgpr_count 13
		.amdhsa_user_sgpr_dispatch_ptr 0
		.amdhsa_user_sgpr_queue_ptr 0
		.amdhsa_user_sgpr_kernarg_segment_ptr 1
		.amdhsa_user_sgpr_dispatch_id 0
		.amdhsa_user_sgpr_private_segment_size 0
		.amdhsa_wavefront_size32 1
		.amdhsa_uses_dynamic_stack 0
		.amdhsa_enable_private_segment 0
		.amdhsa_system_sgpr_workgroup_id_x 1
		.amdhsa_system_sgpr_workgroup_id_y 1
		.amdhsa_system_sgpr_workgroup_id_z 1
		.amdhsa_system_sgpr_workgroup_info 0
		.amdhsa_system_vgpr_workitem_id 1
		.amdhsa_next_free_vgpr 174
		.amdhsa_next_free_sgpr 36
		.amdhsa_reserve_vcc 1
		.amdhsa_float_round_mode_32 0
		.amdhsa_float_round_mode_16_64 0
		.amdhsa_float_denorm_mode_32 3
		.amdhsa_float_denorm_mode_16_64 3
		.amdhsa_dx10_clamp 1
		.amdhsa_ieee_mode 1
		.amdhsa_fp16_overflow 0
		.amdhsa_workgroup_processor_mode 1
		.amdhsa_memory_ordered 1
		.amdhsa_forward_progress 0
		.amdhsa_shared_vgpr_count 0
		.amdhsa_exception_fp_ieee_invalid_op 0
		.amdhsa_exception_fp_denorm_src 0
		.amdhsa_exception_fp_ieee_div_zero 0
		.amdhsa_exception_fp_ieee_overflow 0
		.amdhsa_exception_fp_ieee_underflow 0
		.amdhsa_exception_fp_ieee_inexact 0
		.amdhsa_exception_int_div_zero 0
	.end_amdhsa_kernel
	.section	.text._ZL36rocblas_gemvt_double_buffered_kernelILb1ELi128ELi4ELi16EdPKddEviiT4_lPKT3_lilS5_lilPT5_lili,"axG",@progbits,_ZL36rocblas_gemvt_double_buffered_kernelILb1ELi128ELi4ELi16EdPKddEviiT4_lPKT3_lilS5_lilPT5_lili,comdat
.Lfunc_end94:
	.size	_ZL36rocblas_gemvt_double_buffered_kernelILb1ELi128ELi4ELi16EdPKddEviiT4_lPKT3_lilS5_lilPT5_lili, .Lfunc_end94-_ZL36rocblas_gemvt_double_buffered_kernelILb1ELi128ELi4ELi16EdPKddEviiT4_lPKT3_lilS5_lilPT5_lili
                                        ; -- End function
	.section	.AMDGPU.csdata,"",@progbits
; Kernel info:
; codeLenInByte = 6768
; NumSgprs: 38
; NumVgprs: 174
; ScratchSize: 0
; MemoryBound: 0
; FloatMode: 240
; IeeeMode: 1
; LDSByteSize: 65536 bytes/workgroup (compile time only)
; SGPRBlocks: 4
; VGPRBlocks: 21
; NumSGPRsForWavesPerEU: 38
; NumVGPRsForWavesPerEU: 174
; Occupancy: 8
; WaveLimiterHint : 0
; COMPUTE_PGM_RSRC2:SCRATCH_EN: 0
; COMPUTE_PGM_RSRC2:USER_SGPR: 13
; COMPUTE_PGM_RSRC2:TRAP_HANDLER: 0
; COMPUTE_PGM_RSRC2:TGID_X_EN: 1
; COMPUTE_PGM_RSRC2:TGID_Y_EN: 1
; COMPUTE_PGM_RSRC2:TGID_Z_EN: 1
; COMPUTE_PGM_RSRC2:TIDIG_COMP_CNT: 1
	.section	.text._ZL36rocblas_gemvt_double_buffered_kernelILb1ELi128ELi4ELi16EdddEviiT4_lPKT3_lilS3_lilPT5_lili,"axG",@progbits,_ZL36rocblas_gemvt_double_buffered_kernelILb1ELi128ELi4ELi16EdddEviiT4_lPKT3_lilS3_lilPT5_lili,comdat
	.globl	_ZL36rocblas_gemvt_double_buffered_kernelILb1ELi128ELi4ELi16EdddEviiT4_lPKT3_lilS3_lilPT5_lili ; -- Begin function _ZL36rocblas_gemvt_double_buffered_kernelILb1ELi128ELi4ELi16EdddEviiT4_lPKT3_lilS3_lilPT5_lili
	.p2align	8
	.type	_ZL36rocblas_gemvt_double_buffered_kernelILb1ELi128ELi4ELi16EdddEviiT4_lPKT3_lilS3_lilPT5_lili,@function
_ZL36rocblas_gemvt_double_buffered_kernelILb1ELi128ELi4ELi16EdddEviiT4_lPKT3_lilS3_lilPT5_lili: ; @_ZL36rocblas_gemvt_double_buffered_kernelILb1ELi128ELi4ELi16EdddEviiT4_lPKT3_lilS3_lilPT5_lili
; %bb.0:
	s_load_b64 s[2:3], s[0:1], 0x8
	s_waitcnt lgkmcnt(0)
	v_cmp_eq_f64_e64 s4, s[2:3], 0
	s_delay_alu instid0(VALU_DEP_1)
	s_and_b32 vcc_lo, exec_lo, s4
	s_cbranch_vccnz .LBB95_11
; %bb.1:
	s_clause 0x1
	s_load_b32 s4, s[0:1], 0x84
	s_load_b32 s5, s[0:1], 0x0
	s_waitcnt lgkmcnt(0)
	v_cvt_f32_u32_e32 v1, s4
	s_ashr_i32 s7, s5, 31
	s_sub_i32 s8, 0, s4
	s_lshr_b32 s7, s7, 25
	s_delay_alu instid0(SALU_CYCLE_1) | instskip(SKIP_4) | instid1(VALU_DEP_1)
	s_add_i32 s5, s5, s7
	v_rcp_iflag_f32_e32 v1, v1
	s_ashr_i32 s5, s5, 7
	s_waitcnt_depctr 0xfff
	v_mul_f32_e32 v1, 0x4f7ffffe, v1
	v_cvt_u32_f32_e32 v1, v1
	s_delay_alu instid0(VALU_DEP_1) | instskip(NEXT) | instid1(VALU_DEP_1)
	v_readfirstlane_b32 s6, v1
	s_mul_i32 s8, s8, s6
	s_delay_alu instid0(SALU_CYCLE_1) | instskip(NEXT) | instid1(SALU_CYCLE_1)
	s_mul_hi_u32 s7, s6, s8
	s_add_i32 s6, s6, s7
	s_delay_alu instid0(SALU_CYCLE_1) | instskip(NEXT) | instid1(SALU_CYCLE_1)
	s_mul_hi_u32 s6, s5, s6
	s_mul_i32 s7, s6, s4
	s_add_i32 s8, s6, 1
	s_sub_i32 s7, s5, s7
	s_delay_alu instid0(SALU_CYCLE_1)
	s_sub_i32 s9, s7, s4
	s_cmp_ge_u32 s7, s4
	s_cselect_b32 s6, s8, s6
	s_cselect_b32 s7, s9, s7
	s_add_i32 s8, s6, 1
	s_cmp_ge_u32 s7, s4
	s_cselect_b32 s8, s8, s6
	s_delay_alu instid0(SALU_CYCLE_1) | instskip(NEXT) | instid1(SALU_CYCLE_1)
	s_mul_i32 s4, s8, s4
	s_sub_i32 s9, s5, s4
	s_delay_alu instid0(SALU_CYCLE_1) | instskip(SKIP_1) | instid1(SALU_CYCLE_1)
	s_cmp_lt_u32 s14, s9
	s_cselect_b32 s4, -1, 0
	s_cmp_lg_u32 s4, 0
	s_addc_u32 s28, s8, 0
	s_delay_alu instid0(SALU_CYCLE_1)
	s_cmp_eq_u32 s28, 0
	s_cbranch_scc1 .LBB95_11
; %bb.2:
	v_and_b32_e32 v139, 0x3ff, v0
	v_bfe_u32 v140, v0, 10, 10
	s_clause 0x1
	s_load_b128 s[4:7], s[0:1], 0x50
	s_load_b64 s[16:17], s[0:1], 0x60
	v_mov_b32_e32 v35, 0
	v_mov_b32_e32 v36, 0
	v_and_b32_e32 v0, 63, v139
	v_lshl_add_u32 v65, v140, 7, v139
	s_lshl_b32 s12, s13, 7
	s_delay_alu instid0(VALU_DEP_3) | instskip(SKIP_1) | instid1(VALU_DEP_3)
	v_dual_mov_b32 v33, v35 :: v_dual_mov_b32 v34, v36
	v_dual_mov_b32 v38, v36 :: v_dual_mov_b32 v37, v35
	v_lshrrev_b32_e32 v141, 2, v65
	v_dual_mov_b32 v40, v36 :: v_dual_mov_b32 v39, v35
	v_mov_b32_e32 v50, v36
	v_dual_mov_b32 v42, v36 :: v_dual_mov_b32 v41, v35
	s_delay_alu instid0(VALU_DEP_4)
	v_dual_mov_b32 v46, v36 :: v_dual_and_b32 v143, 0x7ff0, v141
	v_dual_mov_b32 v45, v35 :: v_dual_mov_b32 v44, v36
	v_dual_mov_b32 v43, v35 :: v_dual_lshlrev_b32 v142, 3, v0
	v_dual_mov_b32 v49, v35 :: v_dual_mov_b32 v48, v36
	v_dual_mov_b32 v47, v35 :: v_dual_mov_b32 v54, v36
	;; [unrolled: 1-line block ×8, first 2 shown]
	v_mov_b32_e32 v63, v35
	s_ashr_i32 s13, s12, 31
	s_cmp_lt_i32 s28, 1
	s_cbranch_scc1 .LBB95_8
; %bb.3:
	v_cvt_f64_i32_e32 v[1:2], s14
	v_cvt_f64_u32_e32 v[3:4], s9
	s_mul_i32 s8, s8, s14
	s_clause 0x2
	s_load_b128 s[24:27], s[0:1], 0x30
	s_load_b32 s18, s[0:1], 0x28
	s_load_b32 s20, s[0:1], 0x48
	v_cvt_f64_u32_e32 v[5:6], s8
	s_clause 0x1
	s_load_b128 s[8:11], s[0:1], 0x18
	s_load_b64 s[30:31], s[0:1], 0x40
	s_waitcnt lgkmcnt(0)
	s_mul_i32 s5, s15, s5
	s_mul_hi_u32 s14, s15, s4
	s_mul_i32 s4, s15, s4
	v_mov_b32_e32 v33, 0
	v_dual_mov_b32 v34, 0 :: v_dual_lshlrev_b32 v35, 1, v65
	s_delay_alu instid0(VALU_DEP_1) | instskip(NEXT) | instid1(VALU_DEP_3)
	v_dual_mov_b32 v64, v34 :: v_dual_and_b32 v65, 0x7ff80, v35
	v_dual_mov_b32 v60, v34 :: v_dual_mov_b32 v63, v33
	v_dual_mov_b32 v62, v34 :: v_dual_mov_b32 v59, v33
	v_mov_b32_e32 v56, v34
	s_mul_i32 s19, s15, s25
	s_mul_hi_u32 s21, s15, s24
	s_mul_i32 s22, s15, s24
	s_add_i32 s23, s21, s19
	s_ashr_i32 s19, s18, 31
	s_lshl_b64 s[22:23], s[22:23], 3
	s_ashr_i32 s21, s20, 31
	s_add_u32 s29, s8, s22
	s_addc_u32 s33, s9, s23
	s_lshl_b64 s[24:25], s[10:11], 3
	s_mul_hi_i32 s11, s18, s12
	s_add_u32 s34, s29, s24
	s_addc_u32 s33, s33, s25
	s_add_i32 s5, s14, s5
	s_mul_i32 s10, s18, s12
	s_lshl_b64 s[4:5], s[4:5], 3
	v_dual_mov_b32 v61, v33 :: v_dual_mov_b32 v58, v34
	v_min_f64 v[1:2], v[1:2], v[3:4]
	s_add_u32 s14, s26, s4
	s_addc_u32 s26, s27, s5
	s_lshl_b64 s[4:5], s[30:31], 3
	v_dual_mov_b32 v55, v33 :: v_dual_mov_b32 v52, v34
	s_add_u32 s14, s14, s4
	s_addc_u32 s29, s26, s5
	s_lshl_b64 s[4:5], s[10:11], 3
	v_dual_mov_b32 v57, v33 :: v_dual_mov_b32 v54, v34
	s_add_u32 s10, s34, s4
	s_addc_u32 s11, s33, s5
	v_dual_mov_b32 v51, v33 :: v_dual_mov_b32 v48, v34
	v_dual_mov_b32 v53, v33 :: v_dual_mov_b32 v50, v34
	;; [unrolled: 1-line block ×8, first 2 shown]
	v_add_f64 v[1:2], v[1:2], v[5:6]
	s_delay_alu instid0(VALU_DEP_1) | instskip(SKIP_1) | instid1(VALU_DEP_1)
	v_cvt_i32_f64_e32 v4, v[1:2]
	v_mov_b32_e32 v1, 0
	v_mad_i64_i32 v[2:3], null, s18, v143, v[0:1]
	s_delay_alu instid0(VALU_DEP_1) | instskip(NEXT) | instid1(VALU_DEP_4)
	v_lshlrev_b64 v[1:2], 3, v[2:3]
	v_readfirstlane_b32 s26, v4
	s_delay_alu instid0(VALU_DEP_1) | instskip(NEXT) | instid1(SALU_CYCLE_1)
	s_lshl_b32 s4, s26, 7
	s_ashr_i32 s5, s4, 31
	s_delay_alu instid0(SALU_CYCLE_1) | instskip(NEXT) | instid1(SALU_CYCLE_1)
	s_lshl_b64 s[26:27], s[4:5], 3
	s_add_u32 s4, s10, s26
	s_addc_u32 s5, s11, s27
	v_add_co_u32 v1, vcc_lo, s4, v1
	v_add_co_ci_u32_e32 v2, vcc_lo, s5, v2, vcc_lo
	s_lshl_b64 s[4:5], s[18:19], 3
	s_lshl_b64 s[34:35], s[12:13], 3
	v_or_b32_e32 v67, s26, v142
	s_delay_alu instid0(VALU_DEP_2) | instskip(SKIP_2) | instid1(VALU_DEP_1)
	v_mad_i64_i32 v[31:32], null, 0x78, s18, v[1:2]
	global_load_b64 v[1:2], v[1:2], off
	v_add_co_u32 v69, s13, v65, s34
	v_add_co_ci_u32_e64 v68, null, 0, s35, s13
	s_add_i32 s30, s28, -1
	v_sub_co_u32 v3, vcc_lo, v31, s4
	v_subrev_co_ci_u32_e32 v4, vcc_lo, s5, v32, vcc_lo
	s_lshl_b64 s[10:11], s[20:21], 10
	s_delay_alu instid0(VALU_DEP_2) | instskip(NEXT) | instid1(VALU_DEP_2)
	v_sub_co_u32 v5, vcc_lo, v3, s4
	v_subrev_co_ci_u32_e32 v6, vcc_lo, s5, v4, vcc_lo
	global_load_b64 v[3:4], v[3:4], off
	v_sub_co_u32 v7, vcc_lo, v5, s4
	v_subrev_co_ci_u32_e32 v8, vcc_lo, s5, v6, vcc_lo
	global_load_b64 v[5:6], v[5:6], off
	;; [unrolled: 3-line block ×9, first 2 shown]
	v_sub_co_u32 v23, vcc_lo, v21, s4
	v_subrev_co_ci_u32_e32 v24, vcc_lo, s5, v22, vcc_lo
	s_add_u32 s8, s8, s26
	s_delay_alu instid0(VALU_DEP_2) | instskip(NEXT) | instid1(VALU_DEP_2)
	v_sub_co_u32 v25, vcc_lo, v23, s4
	v_subrev_co_ci_u32_e32 v26, vcc_lo, s5, v24, vcc_lo
	s_addc_u32 s9, s9, s27
	s_delay_alu instid0(VALU_DEP_2) | instskip(NEXT) | instid1(VALU_DEP_2)
	v_sub_co_u32 v27, vcc_lo, v25, s4
	v_subrev_co_ci_u32_e32 v28, vcc_lo, s5, v26, vcc_lo
	s_add_u32 s8, s8, s24
	s_delay_alu instid0(VALU_DEP_2) | instskip(NEXT) | instid1(VALU_DEP_2)
	v_sub_co_u32 v29, vcc_lo, v27, s4
	v_subrev_co_ci_u32_e32 v30, vcc_lo, s5, v28, vcc_lo
	global_load_b64 v[21:22], v[21:22], off
	global_load_b64 v[23:24], v[23:24], off
	;; [unrolled: 1-line block ×6, first 2 shown]
	v_add_co_u32 v73, vcc_lo, v69, 8
	v_add_co_ci_u32_e32 v74, vcc_lo, 0, v68, vcc_lo
	v_add_co_u32 v75, vcc_lo, v69, 16
	v_add_co_ci_u32_e32 v76, vcc_lo, 0, v68, vcc_lo
	;; [unrolled: 2-line block ×13, first 2 shown]
	v_or_b32_e32 v71, 0x200, v67
	v_add_co_u32 v99, vcc_lo, 0x70, v69
	s_addc_u32 s9, s9, s25
	s_add_u32 s8, s8, s22
	v_add_co_ci_u32_e32 v100, vcc_lo, 0, v68, vcc_lo
	s_addc_u32 s9, s9, s23
	v_add_co_u32 v102, vcc_lo, 0x78, v69
	v_mul_lo_u32 v101, v67, s21
	v_mad_u64_u32 v[65:66], null, v67, s20, 0
	v_add_co_ci_u32_e32 v103, vcc_lo, 0, v68, vcc_lo
	v_mul_lo_u32 v104, v69, s19
	v_mul_lo_u32 v105, v68, s18
	v_mad_u64_u32 v[67:68], null, v69, s18, s[8:9]
	v_mul_lo_u32 v106, v71, s21
	v_mad_u64_u32 v[69:70], null, v71, s20, 0
	v_mad_u64_u32 v[71:72], null, v73, s18, s[8:9]
	v_mul_lo_u32 v107, v73, s19
	v_mul_lo_u32 v108, v74, s18
	v_mad_u64_u32 v[73:74], null, v75, s18, s[8:9]
	v_mul_lo_u32 v109, v75, s19
	v_mul_lo_u32 v110, v76, s18
	;; [unrolled: 3-line block ×3, first 2 shown]
	v_add3_u32 v72, v108, v72, v107
	v_mad_u64_u32 v[77:78], null, v79, s18, s[8:9]
	v_mul_lo_u32 v113, v79, s19
	v_mul_lo_u32 v114, v80, s18
	v_add3_u32 v74, v110, v74, v109
	v_add_co_u32 v144, vcc_lo, 0x400, v71
	v_mad_u64_u32 v[79:80], null, v81, s18, s[8:9]
	v_mul_lo_u32 v115, v81, s19
	v_mul_lo_u32 v116, v82, s18
	v_add_co_ci_u32_e32 v145, vcc_lo, 0, v72, vcc_lo
	v_add3_u32 v76, v112, v76, v111
	v_add_co_u32 v146, vcc_lo, 0x400, v73
	v_mad_u64_u32 v[81:82], null, v83, s18, s[8:9]
	v_mul_lo_u32 v117, v83, s19
	v_mul_lo_u32 v118, v84, s18
	v_add_co_ci_u32_e32 v147, vcc_lo, 0, v74, vcc_lo
	;; [unrolled: 6-line block ×11, first 2 shown]
	v_add3_u32 v96, v132, v96, v131
	v_add_co_u32 v166, vcc_lo, 0x400, v93
	v_add_co_ci_u32_e32 v167, vcc_lo, 0, v94, vcc_lo
	v_add3_u32 v98, v134, v98, v133
	v_add_co_u32 v168, vcc_lo, 0x400, v95
	v_add_co_ci_u32_e32 v169, vcc_lo, 0, v96, vcc_lo
	;; [unrolled: 3-line block ×3, first 2 shown]
	v_add_co_u32 v172, vcc_lo, 0x400, v99
	v_mov_b32_e32 v37, v33
	v_mov_b32_e32 v35, v33
	v_add_co_ci_u32_e32 v173, vcc_lo, 0, v100, vcc_lo
	s_mul_i32 s31, s27, s20
	v_add3_u32 v68, v105, v68, v104
	v_add3_u32 v66, v66, v101, s31
	;; [unrolled: 1-line block ×3, first 2 shown]
	s_mov_b32 s8, 0
	s_waitcnt vmcnt(15)
	v_dual_mov_b32 v72, v2 :: v_dual_mov_b32 v71, v1
	s_waitcnt vmcnt(14)
	v_dual_mov_b32 v100, v4 :: v_dual_mov_b32 v99, v3
	;; [unrolled: 2-line block ×10, first 2 shown]
	s_waitcnt vmcnt(5)
	v_mov_b32_e32 v82, v22
	s_waitcnt vmcnt(4)
	v_mov_b32_e32 v80, v24
	s_waitcnt vmcnt(3)
	v_dual_mov_b32 v78, v26 :: v_dual_mov_b32 v81, v21
	s_waitcnt vmcnt(2)
	v_dual_mov_b32 v76, v28 :: v_dual_mov_b32 v79, v23
	;; [unrolled: 2-line block ×4, first 2 shown]
	v_mov_b32_e32 v73, v29
	v_mov_b32_e32 v101, v31
.LBB95_4:                               ; =>This Inner Loop Header: Depth=1
	v_add_co_u32 v137, vcc_lo, v67, v142
	v_add_co_ci_u32_e32 v138, vcc_lo, 0, v68, vcc_lo
	s_cmp_lg_u32 s30, s8
	s_delay_alu instid0(VALU_DEP_2) | instskip(NEXT) | instid1(VALU_DEP_2)
	v_add_co_u32 v103, vcc_lo, 0x200, v137
	v_add_co_ci_u32_e32 v104, vcc_lo, 0, v138, vcc_lo
	s_delay_alu instid0(VALU_DEP_2) | instskip(NEXT) | instid1(VALU_DEP_2)
	v_add_co_u32 v105, vcc_lo, v103, s4
	v_add_co_ci_u32_e32 v106, vcc_lo, s5, v104, vcc_lo
	;; [unrolled: 3-line block ×5, first 2 shown]
	s_clause 0x3
	global_load_b64 v[103:104], v[137:138], off offset:512
	global_load_b64 v[105:106], v[105:106], off
	global_load_b64 v[107:108], v[107:108], off
	;; [unrolled: 1-line block ×3, first 2 shown]
	v_add_co_u32 v113, vcc_lo, v111, s4
	v_add_co_ci_u32_e32 v114, vcc_lo, s5, v112, vcc_lo
	global_load_b64 v[111:112], v[111:112], off
	v_add_co_u32 v115, vcc_lo, v113, s4
	v_add_co_ci_u32_e32 v116, vcc_lo, s5, v114, vcc_lo
	global_load_b64 v[113:114], v[113:114], off
	;; [unrolled: 3-line block ×8, first 2 shown]
	v_add_co_u32 v129, vcc_lo, v127, s4
	v_add_co_ci_u32_e32 v130, vcc_lo, s5, v128, vcc_lo
	s_delay_alu instid0(VALU_DEP_2) | instskip(NEXT) | instid1(VALU_DEP_2)
	v_add_co_u32 v131, vcc_lo, v129, s4
	v_add_co_ci_u32_e32 v132, vcc_lo, s5, v130, vcc_lo
	s_delay_alu instid0(VALU_DEP_2) | instskip(NEXT) | instid1(VALU_DEP_2)
	v_add_co_u32 v133, vcc_lo, v131, s4
	v_add_co_ci_u32_e32 v134, vcc_lo, s5, v132, vcc_lo
	v_add_co_u32 v135, vcc_lo, s14, v65
	v_add_co_ci_u32_e32 v136, vcc_lo, s29, v66, vcc_lo
	global_load_b64 v[127:128], v[127:128], off
	global_load_b64 v[129:130], v[129:130], off
	;; [unrolled: 1-line block ×5, first 2 shown]
	s_cbranch_scc0 .LBB95_6
; %bb.5:                                ;   in Loop: Header=BB95_4 Depth=1
	v_add_co_u32 v73, vcc_lo, v144, v142
	v_add_co_ci_u32_e32 v74, vcc_lo, 0, v145, vcc_lo
	v_add_co_u32 v75, vcc_lo, v146, v142
	v_add_co_ci_u32_e32 v76, vcc_lo, 0, v147, vcc_lo
	;; [unrolled: 2-line block ×15, first 2 shown]
	global_load_b64 v[71:72], v[137:138], off offset:1024
	global_load_b64 v[73:74], v[73:74], off
	global_load_b64 v[75:76], v[75:76], off
	;; [unrolled: 1-line block ×15, first 2 shown]
.LBB95_6:                               ;   in Loop: Header=BB95_4 Depth=1
	v_add_co_u32 v137, vcc_lo, s14, v69
	v_add_co_ci_u32_e32 v138, vcc_lo, s29, v70, vcc_lo
	s_waitcnt vmcnt(0)
	v_fma_f64 v[1:2], v[1:2], v[135:136], v[33:34]
	v_fma_f64 v[29:30], v[29:30], v[135:136], v[63:64]
	;; [unrolled: 1-line block ×3, first 2 shown]
	global_load_b64 v[137:138], v[137:138], off
	v_fma_f64 v[25:26], v[25:26], v[135:136], v[61:62]
	v_fma_f64 v[23:24], v[23:24], v[135:136], v[55:56]
	;; [unrolled: 1-line block ×13, first 2 shown]
	v_add_co_u32 v144, vcc_lo, 0x400, v144
	v_add_co_ci_u32_e32 v145, vcc_lo, 0, v145, vcc_lo
	v_add_co_u32 v146, vcc_lo, 0x400, v146
	v_add_co_ci_u32_e32 v147, vcc_lo, 0, v147, vcc_lo
	;; [unrolled: 2-line block ×15, first 2 shown]
	v_add_co_u32 v67, vcc_lo, 0x400, v67
	s_add_i32 s8, s8, 1
	v_add_co_ci_u32_e32 v68, vcc_lo, 0, v68, vcc_lo
	s_add_u32 s14, s14, s10
	s_addc_u32 s29, s29, s11
	s_cmp_ge_i32 s8, s28
	s_waitcnt vmcnt(0)
	v_fma_f64 v[33:34], v[103:104], v[137:138], v[1:2]
	v_fma_f64 v[63:64], v[105:106], v[137:138], v[29:30]
	;; [unrolled: 1-line block ×16, first 2 shown]
	s_cbranch_scc1 .LBB95_8
; %bb.7:                                ;   in Loop: Header=BB95_4 Depth=1
	v_dual_mov_b32 v1, v71 :: v_dual_mov_b32 v2, v72
	v_dual_mov_b32 v29, v73 :: v_dual_mov_b32 v30, v74
	;; [unrolled: 1-line block ×16, first 2 shown]
	s_branch .LBB95_4
.LBB95_8:
	v_lshlrev_b32_e32 v2, 3, v139
	v_lshlrev_b32_e32 v3, 9, v141
	v_lshl_or_b32 v1, v143, 9, v142
	s_waitcnt lgkmcnt(0)
	s_mov_b32 s4, 0
	s_mov_b32 s5, exec_lo
	ds_store_2addr_stride64_b64 v1, v[33:34], v[63:64] offset1:1
	ds_store_2addr_stride64_b64 v1, v[59:60], v[61:62] offset0:2 offset1:3
	ds_store_2addr_stride64_b64 v1, v[55:56], v[57:58] offset0:4 offset1:5
	;; [unrolled: 1-line block ×3, first 2 shown]
	v_or3_b32 v2, v3, v2, 0x1e00
	ds_store_2addr_stride64_b64 v1, v[47:48], v[49:50] offset0:8 offset1:9
	ds_store_2addr_stride64_b64 v1, v[43:44], v[45:46] offset0:10 offset1:11
	;; [unrolled: 1-line block ×3, first 2 shown]
	ds_store_b64 v1, v[37:38] offset:7168
	ds_store_b64 v2, v[35:36]
	s_waitcnt lgkmcnt(0)
	s_barrier
	buffer_gl0_inv
	v_cmpx_eq_u32_e32 0, v140
	s_cbranch_execz .LBB95_11
; %bb.9:
	v_lshlrev_b32_e32 v12, 6, v139
	v_add_nc_u32_e32 v2, 1, v139
	v_add_nc_u32_e32 v3, 2, v139
	;; [unrolled: 1-line block ×3, first 2 shown]
	s_clause 0x1
	s_load_b64 s[8:9], s[0:1], 0x70
	s_load_b32 s5, s[0:1], 0x68
	v_or_b32_e32 v10, v0, v12
	v_and_or_b32 v2, v2, 63, v12
	v_and_or_b32 v3, v3, 63, v12
	;; [unrolled: 1-line block ×3, first 2 shown]
	s_delay_alu instid0(VALU_DEP_4) | instskip(NEXT) | instid1(VALU_DEP_4)
	v_lshlrev_b32_e32 v0, 3, v10
	v_lshlrev_b32_e32 v2, 3, v2
	s_delay_alu instid0(VALU_DEP_4) | instskip(NEXT) | instid1(VALU_DEP_4)
	v_lshlrev_b32_e32 v5, 3, v3
	v_lshlrev_b32_e32 v6, 3, v4
	ds_load_b64 v[0:1], v0
	ds_load_b64 v[2:3], v2
	;; [unrolled: 1-line block ×4, first 2 shown]
	s_waitcnt lgkmcnt(0)
	s_mul_i32 s1, s15, s9
	s_mul_hi_u32 s9, s15, s8
	s_mul_i32 s0, s15, s8
	s_add_i32 s1, s9, s1
	s_delay_alu instid0(SALU_CYCLE_1) | instskip(NEXT) | instid1(SALU_CYCLE_1)
	s_lshl_b64 s[0:1], s[0:1], 3
	s_add_u32 s6, s6, s0
	s_addc_u32 s7, s7, s1
	s_lshl_b64 s[0:1], s[16:17], 3
	s_delay_alu instid0(SALU_CYCLE_1) | instskip(SKIP_4) | instid1(SALU_CYCLE_1)
	s_add_u32 s6, s6, s0
	v_add_f64 v[0:1], v[0:1], 0
	s_addc_u32 s7, s7, s1
	s_mul_hi_i32 s1, s5, s12
	s_mul_i32 s0, s5, s12
	s_lshl_b64 s[0:1], s[0:1], 3
	s_delay_alu instid0(SALU_CYCLE_1) | instskip(SKIP_1) | instid1(VALU_DEP_1)
	s_add_u32 s0, s6, s0
	s_addc_u32 s1, s7, s1
	v_add_f64 v[0:1], v[0:1], v[2:3]
	v_add_nc_u32_e32 v2, 4, v139
	s_delay_alu instid0(VALU_DEP_1) | instskip(NEXT) | instid1(VALU_DEP_1)
	v_and_or_b32 v2, v2, 63, v12
	v_lshlrev_b32_e32 v2, 3, v2
	ds_load_b64 v[2:3], v2
	v_add_f64 v[0:1], v[0:1], v[4:5]
	v_add_nc_u32_e32 v4, 5, v139
	v_add_nc_u32_e32 v5, 6, v139
	s_delay_alu instid0(VALU_DEP_2) | instskip(NEXT) | instid1(VALU_DEP_2)
	v_and_or_b32 v4, v4, 63, v12
	v_and_or_b32 v5, v5, 63, v12
	s_delay_alu instid0(VALU_DEP_2) | instskip(SKIP_2) | instid1(VALU_DEP_4)
	v_lshlrev_b32_e32 v4, 3, v4
	v_add_f64 v[0:1], v[0:1], v[6:7]
	v_add_nc_u32_e32 v6, 7, v139
	v_lshlrev_b32_e32 v7, 3, v5
	s_delay_alu instid0(VALU_DEP_2) | instskip(NEXT) | instid1(VALU_DEP_1)
	v_and_or_b32 v6, v6, 63, v12
	v_lshlrev_b32_e32 v8, 3, v6
	ds_load_b64 v[4:5], v4
	ds_load_b64 v[6:7], v7
	ds_load_b64 v[8:9], v8
	s_waitcnt lgkmcnt(3)
	v_add_f64 v[0:1], v[0:1], v[2:3]
	v_add_nc_u32_e32 v2, 8, v139
	s_delay_alu instid0(VALU_DEP_1) | instskip(NEXT) | instid1(VALU_DEP_1)
	v_and_or_b32 v2, v2, 63, v12
	v_lshlrev_b32_e32 v2, 3, v2
	ds_load_b64 v[2:3], v2
	s_waitcnt lgkmcnt(3)
	v_add_f64 v[0:1], v[0:1], v[4:5]
	v_add_nc_u32_e32 v4, 9, v139
	v_add_nc_u32_e32 v5, 10, v139
	s_delay_alu instid0(VALU_DEP_2) | instskip(NEXT) | instid1(VALU_DEP_2)
	v_and_or_b32 v4, v4, 63, v12
	v_and_or_b32 v5, v5, 63, v12
	s_delay_alu instid0(VALU_DEP_2) | instskip(SKIP_4) | instid1(VALU_DEP_2)
	v_lshlrev_b32_e32 v4, 3, v4
	s_waitcnt lgkmcnt(2)
	v_add_f64 v[0:1], v[0:1], v[6:7]
	v_add_nc_u32_e32 v6, 11, v139
	v_lshlrev_b32_e32 v7, 3, v5
	v_and_or_b32 v6, v6, 63, v12
	s_waitcnt lgkmcnt(1)
	s_delay_alu instid0(VALU_DEP_4) | instskip(NEXT) | instid1(VALU_DEP_2)
	v_add_f64 v[0:1], v[0:1], v[8:9]
	v_lshlrev_b32_e32 v8, 3, v6
	ds_load_b64 v[4:5], v4
	ds_load_b64 v[6:7], v7
	ds_load_b64 v[8:9], v8
	s_waitcnt lgkmcnt(3)
	v_add_f64 v[0:1], v[0:1], v[2:3]
	v_add_nc_u32_e32 v2, 12, v139
	s_delay_alu instid0(VALU_DEP_1) | instskip(NEXT) | instid1(VALU_DEP_1)
	v_and_or_b32 v2, v2, 63, v12
	v_lshlrev_b32_e32 v2, 3, v2
	ds_load_b64 v[2:3], v2
	s_waitcnt lgkmcnt(3)
	v_add_f64 v[0:1], v[0:1], v[4:5]
	v_add_nc_u32_e32 v4, 13, v139
	v_add_nc_u32_e32 v5, 14, v139
	s_delay_alu instid0(VALU_DEP_2) | instskip(NEXT) | instid1(VALU_DEP_2)
	v_and_or_b32 v4, v4, 63, v12
	v_and_or_b32 v5, v5, 63, v12
	s_delay_alu instid0(VALU_DEP_2) | instskip(SKIP_4) | instid1(VALU_DEP_2)
	v_lshlrev_b32_e32 v4, 3, v4
	s_waitcnt lgkmcnt(2)
	v_add_f64 v[0:1], v[0:1], v[6:7]
	v_add_nc_u32_e32 v6, 15, v139
	v_lshlrev_b32_e32 v7, 3, v5
	v_and_or_b32 v6, v6, 63, v12
	s_waitcnt lgkmcnt(1)
	s_delay_alu instid0(VALU_DEP_4) | instskip(NEXT) | instid1(VALU_DEP_2)
	v_add_f64 v[0:1], v[0:1], v[8:9]
	;; [unrolled: 28-line block ×6, first 2 shown]
	v_lshlrev_b32_e32 v8, 3, v6
	ds_load_b64 v[4:5], v4
	ds_load_b64 v[6:7], v7
	;; [unrolled: 1-line block ×3, first 2 shown]
	s_waitcnt lgkmcnt(3)
	v_add_f64 v[0:1], v[0:1], v[2:3]
	v_xor_b32_e32 v2, 32, v10
	s_delay_alu instid0(VALU_DEP_1)
	v_lshlrev_b32_e32 v2, 3, v2
	ds_load_b64 v[2:3], v2
	s_waitcnt lgkmcnt(3)
	v_add_f64 v[0:1], v[0:1], v[4:5]
	v_add_nc_u32_e32 v4, 33, v139
	v_add_nc_u32_e32 v5, 34, v139
	s_delay_alu instid0(VALU_DEP_2) | instskip(NEXT) | instid1(VALU_DEP_2)
	v_and_or_b32 v4, v4, 63, v12
	v_and_or_b32 v5, v5, 63, v12
	s_delay_alu instid0(VALU_DEP_2) | instskip(SKIP_4) | instid1(VALU_DEP_2)
	v_lshlrev_b32_e32 v4, 3, v4
	s_waitcnt lgkmcnt(2)
	v_add_f64 v[0:1], v[0:1], v[6:7]
	v_add_nc_u32_e32 v6, 35, v139
	v_lshlrev_b32_e32 v7, 3, v5
	v_and_or_b32 v6, v6, 63, v12
	s_waitcnt lgkmcnt(1)
	s_delay_alu instid0(VALU_DEP_4) | instskip(NEXT) | instid1(VALU_DEP_2)
	v_add_f64 v[0:1], v[0:1], v[8:9]
	v_lshlrev_b32_e32 v8, 3, v6
	ds_load_b64 v[4:5], v4
	ds_load_b64 v[6:7], v7
	ds_load_b64 v[8:9], v8
	s_waitcnt lgkmcnt(3)
	v_add_f64 v[0:1], v[0:1], v[2:3]
	v_add_nc_u32_e32 v2, 36, v139
	s_delay_alu instid0(VALU_DEP_1) | instskip(NEXT) | instid1(VALU_DEP_1)
	v_and_or_b32 v2, v2, 63, v12
	v_lshlrev_b32_e32 v2, 3, v2
	ds_load_b64 v[2:3], v2
	s_waitcnt lgkmcnt(3)
	v_add_f64 v[0:1], v[0:1], v[4:5]
	v_add_nc_u32_e32 v4, 37, v139
	v_add_nc_u32_e32 v5, 38, v139
	s_delay_alu instid0(VALU_DEP_2) | instskip(NEXT) | instid1(VALU_DEP_2)
	v_and_or_b32 v4, v4, 63, v12
	v_and_or_b32 v5, v5, 63, v12
	s_delay_alu instid0(VALU_DEP_2) | instskip(SKIP_4) | instid1(VALU_DEP_2)
	v_lshlrev_b32_e32 v4, 3, v4
	s_waitcnt lgkmcnt(2)
	v_add_f64 v[0:1], v[0:1], v[6:7]
	v_add_nc_u32_e32 v6, 39, v139
	v_lshlrev_b32_e32 v7, 3, v5
	v_and_or_b32 v6, v6, 63, v12
	s_waitcnt lgkmcnt(1)
	s_delay_alu instid0(VALU_DEP_4) | instskip(NEXT) | instid1(VALU_DEP_2)
	v_add_f64 v[0:1], v[0:1], v[8:9]
	v_lshlrev_b32_e32 v8, 3, v6
	ds_load_b64 v[4:5], v4
	ds_load_b64 v[6:7], v7
	ds_load_b64 v[8:9], v8
	s_waitcnt lgkmcnt(3)
	v_add_f64 v[0:1], v[0:1], v[2:3]
	v_add_nc_u32_e32 v2, 40, v139
	s_delay_alu instid0(VALU_DEP_1) | instskip(NEXT) | instid1(VALU_DEP_1)
	v_and_or_b32 v2, v2, 63, v12
	;; [unrolled: 28-line block ×6, first 2 shown]
	v_lshlrev_b32_e32 v2, 3, v2
	ds_load_b64 v[2:3], v2
	s_waitcnt lgkmcnt(3)
	v_add_f64 v[0:1], v[0:1], v[4:5]
	v_add_nc_u32_e32 v4, 57, v139
	v_add_nc_u32_e32 v5, 58, v139
	s_delay_alu instid0(VALU_DEP_2) | instskip(NEXT) | instid1(VALU_DEP_2)
	v_and_or_b32 v4, v4, 63, v12
	v_and_or_b32 v5, v5, 63, v12
	s_delay_alu instid0(VALU_DEP_2) | instskip(NEXT) | instid1(VALU_DEP_2)
	v_lshlrev_b32_e32 v4, 3, v4
	v_lshlrev_b32_e32 v5, 3, v5
	s_waitcnt lgkmcnt(2)
	v_add_f64 v[0:1], v[0:1], v[6:7]
	v_add_nc_u32_e32 v6, 59, v139
	s_delay_alu instid0(VALU_DEP_1) | instskip(NEXT) | instid1(VALU_DEP_1)
	v_and_or_b32 v6, v6, 63, v12
	v_lshlrev_b32_e32 v10, 3, v6
	s_waitcnt lgkmcnt(1)
	s_delay_alu instid0(VALU_DEP_4)
	v_add_f64 v[0:1], v[0:1], v[8:9]
	ds_load_b64 v[6:7], v4
	ds_load_b64 v[8:9], v5
	;; [unrolled: 1-line block ×3, first 2 shown]
	s_waitcnt lgkmcnt(3)
	v_add_f64 v[0:1], v[0:1], v[2:3]
	v_mad_i64_i32 v[2:3], null, s5, v139, 0
	s_delay_alu instid0(VALU_DEP_1) | instskip(NEXT) | instid1(VALU_DEP_1)
	v_lshlrev_b64 v[2:3], 3, v[2:3]
	v_add_co_u32 v4, vcc_lo, s0, v2
	s_delay_alu instid0(VALU_DEP_2) | instskip(SKIP_4) | instid1(VALU_DEP_1)
	v_add_co_ci_u32_e32 v5, vcc_lo, s1, v3, vcc_lo
	global_load_b64 v[2:3], v[4:5], off
	s_waitcnt lgkmcnt(2)
	v_add_f64 v[0:1], v[0:1], v[6:7]
	v_add_nc_u32_e32 v6, 60, v139
	v_and_or_b32 v6, v6, 63, v12
	s_delay_alu instid0(VALU_DEP_1)
	v_lshlrev_b32_e32 v6, 3, v6
	ds_load_b64 v[6:7], v6
	s_waitcnt lgkmcnt(2)
	v_add_f64 v[0:1], v[0:1], v[8:9]
	v_add_nc_u32_e32 v8, 61, v139
	v_add_nc_u32_e32 v9, 62, v139
	s_delay_alu instid0(VALU_DEP_2) | instskip(NEXT) | instid1(VALU_DEP_2)
	v_and_or_b32 v8, v8, 63, v12
	v_and_or_b32 v9, v9, 63, v12
	s_delay_alu instid0(VALU_DEP_2) | instskip(SKIP_4) | instid1(VALU_DEP_2)
	v_lshlrev_b32_e32 v8, 3, v8
	s_waitcnt lgkmcnt(1)
	v_add_f64 v[0:1], v[0:1], v[10:11]
	v_add_nc_u32_e32 v10, -1, v139
	v_lshlrev_b32_e32 v11, 3, v9
	v_and_or_b32 v10, v10, 63, v12
	s_delay_alu instid0(VALU_DEP_1)
	v_lshlrev_b32_e32 v12, 3, v10
	ds_load_b64 v[8:9], v8
	ds_load_b64 v[10:11], v11
	;; [unrolled: 1-line block ×3, first 2 shown]
	s_waitcnt lgkmcnt(3)
	v_add_f64 v[0:1], v[0:1], v[6:7]
	s_waitcnt lgkmcnt(2)
	s_delay_alu instid0(VALU_DEP_1) | instskip(SKIP_1) | instid1(VALU_DEP_1)
	v_add_f64 v[0:1], v[0:1], v[8:9]
	s_waitcnt lgkmcnt(1)
	v_add_f64 v[0:1], v[0:1], v[10:11]
	s_waitcnt lgkmcnt(0)
	s_delay_alu instid0(VALU_DEP_1) | instskip(NEXT) | instid1(VALU_DEP_1)
	v_add_f64 v[0:1], v[0:1], v[12:13]
	v_mul_f64 v[6:7], v[0:1], s[2:3]
.LBB95_10:                              ; =>This Inner Loop Header: Depth=1
	s_waitcnt vmcnt(0)
	s_delay_alu instid0(VALU_DEP_1)
	v_add_f64 v[0:1], v[2:3], v[6:7]
	global_atomic_cmpswap_b64 v[0:1], v[4:5], v[0:3], off glc
	s_waitcnt vmcnt(0)
	v_cmp_eq_u64_e32 vcc_lo, v[0:1], v[2:3]
	v_dual_mov_b32 v3, v1 :: v_dual_mov_b32 v2, v0
	s_or_b32 s4, vcc_lo, s4
	s_delay_alu instid0(SALU_CYCLE_1)
	s_and_not1_b32 exec_lo, exec_lo, s4
	s_cbranch_execnz .LBB95_10
.LBB95_11:
	s_endpgm
	.section	.rodata,"a",@progbits
	.p2align	6, 0x0
	.amdhsa_kernel _ZL36rocblas_gemvt_double_buffered_kernelILb1ELi128ELi4ELi16EdddEviiT4_lPKT3_lilS3_lilPT5_lili
		.amdhsa_group_segment_fixed_size 65536
		.amdhsa_private_segment_fixed_size 0
		.amdhsa_kernarg_size 384
		.amdhsa_user_sgpr_count 13
		.amdhsa_user_sgpr_dispatch_ptr 0
		.amdhsa_user_sgpr_queue_ptr 0
		.amdhsa_user_sgpr_kernarg_segment_ptr 1
		.amdhsa_user_sgpr_dispatch_id 0
		.amdhsa_user_sgpr_private_segment_size 0
		.amdhsa_wavefront_size32 1
		.amdhsa_uses_dynamic_stack 0
		.amdhsa_enable_private_segment 0
		.amdhsa_system_sgpr_workgroup_id_x 1
		.amdhsa_system_sgpr_workgroup_id_y 1
		.amdhsa_system_sgpr_workgroup_id_z 1
		.amdhsa_system_sgpr_workgroup_info 0
		.amdhsa_system_vgpr_workitem_id 1
		.amdhsa_next_free_vgpr 174
		.amdhsa_next_free_sgpr 36
		.amdhsa_reserve_vcc 1
		.amdhsa_float_round_mode_32 0
		.amdhsa_float_round_mode_16_64 0
		.amdhsa_float_denorm_mode_32 3
		.amdhsa_float_denorm_mode_16_64 3
		.amdhsa_dx10_clamp 1
		.amdhsa_ieee_mode 1
		.amdhsa_fp16_overflow 0
		.amdhsa_workgroup_processor_mode 1
		.amdhsa_memory_ordered 1
		.amdhsa_forward_progress 0
		.amdhsa_shared_vgpr_count 0
		.amdhsa_exception_fp_ieee_invalid_op 0
		.amdhsa_exception_fp_denorm_src 0
		.amdhsa_exception_fp_ieee_div_zero 0
		.amdhsa_exception_fp_ieee_overflow 0
		.amdhsa_exception_fp_ieee_underflow 0
		.amdhsa_exception_fp_ieee_inexact 0
		.amdhsa_exception_int_div_zero 0
	.end_amdhsa_kernel
	.section	.text._ZL36rocblas_gemvt_double_buffered_kernelILb1ELi128ELi4ELi16EdddEviiT4_lPKT3_lilS3_lilPT5_lili,"axG",@progbits,_ZL36rocblas_gemvt_double_buffered_kernelILb1ELi128ELi4ELi16EdddEviiT4_lPKT3_lilS3_lilPT5_lili,comdat
.Lfunc_end95:
	.size	_ZL36rocblas_gemvt_double_buffered_kernelILb1ELi128ELi4ELi16EdddEviiT4_lPKT3_lilS3_lilPT5_lili, .Lfunc_end95-_ZL36rocblas_gemvt_double_buffered_kernelILb1ELi128ELi4ELi16EdddEviiT4_lPKT3_lilS3_lilPT5_lili
                                        ; -- End function
	.section	.AMDGPU.csdata,"",@progbits
; Kernel info:
; codeLenInByte = 6732
; NumSgprs: 38
; NumVgprs: 174
; ScratchSize: 0
; MemoryBound: 0
; FloatMode: 240
; IeeeMode: 1
; LDSByteSize: 65536 bytes/workgroup (compile time only)
; SGPRBlocks: 4
; VGPRBlocks: 21
; NumSGPRsForWavesPerEU: 38
; NumVGPRsForWavesPerEU: 174
; Occupancy: 8
; WaveLimiterHint : 0
; COMPUTE_PGM_RSRC2:SCRATCH_EN: 0
; COMPUTE_PGM_RSRC2:USER_SGPR: 13
; COMPUTE_PGM_RSRC2:TRAP_HANDLER: 0
; COMPUTE_PGM_RSRC2:TGID_X_EN: 1
; COMPUTE_PGM_RSRC2:TGID_Y_EN: 1
; COMPUTE_PGM_RSRC2:TGID_Z_EN: 1
; COMPUTE_PGM_RSRC2:TIDIG_COMP_CNT: 1
	.section	.text._ZL20rocblas_gemvt_kernelILb1ELi256EdPKddEviiT2_lPKT1_lilS5_lilS2_lPT3_lili,"axG",@progbits,_ZL20rocblas_gemvt_kernelILb1ELi256EdPKddEviiT2_lPKT1_lilS5_lilS2_lPT3_lili,comdat
	.globl	_ZL20rocblas_gemvt_kernelILb1ELi256EdPKddEviiT2_lPKT1_lilS5_lilS2_lPT3_lili ; -- Begin function _ZL20rocblas_gemvt_kernelILb1ELi256EdPKddEviiT2_lPKT1_lilS5_lilS2_lPT3_lili
	.p2align	8
	.type	_ZL20rocblas_gemvt_kernelILb1ELi256EdPKddEviiT2_lPKT1_lilS5_lilS2_lPT3_lili,@function
_ZL20rocblas_gemvt_kernelILb1ELi256EdPKddEviiT2_lPKT1_lilS5_lilS2_lPT3_lili: ; @_ZL20rocblas_gemvt_kernelILb1ELi256EdPKddEviiT2_lPKT1_lilS5_lilS2_lPT3_lili
; %bb.0:
	s_clause 0x1
	s_load_b256 s[16:23], s[0:1], 0x8
	s_load_b256 s[4:11], s[0:1], 0x50
	s_waitcnt lgkmcnt(0)
	s_mul_i32 s3, s15, s19
	s_mul_hi_u32 s12, s15, s18
	s_mul_i32 s2, s15, s18
	s_add_i32 s3, s12, s3
	s_mul_i32 s9, s15, s9
	s_lshl_b64 s[2:3], s[2:3], 3
	s_mul_hi_u32 s12, s15, s8
	s_add_u32 s2, s16, s2
	s_addc_u32 s3, s17, s3
	s_add_i32 s9, s12, s9
	s_mul_i32 s8, s15, s8
	s_delay_alu instid0(SALU_CYCLE_1) | instskip(NEXT) | instid1(SALU_CYCLE_1)
	s_lshl_b64 s[8:9], s[8:9], 3
	s_add_u32 s6, s6, s8
	s_addc_u32 s7, s7, s9
	s_load_b64 s[12:13], s[2:3], 0x0
	s_load_b64 s[6:7], s[6:7], 0x0
	s_waitcnt lgkmcnt(0)
	v_cmp_eq_f64_e64 s2, s[12:13], 0
	v_cmp_eq_f64_e64 s3, s[6:7], 1.0
	s_delay_alu instid0(VALU_DEP_1) | instskip(NEXT) | instid1(SALU_CYCLE_1)
	s_and_b32 s2, s2, s3
	s_and_b32 vcc_lo, exec_lo, s2
	s_cbranch_vccnz .LBB96_36
; %bb.1:
	v_cmp_neq_f64_e64 s16, s[12:13], 0
	s_clause 0x2
	s_load_b64 s[2:3], s[0:1], 0x80
	s_load_b64 s[8:9], s[0:1], 0x70
	s_load_b32 s24, s[0:1], 0x78
	s_mov_b32 s25, 0
	s_waitcnt lgkmcnt(0)
	s_mul_i32 s3, s15, s3
	s_mul_hi_u32 s17, s15, s2
	s_mul_i32 s2, s15, s2
	s_add_i32 s3, s17, s3
	s_delay_alu instid0(SALU_CYCLE_1) | instskip(NEXT) | instid1(SALU_CYCLE_1)
	s_lshl_b64 s[2:3], s[2:3], 3
	s_add_u32 s10, s10, s2
	s_addc_u32 s11, s11, s3
	s_lshl_b64 s[2:3], s[8:9], 3
	s_delay_alu instid0(SALU_CYCLE_1) | instskip(SKIP_2) | instid1(VALU_DEP_2)
	s_add_u32 s18, s10, s2
	v_cmp_eq_u32_e64 s2, 0, v0
	s_addc_u32 s19, s11, s3
	s_and_b32 vcc_lo, exec_lo, s16
	s_cbranch_vccnz .LBB96_6
; %bb.2:
	s_mov_b32 s3, 0
                                        ; implicit-def: $vgpr1_vgpr2
                                        ; implicit-def: $sgpr8_sgpr9
	s_and_saveexec_b32 s10, s2
	s_cbranch_execz .LBB96_7
; %bb.3:
	v_cmp_eq_f64_e64 s2, s[6:7], 0
	v_mov_b32_e32 v1, 0
	v_mov_b32_e32 v2, 0
	s_mul_hi_i32 s9, s24, s14
	s_mul_i32 s8, s24, s14
	s_delay_alu instid0(VALU_DEP_3)
	s_and_b32 vcc_lo, exec_lo, s2
	s_cbranch_vccnz .LBB96_5
; %bb.4:
	s_lshl_b64 s[16:17], s[8:9], 3
	s_delay_alu instid0(SALU_CYCLE_1)
	s_add_u32 s16, s18, s16
	s_addc_u32 s17, s19, s17
	s_load_b64 s[16:17], s[16:17], 0x0
	s_waitcnt lgkmcnt(0)
	v_mul_f64 v[1:2], s[6:7], s[16:17]
.LBB96_5:
	s_mov_b32 s25, exec_lo
	s_or_b32 exec_lo, exec_lo, s10
	s_delay_alu instid0(SALU_CYCLE_1)
	s_and_b32 vcc_lo, exec_lo, s3
	s_cbranch_vccnz .LBB96_8
	s_branch .LBB96_34
.LBB96_6:
                                        ; implicit-def: $vgpr1_vgpr2
                                        ; implicit-def: $sgpr8_sgpr9
	s_cbranch_execnz .LBB96_8
	s_branch .LBB96_34
.LBB96_7:
	s_or_b32 exec_lo, exec_lo, s10
	s_delay_alu instid0(SALU_CYCLE_1)
	s_and_b32 vcc_lo, exec_lo, s3
	s_cbranch_vccz .LBB96_34
.LBB96_8:
	s_clause 0x4
	s_load_b128 s[8:11], s[0:1], 0x30
	s_load_b32 s26, s[0:1], 0x0
	s_load_b32 s16, s[0:1], 0x28
	s_load_b64 s[2:3], s[0:1], 0x40
	s_load_b32 s0, s[0:1], 0x48
	s_mul_i32 s5, s15, s5
	s_mul_hi_u32 s17, s15, s4
	v_mov_b32_e32 v3, 0
	s_add_i32 s5, s17, s5
	s_mul_i32 s4, s15, s4
	v_mov_b32_e32 v4, 0
	s_waitcnt lgkmcnt(0)
	s_mul_i32 s1, s15, s9
	s_mul_hi_u32 s9, s15, s8
	v_cmp_gt_i32_e32 vcc_lo, s26, v0
	s_mul_i32 s8, s15, s8
	s_add_i32 s9, s9, s1
	s_mul_hi_i32 s17, s16, s14
	s_lshl_b64 s[8:9], s[8:9], 3
	v_cndmask_b32_e32 v1, 0, v0, vcc_lo
	s_add_u32 s1, s20, s8
	s_addc_u32 s20, s21, s9
	s_lshl_b64 s[8:9], s[22:23], 3
	s_mul_i32 s16, s16, s14
	s_add_u32 s1, s1, s8
	s_addc_u32 s20, s20, s9
	s_lshl_b64 s[8:9], s[16:17], 3
	v_lshlrev_b32_e32 v1, 3, v1
	s_add_u32 s1, s8, s1
	s_addc_u32 s8, s9, s20
	s_ashr_i32 s9, s26, 31
	s_delay_alu instid0(SALU_CYCLE_1)
	s_lshr_b32 s9, s9, 24
	v_add_co_u32 v1, s1, s1, v1
	s_add_i32 s9, s26, s9
	v_add_co_ci_u32_e64 v2, null, s8, 0, s1
	s_and_b32 s8, s9, 0xffffff00
	s_cmpk_lt_i32 s26, 0x100
	s_mov_b32 s9, 0
	s_cbranch_scc1 .LBB96_11
; %bb.9:
	v_mad_i64_i32 v[5:6], null, s0, v0, 0
	s_lshl_b64 s[20:21], s[2:3], 3
	s_ashr_i32 s1, s0, 31
	s_lshl_b64 s[16:17], s[4:5], 3
	s_add_u32 s15, s10, s20
	s_addc_u32 s20, s11, s21
	s_add_u32 s15, s15, s16
	s_delay_alu instid0(VALU_DEP_1) | instskip(SKIP_3) | instid1(VALU_DEP_3)
	v_lshlrev_b64 v[5:6], 3, v[5:6]
	s_addc_u32 s16, s20, s17
	v_dual_mov_b32 v3, 0 :: v_dual_mov_b32 v8, v2
	v_dual_mov_b32 v4, 0 :: v_dual_mov_b32 v7, v1
	v_add_co_u32 v5, vcc_lo, s15, v5
	s_delay_alu instid0(VALU_DEP_4)
	v_add_co_ci_u32_e32 v6, vcc_lo, s16, v6, vcc_lo
	s_lshl_b64 s[16:17], s[0:1], 11
.LBB96_10:                              ; =>This Inner Loop Header: Depth=1
	global_load_b64 v[9:10], v[7:8], off
	global_load_b64 v[11:12], v[5:6], off
	v_add_co_u32 v5, vcc_lo, v5, s16
	v_add_co_ci_u32_e32 v6, vcc_lo, s17, v6, vcc_lo
	v_add_co_u32 v7, vcc_lo, 0x800, v7
	v_add_co_ci_u32_e32 v8, vcc_lo, 0, v8, vcc_lo
	s_addk_i32 s9, 0x100
	s_delay_alu instid0(SALU_CYCLE_1)
	s_cmp_ge_i32 s9, s8
	s_waitcnt vmcnt(0)
	v_fma_f64 v[3:4], v[9:10], v[11:12], v[3:4]
	s_cbranch_scc0 .LBB96_10
.LBB96_11:
	v_add_nc_u32_e32 v5, s8, v0
	s_mov_b32 s1, exec_lo
	s_delay_alu instid0(VALU_DEP_1)
	v_cmpx_gt_i32_e64 s26, v5
	s_cbranch_execz .LBB96_13
; %bb.12:
	v_mad_i64_i32 v[6:7], null, s0, v5, 0
	s_lshl_b64 s[4:5], s[4:5], 3
	s_delay_alu instid0(SALU_CYCLE_1) | instskip(SKIP_2) | instid1(SALU_CYCLE_1)
	s_add_u32 s4, s10, s4
	s_addc_u32 s5, s11, s5
	s_lshl_b64 s[2:3], s[2:3], 3
	s_add_u32 s0, s4, s2
	s_addc_u32 s4, s5, s3
	s_ashr_i32 s9, s8, 31
	v_lshlrev_b64 v[5:6], 3, v[6:7]
	s_lshl_b64 s[2:3], s[8:9], 3
	s_delay_alu instid0(SALU_CYCLE_1) | instskip(SKIP_1) | instid1(VALU_DEP_3)
	v_add_co_u32 v1, vcc_lo, v1, s2
	v_add_co_ci_u32_e32 v2, vcc_lo, s3, v2, vcc_lo
	v_add_co_u32 v5, vcc_lo, s0, v5
	s_delay_alu instid0(VALU_DEP_4)
	v_add_co_ci_u32_e32 v6, vcc_lo, s4, v6, vcc_lo
	global_load_b64 v[1:2], v[1:2], off
	global_load_b64 v[5:6], v[5:6], off
	s_waitcnt vmcnt(0)
	v_fma_f64 v[3:4], v[1:2], v[5:6], v[3:4]
.LBB96_13:
	s_or_b32 exec_lo, exec_lo, s1
	v_lshlrev_b32_e32 v1, 3, v0
	s_mov_b32 s0, exec_lo
	ds_store_b64 v1, v[3:4]
	s_waitcnt lgkmcnt(0)
	s_barrier
	buffer_gl0_inv
	v_cmpx_gt_u32_e32 0x80, v0
	s_cbranch_execz .LBB96_15
; %bb.14:
	ds_load_2addr_stride64_b64 v[2:5], v1 offset1:2
	s_waitcnt lgkmcnt(0)
	v_add_f64 v[2:3], v[4:5], v[2:3]
	ds_store_b64 v1, v[2:3]
.LBB96_15:
	s_or_b32 exec_lo, exec_lo, s0
	s_delay_alu instid0(SALU_CYCLE_1)
	s_mov_b32 s0, exec_lo
	s_waitcnt lgkmcnt(0)
	s_barrier
	buffer_gl0_inv
	v_cmpx_gt_u32_e32 64, v0
	s_cbranch_execz .LBB96_17
; %bb.16:
	ds_load_2addr_stride64_b64 v[2:5], v1 offset1:1
	s_waitcnt lgkmcnt(0)
	v_add_f64 v[2:3], v[4:5], v[2:3]
	ds_store_b64 v1, v[2:3]
.LBB96_17:
	s_or_b32 exec_lo, exec_lo, s0
	s_delay_alu instid0(SALU_CYCLE_1)
	s_mov_b32 s0, exec_lo
	s_waitcnt lgkmcnt(0)
	s_barrier
	buffer_gl0_inv
	v_cmpx_gt_u32_e32 32, v0
	s_cbranch_execz .LBB96_19
; %bb.18:
	ds_load_2addr_b64 v[2:5], v1 offset1:32
	s_waitcnt lgkmcnt(0)
	v_add_f64 v[2:3], v[4:5], v[2:3]
	ds_store_b64 v1, v[2:3]
.LBB96_19:
	s_or_b32 exec_lo, exec_lo, s0
	s_delay_alu instid0(SALU_CYCLE_1)
	s_mov_b32 s0, exec_lo
	s_waitcnt lgkmcnt(0)
	s_barrier
	buffer_gl0_inv
	v_cmpx_gt_u32_e32 16, v0
	s_cbranch_execz .LBB96_21
; %bb.20:
	ds_load_2addr_b64 v[2:5], v1 offset1:16
	s_waitcnt lgkmcnt(0)
	v_add_f64 v[2:3], v[4:5], v[2:3]
	ds_store_b64 v1, v[2:3]
.LBB96_21:
	;; [unrolled: 14-line block ×5, first 2 shown]
	s_or_b32 exec_lo, exec_lo, s0
	v_cmp_eq_u32_e32 vcc_lo, 0, v0
	s_waitcnt lgkmcnt(0)
	s_barrier
	buffer_gl0_inv
	s_and_saveexec_b32 s0, vcc_lo
	s_cbranch_execz .LBB96_29
; %bb.28:
	v_mov_b32_e32 v4, 0
	ds_load_b128 v[0:3], v4
	s_waitcnt lgkmcnt(0)
	v_add_f64 v[0:1], v[2:3], v[0:1]
	ds_store_b64 v4, v[0:1]
.LBB96_29:
	s_or_b32 exec_lo, exec_lo, s0
	s_waitcnt lgkmcnt(0)
	s_barrier
	buffer_gl0_inv
                                        ; implicit-def: $vgpr1_vgpr2
                                        ; implicit-def: $sgpr8_sgpr9
	s_and_saveexec_b32 s0, vcc_lo
	s_cbranch_execz .LBB96_33
; %bb.30:
	v_mov_b32_e32 v0, 0
	v_cmp_eq_f64_e64 s1, s[6:7], 0
	s_mul_hi_i32 s9, s24, s14
	s_mul_i32 s8, s24, s14
	ds_load_b64 v[0:1], v0
	s_waitcnt lgkmcnt(0)
	v_mul_f64 v[1:2], s[12:13], v[0:1]
	s_and_b32 vcc_lo, exec_lo, s1
	s_cbranch_vccnz .LBB96_32
; %bb.31:
	s_lshl_b64 s[2:3], s[8:9], 3
	s_delay_alu instid0(SALU_CYCLE_1) | instskip(SKIP_3) | instid1(VALU_DEP_1)
	s_add_u32 s2, s18, s2
	s_addc_u32 s3, s19, s3
	s_load_b64 s[2:3], s[2:3], 0x0
	s_waitcnt lgkmcnt(0)
	v_fma_f64 v[1:2], s[6:7], s[2:3], v[1:2]
.LBB96_32:
	s_or_b32 s25, s25, exec_lo
.LBB96_33:
	s_or_b32 exec_lo, exec_lo, s0
.LBB96_34:
	s_and_saveexec_b32 s0, s25
	s_cbranch_execz .LBB96_36
; %bb.35:
	s_lshl_b64 s[0:1], s[8:9], 3
	v_mov_b32_e32 v0, 0
	s_add_u32 s0, s18, s0
	s_addc_u32 s1, s19, s1
	global_store_b64 v0, v[1:2], s[0:1]
.LBB96_36:
	s_nop 0
	s_sendmsg sendmsg(MSG_DEALLOC_VGPRS)
	s_endpgm
	.section	.rodata,"a",@progbits
	.p2align	6, 0x0
	.amdhsa_kernel _ZL20rocblas_gemvt_kernelILb1ELi256EdPKddEviiT2_lPKT1_lilS5_lilS2_lPT3_lili
		.amdhsa_group_segment_fixed_size 2048
		.amdhsa_private_segment_fixed_size 0
		.amdhsa_kernarg_size 140
		.amdhsa_user_sgpr_count 14
		.amdhsa_user_sgpr_dispatch_ptr 0
		.amdhsa_user_sgpr_queue_ptr 0
		.amdhsa_user_sgpr_kernarg_segment_ptr 1
		.amdhsa_user_sgpr_dispatch_id 0
		.amdhsa_user_sgpr_private_segment_size 0
		.amdhsa_wavefront_size32 1
		.amdhsa_uses_dynamic_stack 0
		.amdhsa_enable_private_segment 0
		.amdhsa_system_sgpr_workgroup_id_x 1
		.amdhsa_system_sgpr_workgroup_id_y 0
		.amdhsa_system_sgpr_workgroup_id_z 1
		.amdhsa_system_sgpr_workgroup_info 0
		.amdhsa_system_vgpr_workitem_id 0
		.amdhsa_next_free_vgpr 13
		.amdhsa_next_free_sgpr 27
		.amdhsa_reserve_vcc 1
		.amdhsa_float_round_mode_32 0
		.amdhsa_float_round_mode_16_64 0
		.amdhsa_float_denorm_mode_32 3
		.amdhsa_float_denorm_mode_16_64 3
		.amdhsa_dx10_clamp 1
		.amdhsa_ieee_mode 1
		.amdhsa_fp16_overflow 0
		.amdhsa_workgroup_processor_mode 1
		.amdhsa_memory_ordered 1
		.amdhsa_forward_progress 0
		.amdhsa_shared_vgpr_count 0
		.amdhsa_exception_fp_ieee_invalid_op 0
		.amdhsa_exception_fp_denorm_src 0
		.amdhsa_exception_fp_ieee_div_zero 0
		.amdhsa_exception_fp_ieee_overflow 0
		.amdhsa_exception_fp_ieee_underflow 0
		.amdhsa_exception_fp_ieee_inexact 0
		.amdhsa_exception_int_div_zero 0
	.end_amdhsa_kernel
	.section	.text._ZL20rocblas_gemvt_kernelILb1ELi256EdPKddEviiT2_lPKT1_lilS5_lilS2_lPT3_lili,"axG",@progbits,_ZL20rocblas_gemvt_kernelILb1ELi256EdPKddEviiT2_lPKT1_lilS5_lilS2_lPT3_lili,comdat
.Lfunc_end96:
	.size	_ZL20rocblas_gemvt_kernelILb1ELi256EdPKddEviiT2_lPKT1_lilS5_lilS2_lPT3_lili, .Lfunc_end96-_ZL20rocblas_gemvt_kernelILb1ELi256EdPKddEviiT2_lPKT1_lilS5_lilS2_lPT3_lili
                                        ; -- End function
	.section	.AMDGPU.csdata,"",@progbits
; Kernel info:
; codeLenInByte = 1552
; NumSgprs: 29
; NumVgprs: 13
; ScratchSize: 0
; MemoryBound: 0
; FloatMode: 240
; IeeeMode: 1
; LDSByteSize: 2048 bytes/workgroup (compile time only)
; SGPRBlocks: 3
; VGPRBlocks: 1
; NumSGPRsForWavesPerEU: 29
; NumVGPRsForWavesPerEU: 13
; Occupancy: 16
; WaveLimiterHint : 1
; COMPUTE_PGM_RSRC2:SCRATCH_EN: 0
; COMPUTE_PGM_RSRC2:USER_SGPR: 14
; COMPUTE_PGM_RSRC2:TRAP_HANDLER: 0
; COMPUTE_PGM_RSRC2:TGID_X_EN: 1
; COMPUTE_PGM_RSRC2:TGID_Y_EN: 0
; COMPUTE_PGM_RSRC2:TGID_Z_EN: 1
; COMPUTE_PGM_RSRC2:TIDIG_COMP_CNT: 0
	.section	.text._ZL20rocblas_gemvt_kernelILb1ELi256EdddEviiT2_lPKT1_lilS3_lilS0_lPT3_lili,"axG",@progbits,_ZL20rocblas_gemvt_kernelILb1ELi256EdddEviiT2_lPKT1_lilS3_lilS0_lPT3_lili,comdat
	.globl	_ZL20rocblas_gemvt_kernelILb1ELi256EdddEviiT2_lPKT1_lilS3_lilS0_lPT3_lili ; -- Begin function _ZL20rocblas_gemvt_kernelILb1ELi256EdddEviiT2_lPKT1_lilS3_lilS0_lPT3_lili
	.p2align	8
	.type	_ZL20rocblas_gemvt_kernelILb1ELi256EdddEviiT2_lPKT1_lilS3_lilS0_lPT3_lili,@function
_ZL20rocblas_gemvt_kernelILb1ELi256EdddEviiT2_lPKT1_lilS3_lilS0_lPT3_lili: ; @_ZL20rocblas_gemvt_kernelILb1ELi256EdddEviiT2_lPKT1_lilS3_lilS0_lPT3_lili
; %bb.0:
	s_clause 0x1
	s_load_b64 s[12:13], s[0:1], 0x8
	s_load_b128 s[4:7], s[0:1], 0x50
	s_waitcnt lgkmcnt(0)
	v_cmp_eq_f64_e64 s2, s[12:13], 0
	v_cmp_eq_f64_e64 s3, s[6:7], 1.0
	s_delay_alu instid0(VALU_DEP_1) | instskip(NEXT) | instid1(SALU_CYCLE_1)
	s_and_b32 s2, s2, s3
	s_and_b32 vcc_lo, exec_lo, s2
	s_cbranch_vccnz .LBB97_36
; %bb.1:
	v_cmp_neq_f64_e64 s16, s[12:13], 0
	s_clause 0x2
	s_load_b64 s[2:3], s[0:1], 0x80
	s_load_b128 s[8:11], s[0:1], 0x68
	s_load_b32 s20, s[0:1], 0x78
	s_mov_b32 s21, 0
	s_waitcnt lgkmcnt(0)
	s_mul_i32 s3, s15, s3
	s_mul_hi_u32 s17, s15, s2
	s_mul_i32 s2, s15, s2
	s_add_i32 s3, s17, s3
	s_delay_alu instid0(SALU_CYCLE_1) | instskip(NEXT) | instid1(SALU_CYCLE_1)
	s_lshl_b64 s[2:3], s[2:3], 3
	s_add_u32 s8, s8, s2
	s_addc_u32 s9, s9, s3
	s_lshl_b64 s[2:3], s[10:11], 3
	s_delay_alu instid0(SALU_CYCLE_1) | instskip(SKIP_2) | instid1(VALU_DEP_2)
	s_add_u32 s18, s8, s2
	v_cmp_eq_u32_e64 s2, 0, v0
	s_addc_u32 s19, s9, s3
	s_and_b32 vcc_lo, exec_lo, s16
	s_cbranch_vccnz .LBB97_6
; %bb.2:
	s_mov_b32 s3, 0
                                        ; implicit-def: $vgpr1_vgpr2
                                        ; implicit-def: $sgpr8_sgpr9
	s_and_saveexec_b32 s10, s2
	s_cbranch_execz .LBB97_7
; %bb.3:
	v_cmp_eq_f64_e64 s2, s[6:7], 0
	v_mov_b32_e32 v1, 0
	v_mov_b32_e32 v2, 0
	s_mul_hi_i32 s9, s20, s14
	s_mul_i32 s8, s20, s14
	s_delay_alu instid0(VALU_DEP_3)
	s_and_b32 vcc_lo, exec_lo, s2
	s_cbranch_vccnz .LBB97_5
; %bb.4:
	s_lshl_b64 s[16:17], s[8:9], 3
	s_delay_alu instid0(SALU_CYCLE_1)
	s_add_u32 s16, s18, s16
	s_addc_u32 s17, s19, s17
	s_load_b64 s[16:17], s[16:17], 0x0
	s_waitcnt lgkmcnt(0)
	v_mul_f64 v[1:2], s[16:17], s[6:7]
.LBB97_5:
	s_mov_b32 s21, exec_lo
	s_or_b32 exec_lo, exec_lo, s10
	s_delay_alu instid0(SALU_CYCLE_1)
	s_and_b32 vcc_lo, exec_lo, s3
	s_cbranch_vccnz .LBB97_8
	s_branch .LBB97_34
.LBB97_6:
                                        ; implicit-def: $vgpr1_vgpr2
                                        ; implicit-def: $sgpr8_sgpr9
	s_cbranch_execnz .LBB97_8
	s_branch .LBB97_34
.LBB97_7:
	s_or_b32 exec_lo, exec_lo, s10
	s_delay_alu instid0(SALU_CYCLE_1)
	s_and_b32 vcc_lo, exec_lo, s3
	s_cbranch_vccz .LBB97_34
.LBB97_8:
	s_clause 0x5
	s_load_b128 s[8:11], s[0:1], 0x30
	s_load_b32 s22, s[0:1], 0x0
	s_load_b32 s16, s[0:1], 0x28
	s_load_b128 s[24:27], s[0:1], 0x18
	s_load_b64 s[2:3], s[0:1], 0x40
	s_load_b32 s0, s[0:1], 0x48
	s_mul_i32 s5, s15, s5
	s_mul_hi_u32 s17, s15, s4
	v_mov_b32_e32 v3, 0
	s_add_i32 s5, s17, s5
	s_mul_i32 s4, s15, s4
	v_mov_b32_e32 v4, 0
	s_waitcnt lgkmcnt(0)
	s_mul_i32 s1, s15, s9
	s_mul_hi_u32 s9, s15, s8
	v_cmp_gt_i32_e32 vcc_lo, s22, v0
	s_mul_i32 s8, s15, s8
	s_add_i32 s9, s9, s1
	s_mul_hi_i32 s17, s16, s14
	s_lshl_b64 s[8:9], s[8:9], 3
	v_cndmask_b32_e32 v1, 0, v0, vcc_lo
	s_add_u32 s1, s24, s8
	s_addc_u32 s23, s25, s9
	s_lshl_b64 s[8:9], s[26:27], 3
	s_mul_i32 s16, s16, s14
	s_add_u32 s1, s1, s8
	s_addc_u32 s23, s23, s9
	s_lshl_b64 s[8:9], s[16:17], 3
	v_lshlrev_b32_e32 v1, 3, v1
	s_add_u32 s1, s8, s1
	s_addc_u32 s8, s9, s23
	s_ashr_i32 s9, s22, 31
	s_delay_alu instid0(SALU_CYCLE_1)
	s_lshr_b32 s9, s9, 24
	v_add_co_u32 v1, s1, s1, v1
	s_add_i32 s9, s22, s9
	v_add_co_ci_u32_e64 v2, null, s8, 0, s1
	s_and_b32 s8, s9, 0xffffff00
	s_cmpk_lt_i32 s22, 0x100
	s_mov_b32 s9, 0
	s_cbranch_scc1 .LBB97_11
; %bb.9:
	v_mad_i64_i32 v[5:6], null, s0, v0, 0
	s_lshl_b64 s[24:25], s[2:3], 3
	s_ashr_i32 s1, s0, 31
	s_lshl_b64 s[16:17], s[4:5], 3
	s_add_u32 s15, s10, s24
	s_addc_u32 s23, s11, s25
	s_add_u32 s15, s15, s16
	s_delay_alu instid0(VALU_DEP_1) | instskip(SKIP_3) | instid1(VALU_DEP_3)
	v_lshlrev_b64 v[5:6], 3, v[5:6]
	s_addc_u32 s16, s23, s17
	v_dual_mov_b32 v3, 0 :: v_dual_mov_b32 v8, v2
	v_dual_mov_b32 v4, 0 :: v_dual_mov_b32 v7, v1
	v_add_co_u32 v5, vcc_lo, s15, v5
	s_delay_alu instid0(VALU_DEP_4)
	v_add_co_ci_u32_e32 v6, vcc_lo, s16, v6, vcc_lo
	s_lshl_b64 s[16:17], s[0:1], 11
.LBB97_10:                              ; =>This Inner Loop Header: Depth=1
	global_load_b64 v[9:10], v[7:8], off
	global_load_b64 v[11:12], v[5:6], off
	v_add_co_u32 v5, vcc_lo, v5, s16
	v_add_co_ci_u32_e32 v6, vcc_lo, s17, v6, vcc_lo
	v_add_co_u32 v7, vcc_lo, 0x800, v7
	v_add_co_ci_u32_e32 v8, vcc_lo, 0, v8, vcc_lo
	s_addk_i32 s9, 0x100
	s_delay_alu instid0(SALU_CYCLE_1)
	s_cmp_ge_i32 s9, s8
	s_waitcnt vmcnt(0)
	v_fma_f64 v[3:4], v[9:10], v[11:12], v[3:4]
	s_cbranch_scc0 .LBB97_10
.LBB97_11:
	v_add_nc_u32_e32 v5, s8, v0
	s_mov_b32 s1, exec_lo
	s_delay_alu instid0(VALU_DEP_1)
	v_cmpx_gt_i32_e64 s22, v5
	s_cbranch_execz .LBB97_13
; %bb.12:
	v_mad_i64_i32 v[6:7], null, s0, v5, 0
	s_lshl_b64 s[4:5], s[4:5], 3
	s_delay_alu instid0(SALU_CYCLE_1) | instskip(SKIP_2) | instid1(SALU_CYCLE_1)
	s_add_u32 s4, s10, s4
	s_addc_u32 s5, s11, s5
	s_lshl_b64 s[2:3], s[2:3], 3
	s_add_u32 s0, s4, s2
	s_addc_u32 s4, s5, s3
	s_ashr_i32 s9, s8, 31
	v_lshlrev_b64 v[5:6], 3, v[6:7]
	s_lshl_b64 s[2:3], s[8:9], 3
	s_delay_alu instid0(SALU_CYCLE_1) | instskip(SKIP_1) | instid1(VALU_DEP_3)
	v_add_co_u32 v1, vcc_lo, v1, s2
	v_add_co_ci_u32_e32 v2, vcc_lo, s3, v2, vcc_lo
	v_add_co_u32 v5, vcc_lo, s0, v5
	s_delay_alu instid0(VALU_DEP_4)
	v_add_co_ci_u32_e32 v6, vcc_lo, s4, v6, vcc_lo
	global_load_b64 v[1:2], v[1:2], off
	global_load_b64 v[5:6], v[5:6], off
	s_waitcnt vmcnt(0)
	v_fma_f64 v[3:4], v[1:2], v[5:6], v[3:4]
.LBB97_13:
	s_or_b32 exec_lo, exec_lo, s1
	v_lshlrev_b32_e32 v1, 3, v0
	s_mov_b32 s0, exec_lo
	ds_store_b64 v1, v[3:4]
	s_waitcnt lgkmcnt(0)
	s_barrier
	buffer_gl0_inv
	v_cmpx_gt_u32_e32 0x80, v0
	s_cbranch_execz .LBB97_15
; %bb.14:
	ds_load_2addr_stride64_b64 v[2:5], v1 offset1:2
	s_waitcnt lgkmcnt(0)
	v_add_f64 v[2:3], v[4:5], v[2:3]
	ds_store_b64 v1, v[2:3]
.LBB97_15:
	s_or_b32 exec_lo, exec_lo, s0
	s_delay_alu instid0(SALU_CYCLE_1)
	s_mov_b32 s0, exec_lo
	s_waitcnt lgkmcnt(0)
	s_barrier
	buffer_gl0_inv
	v_cmpx_gt_u32_e32 64, v0
	s_cbranch_execz .LBB97_17
; %bb.16:
	ds_load_2addr_stride64_b64 v[2:5], v1 offset1:1
	s_waitcnt lgkmcnt(0)
	v_add_f64 v[2:3], v[4:5], v[2:3]
	ds_store_b64 v1, v[2:3]
.LBB97_17:
	s_or_b32 exec_lo, exec_lo, s0
	s_delay_alu instid0(SALU_CYCLE_1)
	s_mov_b32 s0, exec_lo
	s_waitcnt lgkmcnt(0)
	s_barrier
	buffer_gl0_inv
	v_cmpx_gt_u32_e32 32, v0
	s_cbranch_execz .LBB97_19
; %bb.18:
	ds_load_2addr_b64 v[2:5], v1 offset1:32
	s_waitcnt lgkmcnt(0)
	v_add_f64 v[2:3], v[4:5], v[2:3]
	ds_store_b64 v1, v[2:3]
.LBB97_19:
	s_or_b32 exec_lo, exec_lo, s0
	s_delay_alu instid0(SALU_CYCLE_1)
	s_mov_b32 s0, exec_lo
	s_waitcnt lgkmcnt(0)
	s_barrier
	buffer_gl0_inv
	v_cmpx_gt_u32_e32 16, v0
	s_cbranch_execz .LBB97_21
; %bb.20:
	ds_load_2addr_b64 v[2:5], v1 offset1:16
	s_waitcnt lgkmcnt(0)
	v_add_f64 v[2:3], v[4:5], v[2:3]
	ds_store_b64 v1, v[2:3]
.LBB97_21:
	;; [unrolled: 14-line block ×5, first 2 shown]
	s_or_b32 exec_lo, exec_lo, s0
	v_cmp_eq_u32_e32 vcc_lo, 0, v0
	s_waitcnt lgkmcnt(0)
	s_barrier
	buffer_gl0_inv
	s_and_saveexec_b32 s0, vcc_lo
	s_cbranch_execz .LBB97_29
; %bb.28:
	v_mov_b32_e32 v4, 0
	ds_load_b128 v[0:3], v4
	s_waitcnt lgkmcnt(0)
	v_add_f64 v[0:1], v[2:3], v[0:1]
	ds_store_b64 v4, v[0:1]
.LBB97_29:
	s_or_b32 exec_lo, exec_lo, s0
	s_waitcnt lgkmcnt(0)
	s_barrier
	buffer_gl0_inv
                                        ; implicit-def: $vgpr1_vgpr2
                                        ; implicit-def: $sgpr8_sgpr9
	s_and_saveexec_b32 s0, vcc_lo
	s_cbranch_execz .LBB97_33
; %bb.30:
	v_mov_b32_e32 v0, 0
	v_cmp_eq_f64_e64 s1, s[6:7], 0
	s_mul_hi_i32 s9, s20, s14
	s_mul_i32 s8, s20, s14
	ds_load_b64 v[0:1], v0
	s_waitcnt lgkmcnt(0)
	v_mul_f64 v[1:2], v[0:1], s[12:13]
	s_and_b32 vcc_lo, exec_lo, s1
	s_cbranch_vccnz .LBB97_32
; %bb.31:
	s_lshl_b64 s[2:3], s[8:9], 3
	s_delay_alu instid0(SALU_CYCLE_1) | instskip(SKIP_3) | instid1(VALU_DEP_1)
	s_add_u32 s2, s18, s2
	s_addc_u32 s3, s19, s3
	s_load_b64 s[2:3], s[2:3], 0x0
	s_waitcnt lgkmcnt(0)
	v_fma_f64 v[1:2], s[2:3], s[6:7], v[1:2]
.LBB97_32:
	s_or_b32 s21, s21, exec_lo
.LBB97_33:
	s_or_b32 exec_lo, exec_lo, s0
.LBB97_34:
	s_and_saveexec_b32 s0, s21
	s_cbranch_execz .LBB97_36
; %bb.35:
	s_lshl_b64 s[0:1], s[8:9], 3
	v_mov_b32_e32 v0, 0
	s_add_u32 s0, s18, s0
	s_addc_u32 s1, s19, s1
	global_store_b64 v0, v[1:2], s[0:1]
.LBB97_36:
	s_nop 0
	s_sendmsg sendmsg(MSG_DEALLOC_VGPRS)
	s_endpgm
	.section	.rodata,"a",@progbits
	.p2align	6, 0x0
	.amdhsa_kernel _ZL20rocblas_gemvt_kernelILb1ELi256EdddEviiT2_lPKT1_lilS3_lilS0_lPT3_lili
		.amdhsa_group_segment_fixed_size 2048
		.amdhsa_private_segment_fixed_size 0
		.amdhsa_kernarg_size 140
		.amdhsa_user_sgpr_count 14
		.amdhsa_user_sgpr_dispatch_ptr 0
		.amdhsa_user_sgpr_queue_ptr 0
		.amdhsa_user_sgpr_kernarg_segment_ptr 1
		.amdhsa_user_sgpr_dispatch_id 0
		.amdhsa_user_sgpr_private_segment_size 0
		.amdhsa_wavefront_size32 1
		.amdhsa_uses_dynamic_stack 0
		.amdhsa_enable_private_segment 0
		.amdhsa_system_sgpr_workgroup_id_x 1
		.amdhsa_system_sgpr_workgroup_id_y 0
		.amdhsa_system_sgpr_workgroup_id_z 1
		.amdhsa_system_sgpr_workgroup_info 0
		.amdhsa_system_vgpr_workitem_id 0
		.amdhsa_next_free_vgpr 13
		.amdhsa_next_free_sgpr 28
		.amdhsa_reserve_vcc 1
		.amdhsa_float_round_mode_32 0
		.amdhsa_float_round_mode_16_64 0
		.amdhsa_float_denorm_mode_32 3
		.amdhsa_float_denorm_mode_16_64 3
		.amdhsa_dx10_clamp 1
		.amdhsa_ieee_mode 1
		.amdhsa_fp16_overflow 0
		.amdhsa_workgroup_processor_mode 1
		.amdhsa_memory_ordered 1
		.amdhsa_forward_progress 0
		.amdhsa_shared_vgpr_count 0
		.amdhsa_exception_fp_ieee_invalid_op 0
		.amdhsa_exception_fp_denorm_src 0
		.amdhsa_exception_fp_ieee_div_zero 0
		.amdhsa_exception_fp_ieee_overflow 0
		.amdhsa_exception_fp_ieee_underflow 0
		.amdhsa_exception_fp_ieee_inexact 0
		.amdhsa_exception_int_div_zero 0
	.end_amdhsa_kernel
	.section	.text._ZL20rocblas_gemvt_kernelILb1ELi256EdddEviiT2_lPKT1_lilS3_lilS0_lPT3_lili,"axG",@progbits,_ZL20rocblas_gemvt_kernelILb1ELi256EdddEviiT2_lPKT1_lilS3_lilS0_lPT3_lili,comdat
.Lfunc_end97:
	.size	_ZL20rocblas_gemvt_kernelILb1ELi256EdddEviiT2_lPKT1_lilS3_lilS0_lPT3_lili, .Lfunc_end97-_ZL20rocblas_gemvt_kernelILb1ELi256EdddEviiT2_lPKT1_lilS3_lilS0_lPT3_lili
                                        ; -- End function
	.section	.AMDGPU.csdata,"",@progbits
; Kernel info:
; codeLenInByte = 1480
; NumSgprs: 30
; NumVgprs: 13
; ScratchSize: 0
; MemoryBound: 0
; FloatMode: 240
; IeeeMode: 1
; LDSByteSize: 2048 bytes/workgroup (compile time only)
; SGPRBlocks: 3
; VGPRBlocks: 1
; NumSGPRsForWavesPerEU: 30
; NumVGPRsForWavesPerEU: 13
; Occupancy: 16
; WaveLimiterHint : 1
; COMPUTE_PGM_RSRC2:SCRATCH_EN: 0
; COMPUTE_PGM_RSRC2:USER_SGPR: 14
; COMPUTE_PGM_RSRC2:TRAP_HANDLER: 0
; COMPUTE_PGM_RSRC2:TGID_X_EN: 1
; COMPUTE_PGM_RSRC2:TGID_Y_EN: 0
; COMPUTE_PGM_RSRC2:TGID_Z_EN: 1
; COMPUTE_PGM_RSRC2:TIDIG_COMP_CNT: 0
	.section	.text._ZL32rocblas_gemvt_warp_reduce_kernelILb1ELi1024EidPKddEviiT3_lPKT2_lT1_lS5_lS6_lS2_lPT4_lS6_li,"axG",@progbits,_ZL32rocblas_gemvt_warp_reduce_kernelILb1ELi1024EidPKddEviiT3_lPKT2_lT1_lS5_lS6_lS2_lPT4_lS6_li,comdat
	.globl	_ZL32rocblas_gemvt_warp_reduce_kernelILb1ELi1024EidPKddEviiT3_lPKT2_lT1_lS5_lS6_lS2_lPT4_lS6_li ; -- Begin function _ZL32rocblas_gemvt_warp_reduce_kernelILb1ELi1024EidPKddEviiT3_lPKT2_lT1_lS5_lS6_lS2_lPT4_lS6_li
	.p2align	8
	.type	_ZL32rocblas_gemvt_warp_reduce_kernelILb1ELi1024EidPKddEviiT3_lPKT2_lT1_lS5_lS6_lS2_lPT4_lS6_li,@function
_ZL32rocblas_gemvt_warp_reduce_kernelILb1ELi1024EidPKddEviiT3_lPKT2_lT1_lS5_lS6_lS2_lPT4_lS6_li: ; @_ZL32rocblas_gemvt_warp_reduce_kernelILb1ELi1024EidPKddEviiT3_lPKT2_lT1_lS5_lS6_lS2_lPT4_lS6_li
; %bb.0:
	s_clause 0x1
	s_load_b256 s[4:11], s[0:1], 0x8
	s_load_b256 s[16:23], s[0:1], 0x50
	s_waitcnt lgkmcnt(0)
	s_mul_i32 s3, s15, s7
	s_mul_hi_u32 s7, s15, s6
	s_mul_i32 s2, s15, s6
	s_add_i32 s3, s7, s3
	s_mul_i32 s6, s15, s21
	s_lshl_b64 s[2:3], s[2:3], 3
	s_mul_hi_u32 s7, s15, s20
	s_add_u32 s2, s4, s2
	s_addc_u32 s3, s5, s3
	s_add_i32 s5, s7, s6
	s_mul_i32 s4, s15, s20
	s_delay_alu instid0(SALU_CYCLE_1) | instskip(NEXT) | instid1(SALU_CYCLE_1)
	s_lshl_b64 s[4:5], s[4:5], 3
	s_add_u32 s4, s18, s4
	s_addc_u32 s5, s19, s5
	s_load_b64 s[6:7], s[2:3], 0x0
	s_load_b64 s[4:5], s[4:5], 0x0
	s_waitcnt lgkmcnt(0)
	v_cmp_eq_f64_e64 s2, s[6:7], 0
	v_cmp_eq_f64_e64 s3, s[4:5], 1.0
	s_delay_alu instid0(VALU_DEP_1) | instskip(NEXT) | instid1(SALU_CYCLE_1)
	s_and_b32 s2, s2, s3
	s_and_b32 vcc_lo, exec_lo, s2
	s_cbranch_vccnz .LBB98_29
; %bb.1:
	v_cmp_neq_f64_e64 s20, s[6:7], 0
	s_clause 0x2
	s_load_b64 s[2:3], s[0:1], 0x80
	s_load_b64 s[12:13], s[0:1], 0x70
	s_load_b32 s21, s[0:1], 0x78
	s_waitcnt lgkmcnt(0)
	s_mul_i32 s3, s15, s3
	s_mul_hi_u32 s18, s15, s2
	s_mul_i32 s2, s15, s2
	s_add_i32 s3, s18, s3
	s_delay_alu instid0(SALU_CYCLE_1) | instskip(NEXT) | instid1(SALU_CYCLE_1)
	s_lshl_b64 s[2:3], s[2:3], 3
	s_add_u32 s18, s22, s2
	s_addc_u32 s19, s23, s3
	s_lshl_b64 s[2:3], s[12:13], 3
	s_delay_alu instid0(SALU_CYCLE_1) | instskip(SKIP_2) | instid1(VALU_DEP_2)
	s_add_u32 s18, s18, s2
	v_cmp_eq_u32_e64 s2, 0, v0
	s_addc_u32 s19, s19, s3
	s_and_b32 vcc_lo, exec_lo, s20
	s_mov_b32 s20, 0
	s_cbranch_vccnz .LBB98_6
; %bb.2:
	s_mov_b32 s3, 0
                                        ; implicit-def: $vgpr1_vgpr2
                                        ; implicit-def: $sgpr12_sgpr13
	s_and_saveexec_b32 s22, s2
	s_cbranch_execz .LBB98_7
; %bb.3:
	v_cmp_eq_f64_e64 s2, s[4:5], 0
	v_mov_b32_e32 v1, 0
	v_mov_b32_e32 v2, 0
	s_mul_i32 s12, s14, s21
	s_delay_alu instid0(SALU_CYCLE_1) | instskip(NEXT) | instid1(VALU_DEP_3)
	s_ashr_i32 s13, s12, 31
	s_and_b32 vcc_lo, exec_lo, s2
	s_cbranch_vccnz .LBB98_5
; %bb.4:
	s_lshl_b64 s[24:25], s[12:13], 3
	s_delay_alu instid0(SALU_CYCLE_1)
	s_add_u32 s24, s18, s24
	s_addc_u32 s25, s19, s25
	s_load_b64 s[24:25], s[24:25], 0x0
	s_waitcnt lgkmcnt(0)
	v_mul_f64 v[1:2], s[4:5], s[24:25]
.LBB98_5:
	s_mov_b32 s20, exec_lo
	s_or_b32 exec_lo, exec_lo, s22
	s_delay_alu instid0(SALU_CYCLE_1)
	s_and_b32 vcc_lo, exec_lo, s3
	s_cbranch_vccnz .LBB98_8
	s_branch .LBB98_27
.LBB98_6:
                                        ; implicit-def: $vgpr1_vgpr2
                                        ; implicit-def: $sgpr12_sgpr13
	s_cbranch_execnz .LBB98_8
	s_branch .LBB98_27
.LBB98_7:
	s_or_b32 exec_lo, exec_lo, s22
	s_delay_alu instid0(SALU_CYCLE_1)
	s_and_b32 vcc_lo, exec_lo, s3
	s_cbranch_vccz .LBB98_27
.LBB98_8:
	s_mul_i32 s3, s15, s17
	s_mul_hi_u32 s17, s15, s16
	s_mul_i32 s2, s15, s16
	s_add_i32 s3, s17, s3
	s_clause 0x2
	s_load_b128 s[24:27], s[0:1], 0x30
	s_load_b64 s[12:13], s[0:1], 0x40
	s_load_b32 s22, s[0:1], 0x28
	s_lshl_b64 s[16:17], s[2:3], 3
	s_clause 0x1
	s_load_b32 s3, s[0:1], 0x0
	s_load_b32 s1, s[0:1], 0x48
	s_waitcnt lgkmcnt(0)
	s_add_u32 s2, s26, s16
	s_addc_u32 s17, s27, s17
	s_lshl_b64 s[12:13], s[12:13], 3
	s_mul_i32 s23, s15, s25
	s_mul_hi_u32 s25, s15, s24
	s_add_u32 s12, s2, s12
	v_cmp_gt_i32_e32 vcc_lo, s3, v0
	s_mul_i32 s16, s15, s24
	s_addc_u32 s13, s17, s13
	s_add_i32 s17, s25, s23
	s_delay_alu instid0(SALU_CYCLE_1)
	s_lshl_b64 s[16:17], s[16:17], 3
	v_cndmask_b32_e32 v1, 0, v0, vcc_lo
	s_add_u32 s0, s8, s16
	s_addc_u32 s2, s9, s17
	s_lshl_b64 s[8:9], s[10:11], 3
	s_mul_i32 s10, s14, s22
	s_add_u32 s0, s0, s8
	s_addc_u32 s2, s2, s9
	s_ashr_i32 s11, s10, 31
	v_lshlrev_b32_e32 v1, 3, v1
	s_lshl_b64 s[8:9], s[10:11], 3
	s_delay_alu instid0(SALU_CYCLE_1)
	s_add_u32 s0, s8, s0
	s_addc_u32 s2, s9, s2
	s_ashr_i32 s8, s3, 31
	v_add_co_u32 v3, s0, s0, v1
	s_lshr_b32 s8, s8, 22
	v_mov_b32_e32 v1, 0
	v_add_co_ci_u32_e64 v4, null, s2, 0, s0
	v_mov_b32_e32 v2, 0
	s_add_i32 s8, s3, s8
	s_mov_b32 s9, 0
	s_and_b32 s2, s8, 0xfffffc00
	s_mov_b32 s8, exec_lo
	v_cmpx_gt_i32_e64 s2, v0
	s_cbranch_execz .LBB98_12
; %bb.9:
	v_mul_lo_u32 v5, v0, s1
	v_dual_mov_b32 v1, 0 :: v_dual_mov_b32 v8, v4
	v_dual_mov_b32 v2, 0 :: v_dual_mov_b32 v7, v3
	v_mov_b32_e32 v9, v0
	s_lshl_b32 s10, s1, 10
	.p2align	6
.LBB98_10:                              ; =>This Inner Loop Header: Depth=1
	s_delay_alu instid0(VALU_DEP_4) | instskip(NEXT) | instid1(VALU_DEP_2)
	v_ashrrev_i32_e32 v6, 31, v5
	v_add_nc_u32_e32 v9, 0x400, v9
	s_delay_alu instid0(VALU_DEP_2) | instskip(NEXT) | instid1(VALU_DEP_2)
	v_lshlrev_b64 v[10:11], 3, v[5:6]
	v_cmp_le_i32_e64 s0, s2, v9
	v_add_nc_u32_e32 v5, s10, v5
	s_delay_alu instid0(VALU_DEP_2) | instskip(NEXT) | instid1(VALU_DEP_3)
	s_or_b32 s9, s0, s9
	v_add_co_u32 v10, vcc_lo, s12, v10
	s_delay_alu instid0(VALU_DEP_4)
	v_add_co_ci_u32_e32 v11, vcc_lo, s13, v11, vcc_lo
	global_load_b64 v[12:13], v[7:8], off
	global_load_b64 v[10:11], v[10:11], off
	v_add_co_u32 v7, vcc_lo, 0x2000, v7
	v_add_co_ci_u32_e32 v8, vcc_lo, 0, v8, vcc_lo
	s_waitcnt vmcnt(0)
	v_fma_f64 v[1:2], v[12:13], v[10:11], v[1:2]
	s_and_not1_b32 exec_lo, exec_lo, s9
	s_cbranch_execnz .LBB98_10
; %bb.11:
	s_or_b32 exec_lo, exec_lo, s9
.LBB98_12:
	s_delay_alu instid0(SALU_CYCLE_1) | instskip(SKIP_2) | instid1(VALU_DEP_1)
	s_or_b32 exec_lo, exec_lo, s8
	v_or_b32_e32 v5, s2, v0
	s_mov_b32 s0, exec_lo
	v_cmpx_gt_i32_e64 s3, v5
	s_cbranch_execz .LBB98_14
; %bb.13:
	v_mul_lo_u32 v5, v5, s1
	s_ashr_i32 s3, s2, 31
	s_delay_alu instid0(SALU_CYCLE_1) | instskip(NEXT) | instid1(SALU_CYCLE_1)
	s_lshl_b64 s[2:3], s[2:3], 3
	v_add_co_u32 v3, vcc_lo, v3, s2
	v_add_co_ci_u32_e32 v4, vcc_lo, s3, v4, vcc_lo
	s_delay_alu instid0(VALU_DEP_3) | instskip(NEXT) | instid1(VALU_DEP_1)
	v_ashrrev_i32_e32 v6, 31, v5
	v_lshlrev_b64 v[5:6], 3, v[5:6]
	s_delay_alu instid0(VALU_DEP_1) | instskip(NEXT) | instid1(VALU_DEP_2)
	v_add_co_u32 v5, vcc_lo, s12, v5
	v_add_co_ci_u32_e32 v6, vcc_lo, s13, v6, vcc_lo
	global_load_b64 v[3:4], v[3:4], off
	global_load_b64 v[5:6], v[5:6], off
	s_waitcnt vmcnt(0)
	v_fma_f64 v[1:2], v[3:4], v[5:6], v[1:2]
.LBB98_14:
	s_or_b32 exec_lo, exec_lo, s0
	v_and_b32_e32 v11, 31, v0
	v_cmp_gt_u32_e32 vcc_lo, 32, v0
	s_delay_alu instid0(VALU_DEP_2)
	v_lshlrev_b32_e32 v5, 3, v11
	s_and_saveexec_b32 s0, vcc_lo
	s_cbranch_execz .LBB98_16
; %bb.15:
	v_mov_b32_e32 v3, 0
	s_delay_alu instid0(VALU_DEP_1)
	v_mov_b32_e32 v4, v3
	ds_store_b64 v5, v[3:4]
.LBB98_16:
	s_or_b32 exec_lo, exec_lo, s0
	v_mbcnt_lo_u32_b32 v10, -1, 0
	s_mov_b32 s1, exec_lo
	s_waitcnt lgkmcnt(0)
	s_barrier
	buffer_gl0_inv
	v_cmp_gt_u32_e64 s0, 16, v10
	s_delay_alu instid0(VALU_DEP_1) | instskip(SKIP_1) | instid1(VALU_DEP_2)
	v_cndmask_b32_e64 v3, 0, 1, s0
	v_cmp_gt_u32_e64 s0, 24, v10
	v_lshlrev_b32_e32 v3, 4, v3
	s_delay_alu instid0(VALU_DEP_1)
	v_add_lshl_u32 v6, v3, v10, 2
	ds_bpermute_b32 v3, v6, v1
	ds_bpermute_b32 v4, v6, v2
	s_waitcnt lgkmcnt(0)
	v_add_f64 v[1:2], v[1:2], v[3:4]
	v_cndmask_b32_e64 v3, 0, 1, s0
	v_cmp_gt_u32_e64 s0, 28, v10
	s_delay_alu instid0(VALU_DEP_2) | instskip(NEXT) | instid1(VALU_DEP_1)
	v_lshlrev_b32_e32 v3, 3, v3
	v_add_lshl_u32 v7, v3, v10, 2
	ds_bpermute_b32 v3, v7, v1
	ds_bpermute_b32 v4, v7, v2
	s_waitcnt lgkmcnt(0)
	v_add_f64 v[1:2], v[1:2], v[3:4]
	v_cndmask_b32_e64 v3, 0, 1, s0
	v_cmp_gt_u32_e64 s0, 30, v10
	s_delay_alu instid0(VALU_DEP_2) | instskip(NEXT) | instid1(VALU_DEP_1)
	v_lshlrev_b32_e32 v3, 2, v3
	v_add_lshl_u32 v8, v3, v10, 2
	ds_bpermute_b32 v3, v8, v1
	ds_bpermute_b32 v4, v8, v2
	s_waitcnt lgkmcnt(0)
	v_add_f64 v[1:2], v[1:2], v[3:4]
	v_cndmask_b32_e64 v3, 0, 1, s0
	v_cmp_ne_u32_e64 s0, 31, v10
	s_delay_alu instid0(VALU_DEP_2) | instskip(NEXT) | instid1(VALU_DEP_1)
	v_lshlrev_b32_e32 v3, 1, v3
	v_add_lshl_u32 v9, v3, v10, 2
	ds_bpermute_b32 v3, v9, v1
	ds_bpermute_b32 v4, v9, v2
	s_waitcnt lgkmcnt(0)
	v_add_f64 v[1:2], v[1:2], v[3:4]
	v_add_co_ci_u32_e64 v3, s0, 0, v10, s0
	s_delay_alu instid0(VALU_DEP_1)
	v_lshlrev_b32_e32 v10, 2, v3
	ds_bpermute_b32 v3, v10, v1
	ds_bpermute_b32 v4, v10, v2
	v_cmpx_eq_u32_e32 0, v11
	s_cbranch_execz .LBB98_18
; %bb.17:
	s_waitcnt lgkmcnt(0)
	v_add_f64 v[1:2], v[1:2], v[3:4]
	v_lshrrev_b32_e32 v3, 2, v0
	s_delay_alu instid0(VALU_DEP_1)
	v_and_b32_e32 v3, 0xf8, v3
	ds_store_b64 v3, v[1:2]
.LBB98_18:
	s_or_b32 exec_lo, exec_lo, s1
	s_waitcnt lgkmcnt(0)
	v_mov_b32_e32 v3, 0
	v_mov_b32_e32 v4, 0
	s_barrier
	buffer_gl0_inv
	s_and_saveexec_b32 s0, vcc_lo
	s_cbranch_execz .LBB98_20
; %bb.19:
	ds_load_b64 v[3:4], v5
.LBB98_20:
	s_or_b32 exec_lo, exec_lo, s0
	s_and_saveexec_b32 s0, vcc_lo
	s_cbranch_execz .LBB98_22
; %bb.21:
	s_waitcnt lgkmcnt(0)
	ds_bpermute_b32 v1, v6, v3
	ds_bpermute_b32 v2, v6, v4
	s_waitcnt lgkmcnt(0)
	v_add_f64 v[1:2], v[3:4], v[1:2]
	ds_bpermute_b32 v3, v7, v1
	ds_bpermute_b32 v4, v7, v2
	s_waitcnt lgkmcnt(0)
	v_add_f64 v[1:2], v[1:2], v[3:4]
	;; [unrolled: 4-line block ×5, first 2 shown]
.LBB98_22:
	s_or_b32 exec_lo, exec_lo, s0
	s_delay_alu instid0(SALU_CYCLE_1)
	s_mov_b32 s0, exec_lo
                                        ; implicit-def: $vgpr1_vgpr2
                                        ; implicit-def: $sgpr12_sgpr13
	v_cmpx_eq_u32_e32 0, v0
	s_cbranch_execz .LBB98_26
; %bb.23:
	v_cmp_eq_f64_e64 s1, s[4:5], 0
	s_waitcnt lgkmcnt(0)
	s_delay_alu instid0(VALU_DEP_3) | instskip(SKIP_1) | instid1(SALU_CYCLE_1)
	v_mul_f64 v[1:2], s[6:7], v[3:4]
	s_mul_i32 s12, s14, s21
	s_ashr_i32 s13, s12, 31
	s_delay_alu instid0(VALU_DEP_2)
	s_and_b32 vcc_lo, exec_lo, s1
	s_cbranch_vccnz .LBB98_25
; %bb.24:
	s_lshl_b64 s[2:3], s[12:13], 3
	s_delay_alu instid0(SALU_CYCLE_1) | instskip(SKIP_3) | instid1(VALU_DEP_1)
	s_add_u32 s2, s18, s2
	s_addc_u32 s3, s19, s3
	s_load_b64 s[2:3], s[2:3], 0x0
	s_waitcnt lgkmcnt(0)
	v_fma_f64 v[1:2], s[4:5], s[2:3], v[1:2]
.LBB98_25:
	s_or_b32 s20, s20, exec_lo
.LBB98_26:
	s_or_b32 exec_lo, exec_lo, s0
.LBB98_27:
	s_and_saveexec_b32 s0, s20
	s_cbranch_execz .LBB98_29
; %bb.28:
	s_lshl_b64 s[0:1], s[12:13], 3
	v_mov_b32_e32 v0, 0
	s_add_u32 s0, s18, s0
	s_addc_u32 s1, s19, s1
	global_store_b64 v0, v[1:2], s[0:1]
.LBB98_29:
	s_nop 0
	s_sendmsg sendmsg(MSG_DEALLOC_VGPRS)
	s_endpgm
	.section	.rodata,"a",@progbits
	.p2align	6, 0x0
	.amdhsa_kernel _ZL32rocblas_gemvt_warp_reduce_kernelILb1ELi1024EidPKddEviiT3_lPKT2_lT1_lS5_lS6_lS2_lPT4_lS6_li
		.amdhsa_group_segment_fixed_size 256
		.amdhsa_private_segment_fixed_size 0
		.amdhsa_kernarg_size 140
		.amdhsa_user_sgpr_count 14
		.amdhsa_user_sgpr_dispatch_ptr 0
		.amdhsa_user_sgpr_queue_ptr 0
		.amdhsa_user_sgpr_kernarg_segment_ptr 1
		.amdhsa_user_sgpr_dispatch_id 0
		.amdhsa_user_sgpr_private_segment_size 0
		.amdhsa_wavefront_size32 1
		.amdhsa_uses_dynamic_stack 0
		.amdhsa_enable_private_segment 0
		.amdhsa_system_sgpr_workgroup_id_x 1
		.amdhsa_system_sgpr_workgroup_id_y 0
		.amdhsa_system_sgpr_workgroup_id_z 1
		.amdhsa_system_sgpr_workgroup_info 0
		.amdhsa_system_vgpr_workitem_id 0
		.amdhsa_next_free_vgpr 14
		.amdhsa_next_free_sgpr 28
		.amdhsa_reserve_vcc 1
		.amdhsa_float_round_mode_32 0
		.amdhsa_float_round_mode_16_64 0
		.amdhsa_float_denorm_mode_32 3
		.amdhsa_float_denorm_mode_16_64 3
		.amdhsa_dx10_clamp 1
		.amdhsa_ieee_mode 1
		.amdhsa_fp16_overflow 0
		.amdhsa_workgroup_processor_mode 1
		.amdhsa_memory_ordered 1
		.amdhsa_forward_progress 0
		.amdhsa_shared_vgpr_count 0
		.amdhsa_exception_fp_ieee_invalid_op 0
		.amdhsa_exception_fp_denorm_src 0
		.amdhsa_exception_fp_ieee_div_zero 0
		.amdhsa_exception_fp_ieee_overflow 0
		.amdhsa_exception_fp_ieee_underflow 0
		.amdhsa_exception_fp_ieee_inexact 0
		.amdhsa_exception_int_div_zero 0
	.end_amdhsa_kernel
	.section	.text._ZL32rocblas_gemvt_warp_reduce_kernelILb1ELi1024EidPKddEviiT3_lPKT2_lT1_lS5_lS6_lS2_lPT4_lS6_li,"axG",@progbits,_ZL32rocblas_gemvt_warp_reduce_kernelILb1ELi1024EidPKddEviiT3_lPKT2_lT1_lS5_lS6_lS2_lPT4_lS6_li,comdat
.Lfunc_end98:
	.size	_ZL32rocblas_gemvt_warp_reduce_kernelILb1ELi1024EidPKddEviiT3_lPKT2_lT1_lS5_lS6_lS2_lPT4_lS6_li, .Lfunc_end98-_ZL32rocblas_gemvt_warp_reduce_kernelILb1ELi1024EidPKddEviiT3_lPKT2_lT1_lS5_lS6_lS2_lPT4_lS6_li
                                        ; -- End function
	.section	.AMDGPU.csdata,"",@progbits
; Kernel info:
; codeLenInByte = 1644
; NumSgprs: 30
; NumVgprs: 14
; ScratchSize: 0
; MemoryBound: 0
; FloatMode: 240
; IeeeMode: 1
; LDSByteSize: 256 bytes/workgroup (compile time only)
; SGPRBlocks: 3
; VGPRBlocks: 1
; NumSGPRsForWavesPerEU: 30
; NumVGPRsForWavesPerEU: 14
; Occupancy: 16
; WaveLimiterHint : 1
; COMPUTE_PGM_RSRC2:SCRATCH_EN: 0
; COMPUTE_PGM_RSRC2:USER_SGPR: 14
; COMPUTE_PGM_RSRC2:TRAP_HANDLER: 0
; COMPUTE_PGM_RSRC2:TGID_X_EN: 1
; COMPUTE_PGM_RSRC2:TGID_Y_EN: 0
; COMPUTE_PGM_RSRC2:TGID_Z_EN: 1
; COMPUTE_PGM_RSRC2:TIDIG_COMP_CNT: 0
	.section	.text._ZL32rocblas_gemvt_warp_reduce_kernelILb1ELi1024EldPKddEviiT3_lPKT2_lT1_lS5_lS6_lS2_lPT4_lS6_li,"axG",@progbits,_ZL32rocblas_gemvt_warp_reduce_kernelILb1ELi1024EldPKddEviiT3_lPKT2_lT1_lS5_lS6_lS2_lPT4_lS6_li,comdat
	.globl	_ZL32rocblas_gemvt_warp_reduce_kernelILb1ELi1024EldPKddEviiT3_lPKT2_lT1_lS5_lS6_lS2_lPT4_lS6_li ; -- Begin function _ZL32rocblas_gemvt_warp_reduce_kernelILb1ELi1024EldPKddEviiT3_lPKT2_lT1_lS5_lS6_lS2_lPT4_lS6_li
	.p2align	8
	.type	_ZL32rocblas_gemvt_warp_reduce_kernelILb1ELi1024EldPKddEviiT3_lPKT2_lT1_lS5_lS6_lS2_lPT4_lS6_li,@function
_ZL32rocblas_gemvt_warp_reduce_kernelILb1ELi1024EldPKddEviiT3_lPKT2_lT1_lS5_lS6_lS2_lPT4_lS6_li: ; @_ZL32rocblas_gemvt_warp_reduce_kernelILb1ELi1024EldPKddEviiT3_lPKT2_lT1_lS5_lS6_lS2_lPT4_lS6_li
; %bb.0:
	s_clause 0x1
	s_load_b512 s[36:51], s[0:1], 0x8
	s_load_b512 s[16:31], s[0:1], 0x48
	s_waitcnt lgkmcnt(0)
	s_mul_i32 s3, s15, s39
	s_mul_hi_u32 s4, s15, s38
	s_mul_i32 s2, s15, s38
	s_add_i32 s3, s4, s3
	s_mul_i32 s4, s15, s23
	s_lshl_b64 s[2:3], s[2:3], 3
	s_mul_hi_u32 s5, s15, s22
	s_add_u32 s2, s36, s2
	s_addc_u32 s3, s37, s3
	s_add_i32 s5, s5, s4
	s_mul_i32 s4, s15, s22
	s_delay_alu instid0(SALU_CYCLE_1) | instskip(NEXT) | instid1(SALU_CYCLE_1)
	s_lshl_b64 s[4:5], s[4:5], 3
	s_add_u32 s4, s20, s4
	s_addc_u32 s5, s21, s5
	s_load_b64 s[6:7], s[2:3], 0x0
	s_load_b64 s[4:5], s[4:5], 0x0
	s_waitcnt lgkmcnt(0)
	v_cmp_eq_f64_e64 s2, s[6:7], 0
	v_cmp_eq_f64_e64 s3, s[4:5], 1.0
	s_delay_alu instid0(VALU_DEP_1) | instskip(NEXT) | instid1(SALU_CYCLE_1)
	s_and_b32 s2, s2, s3
	s_and_b32 vcc_lo, exec_lo, s2
	s_cbranch_vccnz .LBB99_29
; %bb.1:
	v_cmp_neq_f64_e64 s8, s[6:7], 0
	s_mul_i32 s3, s15, s31
	s_mul_hi_u32 s9, s15, s30
	s_mul_i32 s2, s15, s30
	s_add_i32 s3, s9, s3
	s_mov_b32 s20, 0
	s_lshl_b64 s[2:3], s[2:3], 3
	s_delay_alu instid0(SALU_CYCLE_1) | instskip(SKIP_2) | instid1(SALU_CYCLE_1)
	s_add_u32 s9, s24, s2
	s_addc_u32 s10, s25, s3
	s_lshl_b64 s[2:3], s[26:27], 3
	s_add_u32 s12, s9, s2
	v_cmp_eq_u32_e64 s2, 0, v0
	s_addc_u32 s13, s10, s3
	s_delay_alu instid0(VALU_DEP_2)
	s_and_b32 vcc_lo, exec_lo, s8
	s_cbranch_vccnz .LBB99_6
; %bb.2:
	s_mov_b32 s3, 0
                                        ; implicit-def: $vgpr1_vgpr2
                                        ; implicit-def: $sgpr8_sgpr9
	s_and_saveexec_b32 s10, s2
	s_cbranch_execz .LBB99_7
; %bb.3:
	v_cmp_eq_f64_e64 s2, s[4:5], 0
	s_mul_i32 s8, s14, s29
	s_mul_hi_u32 s9, s14, s28
	s_ashr_i32 s11, s14, 31
	v_mov_b32_e32 v1, 0
	v_mov_b32_e32 v2, 0
	s_add_i32 s8, s9, s8
	s_mul_i32 s11, s11, s28
	s_delay_alu instid0(SALU_CYCLE_1) | instskip(SKIP_1) | instid1(VALU_DEP_3)
	s_add_i32 s9, s8, s11
	s_mul_i32 s8, s14, s28
	s_and_b32 vcc_lo, exec_lo, s2
	s_cbranch_vccnz .LBB99_5
; %bb.4:
	s_lshl_b64 s[20:21], s[8:9], 3
	s_delay_alu instid0(SALU_CYCLE_1)
	s_add_u32 s20, s12, s20
	s_addc_u32 s21, s13, s21
	s_load_b64 s[20:21], s[20:21], 0x0
	s_waitcnt lgkmcnt(0)
	v_mul_f64 v[1:2], s[4:5], s[20:21]
.LBB99_5:
	s_mov_b32 s20, exec_lo
	s_or_b32 exec_lo, exec_lo, s10
	s_delay_alu instid0(SALU_CYCLE_1)
	s_and_b32 vcc_lo, exec_lo, s3
	s_cbranch_vccnz .LBB99_8
	s_branch .LBB99_27
.LBB99_6:
                                        ; implicit-def: $vgpr1_vgpr2
                                        ; implicit-def: $sgpr8_sgpr9
	s_cbranch_execnz .LBB99_8
	s_branch .LBB99_27
.LBB99_7:
	s_or_b32 exec_lo, exec_lo, s10
	s_delay_alu instid0(SALU_CYCLE_1)
	s_and_b32 vcc_lo, exec_lo, s3
	s_cbranch_vccz .LBB99_27
.LBB99_8:
	s_load_b32 s9, s[0:1], 0x0
	s_mul_i32 s3, s15, s47
	s_mul_hi_u32 s8, s15, s46
	s_mul_i32 s0, s15, s46
	s_add_i32 s1, s8, s3
	s_mul_i32 s2, s15, s19
	s_mul_hi_u32 s3, s15, s18
	s_lshl_b64 s[0:1], s[0:1], 3
	s_add_i32 s3, s3, s2
	s_add_u32 s2, s40, s0
	s_addc_u32 s8, s41, s1
	s_lshl_b64 s[0:1], s[42:43], 3
	s_mul_hi_u32 s10, s14, s44
	s_add_u32 s0, s2, s0
	s_addc_u32 s2, s8, s1
	s_mul_i32 s8, s14, s45
	s_ashr_i32 s1, s14, 31
	s_add_i32 s8, s10, s8
	s_mul_i32 s10, s1, s44
	s_delay_alu instid0(SALU_CYCLE_1) | instskip(SKIP_3) | instid1(SALU_CYCLE_1)
	s_add_i32 s11, s8, s10
	s_waitcnt lgkmcnt(0)
	v_cmp_gt_i32_e32 vcc_lo, s9, v0
	s_mul_i32 s10, s14, s44
	s_lshl_b64 s[10:11], s[10:11], 3
	v_cndmask_b32_e32 v1, 0, v0, vcc_lo
	s_add_u32 s0, s10, s0
	s_addc_u32 s2, s11, s2
	s_ashr_i32 s8, s9, 31
	s_delay_alu instid0(VALU_DEP_1) | instskip(SKIP_1) | instid1(SALU_CYCLE_1)
	v_lshlrev_b32_e32 v1, 3, v1
	s_lshr_b32 s8, s8, 22
	s_add_i32 s8, s9, s8
	s_delay_alu instid0(VALU_DEP_1)
	v_add_co_u32 v3, s0, s0, v1
	v_mov_b32_e32 v1, 0
	v_add_co_ci_u32_e64 v4, null, s2, 0, s0
	v_mov_b32_e32 v2, 0
	s_and_b32 s8, s8, 0xfffffc00
	s_mul_i32 s2, s15, s18
	s_mov_b32 s18, 0
	s_mov_b32 s15, exec_lo
	v_cmpx_gt_i32_e64 s8, v0
	s_cbranch_execz .LBB99_12
; %bb.9:
	v_mad_u64_u32 v[7:8], null, s16, v0, 0
	s_lshl_b64 s[22:23], s[50:51], 3
	s_lshl_b64 s[10:11], s[2:3], 3
	s_add_u32 s0, s48, s22
	s_addc_u32 s19, s49, s23
	s_add_u32 s0, s0, s10
	s_addc_u32 s10, s19, s11
	s_delay_alu instid0(VALU_DEP_1) | instskip(SKIP_1) | instid1(VALU_DEP_2)
	v_mov_b32_e32 v1, v8
	v_mov_b32_e32 v9, v0
	v_mad_u64_u32 v[5:6], null, s17, v0, v[1:2]
	v_mov_b32_e32 v1, 0
	v_mov_b32_e32 v2, 0
	s_delay_alu instid0(VALU_DEP_3) | instskip(SKIP_1) | instid1(VALU_DEP_2)
	v_mov_b32_e32 v8, v5
	v_dual_mov_b32 v6, v4 :: v_dual_mov_b32 v5, v3
	v_lshlrev_b64 v[7:8], 3, v[7:8]
	s_delay_alu instid0(VALU_DEP_1) | instskip(NEXT) | instid1(VALU_DEP_2)
	v_add_co_u32 v7, vcc_lo, s0, v7
	v_add_co_ci_u32_e32 v8, vcc_lo, s10, v8, vcc_lo
	s_lshl_b64 s[10:11], s[16:17], 13
	.p2align	6
.LBB99_10:                              ; =>This Inner Loop Header: Depth=1
	global_load_b64 v[10:11], v[5:6], off
	global_load_b64 v[12:13], v[7:8], off
	v_add_nc_u32_e32 v9, 0x400, v9
	v_add_co_u32 v5, vcc_lo, 0x2000, v5
	v_add_co_ci_u32_e32 v6, vcc_lo, 0, v6, vcc_lo
	s_delay_alu instid0(VALU_DEP_3) | instskip(SKIP_1) | instid1(VALU_DEP_1)
	v_cmp_le_i32_e32 vcc_lo, s8, v9
	v_add_co_u32 v7, s0, v7, s10
	v_add_co_ci_u32_e64 v8, s0, s11, v8, s0
	s_or_b32 s18, vcc_lo, s18
	s_waitcnt vmcnt(0)
	v_fma_f64 v[1:2], v[10:11], v[12:13], v[1:2]
	s_and_not1_b32 exec_lo, exec_lo, s18
	s_cbranch_execnz .LBB99_10
; %bb.11:
	s_or_b32 exec_lo, exec_lo, s18
.LBB99_12:
	s_delay_alu instid0(SALU_CYCLE_1) | instskip(SKIP_2) | instid1(VALU_DEP_1)
	s_or_b32 exec_lo, exec_lo, s15
	v_or_b32_e32 v5, s8, v0
	s_mov_b32 s0, exec_lo
	v_cmpx_gt_i32_e64 s9, v5
	s_cbranch_execz .LBB99_14
; %bb.13:
	v_ashrrev_i32_e32 v8, 31, v5
	v_mul_lo_u32 v9, v5, s17
	v_mad_u64_u32 v[6:7], null, v5, s16, 0
	s_lshl_b64 s[2:3], s[2:3], 3
	s_delay_alu instid0(VALU_DEP_3) | instskip(SKIP_3) | instid1(SALU_CYCLE_1)
	v_mul_lo_u32 v5, v8, s16
	s_add_u32 s9, s48, s2
	s_addc_u32 s10, s49, s3
	s_lshl_b64 s[2:3], s[50:51], 3
	s_add_u32 s11, s9, s2
	s_addc_u32 s10, s10, s3
	s_ashr_i32 s9, s8, 31
	s_delay_alu instid0(VALU_DEP_1) | instskip(SKIP_1) | instid1(SALU_CYCLE_1)
	v_add3_u32 v7, v7, v9, v5
	s_lshl_b64 s[2:3], s[8:9], 3
	v_add_co_u32 v3, vcc_lo, v3, s2
	s_delay_alu instid0(VALU_DEP_2) | instskip(SKIP_1) | instid1(VALU_DEP_2)
	v_lshlrev_b64 v[5:6], 3, v[6:7]
	v_add_co_ci_u32_e32 v4, vcc_lo, s3, v4, vcc_lo
	v_add_co_u32 v5, vcc_lo, s11, v5
	s_delay_alu instid0(VALU_DEP_3)
	v_add_co_ci_u32_e32 v6, vcc_lo, s10, v6, vcc_lo
	global_load_b64 v[3:4], v[3:4], off
	global_load_b64 v[5:6], v[5:6], off
	s_waitcnt vmcnt(0)
	v_fma_f64 v[1:2], v[3:4], v[5:6], v[1:2]
.LBB99_14:
	s_or_b32 exec_lo, exec_lo, s0
	v_and_b32_e32 v11, 31, v0
	v_cmp_gt_u32_e32 vcc_lo, 32, v0
	s_delay_alu instid0(VALU_DEP_2)
	v_lshlrev_b32_e32 v5, 3, v11
	s_and_saveexec_b32 s0, vcc_lo
	s_cbranch_execz .LBB99_16
; %bb.15:
	v_mov_b32_e32 v3, 0
	s_delay_alu instid0(VALU_DEP_1)
	v_mov_b32_e32 v4, v3
	ds_store_b64 v5, v[3:4]
.LBB99_16:
	s_or_b32 exec_lo, exec_lo, s0
	v_mbcnt_lo_u32_b32 v10, -1, 0
	s_mov_b32 s2, exec_lo
	s_waitcnt lgkmcnt(0)
	s_barrier
	buffer_gl0_inv
	v_cmp_gt_u32_e64 s0, 16, v10
	s_delay_alu instid0(VALU_DEP_1) | instskip(SKIP_1) | instid1(VALU_DEP_2)
	v_cndmask_b32_e64 v3, 0, 1, s0
	v_cmp_gt_u32_e64 s0, 24, v10
	v_lshlrev_b32_e32 v3, 4, v3
	s_delay_alu instid0(VALU_DEP_1)
	v_add_lshl_u32 v6, v3, v10, 2
	ds_bpermute_b32 v3, v6, v1
	ds_bpermute_b32 v4, v6, v2
	s_waitcnt lgkmcnt(0)
	v_add_f64 v[1:2], v[1:2], v[3:4]
	v_cndmask_b32_e64 v3, 0, 1, s0
	v_cmp_gt_u32_e64 s0, 28, v10
	s_delay_alu instid0(VALU_DEP_2) | instskip(NEXT) | instid1(VALU_DEP_1)
	v_lshlrev_b32_e32 v3, 3, v3
	v_add_lshl_u32 v7, v3, v10, 2
	ds_bpermute_b32 v3, v7, v1
	ds_bpermute_b32 v4, v7, v2
	s_waitcnt lgkmcnt(0)
	v_add_f64 v[1:2], v[1:2], v[3:4]
	v_cndmask_b32_e64 v3, 0, 1, s0
	v_cmp_gt_u32_e64 s0, 30, v10
	s_delay_alu instid0(VALU_DEP_2) | instskip(NEXT) | instid1(VALU_DEP_1)
	v_lshlrev_b32_e32 v3, 2, v3
	v_add_lshl_u32 v8, v3, v10, 2
	ds_bpermute_b32 v3, v8, v1
	ds_bpermute_b32 v4, v8, v2
	s_waitcnt lgkmcnt(0)
	v_add_f64 v[1:2], v[1:2], v[3:4]
	v_cndmask_b32_e64 v3, 0, 1, s0
	v_cmp_ne_u32_e64 s0, 31, v10
	s_delay_alu instid0(VALU_DEP_2) | instskip(NEXT) | instid1(VALU_DEP_1)
	v_lshlrev_b32_e32 v3, 1, v3
	v_add_lshl_u32 v9, v3, v10, 2
	ds_bpermute_b32 v3, v9, v1
	ds_bpermute_b32 v4, v9, v2
	s_waitcnt lgkmcnt(0)
	v_add_f64 v[1:2], v[1:2], v[3:4]
	v_add_co_ci_u32_e64 v3, s0, 0, v10, s0
	s_delay_alu instid0(VALU_DEP_1)
	v_lshlrev_b32_e32 v10, 2, v3
	ds_bpermute_b32 v3, v10, v1
	ds_bpermute_b32 v4, v10, v2
	v_cmpx_eq_u32_e32 0, v11
	s_cbranch_execz .LBB99_18
; %bb.17:
	s_waitcnt lgkmcnt(0)
	v_add_f64 v[1:2], v[1:2], v[3:4]
	v_lshrrev_b32_e32 v3, 2, v0
	s_delay_alu instid0(VALU_DEP_1)
	v_and_b32_e32 v3, 0xf8, v3
	ds_store_b64 v3, v[1:2]
.LBB99_18:
	s_or_b32 exec_lo, exec_lo, s2
	s_waitcnt lgkmcnt(0)
	v_mov_b32_e32 v3, 0
	v_mov_b32_e32 v4, 0
	s_barrier
	buffer_gl0_inv
	s_and_saveexec_b32 s0, vcc_lo
	s_cbranch_execz .LBB99_20
; %bb.19:
	ds_load_b64 v[3:4], v5
.LBB99_20:
	s_or_b32 exec_lo, exec_lo, s0
	s_and_saveexec_b32 s0, vcc_lo
	s_cbranch_execz .LBB99_22
; %bb.21:
	s_waitcnt lgkmcnt(0)
	ds_bpermute_b32 v1, v6, v3
	ds_bpermute_b32 v2, v6, v4
	s_waitcnt lgkmcnt(0)
	v_add_f64 v[1:2], v[3:4], v[1:2]
	ds_bpermute_b32 v3, v7, v1
	ds_bpermute_b32 v4, v7, v2
	s_waitcnt lgkmcnt(0)
	v_add_f64 v[1:2], v[1:2], v[3:4]
	;; [unrolled: 4-line block ×5, first 2 shown]
.LBB99_22:
	s_or_b32 exec_lo, exec_lo, s0
	s_delay_alu instid0(SALU_CYCLE_1)
	s_mov_b32 s0, exec_lo
                                        ; implicit-def: $vgpr1_vgpr2
                                        ; implicit-def: $sgpr8_sgpr9
	v_cmpx_eq_u32_e32 0, v0
	s_cbranch_execz .LBB99_26
; %bb.23:
	v_cmp_eq_f64_e64 s2, s[4:5], 0
	s_waitcnt lgkmcnt(0)
	s_delay_alu instid0(VALU_DEP_3)
	v_mul_f64 v[1:2], s[6:7], v[3:4]
	s_mul_i32 s3, s14, s29
	s_mul_hi_u32 s6, s14, s28
	s_mul_i32 s1, s1, s28
	s_add_i32 s3, s6, s3
	s_mul_i32 s8, s14, s28
	s_add_i32 s9, s3, s1
	s_delay_alu instid0(VALU_DEP_2)
	s_and_b32 vcc_lo, exec_lo, s2
	s_cbranch_vccnz .LBB99_25
; %bb.24:
	s_lshl_b64 s[2:3], s[8:9], 3
	s_delay_alu instid0(SALU_CYCLE_1) | instskip(SKIP_3) | instid1(VALU_DEP_1)
	s_add_u32 s2, s12, s2
	s_addc_u32 s3, s13, s3
	s_load_b64 s[2:3], s[2:3], 0x0
	s_waitcnt lgkmcnt(0)
	v_fma_f64 v[1:2], s[4:5], s[2:3], v[1:2]
.LBB99_25:
	s_or_b32 s20, s20, exec_lo
.LBB99_26:
	s_or_b32 exec_lo, exec_lo, s0
.LBB99_27:
	s_and_saveexec_b32 s0, s20
	s_cbranch_execz .LBB99_29
; %bb.28:
	s_lshl_b64 s[0:1], s[8:9], 3
	v_mov_b32_e32 v0, 0
	s_add_u32 s0, s12, s0
	s_addc_u32 s1, s13, s1
	global_store_b64 v0, v[1:2], s[0:1]
.LBB99_29:
	s_nop 0
	s_sendmsg sendmsg(MSG_DEALLOC_VGPRS)
	s_endpgm
	.section	.rodata,"a",@progbits
	.p2align	6, 0x0
	.amdhsa_kernel _ZL32rocblas_gemvt_warp_reduce_kernelILb1ELi1024EldPKddEviiT3_lPKT2_lT1_lS5_lS6_lS2_lPT4_lS6_li
		.amdhsa_group_segment_fixed_size 256
		.amdhsa_private_segment_fixed_size 0
		.amdhsa_kernarg_size 140
		.amdhsa_user_sgpr_count 14
		.amdhsa_user_sgpr_dispatch_ptr 0
		.amdhsa_user_sgpr_queue_ptr 0
		.amdhsa_user_sgpr_kernarg_segment_ptr 1
		.amdhsa_user_sgpr_dispatch_id 0
		.amdhsa_user_sgpr_private_segment_size 0
		.amdhsa_wavefront_size32 1
		.amdhsa_uses_dynamic_stack 0
		.amdhsa_enable_private_segment 0
		.amdhsa_system_sgpr_workgroup_id_x 1
		.amdhsa_system_sgpr_workgroup_id_y 0
		.amdhsa_system_sgpr_workgroup_id_z 1
		.amdhsa_system_sgpr_workgroup_info 0
		.amdhsa_system_vgpr_workitem_id 0
		.amdhsa_next_free_vgpr 14
		.amdhsa_next_free_sgpr 52
		.amdhsa_reserve_vcc 1
		.amdhsa_float_round_mode_32 0
		.amdhsa_float_round_mode_16_64 0
		.amdhsa_float_denorm_mode_32 3
		.amdhsa_float_denorm_mode_16_64 3
		.amdhsa_dx10_clamp 1
		.amdhsa_ieee_mode 1
		.amdhsa_fp16_overflow 0
		.amdhsa_workgroup_processor_mode 1
		.amdhsa_memory_ordered 1
		.amdhsa_forward_progress 0
		.amdhsa_shared_vgpr_count 0
		.amdhsa_exception_fp_ieee_invalid_op 0
		.amdhsa_exception_fp_denorm_src 0
		.amdhsa_exception_fp_ieee_div_zero 0
		.amdhsa_exception_fp_ieee_overflow 0
		.amdhsa_exception_fp_ieee_underflow 0
		.amdhsa_exception_fp_ieee_inexact 0
		.amdhsa_exception_int_div_zero 0
	.end_amdhsa_kernel
	.section	.text._ZL32rocblas_gemvt_warp_reduce_kernelILb1ELi1024EldPKddEviiT3_lPKT2_lT1_lS5_lS6_lS2_lPT4_lS6_li,"axG",@progbits,_ZL32rocblas_gemvt_warp_reduce_kernelILb1ELi1024EldPKddEviiT3_lPKT2_lT1_lS5_lS6_lS2_lPT4_lS6_li,comdat
.Lfunc_end99:
	.size	_ZL32rocblas_gemvt_warp_reduce_kernelILb1ELi1024EldPKddEviiT3_lPKT2_lT1_lS5_lS6_lS2_lPT4_lS6_li, .Lfunc_end99-_ZL32rocblas_gemvt_warp_reduce_kernelILb1ELi1024EldPKddEviiT3_lPKT2_lT1_lS5_lS6_lS2_lPT4_lS6_li
                                        ; -- End function
	.section	.AMDGPU.csdata,"",@progbits
; Kernel info:
; codeLenInByte = 1704
; NumSgprs: 54
; NumVgprs: 14
; ScratchSize: 0
; MemoryBound: 0
; FloatMode: 240
; IeeeMode: 1
; LDSByteSize: 256 bytes/workgroup (compile time only)
; SGPRBlocks: 6
; VGPRBlocks: 1
; NumSGPRsForWavesPerEU: 54
; NumVGPRsForWavesPerEU: 14
; Occupancy: 16
; WaveLimiterHint : 0
; COMPUTE_PGM_RSRC2:SCRATCH_EN: 0
; COMPUTE_PGM_RSRC2:USER_SGPR: 14
; COMPUTE_PGM_RSRC2:TRAP_HANDLER: 0
; COMPUTE_PGM_RSRC2:TGID_X_EN: 1
; COMPUTE_PGM_RSRC2:TGID_Y_EN: 0
; COMPUTE_PGM_RSRC2:TGID_Z_EN: 1
; COMPUTE_PGM_RSRC2:TIDIG_COMP_CNT: 0
	.section	.text._ZL32rocblas_gemvt_warp_reduce_kernelILb1ELi1024EidddEviiT3_lPKT2_lT1_lS3_lS4_lS0_lPT4_lS4_li,"axG",@progbits,_ZL32rocblas_gemvt_warp_reduce_kernelILb1ELi1024EidddEviiT3_lPKT2_lT1_lS3_lS4_lS0_lPT4_lS4_li,comdat
	.globl	_ZL32rocblas_gemvt_warp_reduce_kernelILb1ELi1024EidddEviiT3_lPKT2_lT1_lS3_lS4_lS0_lPT4_lS4_li ; -- Begin function _ZL32rocblas_gemvt_warp_reduce_kernelILb1ELi1024EidddEviiT3_lPKT2_lT1_lS3_lS4_lS0_lPT4_lS4_li
	.p2align	8
	.type	_ZL32rocblas_gemvt_warp_reduce_kernelILb1ELi1024EidddEviiT3_lPKT2_lT1_lS3_lS4_lS0_lPT4_lS4_li,@function
_ZL32rocblas_gemvt_warp_reduce_kernelILb1ELi1024EidddEviiT3_lPKT2_lT1_lS3_lS4_lS0_lPT4_lS4_li: ; @_ZL32rocblas_gemvt_warp_reduce_kernelILb1ELi1024EidddEviiT3_lPKT2_lT1_lS3_lS4_lS0_lPT4_lS4_li
; %bb.0:
	s_clause 0x1
	s_load_b64 s[8:9], s[0:1], 0x8
	s_load_b128 s[4:7], s[0:1], 0x50
	s_waitcnt lgkmcnt(0)
	v_cmp_eq_f64_e64 s2, s[8:9], 0
	v_cmp_eq_f64_e64 s3, s[6:7], 1.0
	s_delay_alu instid0(VALU_DEP_1) | instskip(NEXT) | instid1(SALU_CYCLE_1)
	s_and_b32 s2, s2, s3
	s_and_b32 vcc_lo, exec_lo, s2
	s_cbranch_vccnz .LBB100_29
; %bb.1:
	v_cmp_neq_f64_e64 s10, s[8:9], 0
	s_clause 0x2
	s_load_b64 s[2:3], s[0:1], 0x80
	s_load_b128 s[20:23], s[0:1], 0x68
	s_load_b32 s17, s[0:1], 0x78
	s_mov_b32 s16, 0
	s_waitcnt lgkmcnt(0)
	s_mul_i32 s3, s15, s3
	s_mul_hi_u32 s11, s15, s2
	s_mul_i32 s2, s15, s2
	s_add_i32 s3, s11, s3
	s_delay_alu instid0(SALU_CYCLE_1) | instskip(NEXT) | instid1(SALU_CYCLE_1)
	s_lshl_b64 s[2:3], s[2:3], 3
	s_add_u32 s11, s20, s2
	s_addc_u32 s13, s21, s3
	s_lshl_b64 s[2:3], s[22:23], 3
	s_delay_alu instid0(SALU_CYCLE_1) | instskip(SKIP_2) | instid1(VALU_DEP_2)
	s_add_u32 s12, s11, s2
	v_cmp_eq_u32_e64 s2, 0, v0
	s_addc_u32 s13, s13, s3
	s_and_b32 vcc_lo, exec_lo, s10
	s_cbranch_vccnz .LBB100_6
; %bb.2:
	s_mov_b32 s3, 0
                                        ; implicit-def: $vgpr1_vgpr2
                                        ; implicit-def: $sgpr10_sgpr11
	s_and_saveexec_b32 s18, s2
	s_cbranch_execz .LBB100_7
; %bb.3:
	v_cmp_eq_f64_e64 s2, s[6:7], 0
	v_mov_b32_e32 v1, 0
	v_mov_b32_e32 v2, 0
	s_mul_i32 s10, s14, s17
	s_delay_alu instid0(SALU_CYCLE_1) | instskip(NEXT) | instid1(VALU_DEP_3)
	s_ashr_i32 s11, s10, 31
	s_and_b32 vcc_lo, exec_lo, s2
	s_cbranch_vccnz .LBB100_5
; %bb.4:
	s_lshl_b64 s[20:21], s[10:11], 3
	s_delay_alu instid0(SALU_CYCLE_1)
	s_add_u32 s20, s12, s20
	s_addc_u32 s21, s13, s21
	s_load_b64 s[20:21], s[20:21], 0x0
	s_waitcnt lgkmcnt(0)
	v_mul_f64 v[1:2], s[20:21], s[6:7]
.LBB100_5:
	s_mov_b32 s16, exec_lo
	s_or_b32 exec_lo, exec_lo, s18
	s_delay_alu instid0(SALU_CYCLE_1)
	s_and_b32 vcc_lo, exec_lo, s3
	s_cbranch_vccnz .LBB100_8
	s_branch .LBB100_27
.LBB100_6:
                                        ; implicit-def: $vgpr1_vgpr2
                                        ; implicit-def: $sgpr10_sgpr11
	s_cbranch_execnz .LBB100_8
	s_branch .LBB100_27
.LBB100_7:
	s_or_b32 exec_lo, exec_lo, s18
	s_delay_alu instid0(SALU_CYCLE_1)
	s_and_b32 vcc_lo, exec_lo, s3
	s_cbranch_vccz .LBB100_27
.LBB100_8:
	s_mul_i32 s3, s15, s5
	s_mul_hi_u32 s5, s15, s4
	s_mul_i32 s2, s15, s4
	s_add_i32 s3, s5, s3
	s_clause 0x3
	s_load_b128 s[20:23], s[0:1], 0x30
	s_load_b64 s[10:11], s[0:1], 0x40
	s_load_b128 s[24:27], s[0:1], 0x18
	s_load_b32 s18, s[0:1], 0x28
	s_lshl_b64 s[4:5], s[2:3], 3
	s_clause 0x1
	s_load_b32 s3, s[0:1], 0x0
	s_load_b32 s1, s[0:1], 0x48
	s_waitcnt lgkmcnt(0)
	s_add_u32 s2, s22, s4
	s_addc_u32 s22, s23, s5
	s_lshl_b64 s[4:5], s[10:11], 3
	s_mul_i32 s19, s15, s21
	s_mul_hi_u32 s21, s15, s20
	s_add_u32 s4, s2, s4
	v_cmp_gt_i32_e32 vcc_lo, s3, v0
	s_mul_i32 s10, s15, s20
	s_addc_u32 s5, s22, s5
	s_add_i32 s11, s21, s19
	s_mul_i32 s18, s14, s18
	s_lshl_b64 s[10:11], s[10:11], 3
	v_cndmask_b32_e32 v1, 0, v0, vcc_lo
	s_add_u32 s0, s24, s10
	s_addc_u32 s2, s25, s11
	s_lshl_b64 s[10:11], s[26:27], 3
	s_delay_alu instid0(SALU_CYCLE_1) | instskip(SKIP_4) | instid1(SALU_CYCLE_1)
	s_add_u32 s0, s0, s10
	s_addc_u32 s2, s2, s11
	s_ashr_i32 s19, s18, 31
	v_lshlrev_b32_e32 v1, 3, v1
	s_lshl_b64 s[10:11], s[18:19], 3
	s_add_u32 s0, s10, s0
	s_addc_u32 s2, s11, s2
	s_ashr_i32 s10, s3, 31
	v_add_co_u32 v3, s0, s0, v1
	s_lshr_b32 s10, s10, 22
	v_mov_b32_e32 v1, 0
	v_add_co_ci_u32_e64 v4, null, s2, 0, s0
	v_mov_b32_e32 v2, 0
	s_add_i32 s10, s3, s10
	s_mov_b32 s11, 0
	s_and_b32 s2, s10, 0xfffffc00
	s_mov_b32 s10, exec_lo
	v_cmpx_gt_i32_e64 s2, v0
	s_cbranch_execz .LBB100_12
; %bb.9:
	v_mul_lo_u32 v5, v0, s1
	v_dual_mov_b32 v1, 0 :: v_dual_mov_b32 v8, v4
	v_dual_mov_b32 v2, 0 :: v_dual_mov_b32 v7, v3
	v_mov_b32_e32 v9, v0
	s_lshl_b32 s15, s1, 10
	.p2align	6
.LBB100_10:                             ; =>This Inner Loop Header: Depth=1
	s_delay_alu instid0(VALU_DEP_4) | instskip(NEXT) | instid1(VALU_DEP_2)
	v_ashrrev_i32_e32 v6, 31, v5
	v_add_nc_u32_e32 v9, 0x400, v9
	s_delay_alu instid0(VALU_DEP_2) | instskip(NEXT) | instid1(VALU_DEP_2)
	v_lshlrev_b64 v[10:11], 3, v[5:6]
	v_cmp_le_i32_e64 s0, s2, v9
	v_add_nc_u32_e32 v5, s15, v5
	s_delay_alu instid0(VALU_DEP_2) | instskip(NEXT) | instid1(VALU_DEP_3)
	s_or_b32 s11, s0, s11
	v_add_co_u32 v10, vcc_lo, s4, v10
	s_delay_alu instid0(VALU_DEP_4)
	v_add_co_ci_u32_e32 v11, vcc_lo, s5, v11, vcc_lo
	global_load_b64 v[12:13], v[7:8], off
	global_load_b64 v[10:11], v[10:11], off
	v_add_co_u32 v7, vcc_lo, 0x2000, v7
	v_add_co_ci_u32_e32 v8, vcc_lo, 0, v8, vcc_lo
	s_waitcnt vmcnt(0)
	v_fma_f64 v[1:2], v[12:13], v[10:11], v[1:2]
	s_and_not1_b32 exec_lo, exec_lo, s11
	s_cbranch_execnz .LBB100_10
; %bb.11:
	s_or_b32 exec_lo, exec_lo, s11
.LBB100_12:
	s_delay_alu instid0(SALU_CYCLE_1) | instskip(SKIP_2) | instid1(VALU_DEP_1)
	s_or_b32 exec_lo, exec_lo, s10
	v_or_b32_e32 v5, s2, v0
	s_mov_b32 s0, exec_lo
	v_cmpx_gt_i32_e64 s3, v5
	s_cbranch_execz .LBB100_14
; %bb.13:
	v_mul_lo_u32 v5, v5, s1
	s_ashr_i32 s3, s2, 31
	s_delay_alu instid0(SALU_CYCLE_1) | instskip(NEXT) | instid1(SALU_CYCLE_1)
	s_lshl_b64 s[2:3], s[2:3], 3
	v_add_co_u32 v3, vcc_lo, v3, s2
	v_add_co_ci_u32_e32 v4, vcc_lo, s3, v4, vcc_lo
	s_delay_alu instid0(VALU_DEP_3) | instskip(NEXT) | instid1(VALU_DEP_1)
	v_ashrrev_i32_e32 v6, 31, v5
	v_lshlrev_b64 v[5:6], 3, v[5:6]
	s_delay_alu instid0(VALU_DEP_1) | instskip(NEXT) | instid1(VALU_DEP_2)
	v_add_co_u32 v5, vcc_lo, s4, v5
	v_add_co_ci_u32_e32 v6, vcc_lo, s5, v6, vcc_lo
	global_load_b64 v[3:4], v[3:4], off
	global_load_b64 v[5:6], v[5:6], off
	s_waitcnt vmcnt(0)
	v_fma_f64 v[1:2], v[3:4], v[5:6], v[1:2]
.LBB100_14:
	s_or_b32 exec_lo, exec_lo, s0
	v_and_b32_e32 v11, 31, v0
	v_cmp_gt_u32_e32 vcc_lo, 32, v0
	s_delay_alu instid0(VALU_DEP_2)
	v_lshlrev_b32_e32 v5, 3, v11
	s_and_saveexec_b32 s0, vcc_lo
	s_cbranch_execz .LBB100_16
; %bb.15:
	v_mov_b32_e32 v3, 0
	s_delay_alu instid0(VALU_DEP_1)
	v_mov_b32_e32 v4, v3
	ds_store_b64 v5, v[3:4]
.LBB100_16:
	s_or_b32 exec_lo, exec_lo, s0
	v_mbcnt_lo_u32_b32 v10, -1, 0
	s_mov_b32 s1, exec_lo
	s_waitcnt lgkmcnt(0)
	s_barrier
	buffer_gl0_inv
	v_cmp_gt_u32_e64 s0, 16, v10
	s_delay_alu instid0(VALU_DEP_1) | instskip(SKIP_1) | instid1(VALU_DEP_2)
	v_cndmask_b32_e64 v3, 0, 1, s0
	v_cmp_gt_u32_e64 s0, 24, v10
	v_lshlrev_b32_e32 v3, 4, v3
	s_delay_alu instid0(VALU_DEP_1)
	v_add_lshl_u32 v6, v3, v10, 2
	ds_bpermute_b32 v3, v6, v1
	ds_bpermute_b32 v4, v6, v2
	s_waitcnt lgkmcnt(0)
	v_add_f64 v[1:2], v[1:2], v[3:4]
	v_cndmask_b32_e64 v3, 0, 1, s0
	v_cmp_gt_u32_e64 s0, 28, v10
	s_delay_alu instid0(VALU_DEP_2) | instskip(NEXT) | instid1(VALU_DEP_1)
	v_lshlrev_b32_e32 v3, 3, v3
	v_add_lshl_u32 v7, v3, v10, 2
	ds_bpermute_b32 v3, v7, v1
	ds_bpermute_b32 v4, v7, v2
	s_waitcnt lgkmcnt(0)
	v_add_f64 v[1:2], v[1:2], v[3:4]
	v_cndmask_b32_e64 v3, 0, 1, s0
	v_cmp_gt_u32_e64 s0, 30, v10
	s_delay_alu instid0(VALU_DEP_2) | instskip(NEXT) | instid1(VALU_DEP_1)
	v_lshlrev_b32_e32 v3, 2, v3
	v_add_lshl_u32 v8, v3, v10, 2
	ds_bpermute_b32 v3, v8, v1
	ds_bpermute_b32 v4, v8, v2
	s_waitcnt lgkmcnt(0)
	v_add_f64 v[1:2], v[1:2], v[3:4]
	v_cndmask_b32_e64 v3, 0, 1, s0
	v_cmp_ne_u32_e64 s0, 31, v10
	s_delay_alu instid0(VALU_DEP_2) | instskip(NEXT) | instid1(VALU_DEP_1)
	v_lshlrev_b32_e32 v3, 1, v3
	v_add_lshl_u32 v9, v3, v10, 2
	ds_bpermute_b32 v3, v9, v1
	ds_bpermute_b32 v4, v9, v2
	s_waitcnt lgkmcnt(0)
	v_add_f64 v[1:2], v[1:2], v[3:4]
	v_add_co_ci_u32_e64 v3, s0, 0, v10, s0
	s_delay_alu instid0(VALU_DEP_1)
	v_lshlrev_b32_e32 v10, 2, v3
	ds_bpermute_b32 v3, v10, v1
	ds_bpermute_b32 v4, v10, v2
	v_cmpx_eq_u32_e32 0, v11
	s_cbranch_execz .LBB100_18
; %bb.17:
	s_waitcnt lgkmcnt(0)
	v_add_f64 v[1:2], v[1:2], v[3:4]
	v_lshrrev_b32_e32 v3, 2, v0
	s_delay_alu instid0(VALU_DEP_1)
	v_and_b32_e32 v3, 0xf8, v3
	ds_store_b64 v3, v[1:2]
.LBB100_18:
	s_or_b32 exec_lo, exec_lo, s1
	s_waitcnt lgkmcnt(0)
	v_mov_b32_e32 v3, 0
	v_mov_b32_e32 v4, 0
	s_barrier
	buffer_gl0_inv
	s_and_saveexec_b32 s0, vcc_lo
	s_cbranch_execz .LBB100_20
; %bb.19:
	ds_load_b64 v[3:4], v5
.LBB100_20:
	s_or_b32 exec_lo, exec_lo, s0
	s_and_saveexec_b32 s0, vcc_lo
	s_cbranch_execz .LBB100_22
; %bb.21:
	s_waitcnt lgkmcnt(0)
	ds_bpermute_b32 v1, v6, v3
	ds_bpermute_b32 v2, v6, v4
	s_waitcnt lgkmcnt(0)
	v_add_f64 v[1:2], v[3:4], v[1:2]
	ds_bpermute_b32 v3, v7, v1
	ds_bpermute_b32 v4, v7, v2
	s_waitcnt lgkmcnt(0)
	v_add_f64 v[1:2], v[1:2], v[3:4]
	;; [unrolled: 4-line block ×5, first 2 shown]
.LBB100_22:
	s_or_b32 exec_lo, exec_lo, s0
	s_delay_alu instid0(SALU_CYCLE_1)
	s_mov_b32 s0, exec_lo
                                        ; implicit-def: $vgpr1_vgpr2
                                        ; implicit-def: $sgpr10_sgpr11
	v_cmpx_eq_u32_e32 0, v0
	s_cbranch_execz .LBB100_26
; %bb.23:
	v_cmp_eq_f64_e64 s1, s[6:7], 0
	s_waitcnt lgkmcnt(0)
	s_delay_alu instid0(VALU_DEP_3) | instskip(SKIP_1) | instid1(SALU_CYCLE_1)
	v_mul_f64 v[1:2], v[3:4], s[8:9]
	s_mul_i32 s10, s14, s17
	s_ashr_i32 s11, s10, 31
	s_delay_alu instid0(VALU_DEP_2)
	s_and_b32 vcc_lo, exec_lo, s1
	s_cbranch_vccnz .LBB100_25
; %bb.24:
	s_lshl_b64 s[2:3], s[10:11], 3
	s_delay_alu instid0(SALU_CYCLE_1) | instskip(SKIP_3) | instid1(VALU_DEP_1)
	s_add_u32 s2, s12, s2
	s_addc_u32 s3, s13, s3
	s_load_b64 s[2:3], s[2:3], 0x0
	s_waitcnt lgkmcnt(0)
	v_fma_f64 v[1:2], s[2:3], s[6:7], v[1:2]
.LBB100_25:
	s_or_b32 s16, s16, exec_lo
.LBB100_26:
	s_or_b32 exec_lo, exec_lo, s0
.LBB100_27:
	s_and_saveexec_b32 s0, s16
	s_cbranch_execz .LBB100_29
; %bb.28:
	s_lshl_b64 s[0:1], s[10:11], 3
	v_mov_b32_e32 v0, 0
	s_add_u32 s0, s12, s0
	s_addc_u32 s1, s13, s1
	global_store_b64 v0, v[1:2], s[0:1]
.LBB100_29:
	s_nop 0
	s_sendmsg sendmsg(MSG_DEALLOC_VGPRS)
	s_endpgm
	.section	.rodata,"a",@progbits
	.p2align	6, 0x0
	.amdhsa_kernel _ZL32rocblas_gemvt_warp_reduce_kernelILb1ELi1024EidddEviiT3_lPKT2_lT1_lS3_lS4_lS0_lPT4_lS4_li
		.amdhsa_group_segment_fixed_size 256
		.amdhsa_private_segment_fixed_size 0
		.amdhsa_kernarg_size 140
		.amdhsa_user_sgpr_count 14
		.amdhsa_user_sgpr_dispatch_ptr 0
		.amdhsa_user_sgpr_queue_ptr 0
		.amdhsa_user_sgpr_kernarg_segment_ptr 1
		.amdhsa_user_sgpr_dispatch_id 0
		.amdhsa_user_sgpr_private_segment_size 0
		.amdhsa_wavefront_size32 1
		.amdhsa_uses_dynamic_stack 0
		.amdhsa_enable_private_segment 0
		.amdhsa_system_sgpr_workgroup_id_x 1
		.amdhsa_system_sgpr_workgroup_id_y 0
		.amdhsa_system_sgpr_workgroup_id_z 1
		.amdhsa_system_sgpr_workgroup_info 0
		.amdhsa_system_vgpr_workitem_id 0
		.amdhsa_next_free_vgpr 14
		.amdhsa_next_free_sgpr 28
		.amdhsa_reserve_vcc 1
		.amdhsa_float_round_mode_32 0
		.amdhsa_float_round_mode_16_64 0
		.amdhsa_float_denorm_mode_32 3
		.amdhsa_float_denorm_mode_16_64 3
		.amdhsa_dx10_clamp 1
		.amdhsa_ieee_mode 1
		.amdhsa_fp16_overflow 0
		.amdhsa_workgroup_processor_mode 1
		.amdhsa_memory_ordered 1
		.amdhsa_forward_progress 0
		.amdhsa_shared_vgpr_count 0
		.amdhsa_exception_fp_ieee_invalid_op 0
		.amdhsa_exception_fp_denorm_src 0
		.amdhsa_exception_fp_ieee_div_zero 0
		.amdhsa_exception_fp_ieee_overflow 0
		.amdhsa_exception_fp_ieee_underflow 0
		.amdhsa_exception_fp_ieee_inexact 0
		.amdhsa_exception_int_div_zero 0
	.end_amdhsa_kernel
	.section	.text._ZL32rocblas_gemvt_warp_reduce_kernelILb1ELi1024EidddEviiT3_lPKT2_lT1_lS3_lS4_lS0_lPT4_lS4_li,"axG",@progbits,_ZL32rocblas_gemvt_warp_reduce_kernelILb1ELi1024EidddEviiT3_lPKT2_lT1_lS3_lS4_lS0_lPT4_lS4_li,comdat
.Lfunc_end100:
	.size	_ZL32rocblas_gemvt_warp_reduce_kernelILb1ELi1024EidddEviiT3_lPKT2_lT1_lS3_lS4_lS0_lPT4_lS4_li, .Lfunc_end100-_ZL32rocblas_gemvt_warp_reduce_kernelILb1ELi1024EidddEviiT3_lPKT2_lT1_lS3_lS4_lS0_lPT4_lS4_li
                                        ; -- End function
	.section	.AMDGPU.csdata,"",@progbits
; Kernel info:
; codeLenInByte = 1568
; NumSgprs: 30
; NumVgprs: 14
; ScratchSize: 0
; MemoryBound: 0
; FloatMode: 240
; IeeeMode: 1
; LDSByteSize: 256 bytes/workgroup (compile time only)
; SGPRBlocks: 3
; VGPRBlocks: 1
; NumSGPRsForWavesPerEU: 30
; NumVGPRsForWavesPerEU: 14
; Occupancy: 16
; WaveLimiterHint : 1
; COMPUTE_PGM_RSRC2:SCRATCH_EN: 0
; COMPUTE_PGM_RSRC2:USER_SGPR: 14
; COMPUTE_PGM_RSRC2:TRAP_HANDLER: 0
; COMPUTE_PGM_RSRC2:TGID_X_EN: 1
; COMPUTE_PGM_RSRC2:TGID_Y_EN: 0
; COMPUTE_PGM_RSRC2:TGID_Z_EN: 1
; COMPUTE_PGM_RSRC2:TIDIG_COMP_CNT: 0
	.section	.text._ZL32rocblas_gemvt_warp_reduce_kernelILb1ELi1024EldddEviiT3_lPKT2_lT1_lS3_lS4_lS0_lPT4_lS4_li,"axG",@progbits,_ZL32rocblas_gemvt_warp_reduce_kernelILb1ELi1024EldddEviiT3_lPKT2_lT1_lS3_lS4_lS0_lPT4_lS4_li,comdat
	.globl	_ZL32rocblas_gemvt_warp_reduce_kernelILb1ELi1024EldddEviiT3_lPKT2_lT1_lS3_lS4_lS0_lPT4_lS4_li ; -- Begin function _ZL32rocblas_gemvt_warp_reduce_kernelILb1ELi1024EldddEviiT3_lPKT2_lT1_lS3_lS4_lS0_lPT4_lS4_li
	.p2align	8
	.type	_ZL32rocblas_gemvt_warp_reduce_kernelILb1ELi1024EldddEviiT3_lPKT2_lT1_lS3_lS4_lS0_lPT4_lS4_li,@function
_ZL32rocblas_gemvt_warp_reduce_kernelILb1ELi1024EldddEviiT3_lPKT2_lT1_lS3_lS4_lS0_lPT4_lS4_li: ; @_ZL32rocblas_gemvt_warp_reduce_kernelILb1ELi1024EldddEviiT3_lPKT2_lT1_lS3_lS4_lS0_lPT4_lS4_li
; %bb.0:
	s_clause 0x1
	s_load_b64 s[34:35], s[0:1], 0x8
	s_load_b64 s[12:13], s[0:1], 0x58
	s_waitcnt lgkmcnt(0)
	v_cmp_eq_f64_e64 s2, s[34:35], 0
	v_cmp_eq_f64_e64 s3, s[12:13], 1.0
	s_delay_alu instid0(VALU_DEP_1) | instskip(NEXT) | instid1(SALU_CYCLE_1)
	s_and_b32 s2, s2, s3
	s_and_b32 vcc_lo, exec_lo, s2
	s_cbranch_vccnz .LBB101_29
; %bb.1:
	v_cmp_neq_f64_e64 s16, s[34:35], 0
	s_load_b256 s[4:11], s[0:1], 0x68
	s_mov_b32 s33, 0
	s_waitcnt lgkmcnt(0)
	s_mul_i32 s3, s15, s11
	s_mul_hi_u32 s11, s15, s10
	s_mul_i32 s2, s15, s10
	s_add_i32 s3, s11, s3
	s_delay_alu instid0(SALU_CYCLE_1) | instskip(NEXT) | instid1(SALU_CYCLE_1)
	s_lshl_b64 s[2:3], s[2:3], 3
	s_add_u32 s4, s4, s2
	s_addc_u32 s5, s5, s3
	s_lshl_b64 s[2:3], s[6:7], 3
	s_delay_alu instid0(SALU_CYCLE_1) | instskip(SKIP_2) | instid1(VALU_DEP_2)
	s_add_u32 s10, s4, s2
	v_cmp_eq_u32_e64 s2, 0, v0
	s_addc_u32 s11, s5, s3
	s_and_b32 vcc_lo, exec_lo, s16
	s_cbranch_vccnz .LBB101_6
; %bb.2:
	s_mov_b32 s3, 0
                                        ; implicit-def: $vgpr1_vgpr2
                                        ; implicit-def: $sgpr4_sgpr5
	s_and_saveexec_b32 s6, s2
	s_cbranch_execz .LBB101_7
; %bb.3:
	v_cmp_eq_f64_e64 s2, s[12:13], 0
	s_mul_i32 s4, s14, s9
	s_mul_hi_u32 s5, s14, s8
	s_ashr_i32 s7, s14, 31
	v_mov_b32_e32 v1, 0
	v_mov_b32_e32 v2, 0
	s_add_i32 s4, s5, s4
	s_mul_i32 s7, s7, s8
	s_delay_alu instid0(SALU_CYCLE_1) | instskip(SKIP_1) | instid1(VALU_DEP_3)
	s_add_i32 s5, s4, s7
	s_mul_i32 s4, s14, s8
	s_and_b32 vcc_lo, exec_lo, s2
	s_cbranch_vccnz .LBB101_5
; %bb.4:
	s_lshl_b64 s[16:17], s[4:5], 3
	s_delay_alu instid0(SALU_CYCLE_1)
	s_add_u32 s16, s10, s16
	s_addc_u32 s17, s11, s17
	s_load_b64 s[16:17], s[16:17], 0x0
	s_waitcnt lgkmcnt(0)
	v_mul_f64 v[1:2], s[16:17], s[12:13]
.LBB101_5:
	s_mov_b32 s33, exec_lo
	s_or_b32 exec_lo, exec_lo, s6
	s_delay_alu instid0(SALU_CYCLE_1)
	s_and_b32 vcc_lo, exec_lo, s3
	s_cbranch_vccnz .LBB101_8
	s_branch .LBB101_27
.LBB101_6:
                                        ; implicit-def: $vgpr1_vgpr2
                                        ; implicit-def: $sgpr4_sgpr5
	s_cbranch_execnz .LBB101_8
	s_branch .LBB101_27
.LBB101_7:
	s_or_b32 exec_lo, exec_lo, s6
	s_delay_alu instid0(SALU_CYCLE_1)
	s_and_b32 vcc_lo, exec_lo, s3
	s_cbranch_vccz .LBB101_27
.LBB101_8:
	s_clause 0x1
	s_load_b512 s[16:31], s[0:1], 0x18
	s_load_b32 s5, s[0:1], 0x0
	s_waitcnt lgkmcnt(0)
	s_mul_i32 s1, s15, s23
	s_mul_hi_u32 s4, s15, s22
	s_mul_i32 s0, s15, s22
	s_add_i32 s1, s4, s1
	s_mul_i32 s2, s15, s31
	s_mul_hi_u32 s3, s15, s30
	s_lshl_b64 s[0:1], s[0:1], 3
	s_add_i32 s3, s3, s2
	v_cmp_gt_i32_e32 vcc_lo, s5, v0
	s_add_u32 s2, s16, s0
	s_addc_u32 s6, s17, s1
	s_lshl_b64 s[0:1], s[18:19], 3
	s_mul_i32 s4, s14, s21
	s_add_u32 s0, s2, s0
	s_mul_hi_u32 s7, s14, s20
	s_addc_u32 s2, s6, s1
	s_ashr_i32 s1, s14, 31
	v_cndmask_b32_e32 v1, 0, v0, vcc_lo
	s_add_i32 s4, s7, s4
	s_mul_i32 s7, s1, s20
	s_mul_i32 s6, s14, s20
	s_add_i32 s7, s4, s7
	v_lshlrev_b32_e32 v1, 3, v1
	s_lshl_b64 s[6:7], s[6:7], 3
	s_mov_b32 s16, 0
	s_add_u32 s0, s6, s0
	s_addc_u32 s2, s7, s2
	s_ashr_i32 s4, s5, 31
	v_add_co_u32 v3, s0, s0, v1
	s_lshr_b32 s4, s4, 22
	v_mov_b32_e32 v1, 0
	v_add_co_ci_u32_e64 v4, null, s2, 0, s0
	v_mov_b32_e32 v2, 0
	s_add_i32 s4, s5, s4
	s_mul_i32 s2, s15, s30
	s_and_b32 s4, s4, 0xfffffc00
	s_mov_b32 s15, exec_lo
	v_cmpx_gt_i32_e64 s4, v0
	s_cbranch_execz .LBB101_12
; %bb.9:
	v_mad_u64_u32 v[7:8], null, s28, v0, 0
	s_lshl_b64 s[18:19], s[26:27], 3
	s_lshl_b64 s[6:7], s[2:3], 3
	s_add_u32 s0, s24, s18
	s_addc_u32 s17, s25, s19
	s_add_u32 s0, s0, s6
	s_addc_u32 s6, s17, s7
	s_delay_alu instid0(VALU_DEP_1) | instskip(SKIP_1) | instid1(VALU_DEP_2)
	v_mov_b32_e32 v1, v8
	v_mov_b32_e32 v9, v0
	v_mad_u64_u32 v[5:6], null, s29, v0, v[1:2]
	v_mov_b32_e32 v1, 0
	v_mov_b32_e32 v2, 0
	s_delay_alu instid0(VALU_DEP_3) | instskip(SKIP_1) | instid1(VALU_DEP_2)
	v_mov_b32_e32 v8, v5
	v_dual_mov_b32 v6, v4 :: v_dual_mov_b32 v5, v3
	v_lshlrev_b64 v[7:8], 3, v[7:8]
	s_delay_alu instid0(VALU_DEP_1) | instskip(NEXT) | instid1(VALU_DEP_2)
	v_add_co_u32 v7, vcc_lo, s0, v7
	v_add_co_ci_u32_e32 v8, vcc_lo, s6, v8, vcc_lo
	s_lshl_b64 s[6:7], s[28:29], 13
	.p2align	6
.LBB101_10:                             ; =>This Inner Loop Header: Depth=1
	global_load_b64 v[10:11], v[5:6], off
	global_load_b64 v[12:13], v[7:8], off
	v_add_nc_u32_e32 v9, 0x400, v9
	v_add_co_u32 v5, vcc_lo, 0x2000, v5
	v_add_co_ci_u32_e32 v6, vcc_lo, 0, v6, vcc_lo
	s_delay_alu instid0(VALU_DEP_3) | instskip(SKIP_1) | instid1(VALU_DEP_1)
	v_cmp_le_i32_e32 vcc_lo, s4, v9
	v_add_co_u32 v7, s0, v7, s6
	v_add_co_ci_u32_e64 v8, s0, s7, v8, s0
	s_or_b32 s16, vcc_lo, s16
	s_waitcnt vmcnt(0)
	v_fma_f64 v[1:2], v[10:11], v[12:13], v[1:2]
	s_and_not1_b32 exec_lo, exec_lo, s16
	s_cbranch_execnz .LBB101_10
; %bb.11:
	s_or_b32 exec_lo, exec_lo, s16
.LBB101_12:
	s_delay_alu instid0(SALU_CYCLE_1) | instskip(SKIP_2) | instid1(VALU_DEP_1)
	s_or_b32 exec_lo, exec_lo, s15
	v_or_b32_e32 v5, s4, v0
	s_mov_b32 s0, exec_lo
	v_cmpx_gt_i32_e64 s5, v5
	s_cbranch_execz .LBB101_14
; %bb.13:
	v_ashrrev_i32_e32 v8, 31, v5
	v_mul_lo_u32 v9, v5, s29
	v_mad_u64_u32 v[6:7], null, v5, s28, 0
	s_lshl_b64 s[2:3], s[2:3], 3
	s_delay_alu instid0(VALU_DEP_3) | instskip(SKIP_3) | instid1(SALU_CYCLE_1)
	v_mul_lo_u32 v5, v8, s28
	s_add_u32 s5, s24, s2
	s_addc_u32 s6, s25, s3
	s_lshl_b64 s[2:3], s[26:27], 3
	s_add_u32 s7, s5, s2
	s_addc_u32 s6, s6, s3
	s_ashr_i32 s5, s4, 31
	s_delay_alu instid0(VALU_DEP_1) | instskip(SKIP_1) | instid1(SALU_CYCLE_1)
	v_add3_u32 v7, v7, v9, v5
	s_lshl_b64 s[2:3], s[4:5], 3
	v_add_co_u32 v3, vcc_lo, v3, s2
	s_delay_alu instid0(VALU_DEP_2) | instskip(SKIP_1) | instid1(VALU_DEP_2)
	v_lshlrev_b64 v[5:6], 3, v[6:7]
	v_add_co_ci_u32_e32 v4, vcc_lo, s3, v4, vcc_lo
	v_add_co_u32 v5, vcc_lo, s7, v5
	s_delay_alu instid0(VALU_DEP_3)
	v_add_co_ci_u32_e32 v6, vcc_lo, s6, v6, vcc_lo
	global_load_b64 v[3:4], v[3:4], off
	global_load_b64 v[5:6], v[5:6], off
	s_waitcnt vmcnt(0)
	v_fma_f64 v[1:2], v[3:4], v[5:6], v[1:2]
.LBB101_14:
	s_or_b32 exec_lo, exec_lo, s0
	v_and_b32_e32 v11, 31, v0
	v_cmp_gt_u32_e32 vcc_lo, 32, v0
	s_delay_alu instid0(VALU_DEP_2)
	v_lshlrev_b32_e32 v5, 3, v11
	s_and_saveexec_b32 s0, vcc_lo
	s_cbranch_execz .LBB101_16
; %bb.15:
	v_mov_b32_e32 v3, 0
	s_delay_alu instid0(VALU_DEP_1)
	v_mov_b32_e32 v4, v3
	ds_store_b64 v5, v[3:4]
.LBB101_16:
	s_or_b32 exec_lo, exec_lo, s0
	v_mbcnt_lo_u32_b32 v10, -1, 0
	s_mov_b32 s2, exec_lo
	s_waitcnt lgkmcnt(0)
	s_barrier
	buffer_gl0_inv
	v_cmp_gt_u32_e64 s0, 16, v10
	s_delay_alu instid0(VALU_DEP_1) | instskip(SKIP_1) | instid1(VALU_DEP_2)
	v_cndmask_b32_e64 v3, 0, 1, s0
	v_cmp_gt_u32_e64 s0, 24, v10
	v_lshlrev_b32_e32 v3, 4, v3
	s_delay_alu instid0(VALU_DEP_1)
	v_add_lshl_u32 v6, v3, v10, 2
	ds_bpermute_b32 v3, v6, v1
	ds_bpermute_b32 v4, v6, v2
	s_waitcnt lgkmcnt(0)
	v_add_f64 v[1:2], v[1:2], v[3:4]
	v_cndmask_b32_e64 v3, 0, 1, s0
	v_cmp_gt_u32_e64 s0, 28, v10
	s_delay_alu instid0(VALU_DEP_2) | instskip(NEXT) | instid1(VALU_DEP_1)
	v_lshlrev_b32_e32 v3, 3, v3
	v_add_lshl_u32 v7, v3, v10, 2
	ds_bpermute_b32 v3, v7, v1
	ds_bpermute_b32 v4, v7, v2
	s_waitcnt lgkmcnt(0)
	v_add_f64 v[1:2], v[1:2], v[3:4]
	v_cndmask_b32_e64 v3, 0, 1, s0
	v_cmp_gt_u32_e64 s0, 30, v10
	s_delay_alu instid0(VALU_DEP_2) | instskip(NEXT) | instid1(VALU_DEP_1)
	v_lshlrev_b32_e32 v3, 2, v3
	v_add_lshl_u32 v8, v3, v10, 2
	ds_bpermute_b32 v3, v8, v1
	ds_bpermute_b32 v4, v8, v2
	s_waitcnt lgkmcnt(0)
	v_add_f64 v[1:2], v[1:2], v[3:4]
	v_cndmask_b32_e64 v3, 0, 1, s0
	v_cmp_ne_u32_e64 s0, 31, v10
	s_delay_alu instid0(VALU_DEP_2) | instskip(NEXT) | instid1(VALU_DEP_1)
	v_lshlrev_b32_e32 v3, 1, v3
	v_add_lshl_u32 v9, v3, v10, 2
	ds_bpermute_b32 v3, v9, v1
	ds_bpermute_b32 v4, v9, v2
	s_waitcnt lgkmcnt(0)
	v_add_f64 v[1:2], v[1:2], v[3:4]
	v_add_co_ci_u32_e64 v3, s0, 0, v10, s0
	s_delay_alu instid0(VALU_DEP_1)
	v_lshlrev_b32_e32 v10, 2, v3
	ds_bpermute_b32 v3, v10, v1
	ds_bpermute_b32 v4, v10, v2
	v_cmpx_eq_u32_e32 0, v11
	s_cbranch_execz .LBB101_18
; %bb.17:
	s_waitcnt lgkmcnt(0)
	v_add_f64 v[1:2], v[1:2], v[3:4]
	v_lshrrev_b32_e32 v3, 2, v0
	s_delay_alu instid0(VALU_DEP_1)
	v_and_b32_e32 v3, 0xf8, v3
	ds_store_b64 v3, v[1:2]
.LBB101_18:
	s_or_b32 exec_lo, exec_lo, s2
	s_waitcnt lgkmcnt(0)
	v_mov_b32_e32 v3, 0
	v_mov_b32_e32 v4, 0
	s_barrier
	buffer_gl0_inv
	s_and_saveexec_b32 s0, vcc_lo
	s_cbranch_execz .LBB101_20
; %bb.19:
	ds_load_b64 v[3:4], v5
.LBB101_20:
	s_or_b32 exec_lo, exec_lo, s0
	s_and_saveexec_b32 s0, vcc_lo
	s_cbranch_execz .LBB101_22
; %bb.21:
	s_waitcnt lgkmcnt(0)
	ds_bpermute_b32 v1, v6, v3
	ds_bpermute_b32 v2, v6, v4
	s_waitcnt lgkmcnt(0)
	v_add_f64 v[1:2], v[3:4], v[1:2]
	ds_bpermute_b32 v3, v7, v1
	ds_bpermute_b32 v4, v7, v2
	s_waitcnt lgkmcnt(0)
	v_add_f64 v[1:2], v[1:2], v[3:4]
	;; [unrolled: 4-line block ×5, first 2 shown]
.LBB101_22:
	s_or_b32 exec_lo, exec_lo, s0
	s_delay_alu instid0(SALU_CYCLE_1)
	s_mov_b32 s0, exec_lo
                                        ; implicit-def: $vgpr1_vgpr2
                                        ; implicit-def: $sgpr4_sgpr5
	v_cmpx_eq_u32_e32 0, v0
	s_cbranch_execz .LBB101_26
; %bb.23:
	v_cmp_eq_f64_e64 s2, s[12:13], 0
	s_waitcnt lgkmcnt(0)
	s_delay_alu instid0(VALU_DEP_3)
	v_mul_f64 v[1:2], v[3:4], s[34:35]
	s_mul_i32 s3, s14, s9
	s_mul_hi_u32 s4, s14, s8
	s_mul_i32 s1, s1, s8
	s_add_i32 s3, s4, s3
	s_mul_i32 s4, s14, s8
	s_add_i32 s5, s3, s1
	s_delay_alu instid0(VALU_DEP_2)
	s_and_b32 vcc_lo, exec_lo, s2
	s_cbranch_vccnz .LBB101_25
; %bb.24:
	s_lshl_b64 s[2:3], s[4:5], 3
	s_delay_alu instid0(SALU_CYCLE_1) | instskip(SKIP_3) | instid1(VALU_DEP_1)
	s_add_u32 s2, s10, s2
	s_addc_u32 s3, s11, s3
	s_load_b64 s[2:3], s[2:3], 0x0
	s_waitcnt lgkmcnt(0)
	v_fma_f64 v[1:2], s[2:3], s[12:13], v[1:2]
.LBB101_25:
	s_or_b32 s33, s33, exec_lo
.LBB101_26:
	s_or_b32 exec_lo, exec_lo, s0
.LBB101_27:
	s_and_saveexec_b32 s0, s33
	s_cbranch_execz .LBB101_29
; %bb.28:
	s_lshl_b64 s[0:1], s[4:5], 3
	v_mov_b32_e32 v0, 0
	s_add_u32 s0, s10, s0
	s_addc_u32 s1, s11, s1
	global_store_b64 v0, v[1:2], s[0:1]
.LBB101_29:
	s_nop 0
	s_sendmsg sendmsg(MSG_DEALLOC_VGPRS)
	s_endpgm
	.section	.rodata,"a",@progbits
	.p2align	6, 0x0
	.amdhsa_kernel _ZL32rocblas_gemvt_warp_reduce_kernelILb1ELi1024EldddEviiT3_lPKT2_lT1_lS3_lS4_lS0_lPT4_lS4_li
		.amdhsa_group_segment_fixed_size 256
		.amdhsa_private_segment_fixed_size 0
		.amdhsa_kernarg_size 140
		.amdhsa_user_sgpr_count 14
		.amdhsa_user_sgpr_dispatch_ptr 0
		.amdhsa_user_sgpr_queue_ptr 0
		.amdhsa_user_sgpr_kernarg_segment_ptr 1
		.amdhsa_user_sgpr_dispatch_id 0
		.amdhsa_user_sgpr_private_segment_size 0
		.amdhsa_wavefront_size32 1
		.amdhsa_uses_dynamic_stack 0
		.amdhsa_enable_private_segment 0
		.amdhsa_system_sgpr_workgroup_id_x 1
		.amdhsa_system_sgpr_workgroup_id_y 0
		.amdhsa_system_sgpr_workgroup_id_z 1
		.amdhsa_system_sgpr_workgroup_info 0
		.amdhsa_system_vgpr_workitem_id 0
		.amdhsa_next_free_vgpr 14
		.amdhsa_next_free_sgpr 36
		.amdhsa_reserve_vcc 1
		.amdhsa_float_round_mode_32 0
		.amdhsa_float_round_mode_16_64 0
		.amdhsa_float_denorm_mode_32 3
		.amdhsa_float_denorm_mode_16_64 3
		.amdhsa_dx10_clamp 1
		.amdhsa_ieee_mode 1
		.amdhsa_fp16_overflow 0
		.amdhsa_workgroup_processor_mode 1
		.amdhsa_memory_ordered 1
		.amdhsa_forward_progress 0
		.amdhsa_shared_vgpr_count 0
		.amdhsa_exception_fp_ieee_invalid_op 0
		.amdhsa_exception_fp_denorm_src 0
		.amdhsa_exception_fp_ieee_div_zero 0
		.amdhsa_exception_fp_ieee_overflow 0
		.amdhsa_exception_fp_ieee_underflow 0
		.amdhsa_exception_fp_ieee_inexact 0
		.amdhsa_exception_int_div_zero 0
	.end_amdhsa_kernel
	.section	.text._ZL32rocblas_gemvt_warp_reduce_kernelILb1ELi1024EldddEviiT3_lPKT2_lT1_lS3_lS4_lS0_lPT4_lS4_li,"axG",@progbits,_ZL32rocblas_gemvt_warp_reduce_kernelILb1ELi1024EldddEviiT3_lPKT2_lT1_lS3_lS4_lS0_lPT4_lS4_li,comdat
.Lfunc_end101:
	.size	_ZL32rocblas_gemvt_warp_reduce_kernelILb1ELi1024EldddEviiT3_lPKT2_lT1_lS3_lS4_lS0_lPT4_lS4_li, .Lfunc_end101-_ZL32rocblas_gemvt_warp_reduce_kernelILb1ELi1024EldddEviiT3_lPKT2_lT1_lS3_lS4_lS0_lPT4_lS4_li
                                        ; -- End function
	.section	.AMDGPU.csdata,"",@progbits
; Kernel info:
; codeLenInByte = 1636
; NumSgprs: 38
; NumVgprs: 14
; ScratchSize: 0
; MemoryBound: 0
; FloatMode: 240
; IeeeMode: 1
; LDSByteSize: 256 bytes/workgroup (compile time only)
; SGPRBlocks: 4
; VGPRBlocks: 1
; NumSGPRsForWavesPerEU: 38
; NumVGPRsForWavesPerEU: 14
; Occupancy: 16
; WaveLimiterHint : 1
; COMPUTE_PGM_RSRC2:SCRATCH_EN: 0
; COMPUTE_PGM_RSRC2:USER_SGPR: 14
; COMPUTE_PGM_RSRC2:TRAP_HANDLER: 0
; COMPUTE_PGM_RSRC2:TGID_X_EN: 1
; COMPUTE_PGM_RSRC2:TGID_Y_EN: 0
; COMPUTE_PGM_RSRC2:TGID_Z_EN: 1
; COMPUTE_PGM_RSRC2:TIDIG_COMP_CNT: 0
	.section	.text._ZL34rocblas_gemvn_sm_mn_batched_kernelILi32ELi24E19rocblas_complex_numIfEPKS1_S1_EviiT2_lPKT1_lilS7_lilS4_lPT3_lili,"axG",@progbits,_ZL34rocblas_gemvn_sm_mn_batched_kernelILi32ELi24E19rocblas_complex_numIfEPKS1_S1_EviiT2_lPKT1_lilS7_lilS4_lPT3_lili,comdat
	.globl	_ZL34rocblas_gemvn_sm_mn_batched_kernelILi32ELi24E19rocblas_complex_numIfEPKS1_S1_EviiT2_lPKT1_lilS7_lilS4_lPT3_lili ; -- Begin function _ZL34rocblas_gemvn_sm_mn_batched_kernelILi32ELi24E19rocblas_complex_numIfEPKS1_S1_EviiT2_lPKT1_lilS7_lilS4_lPT3_lili
	.p2align	8
	.type	_ZL34rocblas_gemvn_sm_mn_batched_kernelILi32ELi24E19rocblas_complex_numIfEPKS1_S1_EviiT2_lPKT1_lilS7_lilS4_lPT3_lili,@function
_ZL34rocblas_gemvn_sm_mn_batched_kernelILi32ELi24E19rocblas_complex_numIfEPKS1_S1_EviiT2_lPKT1_lilS7_lilS4_lPT3_lili: ; @_ZL34rocblas_gemvn_sm_mn_batched_kernelILi32ELi24E19rocblas_complex_numIfEPKS1_S1_EviiT2_lPKT1_lilS7_lilS4_lPT3_lili
; %bb.0:
	s_endpgm
	.section	.rodata,"a",@progbits
	.p2align	6, 0x0
	.amdhsa_kernel _ZL34rocblas_gemvn_sm_mn_batched_kernelILi32ELi24E19rocblas_complex_numIfEPKS1_S1_EviiT2_lPKT1_lilS7_lilS4_lPT3_lili
		.amdhsa_group_segment_fixed_size 0
		.amdhsa_private_segment_fixed_size 0
		.amdhsa_kernarg_size 140
		.amdhsa_user_sgpr_count 15
		.amdhsa_user_sgpr_dispatch_ptr 0
		.amdhsa_user_sgpr_queue_ptr 0
		.amdhsa_user_sgpr_kernarg_segment_ptr 1
		.amdhsa_user_sgpr_dispatch_id 0
		.amdhsa_user_sgpr_private_segment_size 0
		.amdhsa_wavefront_size32 1
		.amdhsa_uses_dynamic_stack 0
		.amdhsa_enable_private_segment 0
		.amdhsa_system_sgpr_workgroup_id_x 1
		.amdhsa_system_sgpr_workgroup_id_y 0
		.amdhsa_system_sgpr_workgroup_id_z 0
		.amdhsa_system_sgpr_workgroup_info 0
		.amdhsa_system_vgpr_workitem_id 0
		.amdhsa_next_free_vgpr 1
		.amdhsa_next_free_sgpr 1
		.amdhsa_reserve_vcc 0
		.amdhsa_float_round_mode_32 0
		.amdhsa_float_round_mode_16_64 0
		.amdhsa_float_denorm_mode_32 3
		.amdhsa_float_denorm_mode_16_64 3
		.amdhsa_dx10_clamp 1
		.amdhsa_ieee_mode 1
		.amdhsa_fp16_overflow 0
		.amdhsa_workgroup_processor_mode 1
		.amdhsa_memory_ordered 1
		.amdhsa_forward_progress 0
		.amdhsa_shared_vgpr_count 0
		.amdhsa_exception_fp_ieee_invalid_op 0
		.amdhsa_exception_fp_denorm_src 0
		.amdhsa_exception_fp_ieee_div_zero 0
		.amdhsa_exception_fp_ieee_overflow 0
		.amdhsa_exception_fp_ieee_underflow 0
		.amdhsa_exception_fp_ieee_inexact 0
		.amdhsa_exception_int_div_zero 0
	.end_amdhsa_kernel
	.section	.text._ZL34rocblas_gemvn_sm_mn_batched_kernelILi32ELi24E19rocblas_complex_numIfEPKS1_S1_EviiT2_lPKT1_lilS7_lilS4_lPT3_lili,"axG",@progbits,_ZL34rocblas_gemvn_sm_mn_batched_kernelILi32ELi24E19rocblas_complex_numIfEPKS1_S1_EviiT2_lPKT1_lilS7_lilS4_lPT3_lili,comdat
.Lfunc_end102:
	.size	_ZL34rocblas_gemvn_sm_mn_batched_kernelILi32ELi24E19rocblas_complex_numIfEPKS1_S1_EviiT2_lPKT1_lilS7_lilS4_lPT3_lili, .Lfunc_end102-_ZL34rocblas_gemvn_sm_mn_batched_kernelILi32ELi24E19rocblas_complex_numIfEPKS1_S1_EviiT2_lPKT1_lilS7_lilS4_lPT3_lili
                                        ; -- End function
	.section	.AMDGPU.csdata,"",@progbits
; Kernel info:
; codeLenInByte = 4
; NumSgprs: 0
; NumVgprs: 0
; ScratchSize: 0
; MemoryBound: 0
; FloatMode: 240
; IeeeMode: 1
; LDSByteSize: 0 bytes/workgroup (compile time only)
; SGPRBlocks: 0
; VGPRBlocks: 0
; NumSGPRsForWavesPerEU: 1
; NumVGPRsForWavesPerEU: 1
; Occupancy: 12
; WaveLimiterHint : 0
; COMPUTE_PGM_RSRC2:SCRATCH_EN: 0
; COMPUTE_PGM_RSRC2:USER_SGPR: 15
; COMPUTE_PGM_RSRC2:TRAP_HANDLER: 0
; COMPUTE_PGM_RSRC2:TGID_X_EN: 1
; COMPUTE_PGM_RSRC2:TGID_Y_EN: 0
; COMPUTE_PGM_RSRC2:TGID_Z_EN: 0
; COMPUTE_PGM_RSRC2:TIDIG_COMP_CNT: 0
	.section	.text._ZL34rocblas_gemvn_sm_mn_batched_kernelILi32ELi24E19rocblas_complex_numIfES1_S1_EviiT2_lPKT1_lilS5_lilS2_lPT3_lili,"axG",@progbits,_ZL34rocblas_gemvn_sm_mn_batched_kernelILi32ELi24E19rocblas_complex_numIfES1_S1_EviiT2_lPKT1_lilS5_lilS2_lPT3_lili,comdat
	.globl	_ZL34rocblas_gemvn_sm_mn_batched_kernelILi32ELi24E19rocblas_complex_numIfES1_S1_EviiT2_lPKT1_lilS5_lilS2_lPT3_lili ; -- Begin function _ZL34rocblas_gemvn_sm_mn_batched_kernelILi32ELi24E19rocblas_complex_numIfES1_S1_EviiT2_lPKT1_lilS5_lilS2_lPT3_lili
	.p2align	8
	.type	_ZL34rocblas_gemvn_sm_mn_batched_kernelILi32ELi24E19rocblas_complex_numIfES1_S1_EviiT2_lPKT1_lilS5_lilS2_lPT3_lili,@function
_ZL34rocblas_gemvn_sm_mn_batched_kernelILi32ELi24E19rocblas_complex_numIfES1_S1_EviiT2_lPKT1_lilS5_lilS2_lPT3_lili: ; @_ZL34rocblas_gemvn_sm_mn_batched_kernelILi32ELi24E19rocblas_complex_numIfES1_S1_EviiT2_lPKT1_lilS5_lilS2_lPT3_lili
; %bb.0:
	s_endpgm
	.section	.rodata,"a",@progbits
	.p2align	6, 0x0
	.amdhsa_kernel _ZL34rocblas_gemvn_sm_mn_batched_kernelILi32ELi24E19rocblas_complex_numIfES1_S1_EviiT2_lPKT1_lilS5_lilS2_lPT3_lili
		.amdhsa_group_segment_fixed_size 0
		.amdhsa_private_segment_fixed_size 0
		.amdhsa_kernarg_size 140
		.amdhsa_user_sgpr_count 15
		.amdhsa_user_sgpr_dispatch_ptr 0
		.amdhsa_user_sgpr_queue_ptr 0
		.amdhsa_user_sgpr_kernarg_segment_ptr 1
		.amdhsa_user_sgpr_dispatch_id 0
		.amdhsa_user_sgpr_private_segment_size 0
		.amdhsa_wavefront_size32 1
		.amdhsa_uses_dynamic_stack 0
		.amdhsa_enable_private_segment 0
		.amdhsa_system_sgpr_workgroup_id_x 1
		.amdhsa_system_sgpr_workgroup_id_y 0
		.amdhsa_system_sgpr_workgroup_id_z 0
		.amdhsa_system_sgpr_workgroup_info 0
		.amdhsa_system_vgpr_workitem_id 0
		.amdhsa_next_free_vgpr 1
		.amdhsa_next_free_sgpr 1
		.amdhsa_reserve_vcc 0
		.amdhsa_float_round_mode_32 0
		.amdhsa_float_round_mode_16_64 0
		.amdhsa_float_denorm_mode_32 3
		.amdhsa_float_denorm_mode_16_64 3
		.amdhsa_dx10_clamp 1
		.amdhsa_ieee_mode 1
		.amdhsa_fp16_overflow 0
		.amdhsa_workgroup_processor_mode 1
		.amdhsa_memory_ordered 1
		.amdhsa_forward_progress 0
		.amdhsa_shared_vgpr_count 0
		.amdhsa_exception_fp_ieee_invalid_op 0
		.amdhsa_exception_fp_denorm_src 0
		.amdhsa_exception_fp_ieee_div_zero 0
		.amdhsa_exception_fp_ieee_overflow 0
		.amdhsa_exception_fp_ieee_underflow 0
		.amdhsa_exception_fp_ieee_inexact 0
		.amdhsa_exception_int_div_zero 0
	.end_amdhsa_kernel
	.section	.text._ZL34rocblas_gemvn_sm_mn_batched_kernelILi32ELi24E19rocblas_complex_numIfES1_S1_EviiT2_lPKT1_lilS5_lilS2_lPT3_lili,"axG",@progbits,_ZL34rocblas_gemvn_sm_mn_batched_kernelILi32ELi24E19rocblas_complex_numIfES1_S1_EviiT2_lPKT1_lilS5_lilS2_lPT3_lili,comdat
.Lfunc_end103:
	.size	_ZL34rocblas_gemvn_sm_mn_batched_kernelILi32ELi24E19rocblas_complex_numIfES1_S1_EviiT2_lPKT1_lilS5_lilS2_lPT3_lili, .Lfunc_end103-_ZL34rocblas_gemvn_sm_mn_batched_kernelILi32ELi24E19rocblas_complex_numIfES1_S1_EviiT2_lPKT1_lilS5_lilS2_lPT3_lili
                                        ; -- End function
	.section	.AMDGPU.csdata,"",@progbits
; Kernel info:
; codeLenInByte = 4
; NumSgprs: 0
; NumVgprs: 0
; ScratchSize: 0
; MemoryBound: 0
; FloatMode: 240
; IeeeMode: 1
; LDSByteSize: 0 bytes/workgroup (compile time only)
; SGPRBlocks: 0
; VGPRBlocks: 0
; NumSGPRsForWavesPerEU: 1
; NumVGPRsForWavesPerEU: 1
; Occupancy: 12
; WaveLimiterHint : 0
; COMPUTE_PGM_RSRC2:SCRATCH_EN: 0
; COMPUTE_PGM_RSRC2:USER_SGPR: 15
; COMPUTE_PGM_RSRC2:TRAP_HANDLER: 0
; COMPUTE_PGM_RSRC2:TGID_X_EN: 1
; COMPUTE_PGM_RSRC2:TGID_Y_EN: 0
; COMPUTE_PGM_RSRC2:TGID_Z_EN: 0
; COMPUTE_PGM_RSRC2:TIDIG_COMP_CNT: 0
	.section	.text._ZL20rocblas_gemvn_kernelILi64ELi4Ei19rocblas_complex_numIfEPKS1_S1_EviiT3_lPKT2_lT1_lS7_lS8_lS4_lPT4_lS8_li,"axG",@progbits,_ZL20rocblas_gemvn_kernelILi64ELi4Ei19rocblas_complex_numIfEPKS1_S1_EviiT3_lPKT2_lT1_lS7_lS8_lS4_lPT4_lS8_li,comdat
	.globl	_ZL20rocblas_gemvn_kernelILi64ELi4Ei19rocblas_complex_numIfEPKS1_S1_EviiT3_lPKT2_lT1_lS7_lS8_lS4_lPT4_lS8_li ; -- Begin function _ZL20rocblas_gemvn_kernelILi64ELi4Ei19rocblas_complex_numIfEPKS1_S1_EviiT3_lPKT2_lT1_lS7_lS8_lS4_lPT4_lS8_li
	.p2align	8
	.type	_ZL20rocblas_gemvn_kernelILi64ELi4Ei19rocblas_complex_numIfEPKS1_S1_EviiT3_lPKT2_lT1_lS7_lS8_lS4_lPT4_lS8_li,@function
_ZL20rocblas_gemvn_kernelILi64ELi4Ei19rocblas_complex_numIfEPKS1_S1_EviiT3_lPKT2_lT1_lS7_lS8_lS4_lPT4_lS8_li: ; @_ZL20rocblas_gemvn_kernelILi64ELi4Ei19rocblas_complex_numIfEPKS1_S1_EviiT3_lPKT2_lT1_lS7_lS8_lS4_lPT4_lS8_li
; %bb.0:
	s_load_b64 s[2:3], s[0:1], 0x9c
	s_waitcnt lgkmcnt(0)
	s_lshr_b32 s4, s2, 16
	s_and_b32 s2, s2, 0xffff
	s_and_b32 s3, s3, 0xffff
	s_mul_i32 s2, s4, s2
	s_delay_alu instid0(SALU_CYCLE_1) | instskip(NEXT) | instid1(SALU_CYCLE_1)
	s_mul_i32 s2, s2, s3
	s_cmpk_lg_i32 s2, 0x100
	s_cbranch_scc1 .LBB104_47
; %bb.1:
	s_clause 0x1
	s_load_b256 s[4:11], s[0:1], 0x8
	s_load_b256 s[16:23], s[0:1], 0x50
	s_waitcnt lgkmcnt(0)
	s_mul_i32 s3, s15, s7
	s_mul_hi_u32 s7, s15, s6
	s_mul_i32 s2, s15, s6
	s_add_i32 s3, s7, s3
	s_delay_alu instid0(SALU_CYCLE_1) | instskip(NEXT) | instid1(SALU_CYCLE_1)
	s_lshl_b64 s[2:3], s[2:3], 3
	s_add_u32 s2, s4, s2
	s_addc_u32 s3, s5, s3
	s_mul_hi_u32 s4, s15, s20
	s_load_b64 s[24:25], s[2:3], 0x0
	s_mul_i32 s3, s15, s21
	s_mul_i32 s2, s15, s20
	s_add_i32 s3, s4, s3
	s_delay_alu instid0(SALU_CYCLE_1) | instskip(NEXT) | instid1(SALU_CYCLE_1)
	s_lshl_b64 s[2:3], s[2:3], 3
	s_add_u32 s2, s18, s2
	s_addc_u32 s3, s19, s3
	s_load_b64 s[12:13], s[2:3], 0x0
	s_waitcnt lgkmcnt(0)
	v_cmp_neq_f32_e64 s2, s24, 0
	v_cmp_neq_f32_e64 s3, s25, 0
	s_delay_alu instid0(VALU_DEP_1) | instskip(NEXT) | instid1(SALU_CYCLE_1)
	s_or_b32 s2, s2, s3
	s_and_b32 vcc_lo, exec_lo, s2
	s_mov_b32 s2, -1
	s_cbranch_vccnz .LBB104_3
; %bb.2:
	v_cmp_neq_f32_e64 s2, s12, 1.0
	v_cmp_neq_f32_e64 s3, s13, 0
	s_delay_alu instid0(VALU_DEP_1)
	s_or_b32 s2, s2, s3
.LBB104_3:
	s_delay_alu instid0(SALU_CYCLE_1)
	s_and_not1_b32 vcc_lo, exec_lo, s2
	s_cbranch_vccnz .LBB104_47
; %bb.4:
	s_clause 0x3
	s_load_b64 s[2:3], s[0:1], 0x80
	s_load_b64 s[4:5], s[0:1], 0x70
	s_load_b32 s26, s[0:1], 0x78
	s_load_b64 s[18:19], s[0:1], 0x0
	v_and_b32_e32 v1, 0x3ff, v0
	v_bfe_u32 v53, v0, 10, 10
	s_delay_alu instid0(VALU_DEP_1) | instskip(NEXT) | instid1(VALU_DEP_1)
	v_lshl_add_u32 v0, v53, 6, v1
	v_cmp_gt_u32_e32 vcc_lo, 0x100, v0
	s_waitcnt lgkmcnt(0)
	s_mul_i32 s3, s15, s3
	s_mul_hi_u32 s6, s15, s2
	s_mul_i32 s2, s15, s2
	s_add_i32 s3, s6, s3
	s_delay_alu instid0(SALU_CYCLE_1) | instskip(NEXT) | instid1(SALU_CYCLE_1)
	s_lshl_b64 s[2:3], s[2:3], 3
	s_add_u32 s6, s22, s2
	s_addc_u32 s7, s23, s3
	s_lshl_b64 s[2:3], s[4:5], 3
	s_delay_alu instid0(SALU_CYCLE_1) | instskip(SKIP_2) | instid1(SALU_CYCLE_1)
	s_add_u32 s21, s6, s2
	s_addc_u32 s22, s7, s3
	s_or_b32 s2, s24, s25
	s_bitset0_b32 s2, 31
	s_delay_alu instid0(SALU_CYCLE_1)
	s_cmp_lg_u32 s2, 0
	s_mov_b32 s2, -1
	s_cbranch_scc1 .LBB104_11
; %bb.5:
	s_and_saveexec_b32 s2, vcc_lo
	s_cbranch_execz .LBB104_10
; %bb.6:
	v_lshl_or_b32 v2, s14, 8, v0
	v_mov_b32_e32 v3, 0
	s_ashr_i32 s5, s18, 31
	s_mov_b32 s4, s18
	s_delay_alu instid0(VALU_DEP_1) | instid1(SALU_CYCLE_1)
	v_cmp_gt_i64_e32 vcc_lo, s[4:5], v[2:3]
	s_and_b32 exec_lo, exec_lo, vcc_lo
	s_cbranch_execz .LBB104_10
; %bb.7:
	v_mad_u64_u32 v[4:5], null, s26, v2, 0
	s_ashr_i32 s5, s26, 31
	v_cmp_neq_f32_e64 s3, s12, 0
	v_cmp_neq_f32_e64 s4, s13, 0
	s_delay_alu instid0(VALU_DEP_3) | instskip(NEXT) | instid1(VALU_DEP_2)
	v_mad_u64_u32 v[6:7], null, s5, v2, v[5:6]
	s_or_b32 s3, s3, s4
	s_delay_alu instid0(SALU_CYCLE_1) | instskip(NEXT) | instid1(VALU_DEP_1)
	s_and_not1_b32 vcc_lo, exec_lo, s3
	v_dual_mov_b32 v5, v6 :: v_dual_mov_b32 v6, v3
	s_delay_alu instid0(VALU_DEP_1)
	v_lshlrev_b64 v[4:5], 3, v[4:5]
	s_cbranch_vccnz .LBB104_9
; %bb.8:
	s_delay_alu instid0(VALU_DEP_1) | instskip(NEXT) | instid1(VALU_DEP_2)
	v_add_co_u32 v2, vcc_lo, s21, v4
	v_add_co_ci_u32_e32 v3, vcc_lo, s22, v5, vcc_lo
	global_load_b64 v[2:3], v[2:3], off
	s_waitcnt vmcnt(0)
	v_mul_f32_e32 v6, s12, v3
	s_delay_alu instid0(VALU_DEP_1) | instskip(NEXT) | instid1(VALU_DEP_1)
	v_dual_mul_f32 v7, s13, v3 :: v_dual_fmac_f32 v6, s13, v2
	v_fma_f32 v3, s12, v2, -v7
.LBB104_9:
	s_delay_alu instid0(VALU_DEP_1) | instskip(NEXT) | instid1(VALU_DEP_2)
	v_add_co_u32 v7, vcc_lo, s21, v4
	v_add_co_ci_u32_e32 v8, vcc_lo, s22, v5, vcc_lo
	s_delay_alu instid0(VALU_DEP_3)
	v_mov_b32_e32 v5, v3
	global_store_b64 v[7:8], v[5:6], off
.LBB104_10:
	s_or_b32 exec_lo, exec_lo, s2
	s_mov_b32 s2, 0
.LBB104_11:
	s_delay_alu instid0(SALU_CYCLE_1)
	s_and_not1_b32 vcc_lo, exec_lo, s2
	s_cbranch_vccnz .LBB104_47
; %bb.12:
	s_clause 0x3
	s_load_b128 s[4:7], s[0:1], 0x30
	s_load_b32 s23, s[0:1], 0x28
	s_load_b64 s[2:3], s[0:1], 0x40
	s_load_b32 s20, s[0:1], 0x48
	s_mul_i32 s1, s15, s17
	s_mul_hi_u32 s17, s15, s16
	s_mul_i32 s0, s15, s16
	v_dual_mov_b32 v2, 0 :: v_dual_lshlrev_b32 v55, 2, v53
	v_dual_mov_b32 v3, 0 :: v_dual_mov_b32 v4, 0
	v_dual_mov_b32 v5, 0 :: v_dual_mov_b32 v6, 0
	;; [unrolled: 1-line block ×3, first 2 shown]
	s_waitcnt lgkmcnt(0)
	s_mul_i32 s5, s15, s5
	s_mul_hi_u32 s16, s15, s4
	s_mul_i32 s4, s15, s4
	s_add_i32 s5, s16, s5
	s_delay_alu instid0(SALU_CYCLE_1) | instskip(NEXT) | instid1(SALU_CYCLE_1)
	s_lshl_b64 s[4:5], s[4:5], 3
	s_add_u32 s4, s8, s4
	s_addc_u32 s15, s9, s5
	s_lshl_b64 s[8:9], s[10:11], 3
	s_mov_b32 s10, exec_lo
	s_add_u32 s5, s4, s8
	s_addc_u32 s8, s15, s9
	s_add_i32 s1, s17, s1
	s_delay_alu instid0(SALU_CYCLE_1) | instskip(NEXT) | instid1(SALU_CYCLE_1)
	s_lshl_b64 s[0:1], s[0:1], 3
	s_add_u32 s4, s6, s0
	s_addc_u32 s7, s7, s1
	s_lshl_b64 s[0:1], s[2:3], 3
	s_delay_alu instid0(SALU_CYCLE_1)
	s_add_u32 s6, s4, s0
	s_addc_u32 s7, s7, s1
	s_ashr_i32 s0, s19, 31
	s_lshl_b32 s4, s14, 8
	s_lshr_b32 s0, s0, 28
	v_dual_mov_b32 v7, 0 :: v_dual_add_nc_u32 v54, s4, v1
	s_add_i32 s0, s19, s0
	s_delay_alu instid0(SALU_CYCLE_1) | instskip(NEXT) | instid1(SALU_CYCLE_1)
	s_and_b32 s9, s0, -16
	v_cmpx_gt_i32_e64 s9, v55
	s_cbranch_execz .LBB104_24
; %bb.13:
	v_mul_lo_u32 v3, s23, v55
	v_add_nc_u32_e32 v2, 64, v54
	v_cmp_gt_i32_e32 vcc_lo, s18, v54
	s_lshl_b32 s11, s23, 4
	s_lshl_b32 s15, s20, 4
	s_mov_b32 s14, 0
	s_mov_b32 s16, 0
	s_delay_alu instid0(VALU_DEP_3) | instskip(SKIP_1) | instid1(VALU_DEP_1)
	v_add3_u32 v56, v3, s23, v1
	v_mul_lo_u32 v3, v53, s23
	v_lshl_add_u32 v57, v3, 2, v1
	v_mov_b32_e32 v3, 0
	v_add_nc_u32_e32 v5, 0xc0, v54
	v_add_nc_u32_e32 v4, 0x80, v54
	v_cmp_gt_i32_e64 s0, s18, v2
	s_delay_alu instid0(VALU_DEP_4) | instskip(NEXT) | instid1(VALU_DEP_4)
	v_dual_mov_b32 v7, v3 :: v_dual_add_nc_u32 v2, 2, v55
	v_cmp_gt_i32_e64 s2, s18, v5
	v_mul_lo_u32 v5, v53, s20
	v_mov_b32_e32 v6, v3
	s_delay_alu instid0(VALU_DEP_4)
	v_mad_u64_u32 v[10:11], null, s23, v2, v[1:2]
	v_mov_b32_e32 v9, v3
	v_mul_lo_u32 v58, s20, v2
	v_mov_b32_e32 v8, v3
	v_dual_mov_b32 v5, v3 :: v_dual_lshlrev_b32 v60, 2, v5
	v_cmp_gt_i32_e64 s1, s18, v4
	v_add_nc_u32_e32 v4, 3, v55
	s_delay_alu instid0(VALU_DEP_1)
	v_mad_u64_u32 v[11:12], null, s23, v4, v[1:2]
	v_mad_u64_u32 v[12:13], null, s20, v55, s[20:21]
	v_mul_lo_u32 v59, s20, v4
	v_mov_b32_e32 v2, v3
	v_mov_b32_e32 v4, v3
	s_branch .LBB104_18
.LBB104_14:                             ;   in Loop: Header=BB104_18 Depth=1
	s_or_b32 exec_lo, exec_lo, s28
	s_waitcnt vmcnt(3)
	v_mul_f32_e32 v45, v26, v44
	v_mul_f32_e32 v44, v25, v44
	s_waitcnt vmcnt(1)
	v_dual_mul_f32 v46, v22, v42 :: v_dual_mul_f32 v47, v16, v40
	v_mul_f32_e32 v42, v21, v42
	v_fma_f32 v45, v25, v43, -v45
	v_fmac_f32_e32 v44, v26, v43
	s_waitcnt vmcnt(0)
	v_mul_f32_e32 v43, v14, v38
	v_mul_f32_e32 v38, v13, v38
	v_fma_f32 v46, v21, v41, -v46
	v_dual_add_f32 v4, v4, v45 :: v_dual_add_f32 v5, v5, v44
	s_delay_alu instid0(VALU_DEP_3) | instskip(SKIP_4) | instid1(VALU_DEP_3)
	v_fmac_f32_e32 v38, v14, v37
	v_fmac_f32_e32 v42, v22, v41
	v_mul_f32_e32 v40, v15, v40
	v_fma_f32 v41, v15, v39, -v47
	v_add_f32_e32 v4, v4, v46
	v_dual_add_f32 v5, v5, v42 :: v_dual_fmac_f32 v40, v16, v39
	v_fma_f32 v39, v13, v37, -v43
	s_delay_alu instid0(VALU_DEP_2) | instskip(NEXT) | instid1(VALU_DEP_1)
	v_dual_add_f32 v4, v4, v41 :: v_dual_add_f32 v5, v5, v40
	v_dual_add_f32 v4, v4, v39 :: v_dual_add_f32 v5, v5, v38
.LBB104_15:                             ;   in Loop: Header=BB104_18 Depth=1
	s_or_b32 exec_lo, exec_lo, s27
	s_waitcnt vmcnt(3)
	v_mul_f32_e32 v37, v26, v36
	v_mul_f32_e32 v36, v25, v36
	s_waitcnt vmcnt(1)
	v_dual_mul_f32 v38, v22, v34 :: v_dual_mul_f32 v39, v16, v32
	v_mul_f32_e32 v34, v21, v34
	v_mul_f32_e32 v32, v15, v32
	v_fma_f32 v37, v25, v35, -v37
	s_delay_alu instid0(VALU_DEP_4) | instskip(NEXT) | instid1(VALU_DEP_3)
	v_fma_f32 v38, v21, v33, -v38
	v_fmac_f32_e32 v32, v16, v31
	v_fmac_f32_e32 v34, v22, v33
	;; [unrolled: 1-line block ×3, first 2 shown]
	v_add_f32_e32 v6, v6, v37
	s_waitcnt vmcnt(0)
	v_mul_f32_e32 v35, v14, v30
	v_mul_f32_e32 v30, v13, v30
	v_fma_f32 v33, v15, v31, -v39
	v_dual_add_f32 v7, v7, v36 :: v_dual_add_f32 v6, v6, v38
	s_delay_alu instid0(VALU_DEP_4) | instskip(NEXT) | instid1(VALU_DEP_2)
	v_fma_f32 v31, v13, v29, -v35
	v_dual_fmac_f32 v30, v14, v29 :: v_dual_add_f32 v7, v7, v34
	s_delay_alu instid0(VALU_DEP_1) | instskip(NEXT) | instid1(VALU_DEP_1)
	v_dual_add_f32 v6, v6, v33 :: v_dual_add_f32 v7, v7, v32
	v_dual_add_f32 v6, v6, v31 :: v_dual_add_f32 v7, v7, v30
.LBB104_16:                             ;   in Loop: Header=BB104_18 Depth=1
	s_or_b32 exec_lo, exec_lo, s3
	s_waitcnt vmcnt(3)
	v_mul_f32_e32 v29, v26, v28
	v_mul_f32_e32 v28, v25, v28
	s_waitcnt vmcnt(1)
	v_mul_f32_e32 v31, v16, v20
	v_mul_f32_e32 v20, v15, v20
	v_fma_f32 v25, v25, v27, -v29
	v_fmac_f32_e32 v28, v26, v27
	s_waitcnt vmcnt(0)
	v_mul_f32_e32 v26, v14, v18
	v_mul_f32_e32 v18, v13, v18
	v_fma_f32 v15, v15, v19, -v31
	v_dual_add_f32 v8, v8, v25 :: v_dual_add_f32 v9, v9, v28
	v_fmac_f32_e32 v20, v16, v19
	s_delay_alu instid0(VALU_DEP_4) | instskip(SKIP_3) | instid1(VALU_DEP_2)
	v_fmac_f32_e32 v18, v14, v17
	v_mul_f32_e32 v30, v22, v24
	v_mul_f32_e32 v24, v21, v24
	v_fma_f32 v13, v13, v17, -v26
	v_fmac_f32_e32 v24, v22, v23
	s_delay_alu instid0(VALU_DEP_1) | instskip(NEXT) | instid1(VALU_DEP_1)
	v_add_f32_e32 v9, v9, v24
	v_add_f32_e32 v9, v9, v20
	s_delay_alu instid0(VALU_DEP_1) | instskip(SKIP_1) | instid1(VALU_DEP_1)
	v_add_f32_e32 v9, v9, v18
	v_fma_f32 v21, v21, v23, -v30
	v_add_f32_e32 v8, v8, v21
	s_delay_alu instid0(VALU_DEP_1) | instskip(NEXT) | instid1(VALU_DEP_1)
	v_add_f32_e32 v8, v8, v15
	v_add_f32_e32 v8, v8, v13
.LBB104_17:                             ;   in Loop: Header=BB104_18 Depth=1
	s_or_b32 exec_lo, exec_lo, s17
	v_add_nc_u32_e32 v55, 16, v55
	v_add_nc_u32_e32 v56, s11, v56
	;; [unrolled: 1-line block ×5, first 2 shown]
	v_cmp_le_i32_e64 s3, s9, v55
	s_add_i32 s16, s16, s15
	s_delay_alu instid0(VALU_DEP_1) | instskip(NEXT) | instid1(SALU_CYCLE_1)
	s_or_b32 s14, s3, s14
	s_and_not1_b32 exec_lo, exec_lo, s14
	s_cbranch_execz .LBB104_23
.LBB104_18:                             ; =>This Inner Loop Header: Depth=1
	s_and_saveexec_b32 s17, vcc_lo
	s_cbranch_execz .LBB104_17
; %bb.19:                               ;   in Loop: Header=BB104_18 Depth=1
	v_add_nc_u32_e32 v13, s16, v60
	v_add_nc_u32_e32 v15, s16, v12
	;; [unrolled: 1-line block ×5, first 2 shown]
	v_ashrrev_i32_e32 v14, 31, v13
	v_ashrrev_i32_e32 v16, 31, v15
	;; [unrolled: 1-line block ×4, first 2 shown]
	v_add_nc_u32_e32 v23, s4, v56
	v_lshlrev_b64 v[13:14], 3, v[13:14]
	v_lshlrev_b64 v[15:16], 3, v[15:16]
	;; [unrolled: 1-line block ×3, first 2 shown]
	v_ashrrev_i32_e32 v22, 31, v21
	v_lshlrev_b64 v[19:20], 3, v[19:20]
	v_ashrrev_i32_e32 v24, 31, v23
	v_add_co_u32 v13, s3, s6, v13
	s_delay_alu instid0(VALU_DEP_1)
	v_add_co_ci_u32_e64 v14, s3, s7, v14, s3
	v_add_co_u32 v15, s3, s6, v15
	v_add_nc_u32_e32 v25, s4, v10
	v_add_co_ci_u32_e64 v16, s3, s7, v16, s3
	v_add_co_u32 v17, s3, s6, v17
	v_lshlrev_b64 v[21:22], 3, v[21:22]
	v_add_nc_u32_e32 v27, s4, v11
	v_add_co_ci_u32_e64 v18, s3, s7, v18, s3
	v_add_co_u32 v19, s3, s6, v19
	v_lshlrev_b64 v[23:24], 3, v[23:24]
	v_ashrrev_i32_e32 v26, 31, v25
	v_add_co_ci_u32_e64 v20, s3, s7, v20, s3
	v_add_co_u32 v51, s3, s5, v21
	v_ashrrev_i32_e32 v28, 31, v27
	v_add_co_ci_u32_e64 v52, s3, s8, v22, s3
	v_lshlrev_b64 v[21:22], 3, v[25:26]
	v_add_co_u32 v49, s3, s5, v23
	s_delay_alu instid0(VALU_DEP_1) | instskip(SKIP_1) | instid1(VALU_DEP_4)
	v_add_co_ci_u32_e64 v50, s3, s8, v24, s3
	v_lshlrev_b64 v[23:24], 3, v[27:28]
	v_add_co_u32 v47, s3, s5, v21
	s_delay_alu instid0(VALU_DEP_1) | instskip(NEXT) | instid1(VALU_DEP_3)
	v_add_co_ci_u32_e64 v48, s3, s8, v22, s3
	v_add_co_u32 v45, s3, s5, v23
	s_delay_alu instid0(VALU_DEP_1)
	v_add_co_ci_u32_e64 v46, s3, s8, v24, s3
	s_clause 0x3
	global_load_b64 v[25:26], v[13:14], off
	global_load_b64 v[21:22], v[15:16], off
	global_load_b64 v[15:16], v[17:18], off
	global_load_b64 v[13:14], v[19:20], off
	s_clause 0x3
	global_load_b64 v[27:28], v[51:52], off
	global_load_b64 v[23:24], v[49:50], off
	;; [unrolled: 1-line block ×4, first 2 shown]
	s_and_saveexec_b32 s3, s0
	s_cbranch_execz .LBB104_16
; %bb.20:                               ;   in Loop: Header=BB104_18 Depth=1
	s_clause 0x3
	global_load_b64 v[35:36], v[51:52], off offset:512
	global_load_b64 v[33:34], v[49:50], off offset:512
	global_load_b64 v[31:32], v[47:48], off offset:512
	global_load_b64 v[29:30], v[45:46], off offset:512
	s_and_saveexec_b32 s27, s1
	s_cbranch_execz .LBB104_15
; %bb.21:                               ;   in Loop: Header=BB104_18 Depth=1
	s_clause 0x3
	global_load_b64 v[43:44], v[51:52], off offset:1024
	global_load_b64 v[41:42], v[49:50], off offset:1024
	global_load_b64 v[39:40], v[47:48], off offset:1024
	global_load_b64 v[37:38], v[45:46], off offset:1024
	;; [unrolled: 8-line block ×3, first 2 shown]
	s_waitcnt vmcnt(3)
	v_mul_f32_e32 v61, v26, v52
	v_mul_f32_e32 v52, v25, v52
	s_waitcnt vmcnt(1)
	v_dual_mul_f32 v62, v22, v50 :: v_dual_mul_f32 v63, v16, v48
	v_mul_f32_e32 v50, v21, v50
	v_mul_f32_e32 v48, v15, v48
	v_fma_f32 v61, v25, v51, -v61
	s_delay_alu instid0(VALU_DEP_4) | instskip(NEXT) | instid1(VALU_DEP_4)
	v_fma_f32 v62, v21, v49, -v62
	v_fmac_f32_e32 v50, v22, v49
	v_fmac_f32_e32 v52, v26, v51
	s_waitcnt vmcnt(0)
	v_mul_f32_e32 v51, v14, v46
	v_mul_f32_e32 v46, v13, v46
	v_fma_f32 v49, v15, v47, -v63
	s_delay_alu instid0(VALU_DEP_2) | instskip(SKIP_2) | instid1(VALU_DEP_3)
	v_dual_add_f32 v3, v3, v52 :: v_dual_fmac_f32 v46, v14, v45
	v_fmac_f32_e32 v48, v16, v47
	v_fma_f32 v47, v13, v45, -v51
	v_dual_add_f32 v3, v3, v50 :: v_dual_add_f32 v2, v2, v61
	s_delay_alu instid0(VALU_DEP_1) | instskip(NEXT) | instid1(VALU_DEP_1)
	v_dual_add_f32 v3, v3, v48 :: v_dual_add_f32 v2, v2, v62
	v_dual_add_f32 v3, v3, v46 :: v_dual_add_f32 v2, v2, v49
	s_delay_alu instid0(VALU_DEP_1)
	v_add_f32_e32 v2, v2, v47
	s_branch .LBB104_14
.LBB104_23:
	s_or_b32 exec_lo, exec_lo, s14
.LBB104_24:
	s_delay_alu instid0(SALU_CYCLE_1) | instskip(SKIP_1) | instid1(SALU_CYCLE_1)
	s_or_b32 exec_lo, exec_lo, s10
	s_sub_i32 s0, s19, s9
	s_cmp_lt_i32 s0, 1
	s_cbranch_scc1 .LBB104_42
; %bb.25:
	v_cmp_gt_i32_e32 vcc_lo, s19, v55
	v_dual_mov_b32 v10, 0 :: v_dual_mov_b32 v11, 0
	v_or_b32_e32 v18, 1, v55
	v_dual_mov_b32 v12, 0 :: v_dual_mov_b32 v13, 0
	v_dual_mov_b32 v14, 0 :: v_dual_mov_b32 v15, 0
	;; [unrolled: 1-line block ×3, first 2 shown]
	s_and_saveexec_b32 s1, vcc_lo
	s_cbranch_execz .LBB104_33
; %bb.26:
	v_mul_lo_u32 v10, v55, s20
	v_dual_mov_b32 v17, 0 :: v_dual_mov_b32 v16, 0
	v_dual_mov_b32 v15, 0 :: v_dual_mov_b32 v14, 0
	;; [unrolled: 1-line block ×3, first 2 shown]
	s_mov_b32 s2, exec_lo
	s_delay_alu instid0(VALU_DEP_4) | instskip(NEXT) | instid1(VALU_DEP_1)
	v_ashrrev_i32_e32 v11, 31, v10
	v_lshlrev_b64 v[10:11], 3, v[10:11]
	s_delay_alu instid0(VALU_DEP_1) | instskip(NEXT) | instid1(VALU_DEP_1)
	v_add_co_u32 v10, s0, s6, v10
	v_add_co_ci_u32_e64 v11, s0, s7, v11, s0
	global_load_b64 v[10:11], v[10:11], off
	v_cmpx_gt_i32_e64 s19, v18
	s_cbranch_execz .LBB104_32
; %bb.27:
	v_mul_lo_u32 v12, v18, s20
	v_or_b32_e32 v19, 2, v55
	v_dual_mov_b32 v17, 0 :: v_dual_mov_b32 v16, 0
	v_dual_mov_b32 v15, 0 :: v_dual_mov_b32 v14, 0
	s_mov_b32 s3, exec_lo
	s_delay_alu instid0(VALU_DEP_4) | instskip(NEXT) | instid1(VALU_DEP_1)
	v_ashrrev_i32_e32 v13, 31, v12
	v_lshlrev_b64 v[12:13], 3, v[12:13]
	s_delay_alu instid0(VALU_DEP_1) | instskip(NEXT) | instid1(VALU_DEP_1)
	v_add_co_u32 v12, s0, s6, v12
	v_add_co_ci_u32_e64 v13, s0, s7, v13, s0
	global_load_b64 v[12:13], v[12:13], off
	v_cmpx_gt_i32_e64 s19, v19
	s_cbranch_execz .LBB104_31
; %bb.28:
	v_mul_lo_u32 v14, v19, s20
	v_or_b32_e32 v19, 3, v55
	v_dual_mov_b32 v17, 0 :: v_dual_mov_b32 v16, 0
	s_mov_b32 s9, exec_lo
	s_delay_alu instid0(VALU_DEP_3) | instskip(NEXT) | instid1(VALU_DEP_1)
	v_ashrrev_i32_e32 v15, 31, v14
	v_lshlrev_b64 v[14:15], 3, v[14:15]
	s_delay_alu instid0(VALU_DEP_1) | instskip(NEXT) | instid1(VALU_DEP_1)
	v_add_co_u32 v14, s0, s6, v14
	v_add_co_ci_u32_e64 v15, s0, s7, v15, s0
	global_load_b64 v[14:15], v[14:15], off
	v_cmpx_gt_i32_e64 s19, v19
	s_cbranch_execz .LBB104_30
; %bb.29:
	v_mul_lo_u32 v16, v19, s20
	s_delay_alu instid0(VALU_DEP_1) | instskip(NEXT) | instid1(VALU_DEP_1)
	v_ashrrev_i32_e32 v17, 31, v16
	v_lshlrev_b64 v[16:17], 3, v[16:17]
	s_delay_alu instid0(VALU_DEP_1) | instskip(NEXT) | instid1(VALU_DEP_1)
	v_add_co_u32 v16, s0, s6, v16
	v_add_co_ci_u32_e64 v17, s0, s7, v17, s0
	global_load_b64 v[16:17], v[16:17], off
.LBB104_30:
	s_or_b32 exec_lo, exec_lo, s9
.LBB104_31:
	s_delay_alu instid0(SALU_CYCLE_1)
	s_or_b32 exec_lo, exec_lo, s3
.LBB104_32:
	s_delay_alu instid0(SALU_CYCLE_1)
	s_or_b32 exec_lo, exec_lo, s2
.LBB104_33:
	s_delay_alu instid0(SALU_CYCLE_1) | instskip(NEXT) | instid1(SALU_CYCLE_1)
	s_or_b32 exec_lo, exec_lo, s1
	s_mov_b32 s1, exec_lo
	v_cmpx_gt_i32_e64 s18, v54
	s_cbranch_execz .LBB104_41
; %bb.34:
	v_mul_lo_u32 v19, v55, s23
	v_mul_lo_u32 v20, v18, s23
	v_or_b32_e32 v21, 2, v55
	v_or_b32_e32 v22, 3, v55
	s_mov_b32 s0, exec_lo
	s_delay_alu instid0(VALU_DEP_2)
	v_mul_lo_u32 v23, v21, s23
	v_cndmask_b32_e32 v19, 0, v19, vcc_lo
	v_cmp_gt_i32_e32 vcc_lo, s19, v18
	v_mul_lo_u32 v24, v22, s23
	v_cndmask_b32_e32 v20, 0, v20, vcc_lo
	v_cmp_gt_i32_e32 vcc_lo, s19, v21
	v_add_nc_u32_e32 v18, v19, v54
	s_delay_alu instid0(VALU_DEP_3) | instskip(NEXT) | instid1(VALU_DEP_2)
	v_dual_cndmask_b32 v23, 0, v23 :: v_dual_add_nc_u32 v20, v20, v54
	v_ashrrev_i32_e32 v19, 31, v18
	v_cmp_gt_i32_e32 vcc_lo, s19, v22
	s_delay_alu instid0(VALU_DEP_3) | instskip(NEXT) | instid1(VALU_DEP_3)
	v_ashrrev_i32_e32 v21, 31, v20
	v_lshlrev_b64 v[18:19], 3, v[18:19]
	v_cndmask_b32_e32 v24, 0, v24, vcc_lo
	s_delay_alu instid0(VALU_DEP_3) | instskip(NEXT) | instid1(VALU_DEP_2)
	v_lshlrev_b64 v[20:21], 3, v[20:21]
	v_add_nc_u32_e32 v26, v24, v54
	s_delay_alu instid0(VALU_DEP_4) | instskip(SKIP_1) | instid1(VALU_DEP_4)
	v_add_co_u32 v24, vcc_lo, s5, v18
	v_add_co_ci_u32_e32 v25, vcc_lo, s8, v19, vcc_lo
	v_add_co_u32 v20, vcc_lo, s5, v20
	v_add_co_ci_u32_e32 v21, vcc_lo, s8, v21, vcc_lo
	s_clause 0x1
	global_load_b64 v[28:29], v[24:25], off
	global_load_b64 v[30:31], v[20:21], off
	s_waitcnt vmcnt(0)
	v_dual_mul_f32 v35, v13, v31 :: v_dual_add_nc_u32 v22, v23, v54
	v_dual_mul_f32 v31, v12, v31 :: v_dual_mul_f32 v34, v11, v29
	v_mul_f32_e32 v29, v10, v29
	s_delay_alu instid0(VALU_DEP_3) | instskip(NEXT) | instid1(VALU_DEP_3)
	v_ashrrev_i32_e32 v23, 31, v22
	v_fmac_f32_e32 v31, v13, v30
	s_delay_alu instid0(VALU_DEP_4) | instskip(NEXT) | instid1(VALU_DEP_4)
	v_fma_f32 v34, v10, v28, -v34
	v_fmac_f32_e32 v29, v11, v28
	v_ashrrev_i32_e32 v27, 31, v26
	v_lshlrev_b64 v[18:19], 3, v[22:23]
	v_fma_f32 v28, v12, v30, -v35
	s_delay_alu instid0(VALU_DEP_4) | instskip(NEXT) | instid1(VALU_DEP_4)
	v_dual_add_f32 v8, v8, v34 :: v_dual_add_f32 v29, v9, v29
	v_lshlrev_b64 v[26:27], 3, v[26:27]
	s_delay_alu instid0(VALU_DEP_4) | instskip(SKIP_1) | instid1(VALU_DEP_3)
	v_add_co_u32 v22, vcc_lo, s5, v18
	v_add_co_ci_u32_e32 v23, vcc_lo, s8, v19, vcc_lo
	v_add_co_u32 v18, vcc_lo, s5, v26
	s_delay_alu instid0(VALU_DEP_4)
	v_add_co_ci_u32_e32 v19, vcc_lo, s8, v27, vcc_lo
	s_clause 0x1
	global_load_b64 v[26:27], v[22:23], off
	global_load_b64 v[32:33], v[18:19], off
	s_waitcnt vmcnt(0)
	v_dual_mul_f32 v30, v15, v27 :: v_dual_mul_f32 v35, v17, v33
	v_mul_f32_e32 v27, v14, v27
	v_mul_f32_e32 v9, v16, v33
	s_delay_alu instid0(VALU_DEP_3) | instskip(NEXT) | instid1(VALU_DEP_3)
	v_fma_f32 v30, v14, v26, -v30
	v_dual_fmac_f32 v27, v15, v26 :: v_dual_add_f32 v26, v8, v28
	v_dual_add_f32 v28, v29, v31 :: v_dual_add_nc_u32 v29, 64, v54
	v_fma_f32 v8, v16, v32, -v35
	s_delay_alu instid0(VALU_DEP_3) | instskip(NEXT) | instid1(VALU_DEP_3)
	v_dual_fmac_f32 v9, v17, v32 :: v_dual_add_f32 v26, v26, v30
	v_add_f32_e32 v27, v28, v27
	s_delay_alu instid0(VALU_DEP_4)
	v_cmpx_gt_i32_e64 s18, v29
	s_cbranch_execz .LBB104_40
; %bb.35:
	s_clause 0x3
	global_load_b64 v[28:29], v[24:25], off offset:512
	global_load_b64 v[30:31], v[20:21], off offset:512
	global_load_b64 v[32:33], v[22:23], off offset:512
	global_load_b64 v[34:35], v[18:19], off offset:512
	s_mov_b32 s2, exec_lo
	s_waitcnt vmcnt(2)
	v_dual_mul_f32 v36, v11, v29 :: v_dual_mul_f32 v37, v13, v31
	v_mul_f32_e32 v29, v10, v29
	s_waitcnt vmcnt(1)
	v_dual_mul_f32 v31, v12, v31 :: v_dual_mul_f32 v38, v15, v33
	s_delay_alu instid0(VALU_DEP_3) | instskip(SKIP_1) | instid1(VALU_DEP_3)
	v_fma_f32 v36, v10, v28, -v36
	v_fma_f32 v37, v12, v30, -v37
	v_fmac_f32_e32 v31, v13, v30
	s_delay_alu instid0(VALU_DEP_4) | instskip(NEXT) | instid1(VALU_DEP_4)
	v_fma_f32 v30, v14, v32, -v38
	v_add_f32_e32 v6, v6, v36
	v_mul_f32_e32 v33, v14, v33
	s_waitcnt vmcnt(0)
	v_dual_fmac_f32 v29, v11, v28 :: v_dual_mul_f32 v28, v17, v35
	s_delay_alu instid0(VALU_DEP_2) | instskip(NEXT) | instid1(VALU_DEP_2)
	v_dual_fmac_f32 v33, v15, v32 :: v_dual_add_f32 v32, v6, v37
	v_add_f32_e32 v29, v7, v29
	v_mul_f32_e32 v7, v16, v35
	s_delay_alu instid0(VALU_DEP_4) | instskip(NEXT) | instid1(VALU_DEP_3)
	v_fma_f32 v6, v16, v34, -v28
	v_dual_add_f32 v28, v32, v30 :: v_dual_add_f32 v29, v29, v31
	v_add_nc_u32_e32 v31, 0x80, v54
	s_delay_alu instid0(VALU_DEP_4) | instskip(NEXT) | instid1(VALU_DEP_3)
	v_fmac_f32_e32 v7, v17, v34
	v_add_f32_e32 v29, v29, v33
	s_delay_alu instid0(VALU_DEP_3)
	v_cmpx_gt_i32_e64 s18, v31
	s_cbranch_execz .LBB104_39
; %bb.36:
	s_clause 0x3
	global_load_b64 v[30:31], v[24:25], off offset:1024
	global_load_b64 v[32:33], v[20:21], off offset:1024
	;; [unrolled: 1-line block ×4, first 2 shown]
	s_mov_b32 s3, exec_lo
	s_waitcnt vmcnt(2)
	v_dual_mul_f32 v38, v11, v31 :: v_dual_mul_f32 v39, v13, v33
	v_mul_f32_e32 v31, v10, v31
	s_waitcnt vmcnt(1)
	v_dual_mul_f32 v33, v12, v33 :: v_dual_mul_f32 v40, v15, v35
	s_delay_alu instid0(VALU_DEP_3) | instskip(SKIP_2) | instid1(VALU_DEP_4)
	v_fma_f32 v38, v10, v30, -v38
	v_mul_f32_e32 v35, v14, v35
	v_fma_f32 v39, v12, v32, -v39
	v_fmac_f32_e32 v33, v13, v32
	v_fma_f32 v32, v14, v34, -v40
	v_add_f32_e32 v4, v4, v38
	s_waitcnt vmcnt(0)
	v_dual_fmac_f32 v31, v11, v30 :: v_dual_mul_f32 v30, v17, v37
	s_delay_alu instid0(VALU_DEP_2) | instskip(NEXT) | instid1(VALU_DEP_2)
	v_dual_fmac_f32 v35, v15, v34 :: v_dual_add_f32 v34, v4, v39
	v_add_f32_e32 v31, v5, v31
	v_mul_f32_e32 v5, v16, v37
	s_delay_alu instid0(VALU_DEP_4) | instskip(NEXT) | instid1(VALU_DEP_3)
	v_fma_f32 v4, v16, v36, -v30
	v_dual_add_f32 v30, v34, v32 :: v_dual_add_f32 v31, v31, v33
	v_add_nc_u32_e32 v33, 0xc0, v54
	s_delay_alu instid0(VALU_DEP_4) | instskip(NEXT) | instid1(VALU_DEP_3)
	v_fmac_f32_e32 v5, v17, v36
	v_add_f32_e32 v31, v31, v35
	s_delay_alu instid0(VALU_DEP_3)
	v_cmpx_gt_i32_e64 s18, v33
	s_cbranch_execz .LBB104_38
; %bb.37:
	s_clause 0x3
	global_load_b64 v[24:25], v[24:25], off offset:1536
	global_load_b64 v[20:21], v[20:21], off offset:1536
	global_load_b64 v[22:23], v[22:23], off offset:1536
	global_load_b64 v[18:19], v[18:19], off offset:1536
	s_waitcnt vmcnt(3)
	v_mul_f32_e32 v32, v11, v25
	s_waitcnt vmcnt(1)
	v_dual_mul_f32 v25, v10, v25 :: v_dual_mul_f32 v34, v15, v23
	v_mul_f32_e32 v23, v14, v23
	s_delay_alu instid0(VALU_DEP_3) | instskip(SKIP_1) | instid1(VALU_DEP_4)
	v_fma_f32 v10, v10, v24, -v32
	v_mul_f32_e32 v33, v13, v21
	v_fmac_f32_e32 v25, v11, v24
	s_delay_alu instid0(VALU_DEP_4) | instskip(NEXT) | instid1(VALU_DEP_4)
	v_fmac_f32_e32 v23, v15, v22
	v_add_f32_e32 v2, v2, v10
	s_waitcnt vmcnt(0)
	v_mul_f32_e32 v10, v16, v19
	v_mul_f32_e32 v21, v12, v21
	v_fma_f32 v12, v12, v20, -v33
	s_delay_alu instid0(VALU_DEP_3) | instskip(NEXT) | instid1(VALU_DEP_2)
	v_dual_add_f32 v3, v3, v25 :: v_dual_fmac_f32 v10, v17, v18
	v_add_f32_e32 v2, v2, v12
	s_delay_alu instid0(VALU_DEP_4) | instskip(SKIP_1) | instid1(VALU_DEP_1)
	v_fmac_f32_e32 v21, v13, v20
	v_fma_f32 v13, v14, v22, -v34
	v_dual_mul_f32 v11, v17, v19 :: v_dual_add_f32 v2, v2, v13
	s_delay_alu instid0(VALU_DEP_1) | instskip(NEXT) | instid1(VALU_DEP_1)
	v_fma_f32 v11, v16, v18, -v11
	v_dual_add_f32 v2, v2, v11 :: v_dual_add_f32 v3, v3, v21
	s_delay_alu instid0(VALU_DEP_1) | instskip(NEXT) | instid1(VALU_DEP_1)
	v_add_f32_e32 v3, v3, v23
	v_add_f32_e32 v3, v3, v10
.LBB104_38:
	s_or_b32 exec_lo, exec_lo, s3
	s_delay_alu instid0(VALU_DEP_2)
	v_dual_add_f32 v4, v30, v4 :: v_dual_add_f32 v5, v31, v5
.LBB104_39:
	s_or_b32 exec_lo, exec_lo, s2
	s_delay_alu instid0(VALU_DEP_2)
	v_dual_add_f32 v6, v28, v6 :: v_dual_add_f32 v7, v29, v7
.LBB104_40:
	s_or_b32 exec_lo, exec_lo, s0
	s_delay_alu instid0(VALU_DEP_2)
	v_dual_add_f32 v8, v26, v8 :: v_dual_add_f32 v9, v27, v9
.LBB104_41:
	s_or_b32 exec_lo, exec_lo, s1
.LBB104_42:
	s_waitcnt vmcnt(0)
	v_lshlrev_b32_e32 v10, 8, v53
	s_mov_b32 s0, exec_lo
	s_delay_alu instid0(VALU_DEP_1)
	v_add_lshl_u32 v1, v10, v1, 3
	ds_store_2addr_stride64_b64 v1, v[8:9], v[6:7] offset1:1
	ds_store_2addr_stride64_b64 v1, v[4:5], v[2:3] offset0:2 offset1:3
	s_waitcnt lgkmcnt(0)
	s_waitcnt_vscnt null, 0x0
	s_barrier
	buffer_gl0_inv
	v_cmpx_gt_u32_e32 0x100, v0
	s_cbranch_execz .LBB104_47
; %bb.43:
	v_lshlrev_b32_e32 v9, 3, v0
	v_or_b32_e32 v0, s4, v0
	ds_load_2addr_stride64_b64 v[1:4], v9 offset1:4
	ds_load_2addr_stride64_b64 v[5:8], v9 offset0:8 offset1:12
	v_cmp_gt_i32_e32 vcc_lo, s18, v0
	s_waitcnt lgkmcnt(1)
	v_dual_add_f32 v1, v1, v3 :: v_dual_add_f32 v2, v2, v4
	s_waitcnt lgkmcnt(0)
	s_delay_alu instid0(VALU_DEP_1) | instskip(NEXT) | instid1(VALU_DEP_1)
	v_add_f32_e32 v1, v1, v5
	v_dual_add_f32 v3, v2, v6 :: v_dual_add_f32 v2, v1, v7
	s_delay_alu instid0(VALU_DEP_1)
	v_add_f32_e32 v3, v3, v8
	ds_store_b64 v9, v[2:3]
	s_and_b32 exec_lo, exec_lo, vcc_lo
	s_cbranch_execz .LBB104_47
; %bb.44:
	v_mul_lo_u32 v4, v0, s26
	v_mul_f32_e32 v1, s24, v3
	v_mul_f32_e32 v0, s25, v3
	v_cmp_neq_f32_e64 s0, s12, 0
	v_cmp_neq_f32_e64 s1, s13, 0
	s_delay_alu instid0(VALU_DEP_4) | instskip(NEXT) | instid1(VALU_DEP_4)
	v_fmac_f32_e32 v1, s25, v2
	v_fma_f32 v0, v2, s24, -v0
	v_ashrrev_i32_e32 v5, 31, v4
	s_delay_alu instid0(VALU_DEP_4) | instskip(NEXT) | instid1(SALU_CYCLE_1)
	s_or_b32 s0, s0, s1
	s_and_not1_b32 vcc_lo, exec_lo, s0
	s_delay_alu instid0(VALU_DEP_1)
	v_lshlrev_b64 v[3:4], 3, v[4:5]
	s_cbranch_vccnz .LBB104_46
; %bb.45:
	s_delay_alu instid0(VALU_DEP_1) | instskip(NEXT) | instid1(VALU_DEP_2)
	v_add_co_u32 v5, vcc_lo, s21, v3
	v_add_co_ci_u32_e32 v6, vcc_lo, s22, v4, vcc_lo
	global_load_b64 v[5:6], v[5:6], off
	s_waitcnt vmcnt(0)
	v_mul_f32_e32 v2, s13, v6
	v_mul_f32_e32 v6, s12, v6
	s_delay_alu instid0(VALU_DEP_2) | instskip(NEXT) | instid1(VALU_DEP_2)
	v_fma_f32 v2, s12, v5, -v2
	v_fmac_f32_e32 v6, s13, v5
	s_delay_alu instid0(VALU_DEP_2) | instskip(NEXT) | instid1(VALU_DEP_2)
	v_add_f32_e32 v0, v0, v2
	v_add_f32_e32 v1, v1, v6
.LBB104_46:
	s_delay_alu instid0(VALU_DEP_1) | instskip(NEXT) | instid1(VALU_DEP_2)
	v_add_co_u32 v2, vcc_lo, s21, v3
	v_add_co_ci_u32_e32 v3, vcc_lo, s22, v4, vcc_lo
	global_store_b64 v[2:3], v[0:1], off
.LBB104_47:
	s_nop 0
	s_sendmsg sendmsg(MSG_DEALLOC_VGPRS)
	s_endpgm
	.section	.rodata,"a",@progbits
	.p2align	6, 0x0
	.amdhsa_kernel _ZL20rocblas_gemvn_kernelILi64ELi4Ei19rocblas_complex_numIfEPKS1_S1_EviiT3_lPKT2_lT1_lS7_lS8_lS4_lPT4_lS8_li
		.amdhsa_group_segment_fixed_size 8192
		.amdhsa_private_segment_fixed_size 0
		.amdhsa_kernarg_size 400
		.amdhsa_user_sgpr_count 14
		.amdhsa_user_sgpr_dispatch_ptr 0
		.amdhsa_user_sgpr_queue_ptr 0
		.amdhsa_user_sgpr_kernarg_segment_ptr 1
		.amdhsa_user_sgpr_dispatch_id 0
		.amdhsa_user_sgpr_private_segment_size 0
		.amdhsa_wavefront_size32 1
		.amdhsa_uses_dynamic_stack 0
		.amdhsa_enable_private_segment 0
		.amdhsa_system_sgpr_workgroup_id_x 1
		.amdhsa_system_sgpr_workgroup_id_y 0
		.amdhsa_system_sgpr_workgroup_id_z 1
		.amdhsa_system_sgpr_workgroup_info 0
		.amdhsa_system_vgpr_workitem_id 1
		.amdhsa_next_free_vgpr 64
		.amdhsa_next_free_sgpr 29
		.amdhsa_reserve_vcc 1
		.amdhsa_float_round_mode_32 0
		.amdhsa_float_round_mode_16_64 0
		.amdhsa_float_denorm_mode_32 3
		.amdhsa_float_denorm_mode_16_64 3
		.amdhsa_dx10_clamp 1
		.amdhsa_ieee_mode 1
		.amdhsa_fp16_overflow 0
		.amdhsa_workgroup_processor_mode 1
		.amdhsa_memory_ordered 1
		.amdhsa_forward_progress 0
		.amdhsa_shared_vgpr_count 0
		.amdhsa_exception_fp_ieee_invalid_op 0
		.amdhsa_exception_fp_denorm_src 0
		.amdhsa_exception_fp_ieee_div_zero 0
		.amdhsa_exception_fp_ieee_overflow 0
		.amdhsa_exception_fp_ieee_underflow 0
		.amdhsa_exception_fp_ieee_inexact 0
		.amdhsa_exception_int_div_zero 0
	.end_amdhsa_kernel
	.section	.text._ZL20rocblas_gemvn_kernelILi64ELi4Ei19rocblas_complex_numIfEPKS1_S1_EviiT3_lPKT2_lT1_lS7_lS8_lS4_lPT4_lS8_li,"axG",@progbits,_ZL20rocblas_gemvn_kernelILi64ELi4Ei19rocblas_complex_numIfEPKS1_S1_EviiT3_lPKT2_lT1_lS7_lS8_lS4_lPT4_lS8_li,comdat
.Lfunc_end104:
	.size	_ZL20rocblas_gemvn_kernelILi64ELi4Ei19rocblas_complex_numIfEPKS1_S1_EviiT3_lPKT2_lT1_lS7_lS8_lS4_lPT4_lS8_li, .Lfunc_end104-_ZL20rocblas_gemvn_kernelILi64ELi4Ei19rocblas_complex_numIfEPKS1_S1_EviiT3_lPKT2_lT1_lS7_lS8_lS4_lPT4_lS8_li
                                        ; -- End function
	.section	.AMDGPU.csdata,"",@progbits
; Kernel info:
; codeLenInByte = 3924
; NumSgprs: 31
; NumVgprs: 64
; ScratchSize: 0
; MemoryBound: 0
; FloatMode: 240
; IeeeMode: 1
; LDSByteSize: 8192 bytes/workgroup (compile time only)
; SGPRBlocks: 3
; VGPRBlocks: 7
; NumSGPRsForWavesPerEU: 31
; NumVGPRsForWavesPerEU: 64
; Occupancy: 16
; WaveLimiterHint : 1
; COMPUTE_PGM_RSRC2:SCRATCH_EN: 0
; COMPUTE_PGM_RSRC2:USER_SGPR: 14
; COMPUTE_PGM_RSRC2:TRAP_HANDLER: 0
; COMPUTE_PGM_RSRC2:TGID_X_EN: 1
; COMPUTE_PGM_RSRC2:TGID_Y_EN: 0
; COMPUTE_PGM_RSRC2:TGID_Z_EN: 1
; COMPUTE_PGM_RSRC2:TIDIG_COMP_CNT: 1
	.section	.text._ZL20rocblas_gemvn_kernelILi64ELi4El19rocblas_complex_numIfEPKS1_S1_EviiT3_lPKT2_lT1_lS7_lS8_lS4_lPT4_lS8_li,"axG",@progbits,_ZL20rocblas_gemvn_kernelILi64ELi4El19rocblas_complex_numIfEPKS1_S1_EviiT3_lPKT2_lT1_lS7_lS8_lS4_lPT4_lS8_li,comdat
	.globl	_ZL20rocblas_gemvn_kernelILi64ELi4El19rocblas_complex_numIfEPKS1_S1_EviiT3_lPKT2_lT1_lS7_lS8_lS4_lPT4_lS8_li ; -- Begin function _ZL20rocblas_gemvn_kernelILi64ELi4El19rocblas_complex_numIfEPKS1_S1_EviiT3_lPKT2_lT1_lS7_lS8_lS4_lPT4_lS8_li
	.p2align	8
	.type	_ZL20rocblas_gemvn_kernelILi64ELi4El19rocblas_complex_numIfEPKS1_S1_EviiT3_lPKT2_lT1_lS7_lS8_lS4_lPT4_lS8_li,@function
_ZL20rocblas_gemvn_kernelILi64ELi4El19rocblas_complex_numIfEPKS1_S1_EviiT3_lPKT2_lT1_lS7_lS8_lS4_lPT4_lS8_li: ; @_ZL20rocblas_gemvn_kernelILi64ELi4El19rocblas_complex_numIfEPKS1_S1_EviiT3_lPKT2_lT1_lS7_lS8_lS4_lPT4_lS8_li
; %bb.0:
	s_load_b64 s[2:3], s[0:1], 0x9c
	s_waitcnt lgkmcnt(0)
	s_lshr_b32 s4, s2, 16
	s_and_b32 s2, s2, 0xffff
	s_and_b32 s3, s3, 0xffff
	s_mul_i32 s2, s4, s2
	s_delay_alu instid0(SALU_CYCLE_1) | instskip(NEXT) | instid1(SALU_CYCLE_1)
	s_mul_i32 s2, s2, s3
	s_cmpk_lg_i32 s2, 0x100
	s_cbranch_scc1 .LBB105_47
; %bb.1:
	s_clause 0x1
	s_load_b512 s[36:51], s[0:1], 0x8
	s_load_b512 s[16:31], s[0:1], 0x48
	s_waitcnt lgkmcnt(0)
	s_mul_i32 s3, s15, s39
	s_mul_hi_u32 s4, s15, s38
	s_mul_i32 s2, s15, s38
	s_add_i32 s3, s4, s3
	s_mul_hi_u32 s4, s15, s22
	s_lshl_b64 s[2:3], s[2:3], 3
	s_delay_alu instid0(SALU_CYCLE_1)
	s_add_u32 s2, s36, s2
	s_addc_u32 s3, s37, s3
	s_load_b64 s[8:9], s[2:3], 0x0
	s_mul_i32 s3, s15, s23
	s_mul_i32 s2, s15, s22
	s_add_i32 s3, s4, s3
	s_delay_alu instid0(SALU_CYCLE_1) | instskip(NEXT) | instid1(SALU_CYCLE_1)
	s_lshl_b64 s[2:3], s[2:3], 3
	s_add_u32 s2, s20, s2
	s_addc_u32 s3, s21, s3
	s_load_b64 s[6:7], s[2:3], 0x0
	s_waitcnt lgkmcnt(0)
	v_cmp_neq_f32_e64 s2, s8, 0
	v_cmp_neq_f32_e64 s3, s9, 0
	s_delay_alu instid0(VALU_DEP_1) | instskip(NEXT) | instid1(SALU_CYCLE_1)
	s_or_b32 s2, s2, s3
	s_and_b32 vcc_lo, exec_lo, s2
	s_mov_b32 s2, -1
	s_cbranch_vccnz .LBB105_3
; %bb.2:
	v_cmp_neq_f32_e64 s2, s6, 1.0
	v_cmp_neq_f32_e64 s3, s7, 0
	s_delay_alu instid0(VALU_DEP_1)
	s_or_b32 s2, s2, s3
.LBB105_3:
	s_delay_alu instid0(SALU_CYCLE_1)
	s_and_not1_b32 vcc_lo, exec_lo, s2
	s_cbranch_vccnz .LBB105_47
; %bb.4:
	s_load_b64 s[10:11], s[0:1], 0x0
	s_mul_i32 s2, s15, s31
	s_mul_hi_u32 s3, s15, s30
	v_and_b32_e32 v55, 0x3ff, v0
	v_bfe_u32 v56, v0, 10, 10
	s_add_i32 s3, s3, s2
	s_mul_i32 s2, s15, s30
	s_delay_alu instid0(SALU_CYCLE_1) | instskip(NEXT) | instid1(VALU_DEP_1)
	s_lshl_b64 s[0:1], s[2:3], 3
	v_lshl_add_u32 v54, v56, 6, v55
	s_add_u32 s2, s24, s0
	s_addc_u32 s3, s25, s1
	s_lshl_b64 s[0:1], s[26:27], 3
	s_delay_alu instid0(SALU_CYCLE_1) | instskip(SKIP_4) | instid1(SALU_CYCLE_1)
	s_add_u32 s5, s2, s0
	s_addc_u32 s24, s3, s1
	s_or_b32 s0, s8, s9
	v_cmp_gt_u32_e32 vcc_lo, 0x100, v54
	s_bitset0_b32 s0, 31
	s_cmp_lg_u32 s0, 0
	s_mov_b32 s0, -1
	s_cbranch_scc1 .LBB105_11
; %bb.5:
	s_and_saveexec_b32 s0, vcc_lo
	s_cbranch_execz .LBB105_10
; %bb.6:
	v_lshl_or_b32 v0, s14, 8, v54
	v_mov_b32_e32 v1, 0
	s_waitcnt lgkmcnt(0)
	s_ashr_i32 s3, s10, 31
	s_mov_b32 s2, s10
	s_delay_alu instid0(VALU_DEP_1) | instid1(SALU_CYCLE_1)
	v_cmp_gt_i64_e32 vcc_lo, s[2:3], v[0:1]
	s_and_b32 exec_lo, exec_lo, vcc_lo
	s_cbranch_execz .LBB105_10
; %bb.7:
	v_mad_u64_u32 v[2:3], null, v0, s28, 0
	v_cmp_neq_f32_e64 s1, s6, 0
	v_cmp_neq_f32_e64 s2, s7, 0
	s_delay_alu instid0(VALU_DEP_1) | instskip(NEXT) | instid1(VALU_DEP_3)
	s_or_b32 s1, s1, s2
	v_mad_u64_u32 v[4:5], null, v0, s29, v[3:4]
	s_and_not1_b32 vcc_lo, exec_lo, s1
	s_delay_alu instid0(VALU_DEP_1) | instskip(NEXT) | instid1(VALU_DEP_1)
	v_dual_mov_b32 v3, v4 :: v_dual_mov_b32 v4, v1
	v_lshlrev_b64 v[2:3], 3, v[2:3]
	s_cbranch_vccnz .LBB105_9
; %bb.8:
	s_delay_alu instid0(VALU_DEP_1) | instskip(NEXT) | instid1(VALU_DEP_2)
	v_add_co_u32 v0, vcc_lo, s5, v2
	v_add_co_ci_u32_e32 v1, vcc_lo, s24, v3, vcc_lo
	global_load_b64 v[0:1], v[0:1], off
	s_waitcnt vmcnt(0)
	v_mul_f32_e32 v4, s6, v1
	s_delay_alu instid0(VALU_DEP_1) | instskip(NEXT) | instid1(VALU_DEP_1)
	v_dual_mul_f32 v5, s7, v1 :: v_dual_fmac_f32 v4, s7, v0
	v_fma_f32 v1, s6, v0, -v5
.LBB105_9:
	s_delay_alu instid0(VALU_DEP_1) | instskip(NEXT) | instid1(VALU_DEP_2)
	v_add_co_u32 v5, vcc_lo, s5, v2
	v_add_co_ci_u32_e32 v6, vcc_lo, s24, v3, vcc_lo
	s_delay_alu instid0(VALU_DEP_3)
	v_mov_b32_e32 v3, v1
	global_store_b64 v[5:6], v[3:4], off
.LBB105_10:
	s_or_b32 exec_lo, exec_lo, s0
	s_mov_b32 s0, 0
.LBB105_11:
	s_delay_alu instid0(SALU_CYCLE_1)
	s_and_not1_b32 vcc_lo, exec_lo, s0
	s_cbranch_vccnz .LBB105_47
; %bb.12:
	s_mul_i32 s0, s15, s47
	s_mul_hi_u32 s1, s15, s46
	s_lshl_b32 s25, s14, 8
	s_add_i32 s13, s1, s0
	s_waitcnt lgkmcnt(0)
	s_ashr_i32 s1, s11, 31
	v_dual_mov_b32 v0, 0 :: v_dual_lshlrev_b32 v57, 2, v56
	s_lshr_b32 s1, s1, 28
	v_dual_mov_b32 v1, 0 :: v_dual_add_nc_u32 v2, s25, v55
	v_dual_mov_b32 v5, 0 :: v_dual_mov_b32 v4, 0
	v_dual_mov_b32 v7, 0 :: v_dual_mov_b32 v6, 0
	;; [unrolled: 1-line block ×3, first 2 shown]
	s_mul_i32 s0, s15, s19
	s_mul_hi_u32 s2, s15, s18
	s_add_i32 s1, s11, s1
	s_mul_i32 s12, s15, s46
	s_and_b32 s26, s1, -16
	s_add_i32 s19, s2, s0
	s_mul_i32 s18, s15, s18
	s_mov_b32 s27, exec_lo
	v_cmpx_gt_i32_e64 s26, v57
	s_cbranch_execz .LBB105_24
; %bb.13:
	v_mad_u64_u32 v[0:1], null, s16, v56, 0
	s_lshl_b64 s[0:1], s[50:51], 3
	v_add_nc_u32_e32 v10, 0xc0, v2
	s_lshl_b64 s[2:3], s[18:19], 3
	s_add_u32 s0, s48, s0
	s_addc_u32 s4, s49, s1
	s_add_u32 s14, s0, s2
	s_delay_alu instid0(VALU_DEP_2)
	v_mad_u64_u32 v[4:5], null, s17, v56, v[1:2]
	v_lshlrev_b32_e32 v16, 2, v56
	v_cmp_gt_i32_e64 s2, s10, v10
	s_addc_u32 s4, s4, s3
	v_ashrrev_i32_e32 v3, 31, v2
	s_lshl_b64 s[20:21], s[42:43], 3
	s_lshl_b64 s[22:23], s[12:13], 3
	s_delay_alu instid0(VALU_DEP_4)
	v_mov_b32_e32 v1, v4
	v_or_b32_e32 v9, 3, v16
	v_or_b32_e32 v17, 2, v16
	v_lshlrev_b64 v[12:13], 3, v[2:3]
	v_cmp_gt_i32_e32 vcc_lo, s10, v2
	v_lshlrev_b64 v[0:1], 5, v[0:1]
	v_mad_u64_u32 v[5:6], null, s44, v9, 0
	v_add_nc_u32_e32 v7, 64, v2
	s_mov_b32 s30, 0
	s_delay_alu instid0(VALU_DEP_3) | instskip(NEXT) | instid1(VALU_DEP_1)
	v_add_co_u32 v10, s3, s14, v0
	v_add_co_ci_u32_e64 v11, s3, s4, v1, s3
	s_delay_alu instid0(VALU_DEP_4) | instskip(SKIP_3) | instid1(VALU_DEP_3)
	v_mov_b32_e32 v4, v6
	v_mad_u64_u32 v[0:1], null, s44, v56, 0
	v_cmp_gt_i32_e64 s0, s10, v7
	s_lshl_b64 s[14:15], s[16:17], 7
	v_mad_u64_u32 v[6:7], null, s45, v9, v[4:5]
	s_add_u32 s3, s40, s20
	s_addc_u32 s4, s41, s21
	s_delay_alu instid0(VALU_DEP_3) | instskip(SKIP_2) | instid1(VALU_DEP_3)
	v_mad_u64_u32 v[14:15], null, s45, v56, v[1:2]
	v_add_nc_u32_e32 v8, 0x80, v2
	s_add_u32 s20, s3, s22
	v_lshlrev_b64 v[3:4], 3, v[5:6]
	v_mad_u64_u32 v[5:6], null, s44, v16, s[44:45]
	s_delay_alu instid0(VALU_DEP_3) | instskip(SKIP_2) | instid1(VALU_DEP_4)
	v_cmp_gt_i32_e64 s1, s10, v8
	v_mad_u64_u32 v[7:8], null, s44, v17, 0
	s_addc_u32 s4, s4, s23
	v_add_co_u32 v3, s3, s20, v3
	s_delay_alu instid0(VALU_DEP_1) | instskip(SKIP_1) | instid1(VALU_DEP_3)
	v_add_co_ci_u32_e64 v58, s3, s4, v4, s3
	s_lshl_b64 s[22:23], s[16:17], 3
	v_mov_b32_e32 v1, v8
	s_delay_alu instid0(VALU_DEP_1) | instskip(SKIP_2) | instid1(VALU_DEP_2)
	v_mad_u64_u32 v[8:9], null, s45, v17, v[1:2]
	v_mov_b32_e32 v1, v14
	v_mad_u64_u32 v[14:15], null, s45, v16, v[6:7]
	v_lshlrev_b64 v[0:1], 5, v[0:1]
	s_delay_alu instid0(VALU_DEP_4) | instskip(NEXT) | instid1(VALU_DEP_3)
	v_lshlrev_b64 v[7:8], 3, v[7:8]
	v_mov_b32_e32 v6, v14
	s_delay_alu instid0(VALU_DEP_3) | instskip(NEXT) | instid1(VALU_DEP_1)
	v_add_co_u32 v59, s3, s20, v0
	v_add_co_ci_u32_e64 v60, s3, s4, v1, s3
	v_mov_b32_e32 v1, 0
	s_delay_alu instid0(VALU_DEP_4) | instskip(SKIP_1) | instid1(VALU_DEP_1)
	v_lshlrev_b64 v[4:5], 3, v[5:6]
	v_add_co_u32 v61, s3, s20, v7
	v_add_co_ci_u32_e64 v62, s3, s4, v8, s3
	s_delay_alu instid0(VALU_DEP_4) | instskip(NEXT) | instid1(VALU_DEP_4)
	v_mov_b32_e32 v0, v1
	v_add_co_u32 v63, s3, s20, v4
	s_delay_alu instid0(VALU_DEP_1)
	v_add_co_ci_u32_e64 v64, s3, s4, v5, s3
	v_mov_b32_e32 v5, v1
	v_mov_b32_e32 v4, v1
	;; [unrolled: 1-line block ×6, first 2 shown]
	s_lshl_b64 s[20:21], s[44:45], 7
	s_branch .LBB105_18
.LBB105_14:                             ;   in Loop: Header=BB105_18 Depth=1
	s_or_b32 exec_lo, exec_lo, s33
	s_waitcnt vmcnt(2)
	v_dual_mul_f32 v46, v27, v45 :: v_dual_mul_f32 v47, v17, v43
	v_mul_f32_e32 v45, v26, v45
	s_waitcnt vmcnt(1)
	v_dual_mul_f32 v43, v16, v43 :: v_dual_mul_f32 v48, v15, v41
	s_delay_alu instid0(VALU_DEP_3) | instskip(SKIP_2) | instid1(VALU_DEP_4)
	v_fma_f32 v46, v26, v44, -v46
	v_mul_f32_e32 v41, v14, v41
	v_fma_f32 v47, v16, v42, -v47
	v_fmac_f32_e32 v43, v17, v42
	v_fma_f32 v42, v14, v40, -v48
	v_dual_add_f32 v4, v4, v46 :: v_dual_fmac_f32 v45, v27, v44
	s_waitcnt vmcnt(0)
	v_mul_f32_e32 v44, v19, v39
	v_fmac_f32_e32 v41, v15, v40
	v_mul_f32_e32 v39, v18, v39
	v_dual_add_f32 v4, v4, v47 :: v_dual_add_f32 v5, v5, v45
	s_delay_alu instid0(VALU_DEP_4) | instskip(NEXT) | instid1(VALU_DEP_3)
	v_fma_f32 v40, v18, v38, -v44
	v_fmac_f32_e32 v39, v19, v38
	s_delay_alu instid0(VALU_DEP_3) | instskip(NEXT) | instid1(VALU_DEP_1)
	v_add_f32_e32 v4, v4, v42
	v_dual_add_f32 v4, v4, v40 :: v_dual_add_f32 v5, v5, v43
	s_delay_alu instid0(VALU_DEP_1) | instskip(NEXT) | instid1(VALU_DEP_1)
	v_add_f32_e32 v5, v5, v41
	v_add_f32_e32 v5, v5, v39
.LBB105_15:                             ;   in Loop: Header=BB105_18 Depth=1
	s_or_b32 exec_lo, exec_lo, s31
	s_waitcnt vmcnt(2)
	v_dual_mul_f32 v38, v27, v37 :: v_dual_mul_f32 v39, v17, v35
	v_mul_f32_e32 v37, v26, v37
	s_waitcnt vmcnt(1)
	v_dual_mul_f32 v35, v16, v35 :: v_dual_mul_f32 v40, v15, v33
	s_delay_alu instid0(VALU_DEP_3)
	v_fma_f32 v38, v26, v36, -v38
	v_fma_f32 v39, v16, v34, -v39
	v_fmac_f32_e32 v37, v27, v36
	s_waitcnt vmcnt(0)
	v_dual_mul_f32 v33, v14, v33 :: v_dual_mul_f32 v36, v19, v31
	v_add_f32_e32 v6, v6, v38
	v_fmac_f32_e32 v35, v17, v34
	v_fma_f32 v34, v14, v32, -v40
	v_mul_f32_e32 v31, v18, v31
	s_delay_alu instid0(VALU_DEP_4) | instskip(SKIP_2) | instid1(VALU_DEP_4)
	v_dual_fmac_f32 v33, v15, v32 :: v_dual_add_f32 v6, v6, v39
	v_add_f32_e32 v7, v7, v37
	v_fma_f32 v32, v18, v30, -v36
	v_fmac_f32_e32 v31, v19, v30
	s_delay_alu instid0(VALU_DEP_3) | instskip(NEXT) | instid1(VALU_DEP_1)
	v_dual_add_f32 v6, v6, v34 :: v_dual_add_f32 v7, v7, v35
	v_dual_add_f32 v6, v6, v32 :: v_dual_add_f32 v7, v7, v33
	s_delay_alu instid0(VALU_DEP_1)
	v_add_f32_e32 v7, v7, v31
.LBB105_16:                             ;   in Loop: Header=BB105_18 Depth=1
	s_or_b32 exec_lo, exec_lo, s3
	s_waitcnt vmcnt(3)
	v_mul_f32_e32 v30, v27, v29
	s_waitcnt vmcnt(1)
	v_dual_mul_f32 v29, v26, v29 :: v_dual_mul_f32 v32, v15, v23
	v_mul_f32_e32 v23, v14, v23
	s_delay_alu instid0(VALU_DEP_3)
	v_fma_f32 v26, v26, v28, -v30
	v_mul_f32_e32 v31, v17, v25
	v_mul_f32_e32 v25, v16, v25
	v_fma_f32 v14, v14, v22, -v32
	v_fmac_f32_e32 v23, v15, v22
	v_add_f32_e32 v8, v8, v26
	v_fma_f32 v16, v16, v24, -v31
	v_fmac_f32_e32 v25, v17, v24
	s_waitcnt vmcnt(0)
	s_delay_alu instid0(VALU_DEP_2) | instskip(SKIP_1) | instid1(VALU_DEP_2)
	v_dual_mul_f32 v17, v18, v21 :: v_dual_add_f32 v8, v8, v16
	v_fmac_f32_e32 v29, v27, v28
	v_dual_fmac_f32 v17, v19, v20 :: v_dual_add_f32 v8, v8, v14
	s_delay_alu instid0(VALU_DEP_2) | instskip(SKIP_1) | instid1(VALU_DEP_2)
	v_add_f32_e32 v9, v9, v29
	v_mul_f32_e32 v27, v19, v21
	v_add_f32_e32 v9, v9, v25
	s_delay_alu instid0(VALU_DEP_2) | instskip(NEXT) | instid1(VALU_DEP_2)
	v_fma_f32 v15, v18, v20, -v27
	v_add_f32_e32 v9, v9, v23
	s_delay_alu instid0(VALU_DEP_1)
	v_dual_add_f32 v8, v8, v15 :: v_dual_add_f32 v9, v9, v17
.LBB105_17:                             ;   in Loop: Header=BB105_18 Depth=1
	s_or_b32 exec_lo, exec_lo, s4
	v_add_co_u32 v10, s3, v10, s14
	s_delay_alu instid0(VALU_DEP_1) | instskip(SKIP_1) | instid1(VALU_DEP_1)
	v_add_co_ci_u32_e64 v11, s3, s15, v11, s3
	v_add_co_u32 v3, s3, v3, s20
	v_add_co_ci_u32_e64 v58, s3, s21, v58, s3
	v_add_co_u32 v59, s3, v59, s20
	v_add_nc_u32_e32 v57, 16, v57
	v_add_co_ci_u32_e64 v60, s3, s21, v60, s3
	v_add_co_u32 v61, s3, v61, s20
	s_delay_alu instid0(VALU_DEP_1) | instskip(NEXT) | instid1(VALU_DEP_4)
	v_add_co_ci_u32_e64 v62, s3, s21, v62, s3
	v_cmp_le_i32_e64 s3, s26, v57
	v_add_co_u32 v63, s4, v63, s20
	s_delay_alu instid0(VALU_DEP_1) | instskip(NEXT) | instid1(VALU_DEP_3)
	v_add_co_ci_u32_e64 v64, s4, s21, v64, s4
	s_or_b32 s30, s3, s30
	s_delay_alu instid0(SALU_CYCLE_1)
	s_and_not1_b32 exec_lo, exec_lo, s30
	s_cbranch_execz .LBB105_23
.LBB105_18:                             ; =>This Inner Loop Header: Depth=1
	s_and_saveexec_b32 s4, vcc_lo
	s_cbranch_execz .LBB105_17
; %bb.19:                               ;   in Loop: Header=BB105_18 Depth=1
	v_add_co_u32 v14, s3, v10, s22
	s_delay_alu instid0(VALU_DEP_1) | instskip(NEXT) | instid1(VALU_DEP_2)
	v_add_co_ci_u32_e64 v15, s3, s23, v11, s3
	v_add_co_u32 v18, s3, v14, s22
	s_delay_alu instid0(VALU_DEP_1) | instskip(SKIP_4) | instid1(VALU_DEP_1)
	v_add_co_ci_u32_e64 v19, s3, s23, v15, s3
	s_clause 0x1
	global_load_b64 v[16:17], v[14:15], off
	global_load_b64 v[14:15], v[18:19], off
	v_add_co_u32 v18, s3, v18, s22
	v_add_co_ci_u32_e64 v19, s3, s23, v19, s3
	v_add_co_u32 v52, s3, v59, v12
	s_delay_alu instid0(VALU_DEP_1) | instskip(SKIP_1) | instid1(VALU_DEP_1)
	v_add_co_ci_u32_e64 v53, s3, v60, v13, s3
	v_add_co_u32 v50, s3, v63, v12
	v_add_co_ci_u32_e64 v51, s3, v64, v13, s3
	v_add_co_u32 v48, s3, v61, v12
	s_delay_alu instid0(VALU_DEP_1) | instskip(SKIP_1) | instid1(VALU_DEP_1)
	v_add_co_ci_u32_e64 v49, s3, v62, v13, s3
	v_add_co_u32 v46, s3, v3, v12
	v_add_co_ci_u32_e64 v47, s3, v58, v13, s3
	s_clause 0x1
	global_load_b64 v[26:27], v[10:11], off
	global_load_b64 v[18:19], v[18:19], off
	;; [unrolled: 1-line block ×6, first 2 shown]
	s_and_saveexec_b32 s3, s0
	s_cbranch_execz .LBB105_16
; %bb.20:                               ;   in Loop: Header=BB105_18 Depth=1
	global_load_b64 v[36:37], v[52:53], off offset:512
	global_load_b64 v[34:35], v[50:51], off offset:512
	global_load_b64 v[32:33], v[48:49], off offset:512
	global_load_b64 v[30:31], v[46:47], off offset:512
	s_and_saveexec_b32 s31, s1
	s_cbranch_execz .LBB105_15
; %bb.21:                               ;   in Loop: Header=BB105_18 Depth=1
	global_load_b64 v[44:45], v[52:53], off offset:1024
	global_load_b64 v[42:43], v[50:51], off offset:1024
	global_load_b64 v[40:41], v[48:49], off offset:1024
	global_load_b64 v[38:39], v[46:47], off offset:1024
	;; [unrolled: 7-line block ×3, first 2 shown]
	s_waitcnt vmcnt(2)
	v_dual_mul_f32 v65, v27, v53 :: v_dual_mul_f32 v66, v17, v51
	v_mul_f32_e32 v53, v26, v53
	v_mul_f32_e32 v51, v16, v51
	s_delay_alu instid0(VALU_DEP_3) | instskip(NEXT) | instid1(VALU_DEP_4)
	v_fma_f32 v65, v26, v52, -v65
	v_fma_f32 v66, v16, v50, -v66
	s_delay_alu instid0(VALU_DEP_4)
	v_fmac_f32_e32 v53, v27, v52
	s_waitcnt vmcnt(0)
	v_dual_mul_f32 v52, v19, v47 :: v_dual_fmac_f32 v51, v17, v50
	v_add_f32_e32 v0, v0, v65
	v_mul_f32_e32 v67, v15, v49
	v_add_f32_e32 v1, v1, v53
	s_delay_alu instid0(VALU_DEP_3) | instskip(NEXT) | instid1(VALU_DEP_3)
	v_dual_mul_f32 v47, v18, v47 :: v_dual_add_f32 v0, v0, v66
	v_fma_f32 v50, v14, v48, -v67
	v_mul_f32_e32 v49, v14, v49
	s_delay_alu instid0(VALU_DEP_3) | instskip(NEXT) | instid1(VALU_DEP_2)
	v_fmac_f32_e32 v47, v19, v46
	v_dual_add_f32 v0, v0, v50 :: v_dual_fmac_f32 v49, v15, v48
	v_fma_f32 v48, v18, v46, -v52
	s_delay_alu instid0(VALU_DEP_1) | instskip(NEXT) | instid1(VALU_DEP_1)
	v_dual_add_f32 v0, v0, v48 :: v_dual_add_f32 v1, v1, v51
	v_add_f32_e32 v1, v1, v49
	s_delay_alu instid0(VALU_DEP_1)
	v_add_f32_e32 v1, v1, v47
	s_branch .LBB105_14
.LBB105_23:
	s_or_b32 exec_lo, exec_lo, s30
.LBB105_24:
	s_delay_alu instid0(SALU_CYCLE_1) | instskip(SKIP_1) | instid1(SALU_CYCLE_1)
	s_or_b32 exec_lo, exec_lo, s27
	s_sub_i32 s0, s11, s26
	s_cmp_lt_i32 s0, 1
	s_cbranch_scc1 .LBB105_42
; %bb.25:
	v_cmp_gt_i32_e32 vcc_lo, s11, v57
	v_dual_mov_b32 v10, 0 :: v_dual_mov_b32 v11, 0
	v_or_b32_e32 v18, 1, v57
	v_dual_mov_b32 v12, 0 :: v_dual_mov_b32 v13, 0
	v_dual_mov_b32 v14, 0 :: v_dual_mov_b32 v15, 0
	v_dual_mov_b32 v16, 0 :: v_dual_mov_b32 v17, 0
	s_and_saveexec_b32 s1, vcc_lo
	s_cbranch_execz .LBB105_33
; %bb.26:
	v_mad_u64_u32 v[10:11], null, v57, s16, 0
	s_lshl_b64 s[2:3], s[18:19], 3
	v_dual_mov_b32 v17, 0 :: v_dual_mov_b32 v14, 0
	s_add_u32 s0, s48, s2
	s_addc_u32 s2, s49, s3
	s_lshl_b64 s[14:15], s[50:51], 3
	s_delay_alu instid0(VALU_DEP_2) | instskip(SKIP_3) | instid1(VALU_DEP_2)
	v_dual_mov_b32 v3, v11 :: v_dual_mov_b32 v16, 0
	s_add_u32 s3, s0, s14
	s_addc_u32 s4, s2, s15
	v_mov_b32_e32 v15, 0
	v_mad_u64_u32 v[11:12], null, v57, s17, v[3:4]
	v_dual_mov_b32 v12, 0 :: v_dual_mov_b32 v13, 0
	s_mov_b32 s2, exec_lo
	s_delay_alu instid0(VALU_DEP_2) | instskip(NEXT) | instid1(VALU_DEP_1)
	v_lshlrev_b64 v[10:11], 3, v[10:11]
	v_add_co_u32 v10, s0, s3, v10
	s_delay_alu instid0(VALU_DEP_1)
	v_add_co_ci_u32_e64 v11, s0, s4, v11, s0
	global_load_b64 v[10:11], v[10:11], off
	v_cmpx_gt_i32_e64 s11, v18
	s_cbranch_execz .LBB105_32
; %bb.27:
	v_mad_u64_u32 v[12:13], null, v18, s16, 0
	v_mov_b32_e32 v17, 0
	v_mov_b32_e32 v15, 0
	s_mov_b32 s14, exec_lo
	s_delay_alu instid0(VALU_DEP_3) | instskip(NEXT) | instid1(VALU_DEP_1)
	v_dual_mov_b32 v16, 0 :: v_dual_mov_b32 v3, v13
	v_mad_u64_u32 v[13:14], null, v18, s17, v[3:4]
	v_or_b32_e32 v3, 2, v57
	v_mov_b32_e32 v14, 0
	s_delay_alu instid0(VALU_DEP_3) | instskip(NEXT) | instid1(VALU_DEP_1)
	v_lshlrev_b64 v[12:13], 3, v[12:13]
	v_add_co_u32 v12, s0, s3, v12
	s_delay_alu instid0(VALU_DEP_1)
	v_add_co_ci_u32_e64 v13, s0, s4, v13, s0
	global_load_b64 v[12:13], v[12:13], off
	v_cmpx_gt_i32_e64 s11, v3
	s_cbranch_execz .LBB105_31
; %bb.28:
	v_mad_u64_u32 v[14:15], null, v3, s16, 0
	s_mov_b32 s15, exec_lo
	s_delay_alu instid0(VALU_DEP_1) | instskip(SKIP_2) | instid1(VALU_DEP_3)
	v_mad_u64_u32 v[16:17], null, v3, s17, v[15:16]
	v_or_b32_e32 v3, 3, v57
	v_mov_b32_e32 v17, 0
	v_dual_mov_b32 v15, v16 :: v_dual_mov_b32 v16, 0
	s_delay_alu instid0(VALU_DEP_1) | instskip(NEXT) | instid1(VALU_DEP_1)
	v_lshlrev_b64 v[14:15], 3, v[14:15]
	v_add_co_u32 v14, s0, s3, v14
	s_delay_alu instid0(VALU_DEP_1)
	v_add_co_ci_u32_e64 v15, s0, s4, v15, s0
	global_load_b64 v[14:15], v[14:15], off
	v_cmpx_gt_i32_e64 s11, v3
	s_cbranch_execz .LBB105_30
; %bb.29:
	v_mad_u64_u32 v[16:17], null, v3, s16, 0
	s_delay_alu instid0(VALU_DEP_1) | instskip(NEXT) | instid1(VALU_DEP_1)
	v_mad_u64_u32 v[19:20], null, v3, s17, v[17:18]
	v_mov_b32_e32 v17, v19
	s_delay_alu instid0(VALU_DEP_1) | instskip(NEXT) | instid1(VALU_DEP_1)
	v_lshlrev_b64 v[16:17], 3, v[16:17]
	v_add_co_u32 v16, s0, s3, v16
	s_delay_alu instid0(VALU_DEP_1)
	v_add_co_ci_u32_e64 v17, s0, s4, v17, s0
	global_load_b64 v[16:17], v[16:17], off
.LBB105_30:
	s_or_b32 exec_lo, exec_lo, s15
.LBB105_31:
	s_delay_alu instid0(SALU_CYCLE_1)
	s_or_b32 exec_lo, exec_lo, s14
.LBB105_32:
	s_delay_alu instid0(SALU_CYCLE_1)
	s_or_b32 exec_lo, exec_lo, s2
.LBB105_33:
	s_delay_alu instid0(SALU_CYCLE_1) | instskip(NEXT) | instid1(SALU_CYCLE_1)
	s_or_b32 exec_lo, exec_lo, s1
	s_mov_b32 s1, exec_lo
	v_cmpx_gt_i32_e64 s10, v2
	s_cbranch_execz .LBB105_41
; %bb.34:
	v_mad_u64_u32 v[19:20], null, v57, s44, 0
	v_mad_u64_u32 v[21:22], null, v18, s44, 0
	v_ashrrev_i32_e32 v3, 31, v2
	v_or_b32_e32 v31, 2, v57
	v_or_b32_e32 v32, 3, v57
	s_lshl_b64 s[2:3], s[12:13], 3
	s_delay_alu instid0(VALU_DEP_3)
	v_lshlrev_b64 v[26:27], 3, v[2:3]
	v_mad_u64_u32 v[23:24], null, v57, s45, v[20:21]
	v_mad_u64_u32 v[24:25], null, v31, s44, 0
	s_add_u32 s0, s40, s2
	s_addc_u32 s4, s41, s3
	v_mov_b32_e32 v3, v22
	s_lshl_b64 s[2:3], s[42:43], 3
	s_delay_alu instid0(VALU_DEP_3) | instskip(SKIP_1) | instid1(VALU_DEP_3)
	v_cndmask_b32_e32 v20, 0, v23, vcc_lo
	v_mad_u64_u32 v[22:23], null, v32, s44, 0
	v_mad_u64_u32 v[28:29], null, v18, s45, v[3:4]
	v_cndmask_b32_e32 v19, 0, v19, vcc_lo
	v_cmp_gt_i32_e32 vcc_lo, s11, v18
	s_add_u32 s2, s0, s2
	s_addc_u32 s3, s4, s3
	v_mov_b32_e32 v3, v25
	s_delay_alu instid0(VALU_DEP_4) | instskip(SKIP_1) | instid1(VALU_DEP_1)
	v_dual_cndmask_b32 v29, 0, v21 :: v_dual_cndmask_b32 v30, 0, v28
	v_lshlrev_b64 v[19:20], 3, v[19:20]
	v_add_co_u32 v18, s0, s2, v19
	s_delay_alu instid0(VALU_DEP_1) | instskip(NEXT) | instid1(VALU_DEP_4)
	v_add_co_ci_u32_e64 v19, s0, s3, v20, s0
	v_lshlrev_b64 v[20:21], 3, v[29:30]
	s_delay_alu instid0(VALU_DEP_3)
	v_add_co_u32 v18, vcc_lo, v18, v26
	v_mad_u64_u32 v[28:29], null, v31, s45, v[3:4]
	v_mov_b32_e32 v3, v23
	v_add_co_ci_u32_e32 v19, vcc_lo, v19, v27, vcc_lo
	v_cmp_gt_i32_e32 vcc_lo, s11, v31
	v_add_co_u32 v20, s0, s2, v20
	s_delay_alu instid0(VALU_DEP_4)
	v_mad_u64_u32 v[29:30], null, v32, s45, v[3:4]
	v_add_co_ci_u32_e64 v21, s0, s3, v21, s0
	v_cndmask_b32_e32 v23, 0, v24, vcc_lo
	v_cndmask_b32_e32 v24, 0, v28, vcc_lo
	v_cmp_gt_i32_e32 vcc_lo, s11, v32
	v_add_co_u32 v20, s0, v20, v26
	s_delay_alu instid0(VALU_DEP_1)
	v_add_co_ci_u32_e64 v21, s0, v21, v27, s0
	v_dual_cndmask_b32 v28, 0, v22 :: v_dual_cndmask_b32 v29, 0, v29
	v_lshlrev_b64 v[22:23], 3, v[23:24]
	s_clause 0x1
	global_load_b64 v[30:31], v[18:19], off
	global_load_b64 v[32:33], v[20:21], off
	s_mov_b32 s0, exec_lo
	v_lshlrev_b64 v[24:25], 3, v[28:29]
	v_add_co_u32 v3, vcc_lo, s2, v22
	v_add_co_ci_u32_e32 v22, vcc_lo, s3, v23, vcc_lo
	s_delay_alu instid0(VALU_DEP_3) | instskip(NEXT) | instid1(VALU_DEP_4)
	v_add_co_u32 v23, vcc_lo, s2, v24
	v_add_co_ci_u32_e32 v28, vcc_lo, s3, v25, vcc_lo
	s_delay_alu instid0(VALU_DEP_4) | instskip(NEXT) | instid1(VALU_DEP_4)
	v_add_co_u32 v24, vcc_lo, v3, v26
	v_add_co_ci_u32_e32 v25, vcc_lo, v22, v27, vcc_lo
	s_delay_alu instid0(VALU_DEP_4) | instskip(NEXT) | instid1(VALU_DEP_4)
	v_add_co_u32 v22, vcc_lo, v23, v26
	v_add_co_ci_u32_e32 v23, vcc_lo, v28, v27, vcc_lo
	s_clause 0x1
	global_load_b64 v[26:27], v[24:25], off
	global_load_b64 v[28:29], v[22:23], off
	s_waitcnt vmcnt(2)
	v_dual_mul_f32 v3, v11, v31 :: v_dual_mul_f32 v34, v13, v33
	v_mul_f32_e32 v33, v12, v33
	s_delay_alu instid0(VALU_DEP_2) | instskip(NEXT) | instid1(VALU_DEP_1)
	v_fma_f32 v3, v10, v30, -v3
	v_dual_fmac_f32 v33, v13, v32 :: v_dual_add_f32 v8, v8, v3
	v_mul_f32_e32 v31, v10, v31
	s_delay_alu instid0(VALU_DEP_1) | instskip(SKIP_1) | instid1(VALU_DEP_2)
	v_fmac_f32_e32 v31, v11, v30
	v_fma_f32 v30, v12, v32, -v34
	v_add_f32_e32 v9, v9, v31
	s_waitcnt vmcnt(1)
	v_dual_mul_f32 v32, v15, v27 :: v_dual_add_nc_u32 v31, 64, v2
	s_waitcnt vmcnt(0)
	v_dual_mul_f32 v27, v14, v27 :: v_dual_mul_f32 v34, v17, v29
	v_mul_f32_e32 v3, v16, v29
	s_delay_alu instid0(VALU_DEP_3) | instskip(NEXT) | instid1(VALU_DEP_3)
	v_fma_f32 v29, v14, v26, -v32
	v_fmac_f32_e32 v27, v15, v26
	v_add_f32_e32 v26, v8, v30
	v_add_f32_e32 v30, v9, v33
	v_fma_f32 v8, v16, v28, -v34
	v_fmac_f32_e32 v3, v17, v28
	s_delay_alu instid0(VALU_DEP_4) | instskip(NEXT) | instid1(VALU_DEP_4)
	v_add_f32_e32 v9, v26, v29
	v_add_f32_e32 v26, v30, v27
	v_cmpx_gt_i32_e64 s10, v31
	s_cbranch_execz .LBB105_40
; %bb.35:
	s_clause 0x3
	global_load_b64 v[27:28], v[18:19], off offset:512
	global_load_b64 v[29:30], v[20:21], off offset:512
	;; [unrolled: 1-line block ×4, first 2 shown]
	s_mov_b32 s2, exec_lo
	s_waitcnt vmcnt(2)
	v_dual_mul_f32 v35, v11, v28 :: v_dual_mul_f32 v36, v13, v30
	v_mul_f32_e32 v28, v10, v28
	s_waitcnt vmcnt(1)
	v_dual_mul_f32 v30, v12, v30 :: v_dual_mul_f32 v37, v15, v32
	s_delay_alu instid0(VALU_DEP_3) | instskip(SKIP_2) | instid1(VALU_DEP_4)
	v_fma_f32 v35, v10, v27, -v35
	v_fma_f32 v36, v12, v29, -v36
	v_mul_f32_e32 v32, v14, v32
	v_fmac_f32_e32 v30, v13, v29
	v_fma_f32 v29, v14, v31, -v37
	v_add_f32_e32 v6, v6, v35
	s_waitcnt vmcnt(0)
	v_dual_fmac_f32 v28, v11, v27 :: v_dual_mul_f32 v27, v17, v34
	s_delay_alu instid0(VALU_DEP_1) | instskip(NEXT) | instid1(VALU_DEP_1)
	v_dual_add_f32 v28, v7, v28 :: v_dual_mul_f32 v7, v16, v34
	v_dual_fmac_f32 v32, v15, v31 :: v_dual_fmac_f32 v7, v17, v33
	s_delay_alu instid0(VALU_DEP_2) | instskip(SKIP_2) | instid1(VALU_DEP_3)
	v_dual_add_f32 v31, v6, v36 :: v_dual_add_f32 v28, v28, v30
	v_add_nc_u32_e32 v30, 0x80, v2
	v_fma_f32 v6, v16, v33, -v27
	v_dual_add_f32 v27, v31, v29 :: v_dual_add_f32 v28, v28, v32
	s_delay_alu instid0(VALU_DEP_3)
	v_cmpx_gt_i32_e64 s10, v30
	s_cbranch_execz .LBB105_39
; %bb.36:
	s_clause 0x3
	global_load_b64 v[29:30], v[18:19], off offset:1024
	global_load_b64 v[31:32], v[20:21], off offset:1024
	;; [unrolled: 1-line block ×4, first 2 shown]
	s_mov_b32 s3, exec_lo
	s_waitcnt vmcnt(2)
	v_dual_mul_f32 v37, v11, v30 :: v_dual_mul_f32 v38, v13, v32
	v_mul_f32_e32 v30, v10, v30
	s_waitcnt vmcnt(1)
	v_dual_mul_f32 v32, v12, v32 :: v_dual_mul_f32 v39, v15, v34
	v_mul_f32_e32 v34, v14, v34
	v_fma_f32 v37, v10, v29, -v37
	v_fmac_f32_e32 v30, v11, v29
	v_fma_f32 v38, v12, v31, -v38
	s_waitcnt vmcnt(0)
	s_delay_alu instid0(VALU_DEP_3) | instskip(NEXT) | instid1(VALU_DEP_3)
	v_dual_mul_f32 v29, v17, v36 :: v_dual_add_f32 v4, v4, v37
	v_dual_add_f32 v30, v5, v30 :: v_dual_mul_f32 v5, v16, v36
	v_fmac_f32_e32 v34, v15, v33
	v_fmac_f32_e32 v32, v13, v31
	v_fma_f32 v31, v14, v33, -v39
	s_delay_alu instid0(VALU_DEP_4) | instskip(NEXT) | instid1(VALU_DEP_3)
	v_dual_add_f32 v4, v4, v38 :: v_dual_fmac_f32 v5, v17, v35
	v_add_f32_e32 v30, v30, v32
	v_add_nc_u32_e32 v32, 0xc0, v2
	v_fma_f32 v2, v16, v35, -v29
	s_delay_alu instid0(VALU_DEP_3) | instskip(NEXT) | instid1(VALU_DEP_3)
	v_dual_add_f32 v4, v4, v31 :: v_dual_add_f32 v29, v30, v34
	v_cmpx_gt_i32_e64 s10, v32
	s_cbranch_execz .LBB105_38
; %bb.37:
	s_clause 0x3
	global_load_b64 v[18:19], v[18:19], off offset:1536
	global_load_b64 v[20:21], v[20:21], off offset:1536
	;; [unrolled: 1-line block ×4, first 2 shown]
	s_waitcnt vmcnt(2)
	v_dual_mul_f32 v30, v11, v19 :: v_dual_mul_f32 v31, v13, v21
	s_waitcnt vmcnt(1)
	v_dual_mul_f32 v19, v10, v19 :: v_dual_mul_f32 v32, v15, v25
	s_delay_alu instid0(VALU_DEP_2) | instskip(SKIP_1) | instid1(VALU_DEP_3)
	v_fma_f32 v10, v10, v18, -v30
	v_mul_f32_e32 v25, v14, v25
	v_fmac_f32_e32 v19, v11, v18
	s_delay_alu instid0(VALU_DEP_3)
	v_add_f32_e32 v0, v0, v10
	s_waitcnt vmcnt(0)
	v_mul_f32_e32 v10, v16, v23
	v_mul_f32_e32 v21, v12, v21
	v_fma_f32 v12, v12, v20, -v31
	v_mul_f32_e32 v11, v17, v23
	v_add_f32_e32 v1, v1, v19
	v_fmac_f32_e32 v10, v17, v22
	s_delay_alu instid0(VALU_DEP_4) | instskip(SKIP_3) | instid1(VALU_DEP_2)
	v_add_f32_e32 v0, v0, v12
	v_fmac_f32_e32 v21, v13, v20
	v_fma_f32 v13, v14, v24, -v32
	v_fma_f32 v11, v16, v22, -v11
	v_dual_add_f32 v0, v0, v13 :: v_dual_fmac_f32 v25, v15, v24
	s_delay_alu instid0(VALU_DEP_1) | instskip(NEXT) | instid1(VALU_DEP_1)
	v_dual_add_f32 v1, v1, v21 :: v_dual_add_f32 v0, v0, v11
	v_add_f32_e32 v1, v1, v25
	s_delay_alu instid0(VALU_DEP_1)
	v_add_f32_e32 v1, v1, v10
.LBB105_38:
	s_or_b32 exec_lo, exec_lo, s3
	s_delay_alu instid0(VALU_DEP_2)
	v_dual_add_f32 v4, v4, v2 :: v_dual_add_f32 v5, v29, v5
.LBB105_39:
	s_or_b32 exec_lo, exec_lo, s2
	s_delay_alu instid0(VALU_DEP_2)
	v_dual_add_f32 v6, v27, v6 :: v_dual_add_f32 v7, v28, v7
.LBB105_40:
	s_or_b32 exec_lo, exec_lo, s0
	s_delay_alu instid0(VALU_DEP_2)
	v_dual_add_f32 v8, v9, v8 :: v_dual_add_f32 v9, v26, v3
.LBB105_41:
	s_or_b32 exec_lo, exec_lo, s1
.LBB105_42:
	v_lshlrev_b32_e32 v2, 8, v56
	s_mov_b32 s0, exec_lo
	s_delay_alu instid0(VALU_DEP_1)
	v_add_lshl_u32 v2, v2, v55, 3
	ds_store_2addr_stride64_b64 v2, v[8:9], v[6:7] offset1:1
	ds_store_2addr_stride64_b64 v2, v[4:5], v[0:1] offset0:2 offset1:3
	s_waitcnt vmcnt(0) lgkmcnt(0)
	s_waitcnt_vscnt null, 0x0
	s_barrier
	buffer_gl0_inv
	v_cmpx_gt_u32_e32 0x100, v54
	s_cbranch_execz .LBB105_47
; %bb.43:
	v_lshlrev_b32_e32 v8, 3, v54
	ds_load_2addr_stride64_b64 v[0:3], v8 offset1:4
	ds_load_2addr_stride64_b64 v[4:7], v8 offset0:8 offset1:12
	s_waitcnt lgkmcnt(1)
	v_dual_add_f32 v1, v1, v3 :: v_dual_add_f32 v0, v0, v2
	s_waitcnt lgkmcnt(0)
	s_delay_alu instid0(VALU_DEP_1) | instskip(SKIP_1) | instid1(VALU_DEP_2)
	v_dual_add_f32 v1, v1, v5 :: v_dual_add_f32 v2, v0, v4
	v_or_b32_e32 v0, s25, v54
	v_dual_add_f32 v3, v1, v7 :: v_dual_add_f32 v2, v2, v6
	s_delay_alu instid0(VALU_DEP_2)
	v_cmp_gt_i32_e32 vcc_lo, s10, v0
	ds_store_b64 v8, v[2:3]
	s_and_b32 exec_lo, exec_lo, vcc_lo
	s_cbranch_execz .LBB105_47
; %bb.44:
	v_ashrrev_i32_e32 v1, 31, v0
	v_mul_lo_u32 v6, v0, s29
	v_mad_u64_u32 v[4:5], null, v0, s28, 0
	v_cmp_neq_f32_e64 s0, s6, 0
	s_delay_alu instid0(VALU_DEP_4) | instskip(SKIP_1) | instid1(VALU_DEP_1)
	v_mul_lo_u32 v1, v1, s28
	v_cmp_neq_f32_e64 s1, s7, 0
	s_or_b32 s0, s0, s1
	s_delay_alu instid0(SALU_CYCLE_1) | instskip(NEXT) | instid1(VALU_DEP_2)
	s_and_not1_b32 vcc_lo, exec_lo, s0
	v_add3_u32 v5, v5, v6, v1
	v_mul_f32_e32 v1, s8, v3
	v_mul_f32_e32 v0, s9, v3
	s_delay_alu instid0(VALU_DEP_3) | instskip(NEXT) | instid1(VALU_DEP_3)
	v_lshlrev_b64 v[3:4], 3, v[4:5]
	v_fmac_f32_e32 v1, s9, v2
	s_delay_alu instid0(VALU_DEP_3)
	v_fma_f32 v0, v2, s8, -v0
	s_cbranch_vccnz .LBB105_46
; %bb.45:
	s_delay_alu instid0(VALU_DEP_3) | instskip(NEXT) | instid1(VALU_DEP_4)
	v_add_co_u32 v5, vcc_lo, s5, v3
	v_add_co_ci_u32_e32 v6, vcc_lo, s24, v4, vcc_lo
	global_load_b64 v[5:6], v[5:6], off
	s_waitcnt vmcnt(0)
	v_mul_f32_e32 v2, s7, v6
	v_mul_f32_e32 v6, s6, v6
	s_delay_alu instid0(VALU_DEP_2) | instskip(NEXT) | instid1(VALU_DEP_2)
	v_fma_f32 v2, s6, v5, -v2
	v_fmac_f32_e32 v6, s7, v5
	s_delay_alu instid0(VALU_DEP_2) | instskip(NEXT) | instid1(VALU_DEP_2)
	v_add_f32_e32 v0, v0, v2
	v_add_f32_e32 v1, v1, v6
.LBB105_46:
	s_delay_alu instid0(VALU_DEP_3) | instskip(NEXT) | instid1(VALU_DEP_4)
	v_add_co_u32 v2, vcc_lo, s5, v3
	v_add_co_ci_u32_e32 v3, vcc_lo, s24, v4, vcc_lo
	global_store_b64 v[2:3], v[0:1], off
.LBB105_47:
	s_nop 0
	s_sendmsg sendmsg(MSG_DEALLOC_VGPRS)
	s_endpgm
	.section	.rodata,"a",@progbits
	.p2align	6, 0x0
	.amdhsa_kernel _ZL20rocblas_gemvn_kernelILi64ELi4El19rocblas_complex_numIfEPKS1_S1_EviiT3_lPKT2_lT1_lS7_lS8_lS4_lPT4_lS8_li
		.amdhsa_group_segment_fixed_size 8192
		.amdhsa_private_segment_fixed_size 0
		.amdhsa_kernarg_size 400
		.amdhsa_user_sgpr_count 14
		.amdhsa_user_sgpr_dispatch_ptr 0
		.amdhsa_user_sgpr_queue_ptr 0
		.amdhsa_user_sgpr_kernarg_segment_ptr 1
		.amdhsa_user_sgpr_dispatch_id 0
		.amdhsa_user_sgpr_private_segment_size 0
		.amdhsa_wavefront_size32 1
		.amdhsa_uses_dynamic_stack 0
		.amdhsa_enable_private_segment 0
		.amdhsa_system_sgpr_workgroup_id_x 1
		.amdhsa_system_sgpr_workgroup_id_y 0
		.amdhsa_system_sgpr_workgroup_id_z 1
		.amdhsa_system_sgpr_workgroup_info 0
		.amdhsa_system_vgpr_workitem_id 1
		.amdhsa_next_free_vgpr 68
		.amdhsa_next_free_sgpr 52
		.amdhsa_reserve_vcc 1
		.amdhsa_float_round_mode_32 0
		.amdhsa_float_round_mode_16_64 0
		.amdhsa_float_denorm_mode_32 3
		.amdhsa_float_denorm_mode_16_64 3
		.amdhsa_dx10_clamp 1
		.amdhsa_ieee_mode 1
		.amdhsa_fp16_overflow 0
		.amdhsa_workgroup_processor_mode 1
		.amdhsa_memory_ordered 1
		.amdhsa_forward_progress 0
		.amdhsa_shared_vgpr_count 0
		.amdhsa_exception_fp_ieee_invalid_op 0
		.amdhsa_exception_fp_denorm_src 0
		.amdhsa_exception_fp_ieee_div_zero 0
		.amdhsa_exception_fp_ieee_overflow 0
		.amdhsa_exception_fp_ieee_underflow 0
		.amdhsa_exception_fp_ieee_inexact 0
		.amdhsa_exception_int_div_zero 0
	.end_amdhsa_kernel
	.section	.text._ZL20rocblas_gemvn_kernelILi64ELi4El19rocblas_complex_numIfEPKS1_S1_EviiT3_lPKT2_lT1_lS7_lS8_lS4_lPT4_lS8_li,"axG",@progbits,_ZL20rocblas_gemvn_kernelILi64ELi4El19rocblas_complex_numIfEPKS1_S1_EviiT3_lPKT2_lT1_lS7_lS8_lS4_lPT4_lS8_li,comdat
.Lfunc_end105:
	.size	_ZL20rocblas_gemvn_kernelILi64ELi4El19rocblas_complex_numIfEPKS1_S1_EviiT3_lPKT2_lT1_lS7_lS8_lS4_lPT4_lS8_li, .Lfunc_end105-_ZL20rocblas_gemvn_kernelILi64ELi4El19rocblas_complex_numIfEPKS1_S1_EviiT3_lPKT2_lT1_lS7_lS8_lS4_lPT4_lS8_li
                                        ; -- End function
	.section	.AMDGPU.csdata,"",@progbits
; Kernel info:
; codeLenInByte = 4160
; NumSgprs: 54
; NumVgprs: 68
; ScratchSize: 0
; MemoryBound: 0
; FloatMode: 240
; IeeeMode: 1
; LDSByteSize: 8192 bytes/workgroup (compile time only)
; SGPRBlocks: 6
; VGPRBlocks: 8
; NumSGPRsForWavesPerEU: 54
; NumVGPRsForWavesPerEU: 68
; Occupancy: 16
; WaveLimiterHint : 0
; COMPUTE_PGM_RSRC2:SCRATCH_EN: 0
; COMPUTE_PGM_RSRC2:USER_SGPR: 14
; COMPUTE_PGM_RSRC2:TRAP_HANDLER: 0
; COMPUTE_PGM_RSRC2:TGID_X_EN: 1
; COMPUTE_PGM_RSRC2:TGID_Y_EN: 0
; COMPUTE_PGM_RSRC2:TGID_Z_EN: 1
; COMPUTE_PGM_RSRC2:TIDIG_COMP_CNT: 1
	.section	.text._ZL20rocblas_gemvn_kernelILi64ELi4Ei19rocblas_complex_numIfES1_S1_EviiT3_lPKT2_lT1_lS5_lS6_lS2_lPT4_lS6_li,"axG",@progbits,_ZL20rocblas_gemvn_kernelILi64ELi4Ei19rocblas_complex_numIfES1_S1_EviiT3_lPKT2_lT1_lS5_lS6_lS2_lPT4_lS6_li,comdat
	.globl	_ZL20rocblas_gemvn_kernelILi64ELi4Ei19rocblas_complex_numIfES1_S1_EviiT3_lPKT2_lT1_lS5_lS6_lS2_lPT4_lS6_li ; -- Begin function _ZL20rocblas_gemvn_kernelILi64ELi4Ei19rocblas_complex_numIfES1_S1_EviiT3_lPKT2_lT1_lS5_lS6_lS2_lPT4_lS6_li
	.p2align	8
	.type	_ZL20rocblas_gemvn_kernelILi64ELi4Ei19rocblas_complex_numIfES1_S1_EviiT3_lPKT2_lT1_lS5_lS6_lS2_lPT4_lS6_li,@function
_ZL20rocblas_gemvn_kernelILi64ELi4Ei19rocblas_complex_numIfES1_S1_EviiT3_lPKT2_lT1_lS5_lS6_lS2_lPT4_lS6_li: ; @_ZL20rocblas_gemvn_kernelILi64ELi4Ei19rocblas_complex_numIfES1_S1_EviiT3_lPKT2_lT1_lS5_lS6_lS2_lPT4_lS6_li
; %bb.0:
	s_load_b64 s[2:3], s[0:1], 0x9c
	s_waitcnt lgkmcnt(0)
	s_lshr_b32 s4, s2, 16
	s_and_b32 s2, s2, 0xffff
	s_and_b32 s3, s3, 0xffff
	s_mul_i32 s2, s4, s2
	s_delay_alu instid0(SALU_CYCLE_1) | instskip(NEXT) | instid1(SALU_CYCLE_1)
	s_mul_i32 s2, s2, s3
	s_cmpk_lg_i32 s2, 0x100
	s_cbranch_scc1 .LBB106_47
; %bb.1:
	s_clause 0x1
	s_load_b128 s[4:7], s[0:1], 0x0
	s_load_b64 s[12:13], s[0:1], 0x58
	s_waitcnt lgkmcnt(0)
	v_cmp_neq_f32_e64 s2, s6, 0
	v_cmp_neq_f32_e64 s3, s7, 0
	s_delay_alu instid0(VALU_DEP_1) | instskip(NEXT) | instid1(SALU_CYCLE_1)
	s_or_b32 s2, s2, s3
	s_and_b32 vcc_lo, exec_lo, s2
	s_mov_b32 s2, -1
	s_cbranch_vccnz .LBB106_3
; %bb.2:
	v_cmp_neq_f32_e64 s2, s12, 1.0
	v_cmp_neq_f32_e64 s3, s13, 0
	s_delay_alu instid0(VALU_DEP_1)
	s_or_b32 s2, s2, s3
.LBB106_3:
	s_delay_alu instid0(SALU_CYCLE_1)
	s_and_not1_b32 vcc_lo, exec_lo, s2
	s_cbranch_vccnz .LBB106_47
; %bb.4:
	s_clause 0x2
	s_load_b64 s[2:3], s[0:1], 0x80
	s_load_b128 s[8:11], s[0:1], 0x68
	s_load_b32 s23, s[0:1], 0x78
	v_and_b32_e32 v1, 0x3ff, v0
	v_bfe_u32 v53, v0, 10, 10
	s_delay_alu instid0(VALU_DEP_1) | instskip(NEXT) | instid1(VALU_DEP_1)
	v_lshl_add_u32 v0, v53, 6, v1
	v_cmp_gt_u32_e32 vcc_lo, 0x100, v0
	s_waitcnt lgkmcnt(0)
	s_mul_i32 s3, s15, s3
	s_mul_hi_u32 s16, s15, s2
	s_mul_i32 s2, s15, s2
	s_add_i32 s3, s16, s3
	s_delay_alu instid0(SALU_CYCLE_1) | instskip(NEXT) | instid1(SALU_CYCLE_1)
	s_lshl_b64 s[2:3], s[2:3], 3
	s_add_u32 s8, s8, s2
	s_addc_u32 s9, s9, s3
	s_lshl_b64 s[2:3], s[10:11], 3
	s_delay_alu instid0(SALU_CYCLE_1) | instskip(SKIP_2) | instid1(SALU_CYCLE_1)
	s_add_u32 s21, s8, s2
	s_addc_u32 s22, s9, s3
	s_or_b32 s2, s6, s7
	s_bitset0_b32 s2, 31
	s_delay_alu instid0(SALU_CYCLE_1)
	s_cmp_lg_u32 s2, 0
	s_mov_b32 s2, -1
	s_cbranch_scc1 .LBB106_11
; %bb.5:
	s_and_saveexec_b32 s2, vcc_lo
	s_cbranch_execz .LBB106_10
; %bb.6:
	v_lshl_or_b32 v2, s14, 8, v0
	v_mov_b32_e32 v3, 0
	s_ashr_i32 s9, s4, 31
	s_mov_b32 s8, s4
	s_delay_alu instid0(VALU_DEP_1) | instid1(SALU_CYCLE_1)
	v_cmp_gt_i64_e32 vcc_lo, s[8:9], v[2:3]
	s_and_b32 exec_lo, exec_lo, vcc_lo
	s_cbranch_execz .LBB106_10
; %bb.7:
	v_mad_u64_u32 v[4:5], null, s23, v2, 0
	s_ashr_i32 s9, s23, 31
	v_cmp_neq_f32_e64 s3, s12, 0
	v_cmp_neq_f32_e64 s8, s13, 0
	s_delay_alu instid0(VALU_DEP_3) | instskip(NEXT) | instid1(VALU_DEP_2)
	v_mad_u64_u32 v[6:7], null, s9, v2, v[5:6]
	s_or_b32 s3, s3, s8
	s_delay_alu instid0(SALU_CYCLE_1) | instskip(NEXT) | instid1(VALU_DEP_1)
	s_and_not1_b32 vcc_lo, exec_lo, s3
	v_dual_mov_b32 v5, v6 :: v_dual_mov_b32 v6, v3
	s_delay_alu instid0(VALU_DEP_1)
	v_lshlrev_b64 v[4:5], 3, v[4:5]
	s_cbranch_vccnz .LBB106_9
; %bb.8:
	s_delay_alu instid0(VALU_DEP_1) | instskip(NEXT) | instid1(VALU_DEP_2)
	v_add_co_u32 v2, vcc_lo, s21, v4
	v_add_co_ci_u32_e32 v3, vcc_lo, s22, v5, vcc_lo
	global_load_b64 v[2:3], v[2:3], off
	s_waitcnt vmcnt(0)
	v_mul_f32_e32 v6, s12, v3
	s_delay_alu instid0(VALU_DEP_1) | instskip(NEXT) | instid1(VALU_DEP_1)
	v_dual_mul_f32 v7, s13, v3 :: v_dual_fmac_f32 v6, s13, v2
	v_fma_f32 v3, s12, v2, -v7
.LBB106_9:
	s_delay_alu instid0(VALU_DEP_1) | instskip(NEXT) | instid1(VALU_DEP_2)
	v_add_co_u32 v7, vcc_lo, s21, v4
	v_add_co_ci_u32_e32 v8, vcc_lo, s22, v5, vcc_lo
	s_delay_alu instid0(VALU_DEP_3)
	v_mov_b32_e32 v5, v3
	global_store_b64 v[7:8], v[5:6], off
.LBB106_10:
	s_or_b32 exec_lo, exec_lo, s2
	s_mov_b32 s2, 0
.LBB106_11:
	s_delay_alu instid0(SALU_CYCLE_1)
	s_and_not1_b32 vcc_lo, exec_lo, s2
	s_cbranch_vccnz .LBB106_47
; %bb.12:
	s_clause 0x5
	s_load_b128 s[8:11], s[0:1], 0x30
	s_load_b64 s[2:3], s[0:1], 0x50
	s_load_b128 s[16:19], s[0:1], 0x18
	s_load_b32 s20, s[0:1], 0x48
	s_load_b32 s24, s[0:1], 0x28
	s_load_b64 s[0:1], s[0:1], 0x40
	v_dual_mov_b32 v2, 0 :: v_dual_lshlrev_b32 v55, 2, v53
	v_dual_mov_b32 v3, 0 :: v_dual_mov_b32 v4, 0
	v_dual_mov_b32 v5, 0 :: v_dual_mov_b32 v6, 0
	;; [unrolled: 1-line block ×3, first 2 shown]
	s_waitcnt lgkmcnt(0)
	s_mul_i32 s9, s15, s9
	s_mul_hi_u32 s25, s15, s8
	s_mul_i32 s8, s15, s8
	s_add_i32 s9, s25, s9
	s_mul_i32 s3, s15, s3
	s_lshl_b64 s[8:9], s[8:9], 3
	s_mul_hi_u32 s25, s15, s2
	s_add_u32 s8, s16, s8
	s_addc_u32 s26, s17, s9
	s_lshl_b64 s[16:17], s[18:19], 3
	s_mul_i32 s2, s15, s2
	s_add_u32 s9, s8, s16
	s_addc_u32 s15, s26, s17
	s_add_i32 s3, s25, s3
	s_mov_b32 s16, exec_lo
	s_lshl_b64 s[2:3], s[2:3], 3
	s_delay_alu instid0(SALU_CYCLE_1) | instskip(SKIP_2) | instid1(SALU_CYCLE_1)
	s_add_u32 s2, s10, s2
	s_addc_u32 s3, s11, s3
	s_lshl_b64 s[0:1], s[0:1], 3
	s_add_u32 s10, s2, s0
	s_addc_u32 s11, s3, s1
	s_ashr_i32 s0, s5, 31
	s_lshl_b32 s8, s14, 8
	s_lshr_b32 s0, s0, 28
	v_dual_mov_b32 v7, 0 :: v_dual_add_nc_u32 v54, s8, v1
	s_add_i32 s0, s5, s0
	s_delay_alu instid0(SALU_CYCLE_1) | instskip(NEXT) | instid1(SALU_CYCLE_1)
	s_and_b32 s14, s0, -16
	v_cmpx_gt_i32_e64 s14, v55
	s_cbranch_execz .LBB106_24
; %bb.13:
	v_mul_lo_u32 v3, s24, v55
	v_add_nc_u32_e32 v2, 64, v54
	v_cmp_gt_i32_e32 vcc_lo, s4, v54
	s_lshl_b32 s17, s24, 4
	s_lshl_b32 s19, s20, 4
	s_mov_b32 s18, 0
	s_mov_b32 s25, 0
	s_delay_alu instid0(VALU_DEP_3) | instskip(SKIP_1) | instid1(VALU_DEP_1)
	v_add3_u32 v56, v3, s24, v1
	v_mul_lo_u32 v3, v53, s24
	v_lshl_add_u32 v57, v3, 2, v1
	v_mov_b32_e32 v3, 0
	v_add_nc_u32_e32 v5, 0xc0, v54
	v_add_nc_u32_e32 v4, 0x80, v54
	v_cmp_gt_i32_e64 s0, s4, v2
	s_delay_alu instid0(VALU_DEP_4) | instskip(NEXT) | instid1(VALU_DEP_4)
	v_dual_mov_b32 v7, v3 :: v_dual_add_nc_u32 v2, 2, v55
	v_cmp_gt_i32_e64 s2, s4, v5
	v_mul_lo_u32 v5, v53, s20
	v_mov_b32_e32 v6, v3
	s_delay_alu instid0(VALU_DEP_4)
	v_mad_u64_u32 v[10:11], null, s24, v2, v[1:2]
	v_mov_b32_e32 v9, v3
	v_mul_lo_u32 v58, s20, v2
	v_mov_b32_e32 v8, v3
	v_dual_mov_b32 v5, v3 :: v_dual_lshlrev_b32 v60, 2, v5
	v_cmp_gt_i32_e64 s1, s4, v4
	v_add_nc_u32_e32 v4, 3, v55
	s_delay_alu instid0(VALU_DEP_1)
	v_mad_u64_u32 v[11:12], null, s24, v4, v[1:2]
	v_mad_u64_u32 v[12:13], null, s20, v55, s[20:21]
	v_mul_lo_u32 v59, s20, v4
	v_mov_b32_e32 v2, v3
	v_mov_b32_e32 v4, v3
	s_branch .LBB106_18
.LBB106_14:                             ;   in Loop: Header=BB106_18 Depth=1
	s_or_b32 exec_lo, exec_lo, s28
	s_waitcnt vmcnt(3)
	v_mul_f32_e32 v45, v26, v44
	v_mul_f32_e32 v44, v25, v44
	s_waitcnt vmcnt(1)
	v_dual_mul_f32 v46, v22, v42 :: v_dual_mul_f32 v47, v16, v40
	v_mul_f32_e32 v42, v21, v42
	v_fma_f32 v45, v25, v43, -v45
	v_fmac_f32_e32 v44, v26, v43
	s_waitcnt vmcnt(0)
	v_mul_f32_e32 v43, v14, v38
	v_mul_f32_e32 v38, v13, v38
	v_fma_f32 v46, v21, v41, -v46
	v_dual_add_f32 v4, v4, v45 :: v_dual_add_f32 v5, v5, v44
	s_delay_alu instid0(VALU_DEP_3) | instskip(SKIP_4) | instid1(VALU_DEP_3)
	v_fmac_f32_e32 v38, v14, v37
	v_fmac_f32_e32 v42, v22, v41
	v_mul_f32_e32 v40, v15, v40
	v_fma_f32 v41, v15, v39, -v47
	v_add_f32_e32 v4, v4, v46
	v_dual_add_f32 v5, v5, v42 :: v_dual_fmac_f32 v40, v16, v39
	v_fma_f32 v39, v13, v37, -v43
	s_delay_alu instid0(VALU_DEP_2) | instskip(NEXT) | instid1(VALU_DEP_1)
	v_dual_add_f32 v4, v4, v41 :: v_dual_add_f32 v5, v5, v40
	v_dual_add_f32 v4, v4, v39 :: v_dual_add_f32 v5, v5, v38
.LBB106_15:                             ;   in Loop: Header=BB106_18 Depth=1
	s_or_b32 exec_lo, exec_lo, s27
	s_waitcnt vmcnt(3)
	v_mul_f32_e32 v37, v26, v36
	v_mul_f32_e32 v36, v25, v36
	s_waitcnt vmcnt(1)
	v_dual_mul_f32 v38, v22, v34 :: v_dual_mul_f32 v39, v16, v32
	v_mul_f32_e32 v34, v21, v34
	v_mul_f32_e32 v32, v15, v32
	v_fma_f32 v37, v25, v35, -v37
	s_delay_alu instid0(VALU_DEP_4) | instskip(NEXT) | instid1(VALU_DEP_3)
	v_fma_f32 v38, v21, v33, -v38
	v_fmac_f32_e32 v32, v16, v31
	v_fmac_f32_e32 v34, v22, v33
	v_fmac_f32_e32 v36, v26, v35
	v_add_f32_e32 v6, v6, v37
	s_waitcnt vmcnt(0)
	v_mul_f32_e32 v35, v14, v30
	v_mul_f32_e32 v30, v13, v30
	v_fma_f32 v33, v15, v31, -v39
	v_dual_add_f32 v7, v7, v36 :: v_dual_add_f32 v6, v6, v38
	s_delay_alu instid0(VALU_DEP_4) | instskip(NEXT) | instid1(VALU_DEP_2)
	v_fma_f32 v31, v13, v29, -v35
	v_dual_fmac_f32 v30, v14, v29 :: v_dual_add_f32 v7, v7, v34
	s_delay_alu instid0(VALU_DEP_1) | instskip(NEXT) | instid1(VALU_DEP_1)
	v_dual_add_f32 v6, v6, v33 :: v_dual_add_f32 v7, v7, v32
	v_dual_add_f32 v6, v6, v31 :: v_dual_add_f32 v7, v7, v30
.LBB106_16:                             ;   in Loop: Header=BB106_18 Depth=1
	s_or_b32 exec_lo, exec_lo, s3
	s_waitcnt vmcnt(3)
	v_mul_f32_e32 v29, v26, v28
	v_mul_f32_e32 v28, v25, v28
	s_waitcnt vmcnt(1)
	v_mul_f32_e32 v31, v16, v20
	v_mul_f32_e32 v20, v15, v20
	v_fma_f32 v25, v25, v27, -v29
	v_fmac_f32_e32 v28, v26, v27
	s_waitcnt vmcnt(0)
	v_mul_f32_e32 v26, v14, v18
	v_mul_f32_e32 v18, v13, v18
	v_fma_f32 v15, v15, v19, -v31
	v_dual_add_f32 v8, v8, v25 :: v_dual_add_f32 v9, v9, v28
	v_fmac_f32_e32 v20, v16, v19
	s_delay_alu instid0(VALU_DEP_4) | instskip(SKIP_3) | instid1(VALU_DEP_2)
	v_fmac_f32_e32 v18, v14, v17
	v_mul_f32_e32 v30, v22, v24
	v_mul_f32_e32 v24, v21, v24
	v_fma_f32 v13, v13, v17, -v26
	v_fmac_f32_e32 v24, v22, v23
	s_delay_alu instid0(VALU_DEP_1) | instskip(NEXT) | instid1(VALU_DEP_1)
	v_add_f32_e32 v9, v9, v24
	v_add_f32_e32 v9, v9, v20
	s_delay_alu instid0(VALU_DEP_1) | instskip(SKIP_1) | instid1(VALU_DEP_1)
	v_add_f32_e32 v9, v9, v18
	v_fma_f32 v21, v21, v23, -v30
	v_add_f32_e32 v8, v8, v21
	s_delay_alu instid0(VALU_DEP_1) | instskip(NEXT) | instid1(VALU_DEP_1)
	v_add_f32_e32 v8, v8, v15
	v_add_f32_e32 v8, v8, v13
.LBB106_17:                             ;   in Loop: Header=BB106_18 Depth=1
	s_or_b32 exec_lo, exec_lo, s26
	v_add_nc_u32_e32 v55, 16, v55
	v_add_nc_u32_e32 v56, s17, v56
	;; [unrolled: 1-line block ×5, first 2 shown]
	v_cmp_le_i32_e64 s3, s14, v55
	s_add_i32 s25, s25, s19
	s_delay_alu instid0(VALU_DEP_1) | instskip(NEXT) | instid1(SALU_CYCLE_1)
	s_or_b32 s18, s3, s18
	s_and_not1_b32 exec_lo, exec_lo, s18
	s_cbranch_execz .LBB106_23
.LBB106_18:                             ; =>This Inner Loop Header: Depth=1
	s_and_saveexec_b32 s26, vcc_lo
	s_cbranch_execz .LBB106_17
; %bb.19:                               ;   in Loop: Header=BB106_18 Depth=1
	v_add_nc_u32_e32 v13, s25, v60
	v_add_nc_u32_e32 v15, s25, v12
	;; [unrolled: 1-line block ×5, first 2 shown]
	v_ashrrev_i32_e32 v14, 31, v13
	v_ashrrev_i32_e32 v16, 31, v15
	;; [unrolled: 1-line block ×4, first 2 shown]
	v_add_nc_u32_e32 v23, s8, v56
	v_lshlrev_b64 v[13:14], 3, v[13:14]
	v_lshlrev_b64 v[15:16], 3, v[15:16]
	;; [unrolled: 1-line block ×3, first 2 shown]
	v_ashrrev_i32_e32 v22, 31, v21
	v_lshlrev_b64 v[19:20], 3, v[19:20]
	v_ashrrev_i32_e32 v24, 31, v23
	v_add_co_u32 v13, s3, s10, v13
	s_delay_alu instid0(VALU_DEP_1)
	v_add_co_ci_u32_e64 v14, s3, s11, v14, s3
	v_add_co_u32 v15, s3, s10, v15
	v_add_nc_u32_e32 v25, s8, v10
	v_add_co_ci_u32_e64 v16, s3, s11, v16, s3
	v_add_co_u32 v17, s3, s10, v17
	v_lshlrev_b64 v[21:22], 3, v[21:22]
	v_add_nc_u32_e32 v27, s8, v11
	v_add_co_ci_u32_e64 v18, s3, s11, v18, s3
	v_add_co_u32 v19, s3, s10, v19
	v_lshlrev_b64 v[23:24], 3, v[23:24]
	v_ashrrev_i32_e32 v26, 31, v25
	v_add_co_ci_u32_e64 v20, s3, s11, v20, s3
	v_add_co_u32 v51, s3, s9, v21
	v_ashrrev_i32_e32 v28, 31, v27
	v_add_co_ci_u32_e64 v52, s3, s15, v22, s3
	v_lshlrev_b64 v[21:22], 3, v[25:26]
	v_add_co_u32 v49, s3, s9, v23
	s_delay_alu instid0(VALU_DEP_1) | instskip(SKIP_1) | instid1(VALU_DEP_4)
	v_add_co_ci_u32_e64 v50, s3, s15, v24, s3
	v_lshlrev_b64 v[23:24], 3, v[27:28]
	v_add_co_u32 v47, s3, s9, v21
	s_delay_alu instid0(VALU_DEP_1) | instskip(NEXT) | instid1(VALU_DEP_3)
	v_add_co_ci_u32_e64 v48, s3, s15, v22, s3
	v_add_co_u32 v45, s3, s9, v23
	s_delay_alu instid0(VALU_DEP_1)
	v_add_co_ci_u32_e64 v46, s3, s15, v24, s3
	s_clause 0x3
	global_load_b64 v[25:26], v[13:14], off
	global_load_b64 v[21:22], v[15:16], off
	;; [unrolled: 1-line block ×4, first 2 shown]
	s_clause 0x3
	global_load_b64 v[27:28], v[51:52], off
	global_load_b64 v[23:24], v[49:50], off
	;; [unrolled: 1-line block ×4, first 2 shown]
	s_and_saveexec_b32 s3, s0
	s_cbranch_execz .LBB106_16
; %bb.20:                               ;   in Loop: Header=BB106_18 Depth=1
	s_clause 0x3
	global_load_b64 v[35:36], v[51:52], off offset:512
	global_load_b64 v[33:34], v[49:50], off offset:512
	global_load_b64 v[31:32], v[47:48], off offset:512
	global_load_b64 v[29:30], v[45:46], off offset:512
	s_and_saveexec_b32 s27, s1
	s_cbranch_execz .LBB106_15
; %bb.21:                               ;   in Loop: Header=BB106_18 Depth=1
	s_clause 0x3
	global_load_b64 v[43:44], v[51:52], off offset:1024
	global_load_b64 v[41:42], v[49:50], off offset:1024
	global_load_b64 v[39:40], v[47:48], off offset:1024
	global_load_b64 v[37:38], v[45:46], off offset:1024
	;; [unrolled: 8-line block ×3, first 2 shown]
	s_waitcnt vmcnt(3)
	v_mul_f32_e32 v61, v26, v52
	v_mul_f32_e32 v52, v25, v52
	s_waitcnt vmcnt(1)
	v_dual_mul_f32 v62, v22, v50 :: v_dual_mul_f32 v63, v16, v48
	v_mul_f32_e32 v50, v21, v50
	v_mul_f32_e32 v48, v15, v48
	v_fma_f32 v61, v25, v51, -v61
	s_delay_alu instid0(VALU_DEP_4) | instskip(NEXT) | instid1(VALU_DEP_4)
	v_fma_f32 v62, v21, v49, -v62
	v_fmac_f32_e32 v50, v22, v49
	v_fmac_f32_e32 v52, v26, v51
	s_waitcnt vmcnt(0)
	v_mul_f32_e32 v51, v14, v46
	v_mul_f32_e32 v46, v13, v46
	v_fma_f32 v49, v15, v47, -v63
	s_delay_alu instid0(VALU_DEP_2) | instskip(SKIP_2) | instid1(VALU_DEP_3)
	v_dual_add_f32 v3, v3, v52 :: v_dual_fmac_f32 v46, v14, v45
	v_fmac_f32_e32 v48, v16, v47
	v_fma_f32 v47, v13, v45, -v51
	v_dual_add_f32 v3, v3, v50 :: v_dual_add_f32 v2, v2, v61
	s_delay_alu instid0(VALU_DEP_1) | instskip(NEXT) | instid1(VALU_DEP_1)
	v_dual_add_f32 v3, v3, v48 :: v_dual_add_f32 v2, v2, v62
	v_dual_add_f32 v3, v3, v46 :: v_dual_add_f32 v2, v2, v49
	s_delay_alu instid0(VALU_DEP_1)
	v_add_f32_e32 v2, v2, v47
	s_branch .LBB106_14
.LBB106_23:
	s_or_b32 exec_lo, exec_lo, s18
.LBB106_24:
	s_delay_alu instid0(SALU_CYCLE_1) | instskip(SKIP_1) | instid1(SALU_CYCLE_1)
	s_or_b32 exec_lo, exec_lo, s16
	s_sub_i32 s0, s5, s14
	s_cmp_lt_i32 s0, 1
	s_cbranch_scc1 .LBB106_42
; %bb.25:
	v_cmp_gt_i32_e32 vcc_lo, s5, v55
	v_dual_mov_b32 v10, 0 :: v_dual_mov_b32 v11, 0
	v_or_b32_e32 v18, 1, v55
	v_dual_mov_b32 v12, 0 :: v_dual_mov_b32 v13, 0
	v_dual_mov_b32 v14, 0 :: v_dual_mov_b32 v15, 0
	;; [unrolled: 1-line block ×3, first 2 shown]
	s_and_saveexec_b32 s1, vcc_lo
	s_cbranch_execz .LBB106_33
; %bb.26:
	v_mul_lo_u32 v10, v55, s20
	v_dual_mov_b32 v17, 0 :: v_dual_mov_b32 v16, 0
	v_dual_mov_b32 v15, 0 :: v_dual_mov_b32 v14, 0
	;; [unrolled: 1-line block ×3, first 2 shown]
	s_mov_b32 s2, exec_lo
	s_delay_alu instid0(VALU_DEP_4) | instskip(NEXT) | instid1(VALU_DEP_1)
	v_ashrrev_i32_e32 v11, 31, v10
	v_lshlrev_b64 v[10:11], 3, v[10:11]
	s_delay_alu instid0(VALU_DEP_1) | instskip(NEXT) | instid1(VALU_DEP_1)
	v_add_co_u32 v10, s0, s10, v10
	v_add_co_ci_u32_e64 v11, s0, s11, v11, s0
	global_load_b64 v[10:11], v[10:11], off
	v_cmpx_gt_i32_e64 s5, v18
	s_cbranch_execz .LBB106_32
; %bb.27:
	v_mul_lo_u32 v12, v18, s20
	v_or_b32_e32 v19, 2, v55
	v_dual_mov_b32 v17, 0 :: v_dual_mov_b32 v16, 0
	v_dual_mov_b32 v15, 0 :: v_dual_mov_b32 v14, 0
	s_mov_b32 s3, exec_lo
	s_delay_alu instid0(VALU_DEP_4) | instskip(NEXT) | instid1(VALU_DEP_1)
	v_ashrrev_i32_e32 v13, 31, v12
	v_lshlrev_b64 v[12:13], 3, v[12:13]
	s_delay_alu instid0(VALU_DEP_1) | instskip(NEXT) | instid1(VALU_DEP_1)
	v_add_co_u32 v12, s0, s10, v12
	v_add_co_ci_u32_e64 v13, s0, s11, v13, s0
	global_load_b64 v[12:13], v[12:13], off
	v_cmpx_gt_i32_e64 s5, v19
	s_cbranch_execz .LBB106_31
; %bb.28:
	v_mul_lo_u32 v14, v19, s20
	v_or_b32_e32 v19, 3, v55
	v_dual_mov_b32 v17, 0 :: v_dual_mov_b32 v16, 0
	s_mov_b32 s14, exec_lo
	s_delay_alu instid0(VALU_DEP_3) | instskip(NEXT) | instid1(VALU_DEP_1)
	v_ashrrev_i32_e32 v15, 31, v14
	v_lshlrev_b64 v[14:15], 3, v[14:15]
	s_delay_alu instid0(VALU_DEP_1) | instskip(NEXT) | instid1(VALU_DEP_1)
	v_add_co_u32 v14, s0, s10, v14
	v_add_co_ci_u32_e64 v15, s0, s11, v15, s0
	global_load_b64 v[14:15], v[14:15], off
	v_cmpx_gt_i32_e64 s5, v19
	s_cbranch_execz .LBB106_30
; %bb.29:
	v_mul_lo_u32 v16, v19, s20
	s_delay_alu instid0(VALU_DEP_1) | instskip(NEXT) | instid1(VALU_DEP_1)
	v_ashrrev_i32_e32 v17, 31, v16
	v_lshlrev_b64 v[16:17], 3, v[16:17]
	s_delay_alu instid0(VALU_DEP_1) | instskip(NEXT) | instid1(VALU_DEP_1)
	v_add_co_u32 v16, s0, s10, v16
	v_add_co_ci_u32_e64 v17, s0, s11, v17, s0
	global_load_b64 v[16:17], v[16:17], off
.LBB106_30:
	s_or_b32 exec_lo, exec_lo, s14
.LBB106_31:
	s_delay_alu instid0(SALU_CYCLE_1)
	s_or_b32 exec_lo, exec_lo, s3
.LBB106_32:
	s_delay_alu instid0(SALU_CYCLE_1)
	s_or_b32 exec_lo, exec_lo, s2
.LBB106_33:
	s_delay_alu instid0(SALU_CYCLE_1) | instskip(NEXT) | instid1(SALU_CYCLE_1)
	s_or_b32 exec_lo, exec_lo, s1
	s_mov_b32 s1, exec_lo
	v_cmpx_gt_i32_e64 s4, v54
	s_cbranch_execz .LBB106_41
; %bb.34:
	v_mul_lo_u32 v19, v55, s24
	v_mul_lo_u32 v20, v18, s24
	v_or_b32_e32 v21, 2, v55
	v_or_b32_e32 v22, 3, v55
	s_mov_b32 s0, exec_lo
	s_delay_alu instid0(VALU_DEP_2)
	v_mul_lo_u32 v23, v21, s24
	v_cndmask_b32_e32 v19, 0, v19, vcc_lo
	v_cmp_gt_i32_e32 vcc_lo, s5, v18
	v_mul_lo_u32 v24, v22, s24
	v_cndmask_b32_e32 v20, 0, v20, vcc_lo
	v_cmp_gt_i32_e32 vcc_lo, s5, v21
	v_add_nc_u32_e32 v18, v19, v54
	s_delay_alu instid0(VALU_DEP_3) | instskip(NEXT) | instid1(VALU_DEP_2)
	v_dual_cndmask_b32 v23, 0, v23 :: v_dual_add_nc_u32 v20, v20, v54
	v_ashrrev_i32_e32 v19, 31, v18
	v_cmp_gt_i32_e32 vcc_lo, s5, v22
	s_delay_alu instid0(VALU_DEP_3) | instskip(NEXT) | instid1(VALU_DEP_3)
	v_ashrrev_i32_e32 v21, 31, v20
	v_lshlrev_b64 v[18:19], 3, v[18:19]
	v_cndmask_b32_e32 v24, 0, v24, vcc_lo
	s_delay_alu instid0(VALU_DEP_3) | instskip(NEXT) | instid1(VALU_DEP_2)
	v_lshlrev_b64 v[20:21], 3, v[20:21]
	v_add_nc_u32_e32 v26, v24, v54
	s_delay_alu instid0(VALU_DEP_4) | instskip(SKIP_1) | instid1(VALU_DEP_4)
	v_add_co_u32 v24, vcc_lo, s9, v18
	v_add_co_ci_u32_e32 v25, vcc_lo, s15, v19, vcc_lo
	v_add_co_u32 v20, vcc_lo, s9, v20
	v_add_co_ci_u32_e32 v21, vcc_lo, s15, v21, vcc_lo
	s_clause 0x1
	global_load_b64 v[28:29], v[24:25], off
	global_load_b64 v[30:31], v[20:21], off
	s_waitcnt vmcnt(0)
	v_dual_mul_f32 v35, v13, v31 :: v_dual_add_nc_u32 v22, v23, v54
	v_dual_mul_f32 v31, v12, v31 :: v_dual_mul_f32 v34, v11, v29
	v_mul_f32_e32 v29, v10, v29
	s_delay_alu instid0(VALU_DEP_3) | instskip(NEXT) | instid1(VALU_DEP_3)
	v_ashrrev_i32_e32 v23, 31, v22
	v_fmac_f32_e32 v31, v13, v30
	s_delay_alu instid0(VALU_DEP_4) | instskip(NEXT) | instid1(VALU_DEP_4)
	v_fma_f32 v34, v10, v28, -v34
	v_fmac_f32_e32 v29, v11, v28
	v_ashrrev_i32_e32 v27, 31, v26
	v_lshlrev_b64 v[18:19], 3, v[22:23]
	v_fma_f32 v28, v12, v30, -v35
	s_delay_alu instid0(VALU_DEP_4) | instskip(NEXT) | instid1(VALU_DEP_4)
	v_dual_add_f32 v8, v8, v34 :: v_dual_add_f32 v29, v9, v29
	v_lshlrev_b64 v[26:27], 3, v[26:27]
	s_delay_alu instid0(VALU_DEP_4) | instskip(SKIP_1) | instid1(VALU_DEP_3)
	v_add_co_u32 v22, vcc_lo, s9, v18
	v_add_co_ci_u32_e32 v23, vcc_lo, s15, v19, vcc_lo
	v_add_co_u32 v18, vcc_lo, s9, v26
	s_delay_alu instid0(VALU_DEP_4)
	v_add_co_ci_u32_e32 v19, vcc_lo, s15, v27, vcc_lo
	s_clause 0x1
	global_load_b64 v[26:27], v[22:23], off
	global_load_b64 v[32:33], v[18:19], off
	s_waitcnt vmcnt(0)
	v_dual_mul_f32 v30, v15, v27 :: v_dual_mul_f32 v35, v17, v33
	v_mul_f32_e32 v27, v14, v27
	v_mul_f32_e32 v9, v16, v33
	s_delay_alu instid0(VALU_DEP_3) | instskip(NEXT) | instid1(VALU_DEP_3)
	v_fma_f32 v30, v14, v26, -v30
	v_dual_fmac_f32 v27, v15, v26 :: v_dual_add_f32 v26, v8, v28
	v_dual_add_f32 v28, v29, v31 :: v_dual_add_nc_u32 v29, 64, v54
	v_fma_f32 v8, v16, v32, -v35
	s_delay_alu instid0(VALU_DEP_3) | instskip(NEXT) | instid1(VALU_DEP_3)
	v_dual_fmac_f32 v9, v17, v32 :: v_dual_add_f32 v26, v26, v30
	v_add_f32_e32 v27, v28, v27
	s_delay_alu instid0(VALU_DEP_4)
	v_cmpx_gt_i32_e64 s4, v29
	s_cbranch_execz .LBB106_40
; %bb.35:
	s_clause 0x3
	global_load_b64 v[28:29], v[24:25], off offset:512
	global_load_b64 v[30:31], v[20:21], off offset:512
	;; [unrolled: 1-line block ×4, first 2 shown]
	s_mov_b32 s2, exec_lo
	s_waitcnt vmcnt(2)
	v_dual_mul_f32 v36, v11, v29 :: v_dual_mul_f32 v37, v13, v31
	v_mul_f32_e32 v29, v10, v29
	s_waitcnt vmcnt(1)
	v_dual_mul_f32 v31, v12, v31 :: v_dual_mul_f32 v38, v15, v33
	s_delay_alu instid0(VALU_DEP_3) | instskip(SKIP_1) | instid1(VALU_DEP_3)
	v_fma_f32 v36, v10, v28, -v36
	v_fma_f32 v37, v12, v30, -v37
	v_fmac_f32_e32 v31, v13, v30
	s_delay_alu instid0(VALU_DEP_4) | instskip(NEXT) | instid1(VALU_DEP_4)
	v_fma_f32 v30, v14, v32, -v38
	v_add_f32_e32 v6, v6, v36
	v_mul_f32_e32 v33, v14, v33
	s_waitcnt vmcnt(0)
	v_dual_fmac_f32 v29, v11, v28 :: v_dual_mul_f32 v28, v17, v35
	s_delay_alu instid0(VALU_DEP_2) | instskip(NEXT) | instid1(VALU_DEP_2)
	v_dual_fmac_f32 v33, v15, v32 :: v_dual_add_f32 v32, v6, v37
	v_add_f32_e32 v29, v7, v29
	v_mul_f32_e32 v7, v16, v35
	s_delay_alu instid0(VALU_DEP_4) | instskip(NEXT) | instid1(VALU_DEP_3)
	v_fma_f32 v6, v16, v34, -v28
	v_dual_add_f32 v28, v32, v30 :: v_dual_add_f32 v29, v29, v31
	v_add_nc_u32_e32 v31, 0x80, v54
	s_delay_alu instid0(VALU_DEP_4) | instskip(NEXT) | instid1(VALU_DEP_3)
	v_fmac_f32_e32 v7, v17, v34
	v_add_f32_e32 v29, v29, v33
	s_delay_alu instid0(VALU_DEP_3)
	v_cmpx_gt_i32_e64 s4, v31
	s_cbranch_execz .LBB106_39
; %bb.36:
	s_clause 0x3
	global_load_b64 v[30:31], v[24:25], off offset:1024
	global_load_b64 v[32:33], v[20:21], off offset:1024
	;; [unrolled: 1-line block ×4, first 2 shown]
	s_mov_b32 s3, exec_lo
	s_waitcnt vmcnt(2)
	v_dual_mul_f32 v38, v11, v31 :: v_dual_mul_f32 v39, v13, v33
	v_mul_f32_e32 v31, v10, v31
	s_waitcnt vmcnt(1)
	v_dual_mul_f32 v33, v12, v33 :: v_dual_mul_f32 v40, v15, v35
	s_delay_alu instid0(VALU_DEP_3) | instskip(SKIP_2) | instid1(VALU_DEP_4)
	v_fma_f32 v38, v10, v30, -v38
	v_mul_f32_e32 v35, v14, v35
	v_fma_f32 v39, v12, v32, -v39
	v_fmac_f32_e32 v33, v13, v32
	v_fma_f32 v32, v14, v34, -v40
	v_add_f32_e32 v4, v4, v38
	s_waitcnt vmcnt(0)
	v_dual_fmac_f32 v31, v11, v30 :: v_dual_mul_f32 v30, v17, v37
	s_delay_alu instid0(VALU_DEP_2) | instskip(NEXT) | instid1(VALU_DEP_2)
	v_dual_fmac_f32 v35, v15, v34 :: v_dual_add_f32 v34, v4, v39
	v_add_f32_e32 v31, v5, v31
	v_mul_f32_e32 v5, v16, v37
	s_delay_alu instid0(VALU_DEP_4) | instskip(NEXT) | instid1(VALU_DEP_3)
	v_fma_f32 v4, v16, v36, -v30
	v_dual_add_f32 v30, v34, v32 :: v_dual_add_f32 v31, v31, v33
	v_add_nc_u32_e32 v33, 0xc0, v54
	s_delay_alu instid0(VALU_DEP_4) | instskip(NEXT) | instid1(VALU_DEP_3)
	v_fmac_f32_e32 v5, v17, v36
	v_add_f32_e32 v31, v31, v35
	s_delay_alu instid0(VALU_DEP_3)
	v_cmpx_gt_i32_e64 s4, v33
	s_cbranch_execz .LBB106_38
; %bb.37:
	s_clause 0x3
	global_load_b64 v[24:25], v[24:25], off offset:1536
	global_load_b64 v[20:21], v[20:21], off offset:1536
	;; [unrolled: 1-line block ×4, first 2 shown]
	s_waitcnt vmcnt(3)
	v_mul_f32_e32 v32, v11, v25
	s_waitcnt vmcnt(1)
	v_dual_mul_f32 v25, v10, v25 :: v_dual_mul_f32 v34, v15, v23
	v_mul_f32_e32 v23, v14, v23
	s_delay_alu instid0(VALU_DEP_3) | instskip(SKIP_1) | instid1(VALU_DEP_4)
	v_fma_f32 v10, v10, v24, -v32
	v_mul_f32_e32 v33, v13, v21
	v_fmac_f32_e32 v25, v11, v24
	s_delay_alu instid0(VALU_DEP_4) | instskip(NEXT) | instid1(VALU_DEP_4)
	v_fmac_f32_e32 v23, v15, v22
	v_add_f32_e32 v2, v2, v10
	s_waitcnt vmcnt(0)
	v_mul_f32_e32 v10, v16, v19
	v_mul_f32_e32 v21, v12, v21
	v_fma_f32 v12, v12, v20, -v33
	s_delay_alu instid0(VALU_DEP_3) | instskip(NEXT) | instid1(VALU_DEP_2)
	v_dual_add_f32 v3, v3, v25 :: v_dual_fmac_f32 v10, v17, v18
	v_add_f32_e32 v2, v2, v12
	s_delay_alu instid0(VALU_DEP_4) | instskip(SKIP_1) | instid1(VALU_DEP_1)
	v_fmac_f32_e32 v21, v13, v20
	v_fma_f32 v13, v14, v22, -v34
	v_dual_mul_f32 v11, v17, v19 :: v_dual_add_f32 v2, v2, v13
	s_delay_alu instid0(VALU_DEP_1) | instskip(NEXT) | instid1(VALU_DEP_1)
	v_fma_f32 v11, v16, v18, -v11
	v_dual_add_f32 v2, v2, v11 :: v_dual_add_f32 v3, v3, v21
	s_delay_alu instid0(VALU_DEP_1) | instskip(NEXT) | instid1(VALU_DEP_1)
	v_add_f32_e32 v3, v3, v23
	v_add_f32_e32 v3, v3, v10
.LBB106_38:
	s_or_b32 exec_lo, exec_lo, s3
	s_delay_alu instid0(VALU_DEP_2)
	v_dual_add_f32 v4, v30, v4 :: v_dual_add_f32 v5, v31, v5
.LBB106_39:
	s_or_b32 exec_lo, exec_lo, s2
	s_delay_alu instid0(VALU_DEP_2)
	v_dual_add_f32 v6, v28, v6 :: v_dual_add_f32 v7, v29, v7
.LBB106_40:
	s_or_b32 exec_lo, exec_lo, s0
	s_delay_alu instid0(VALU_DEP_2)
	v_dual_add_f32 v8, v26, v8 :: v_dual_add_f32 v9, v27, v9
.LBB106_41:
	s_or_b32 exec_lo, exec_lo, s1
.LBB106_42:
	s_waitcnt vmcnt(0)
	v_lshlrev_b32_e32 v10, 8, v53
	s_mov_b32 s0, exec_lo
	s_delay_alu instid0(VALU_DEP_1)
	v_add_lshl_u32 v1, v10, v1, 3
	ds_store_2addr_stride64_b64 v1, v[8:9], v[6:7] offset1:1
	ds_store_2addr_stride64_b64 v1, v[4:5], v[2:3] offset0:2 offset1:3
	s_waitcnt lgkmcnt(0)
	s_waitcnt_vscnt null, 0x0
	s_barrier
	buffer_gl0_inv
	v_cmpx_gt_u32_e32 0x100, v0
	s_cbranch_execz .LBB106_47
; %bb.43:
	v_lshlrev_b32_e32 v9, 3, v0
	v_or_b32_e32 v0, s8, v0
	ds_load_2addr_stride64_b64 v[1:4], v9 offset1:4
	ds_load_2addr_stride64_b64 v[5:8], v9 offset0:8 offset1:12
	v_cmp_gt_i32_e32 vcc_lo, s4, v0
	s_waitcnt lgkmcnt(1)
	v_dual_add_f32 v1, v1, v3 :: v_dual_add_f32 v2, v2, v4
	s_waitcnt lgkmcnt(0)
	s_delay_alu instid0(VALU_DEP_1) | instskip(NEXT) | instid1(VALU_DEP_1)
	v_add_f32_e32 v1, v1, v5
	v_dual_add_f32 v3, v2, v6 :: v_dual_add_f32 v2, v1, v7
	s_delay_alu instid0(VALU_DEP_1)
	v_add_f32_e32 v3, v3, v8
	ds_store_b64 v9, v[2:3]
	s_and_b32 exec_lo, exec_lo, vcc_lo
	s_cbranch_execz .LBB106_47
; %bb.44:
	v_mul_lo_u32 v4, v0, s23
	v_mul_f32_e32 v1, s6, v3
	v_mul_f32_e32 v0, s7, v3
	v_cmp_neq_f32_e64 s0, s12, 0
	v_cmp_neq_f32_e64 s1, s13, 0
	s_delay_alu instid0(VALU_DEP_4) | instskip(NEXT) | instid1(VALU_DEP_4)
	v_fmac_f32_e32 v1, s7, v2
	v_fma_f32 v0, v2, s6, -v0
	v_ashrrev_i32_e32 v5, 31, v4
	s_delay_alu instid0(VALU_DEP_4) | instskip(NEXT) | instid1(SALU_CYCLE_1)
	s_or_b32 s0, s0, s1
	s_and_not1_b32 vcc_lo, exec_lo, s0
	s_delay_alu instid0(VALU_DEP_1)
	v_lshlrev_b64 v[3:4], 3, v[4:5]
	s_cbranch_vccnz .LBB106_46
; %bb.45:
	s_delay_alu instid0(VALU_DEP_1) | instskip(NEXT) | instid1(VALU_DEP_2)
	v_add_co_u32 v5, vcc_lo, s21, v3
	v_add_co_ci_u32_e32 v6, vcc_lo, s22, v4, vcc_lo
	global_load_b64 v[5:6], v[5:6], off
	s_waitcnt vmcnt(0)
	v_mul_f32_e32 v2, s13, v6
	v_mul_f32_e32 v6, s12, v6
	s_delay_alu instid0(VALU_DEP_2) | instskip(NEXT) | instid1(VALU_DEP_2)
	v_fma_f32 v2, s12, v5, -v2
	v_fmac_f32_e32 v6, s13, v5
	s_delay_alu instid0(VALU_DEP_2) | instskip(NEXT) | instid1(VALU_DEP_2)
	v_add_f32_e32 v0, v0, v2
	v_add_f32_e32 v1, v1, v6
.LBB106_46:
	s_delay_alu instid0(VALU_DEP_1) | instskip(NEXT) | instid1(VALU_DEP_2)
	v_add_co_u32 v2, vcc_lo, s21, v3
	v_add_co_ci_u32_e32 v3, vcc_lo, s22, v4, vcc_lo
	global_store_b64 v[2:3], v[0:1], off
.LBB106_47:
	s_nop 0
	s_sendmsg sendmsg(MSG_DEALLOC_VGPRS)
	s_endpgm
	.section	.rodata,"a",@progbits
	.p2align	6, 0x0
	.amdhsa_kernel _ZL20rocblas_gemvn_kernelILi64ELi4Ei19rocblas_complex_numIfES1_S1_EviiT3_lPKT2_lT1_lS5_lS6_lS2_lPT4_lS6_li
		.amdhsa_group_segment_fixed_size 8192
		.amdhsa_private_segment_fixed_size 0
		.amdhsa_kernarg_size 400
		.amdhsa_user_sgpr_count 14
		.amdhsa_user_sgpr_dispatch_ptr 0
		.amdhsa_user_sgpr_queue_ptr 0
		.amdhsa_user_sgpr_kernarg_segment_ptr 1
		.amdhsa_user_sgpr_dispatch_id 0
		.amdhsa_user_sgpr_private_segment_size 0
		.amdhsa_wavefront_size32 1
		.amdhsa_uses_dynamic_stack 0
		.amdhsa_enable_private_segment 0
		.amdhsa_system_sgpr_workgroup_id_x 1
		.amdhsa_system_sgpr_workgroup_id_y 0
		.amdhsa_system_sgpr_workgroup_id_z 1
		.amdhsa_system_sgpr_workgroup_info 0
		.amdhsa_system_vgpr_workitem_id 1
		.amdhsa_next_free_vgpr 64
		.amdhsa_next_free_sgpr 29
		.amdhsa_reserve_vcc 1
		.amdhsa_float_round_mode_32 0
		.amdhsa_float_round_mode_16_64 0
		.amdhsa_float_denorm_mode_32 3
		.amdhsa_float_denorm_mode_16_64 3
		.amdhsa_dx10_clamp 1
		.amdhsa_ieee_mode 1
		.amdhsa_fp16_overflow 0
		.amdhsa_workgroup_processor_mode 1
		.amdhsa_memory_ordered 1
		.amdhsa_forward_progress 0
		.amdhsa_shared_vgpr_count 0
		.amdhsa_exception_fp_ieee_invalid_op 0
		.amdhsa_exception_fp_denorm_src 0
		.amdhsa_exception_fp_ieee_div_zero 0
		.amdhsa_exception_fp_ieee_overflow 0
		.amdhsa_exception_fp_ieee_underflow 0
		.amdhsa_exception_fp_ieee_inexact 0
		.amdhsa_exception_int_div_zero 0
	.end_amdhsa_kernel
	.section	.text._ZL20rocblas_gemvn_kernelILi64ELi4Ei19rocblas_complex_numIfES1_S1_EviiT3_lPKT2_lT1_lS5_lS6_lS2_lPT4_lS6_li,"axG",@progbits,_ZL20rocblas_gemvn_kernelILi64ELi4Ei19rocblas_complex_numIfES1_S1_EviiT3_lPKT2_lT1_lS5_lS6_lS2_lPT4_lS6_li,comdat
.Lfunc_end106:
	.size	_ZL20rocblas_gemvn_kernelILi64ELi4Ei19rocblas_complex_numIfES1_S1_EviiT3_lPKT2_lT1_lS5_lS6_lS2_lPT4_lS6_li, .Lfunc_end106-_ZL20rocblas_gemvn_kernelILi64ELi4Ei19rocblas_complex_numIfES1_S1_EviiT3_lPKT2_lT1_lS5_lS6_lS2_lPT4_lS6_li
                                        ; -- End function
	.section	.AMDGPU.csdata,"",@progbits
; Kernel info:
; codeLenInByte = 3840
; NumSgprs: 31
; NumVgprs: 64
; ScratchSize: 0
; MemoryBound: 0
; FloatMode: 240
; IeeeMode: 1
; LDSByteSize: 8192 bytes/workgroup (compile time only)
; SGPRBlocks: 3
; VGPRBlocks: 7
; NumSGPRsForWavesPerEU: 31
; NumVGPRsForWavesPerEU: 64
; Occupancy: 16
; WaveLimiterHint : 1
; COMPUTE_PGM_RSRC2:SCRATCH_EN: 0
; COMPUTE_PGM_RSRC2:USER_SGPR: 14
; COMPUTE_PGM_RSRC2:TRAP_HANDLER: 0
; COMPUTE_PGM_RSRC2:TGID_X_EN: 1
; COMPUTE_PGM_RSRC2:TGID_Y_EN: 0
; COMPUTE_PGM_RSRC2:TGID_Z_EN: 1
; COMPUTE_PGM_RSRC2:TIDIG_COMP_CNT: 1
	.section	.text._ZL20rocblas_gemvn_kernelILi64ELi4El19rocblas_complex_numIfES1_S1_EviiT3_lPKT2_lT1_lS5_lS6_lS2_lPT4_lS6_li,"axG",@progbits,_ZL20rocblas_gemvn_kernelILi64ELi4El19rocblas_complex_numIfES1_S1_EviiT3_lPKT2_lT1_lS5_lS6_lS2_lPT4_lS6_li,comdat
	.globl	_ZL20rocblas_gemvn_kernelILi64ELi4El19rocblas_complex_numIfES1_S1_EviiT3_lPKT2_lT1_lS5_lS6_lS2_lPT4_lS6_li ; -- Begin function _ZL20rocblas_gemvn_kernelILi64ELi4El19rocblas_complex_numIfES1_S1_EviiT3_lPKT2_lT1_lS5_lS6_lS2_lPT4_lS6_li
	.p2align	8
	.type	_ZL20rocblas_gemvn_kernelILi64ELi4El19rocblas_complex_numIfES1_S1_EviiT3_lPKT2_lT1_lS5_lS6_lS2_lPT4_lS6_li,@function
_ZL20rocblas_gemvn_kernelILi64ELi4El19rocblas_complex_numIfES1_S1_EviiT3_lPKT2_lT1_lS5_lS6_lS2_lPT4_lS6_li: ; @_ZL20rocblas_gemvn_kernelILi64ELi4El19rocblas_complex_numIfES1_S1_EviiT3_lPKT2_lT1_lS5_lS6_lS2_lPT4_lS6_li
; %bb.0:
	s_load_b64 s[2:3], s[0:1], 0x9c
	s_waitcnt lgkmcnt(0)
	s_lshr_b32 s4, s2, 16
	s_and_b32 s2, s2, 0xffff
	s_and_b32 s3, s3, 0xffff
	s_mul_i32 s2, s4, s2
	s_delay_alu instid0(SALU_CYCLE_1) | instskip(NEXT) | instid1(SALU_CYCLE_1)
	s_mul_i32 s2, s2, s3
	s_cmpk_lg_i32 s2, 0x100
	s_cbranch_scc1 .LBB107_47
; %bb.1:
	s_clause 0x1
	s_load_b128 s[36:39], s[0:1], 0x0
	s_load_b64 s[12:13], s[0:1], 0x58
	s_waitcnt lgkmcnt(0)
	v_cmp_neq_f32_e64 s2, s38, 0
	v_cmp_neq_f32_e64 s3, s39, 0
	s_delay_alu instid0(VALU_DEP_1) | instskip(NEXT) | instid1(SALU_CYCLE_1)
	s_or_b32 s2, s2, s3
	s_and_b32 vcc_lo, exec_lo, s2
	s_mov_b32 s2, -1
	s_cbranch_vccnz .LBB107_3
; %bb.2:
	v_cmp_neq_f32_e64 s2, s12, 1.0
	v_cmp_neq_f32_e64 s3, s13, 0
	s_delay_alu instid0(VALU_DEP_1)
	s_or_b32 s2, s2, s3
.LBB107_3:
	s_delay_alu instid0(SALU_CYCLE_1)
	s_and_not1_b32 vcc_lo, exec_lo, s2
	s_cbranch_vccnz .LBB107_47
; %bb.4:
	s_load_b256 s[4:11], s[0:1], 0x68
	v_and_b32_e32 v55, 0x3ff, v0
	v_bfe_u32 v56, v0, 10, 10
	s_delay_alu instid0(VALU_DEP_1) | instskip(NEXT) | instid1(VALU_DEP_1)
	v_lshl_add_u32 v54, v56, 6, v55
	v_cmp_gt_u32_e32 vcc_lo, 0x100, v54
	s_waitcnt lgkmcnt(0)
	s_mul_i32 s3, s15, s11
	s_mul_hi_u32 s11, s15, s10
	s_mul_i32 s2, s15, s10
	s_add_i32 s3, s11, s3
	s_delay_alu instid0(SALU_CYCLE_1) | instskip(NEXT) | instid1(SALU_CYCLE_1)
	s_lshl_b64 s[2:3], s[2:3], 3
	s_add_u32 s4, s4, s2
	s_addc_u32 s10, s5, s3
	s_lshl_b64 s[2:3], s[6:7], 3
	s_delay_alu instid0(SALU_CYCLE_1) | instskip(SKIP_2) | instid1(SALU_CYCLE_1)
	s_add_u32 s5, s4, s2
	s_addc_u32 s33, s10, s3
	s_or_b32 s2, s38, s39
	s_bitset0_b32 s2, 31
	s_delay_alu instid0(SALU_CYCLE_1)
	s_cmp_lg_u32 s2, 0
	s_mov_b32 s2, -1
	s_cbranch_scc1 .LBB107_11
; %bb.5:
	s_and_saveexec_b32 s2, vcc_lo
	s_cbranch_execz .LBB107_10
; %bb.6:
	v_lshl_or_b32 v0, s14, 8, v54
	v_mov_b32_e32 v1, 0
	s_ashr_i32 s7, s36, 31
	s_mov_b32 s6, s36
	s_delay_alu instid0(VALU_DEP_1) | instid1(SALU_CYCLE_1)
	v_cmp_gt_i64_e32 vcc_lo, s[6:7], v[0:1]
	s_and_b32 exec_lo, exec_lo, vcc_lo
	s_cbranch_execz .LBB107_10
; %bb.7:
	v_mad_u64_u32 v[2:3], null, v0, s8, 0
	v_cmp_neq_f32_e64 s3, s12, 0
	v_cmp_neq_f32_e64 s4, s13, 0
	s_delay_alu instid0(VALU_DEP_1) | instskip(NEXT) | instid1(VALU_DEP_3)
	s_or_b32 s3, s3, s4
	v_mad_u64_u32 v[4:5], null, v0, s9, v[3:4]
	s_and_not1_b32 vcc_lo, exec_lo, s3
	s_delay_alu instid0(VALU_DEP_1) | instskip(NEXT) | instid1(VALU_DEP_1)
	v_dual_mov_b32 v3, v4 :: v_dual_mov_b32 v4, v1
	v_lshlrev_b64 v[2:3], 3, v[2:3]
	s_cbranch_vccnz .LBB107_9
; %bb.8:
	s_delay_alu instid0(VALU_DEP_1) | instskip(NEXT) | instid1(VALU_DEP_2)
	v_add_co_u32 v0, vcc_lo, s5, v2
	v_add_co_ci_u32_e32 v1, vcc_lo, s33, v3, vcc_lo
	global_load_b64 v[0:1], v[0:1], off
	s_waitcnt vmcnt(0)
	v_mul_f32_e32 v4, s12, v1
	s_delay_alu instid0(VALU_DEP_1) | instskip(NEXT) | instid1(VALU_DEP_1)
	v_dual_mul_f32 v5, s13, v1 :: v_dual_fmac_f32 v4, s13, v0
	v_fma_f32 v1, s12, v0, -v5
.LBB107_9:
	s_delay_alu instid0(VALU_DEP_1) | instskip(NEXT) | instid1(VALU_DEP_2)
	v_add_co_u32 v5, vcc_lo, s5, v2
	v_add_co_ci_u32_e32 v6, vcc_lo, s33, v3, vcc_lo
	s_delay_alu instid0(VALU_DEP_3)
	v_mov_b32_e32 v3, v1
	global_store_b64 v[5:6], v[3:4], off
.LBB107_10:
	s_or_b32 exec_lo, exec_lo, s2
	s_mov_b32 s2, 0
.LBB107_11:
	s_delay_alu instid0(SALU_CYCLE_1)
	s_and_not1_b32 vcc_lo, exec_lo, s2
	s_cbranch_vccnz .LBB107_47
; %bb.12:
	s_load_b512 s[16:31], s[0:1], 0x18
	s_ashr_i32 s0, s37, 31
	s_lshl_b32 s34, s14, 8
	s_lshr_b32 s0, s0, 28
	v_dual_mov_b32 v0, 0 :: v_dual_lshlrev_b32 v57, 2, v56
	s_add_i32 s0, s37, s0
	v_dual_mov_b32 v1, 0 :: v_dual_mov_b32 v4, 0
	v_dual_mov_b32 v5, 0 :: v_dual_mov_b32 v6, 0
	;; [unrolled: 1-line block ×3, first 2 shown]
	v_dual_mov_b32 v9, 0 :: v_dual_add_nc_u32 v2, s34, v55
	s_and_b32 s35, s0, -16
	s_mov_b32 s40, exec_lo
	s_waitcnt lgkmcnt(0)
	s_mul_i32 s0, s15, s23
	s_mul_hi_u32 s1, s15, s22
	s_mul_i32 s2, s15, s31
	s_mul_hi_u32 s3, s15, s30
	s_mul_i32 s6, s15, s22
	s_add_i32 s7, s1, s0
	s_add_i32 s11, s3, s2
	s_mul_i32 s10, s15, s30
	v_cmpx_gt_i32_e64 s35, v57
	s_cbranch_execz .LBB107_24
; %bb.13:
	v_mad_u64_u32 v[0:1], null, s28, v56, 0
	s_lshl_b64 s[0:1], s[26:27], 3
	v_add_nc_u32_e32 v10, 0xc0, v2
	s_lshl_b64 s[2:3], s[10:11], 3
	s_add_u32 s0, s24, s0
	s_addc_u32 s4, s25, s1
	s_add_u32 s14, s0, s2
	s_delay_alu instid0(VALU_DEP_2)
	v_mad_u64_u32 v[4:5], null, s29, v56, v[1:2]
	v_lshlrev_b32_e32 v16, 2, v56
	v_cmp_gt_i32_e64 s2, s36, v10
	s_addc_u32 s4, s4, s3
	v_ashrrev_i32_e32 v3, 31, v2
	s_lshl_b64 s[22:23], s[18:19], 3
	s_lshl_b64 s[30:31], s[6:7], 3
	s_delay_alu instid0(VALU_DEP_4)
	v_mov_b32_e32 v1, v4
	v_or_b32_e32 v9, 3, v16
	v_or_b32_e32 v17, 2, v16
	v_lshlrev_b64 v[12:13], 3, v[2:3]
	v_cmp_gt_i32_e32 vcc_lo, s36, v2
	v_lshlrev_b64 v[0:1], 5, v[0:1]
	v_mad_u64_u32 v[5:6], null, s20, v9, 0
	v_add_nc_u32_e32 v7, 64, v2
	s_mov_b32 s41, 0
	s_delay_alu instid0(VALU_DEP_3) | instskip(NEXT) | instid1(VALU_DEP_1)
	v_add_co_u32 v10, s3, s14, v0
	v_add_co_ci_u32_e64 v11, s3, s4, v1, s3
	s_delay_alu instid0(VALU_DEP_4) | instskip(SKIP_3) | instid1(VALU_DEP_3)
	v_mov_b32_e32 v4, v6
	v_mad_u64_u32 v[0:1], null, s20, v56, 0
	v_cmp_gt_i32_e64 s0, s36, v7
	s_lshl_b64 s[14:15], s[28:29], 7
	v_mad_u64_u32 v[6:7], null, s21, v9, v[4:5]
	s_add_u32 s3, s16, s22
	s_addc_u32 s4, s17, s23
	s_delay_alu instid0(VALU_DEP_3) | instskip(SKIP_2) | instid1(VALU_DEP_3)
	v_mad_u64_u32 v[14:15], null, s21, v56, v[1:2]
	v_add_nc_u32_e32 v8, 0x80, v2
	s_add_u32 s22, s3, s30
	v_lshlrev_b64 v[3:4], 3, v[5:6]
	v_mad_u64_u32 v[5:6], null, s20, v16, s[20:21]
	s_delay_alu instid0(VALU_DEP_3) | instskip(SKIP_2) | instid1(VALU_DEP_4)
	v_cmp_gt_i32_e64 s1, s36, v8
	v_mad_u64_u32 v[7:8], null, s20, v17, 0
	s_addc_u32 s4, s4, s31
	v_add_co_u32 v3, s3, s22, v3
	s_delay_alu instid0(VALU_DEP_1) | instskip(SKIP_1) | instid1(VALU_DEP_3)
	v_add_co_ci_u32_e64 v58, s3, s4, v4, s3
	s_lshl_b64 s[30:31], s[28:29], 3
	v_mov_b32_e32 v1, v8
	s_delay_alu instid0(VALU_DEP_1) | instskip(SKIP_2) | instid1(VALU_DEP_2)
	v_mad_u64_u32 v[8:9], null, s21, v17, v[1:2]
	v_mov_b32_e32 v1, v14
	v_mad_u64_u32 v[14:15], null, s21, v16, v[6:7]
	v_lshlrev_b64 v[0:1], 5, v[0:1]
	s_delay_alu instid0(VALU_DEP_4) | instskip(NEXT) | instid1(VALU_DEP_3)
	v_lshlrev_b64 v[7:8], 3, v[7:8]
	v_mov_b32_e32 v6, v14
	s_delay_alu instid0(VALU_DEP_3) | instskip(NEXT) | instid1(VALU_DEP_1)
	v_add_co_u32 v59, s3, s22, v0
	v_add_co_ci_u32_e64 v60, s3, s4, v1, s3
	v_mov_b32_e32 v1, 0
	s_delay_alu instid0(VALU_DEP_4) | instskip(SKIP_1) | instid1(VALU_DEP_1)
	v_lshlrev_b64 v[4:5], 3, v[5:6]
	v_add_co_u32 v61, s3, s22, v7
	v_add_co_ci_u32_e64 v62, s3, s4, v8, s3
	s_delay_alu instid0(VALU_DEP_4) | instskip(NEXT) | instid1(VALU_DEP_4)
	v_mov_b32_e32 v0, v1
	v_add_co_u32 v63, s3, s22, v4
	s_delay_alu instid0(VALU_DEP_1)
	v_add_co_ci_u32_e64 v64, s3, s4, v5, s3
	v_mov_b32_e32 v5, v1
	v_mov_b32_e32 v4, v1
	;; [unrolled: 1-line block ×6, first 2 shown]
	s_lshl_b64 s[22:23], s[20:21], 7
	s_branch .LBB107_18
.LBB107_14:                             ;   in Loop: Header=BB107_18 Depth=1
	s_or_b32 exec_lo, exec_lo, s43
	s_waitcnt vmcnt(2)
	v_dual_mul_f32 v46, v27, v45 :: v_dual_mul_f32 v47, v17, v43
	v_mul_f32_e32 v45, v26, v45
	s_waitcnt vmcnt(1)
	v_dual_mul_f32 v43, v16, v43 :: v_dual_mul_f32 v48, v15, v41
	s_delay_alu instid0(VALU_DEP_3) | instskip(SKIP_2) | instid1(VALU_DEP_4)
	v_fma_f32 v46, v26, v44, -v46
	v_mul_f32_e32 v41, v14, v41
	v_fma_f32 v47, v16, v42, -v47
	v_fmac_f32_e32 v43, v17, v42
	v_fma_f32 v42, v14, v40, -v48
	v_dual_add_f32 v4, v4, v46 :: v_dual_fmac_f32 v45, v27, v44
	s_waitcnt vmcnt(0)
	v_mul_f32_e32 v44, v19, v39
	v_fmac_f32_e32 v41, v15, v40
	v_mul_f32_e32 v39, v18, v39
	v_dual_add_f32 v4, v4, v47 :: v_dual_add_f32 v5, v5, v45
	s_delay_alu instid0(VALU_DEP_4) | instskip(NEXT) | instid1(VALU_DEP_3)
	v_fma_f32 v40, v18, v38, -v44
	v_fmac_f32_e32 v39, v19, v38
	s_delay_alu instid0(VALU_DEP_3) | instskip(NEXT) | instid1(VALU_DEP_1)
	v_add_f32_e32 v4, v4, v42
	v_dual_add_f32 v4, v4, v40 :: v_dual_add_f32 v5, v5, v43
	s_delay_alu instid0(VALU_DEP_1) | instskip(NEXT) | instid1(VALU_DEP_1)
	v_add_f32_e32 v5, v5, v41
	v_add_f32_e32 v5, v5, v39
.LBB107_15:                             ;   in Loop: Header=BB107_18 Depth=1
	s_or_b32 exec_lo, exec_lo, s42
	s_waitcnt vmcnt(2)
	v_dual_mul_f32 v38, v27, v37 :: v_dual_mul_f32 v39, v17, v35
	v_mul_f32_e32 v37, v26, v37
	s_waitcnt vmcnt(1)
	v_dual_mul_f32 v35, v16, v35 :: v_dual_mul_f32 v40, v15, v33
	s_delay_alu instid0(VALU_DEP_3)
	v_fma_f32 v38, v26, v36, -v38
	v_fma_f32 v39, v16, v34, -v39
	v_fmac_f32_e32 v37, v27, v36
	s_waitcnt vmcnt(0)
	v_dual_mul_f32 v33, v14, v33 :: v_dual_mul_f32 v36, v19, v31
	v_add_f32_e32 v6, v6, v38
	v_fmac_f32_e32 v35, v17, v34
	v_fma_f32 v34, v14, v32, -v40
	v_mul_f32_e32 v31, v18, v31
	s_delay_alu instid0(VALU_DEP_4) | instskip(SKIP_2) | instid1(VALU_DEP_4)
	v_dual_fmac_f32 v33, v15, v32 :: v_dual_add_f32 v6, v6, v39
	v_add_f32_e32 v7, v7, v37
	v_fma_f32 v32, v18, v30, -v36
	v_fmac_f32_e32 v31, v19, v30
	s_delay_alu instid0(VALU_DEP_3) | instskip(NEXT) | instid1(VALU_DEP_1)
	v_dual_add_f32 v6, v6, v34 :: v_dual_add_f32 v7, v7, v35
	v_dual_add_f32 v6, v6, v32 :: v_dual_add_f32 v7, v7, v33
	s_delay_alu instid0(VALU_DEP_1)
	v_add_f32_e32 v7, v7, v31
.LBB107_16:                             ;   in Loop: Header=BB107_18 Depth=1
	s_or_b32 exec_lo, exec_lo, s3
	s_waitcnt vmcnt(3)
	v_mul_f32_e32 v30, v27, v29
	s_waitcnt vmcnt(1)
	v_dual_mul_f32 v29, v26, v29 :: v_dual_mul_f32 v32, v15, v23
	v_mul_f32_e32 v23, v14, v23
	s_delay_alu instid0(VALU_DEP_3)
	v_fma_f32 v26, v26, v28, -v30
	v_mul_f32_e32 v31, v17, v25
	v_mul_f32_e32 v25, v16, v25
	v_fma_f32 v14, v14, v22, -v32
	v_fmac_f32_e32 v23, v15, v22
	v_add_f32_e32 v8, v8, v26
	v_fma_f32 v16, v16, v24, -v31
	v_fmac_f32_e32 v25, v17, v24
	s_waitcnt vmcnt(0)
	s_delay_alu instid0(VALU_DEP_2) | instskip(SKIP_1) | instid1(VALU_DEP_2)
	v_dual_mul_f32 v17, v18, v21 :: v_dual_add_f32 v8, v8, v16
	v_fmac_f32_e32 v29, v27, v28
	v_dual_fmac_f32 v17, v19, v20 :: v_dual_add_f32 v8, v8, v14
	s_delay_alu instid0(VALU_DEP_2) | instskip(SKIP_1) | instid1(VALU_DEP_2)
	v_add_f32_e32 v9, v9, v29
	v_mul_f32_e32 v27, v19, v21
	v_add_f32_e32 v9, v9, v25
	s_delay_alu instid0(VALU_DEP_2) | instskip(NEXT) | instid1(VALU_DEP_2)
	v_fma_f32 v15, v18, v20, -v27
	v_add_f32_e32 v9, v9, v23
	s_delay_alu instid0(VALU_DEP_1)
	v_dual_add_f32 v8, v8, v15 :: v_dual_add_f32 v9, v9, v17
.LBB107_17:                             ;   in Loop: Header=BB107_18 Depth=1
	s_or_b32 exec_lo, exec_lo, s4
	v_add_co_u32 v10, s3, v10, s14
	s_delay_alu instid0(VALU_DEP_1) | instskip(SKIP_1) | instid1(VALU_DEP_1)
	v_add_co_ci_u32_e64 v11, s3, s15, v11, s3
	v_add_co_u32 v3, s3, v3, s22
	v_add_co_ci_u32_e64 v58, s3, s23, v58, s3
	v_add_co_u32 v59, s3, v59, s22
	v_add_nc_u32_e32 v57, 16, v57
	v_add_co_ci_u32_e64 v60, s3, s23, v60, s3
	v_add_co_u32 v61, s3, v61, s22
	s_delay_alu instid0(VALU_DEP_1) | instskip(NEXT) | instid1(VALU_DEP_4)
	v_add_co_ci_u32_e64 v62, s3, s23, v62, s3
	v_cmp_le_i32_e64 s3, s35, v57
	v_add_co_u32 v63, s4, v63, s22
	s_delay_alu instid0(VALU_DEP_1) | instskip(NEXT) | instid1(VALU_DEP_3)
	v_add_co_ci_u32_e64 v64, s4, s23, v64, s4
	s_or_b32 s41, s3, s41
	s_delay_alu instid0(SALU_CYCLE_1)
	s_and_not1_b32 exec_lo, exec_lo, s41
	s_cbranch_execz .LBB107_23
.LBB107_18:                             ; =>This Inner Loop Header: Depth=1
	s_and_saveexec_b32 s4, vcc_lo
	s_cbranch_execz .LBB107_17
; %bb.19:                               ;   in Loop: Header=BB107_18 Depth=1
	v_add_co_u32 v14, s3, v10, s30
	s_delay_alu instid0(VALU_DEP_1) | instskip(NEXT) | instid1(VALU_DEP_2)
	v_add_co_ci_u32_e64 v15, s3, s31, v11, s3
	v_add_co_u32 v18, s3, v14, s30
	s_delay_alu instid0(VALU_DEP_1) | instskip(SKIP_4) | instid1(VALU_DEP_1)
	v_add_co_ci_u32_e64 v19, s3, s31, v15, s3
	s_clause 0x1
	global_load_b64 v[16:17], v[14:15], off
	global_load_b64 v[14:15], v[18:19], off
	v_add_co_u32 v18, s3, v18, s30
	v_add_co_ci_u32_e64 v19, s3, s31, v19, s3
	v_add_co_u32 v52, s3, v59, v12
	s_delay_alu instid0(VALU_DEP_1) | instskip(SKIP_1) | instid1(VALU_DEP_1)
	v_add_co_ci_u32_e64 v53, s3, v60, v13, s3
	v_add_co_u32 v50, s3, v63, v12
	v_add_co_ci_u32_e64 v51, s3, v64, v13, s3
	v_add_co_u32 v48, s3, v61, v12
	s_delay_alu instid0(VALU_DEP_1) | instskip(SKIP_1) | instid1(VALU_DEP_1)
	v_add_co_ci_u32_e64 v49, s3, v62, v13, s3
	v_add_co_u32 v46, s3, v3, v12
	v_add_co_ci_u32_e64 v47, s3, v58, v13, s3
	s_clause 0x1
	global_load_b64 v[26:27], v[10:11], off
	global_load_b64 v[18:19], v[18:19], off
	;; [unrolled: 1-line block ×6, first 2 shown]
	s_and_saveexec_b32 s3, s0
	s_cbranch_execz .LBB107_16
; %bb.20:                               ;   in Loop: Header=BB107_18 Depth=1
	global_load_b64 v[36:37], v[52:53], off offset:512
	global_load_b64 v[34:35], v[50:51], off offset:512
	global_load_b64 v[32:33], v[48:49], off offset:512
	global_load_b64 v[30:31], v[46:47], off offset:512
	s_and_saveexec_b32 s42, s1
	s_cbranch_execz .LBB107_15
; %bb.21:                               ;   in Loop: Header=BB107_18 Depth=1
	global_load_b64 v[44:45], v[52:53], off offset:1024
	global_load_b64 v[42:43], v[50:51], off offset:1024
	global_load_b64 v[40:41], v[48:49], off offset:1024
	global_load_b64 v[38:39], v[46:47], off offset:1024
	;; [unrolled: 7-line block ×3, first 2 shown]
	s_waitcnt vmcnt(2)
	v_dual_mul_f32 v65, v27, v53 :: v_dual_mul_f32 v66, v17, v51
	v_mul_f32_e32 v53, v26, v53
	v_mul_f32_e32 v51, v16, v51
	s_delay_alu instid0(VALU_DEP_3) | instskip(NEXT) | instid1(VALU_DEP_4)
	v_fma_f32 v65, v26, v52, -v65
	v_fma_f32 v66, v16, v50, -v66
	s_delay_alu instid0(VALU_DEP_4)
	v_fmac_f32_e32 v53, v27, v52
	s_waitcnt vmcnt(0)
	v_dual_mul_f32 v52, v19, v47 :: v_dual_fmac_f32 v51, v17, v50
	v_add_f32_e32 v0, v0, v65
	v_mul_f32_e32 v67, v15, v49
	v_add_f32_e32 v1, v1, v53
	s_delay_alu instid0(VALU_DEP_3) | instskip(NEXT) | instid1(VALU_DEP_3)
	v_dual_mul_f32 v47, v18, v47 :: v_dual_add_f32 v0, v0, v66
	v_fma_f32 v50, v14, v48, -v67
	v_mul_f32_e32 v49, v14, v49
	s_delay_alu instid0(VALU_DEP_3) | instskip(NEXT) | instid1(VALU_DEP_2)
	v_fmac_f32_e32 v47, v19, v46
	v_dual_add_f32 v0, v0, v50 :: v_dual_fmac_f32 v49, v15, v48
	v_fma_f32 v48, v18, v46, -v52
	s_delay_alu instid0(VALU_DEP_1) | instskip(NEXT) | instid1(VALU_DEP_1)
	v_dual_add_f32 v0, v0, v48 :: v_dual_add_f32 v1, v1, v51
	v_add_f32_e32 v1, v1, v49
	s_delay_alu instid0(VALU_DEP_1)
	v_add_f32_e32 v1, v1, v47
	s_branch .LBB107_14
.LBB107_23:
	s_or_b32 exec_lo, exec_lo, s41
.LBB107_24:
	s_delay_alu instid0(SALU_CYCLE_1) | instskip(SKIP_1) | instid1(SALU_CYCLE_1)
	s_or_b32 exec_lo, exec_lo, s40
	s_sub_i32 s0, s37, s35
	s_cmp_lt_i32 s0, 1
	s_cbranch_scc1 .LBB107_42
; %bb.25:
	v_cmp_gt_i32_e32 vcc_lo, s37, v57
	v_dual_mov_b32 v10, 0 :: v_dual_mov_b32 v11, 0
	v_or_b32_e32 v18, 1, v57
	v_dual_mov_b32 v12, 0 :: v_dual_mov_b32 v13, 0
	v_dual_mov_b32 v14, 0 :: v_dual_mov_b32 v15, 0
	;; [unrolled: 1-line block ×3, first 2 shown]
	s_and_saveexec_b32 s1, vcc_lo
	s_cbranch_execz .LBB107_33
; %bb.26:
	v_mad_u64_u32 v[10:11], null, v57, s28, 0
	s_lshl_b64 s[2:3], s[10:11], 3
	v_dual_mov_b32 v17, 0 :: v_dual_mov_b32 v14, 0
	s_add_u32 s0, s24, s2
	s_addc_u32 s2, s25, s3
	s_lshl_b64 s[10:11], s[26:27], 3
	s_delay_alu instid0(VALU_DEP_2) | instskip(SKIP_3) | instid1(VALU_DEP_2)
	v_dual_mov_b32 v3, v11 :: v_dual_mov_b32 v16, 0
	s_add_u32 s3, s0, s10
	s_addc_u32 s4, s2, s11
	v_mov_b32_e32 v15, 0
	v_mad_u64_u32 v[11:12], null, v57, s29, v[3:4]
	v_dual_mov_b32 v12, 0 :: v_dual_mov_b32 v13, 0
	s_mov_b32 s2, exec_lo
	s_delay_alu instid0(VALU_DEP_2) | instskip(NEXT) | instid1(VALU_DEP_1)
	v_lshlrev_b64 v[10:11], 3, v[10:11]
	v_add_co_u32 v10, s0, s3, v10
	s_delay_alu instid0(VALU_DEP_1)
	v_add_co_ci_u32_e64 v11, s0, s4, v11, s0
	global_load_b64 v[10:11], v[10:11], off
	v_cmpx_gt_i32_e64 s37, v18
	s_cbranch_execz .LBB107_32
; %bb.27:
	v_mad_u64_u32 v[12:13], null, v18, s28, 0
	v_mov_b32_e32 v17, 0
	v_mov_b32_e32 v15, 0
	s_mov_b32 s10, exec_lo
	s_delay_alu instid0(VALU_DEP_3) | instskip(NEXT) | instid1(VALU_DEP_1)
	v_dual_mov_b32 v16, 0 :: v_dual_mov_b32 v3, v13
	v_mad_u64_u32 v[13:14], null, v18, s29, v[3:4]
	v_or_b32_e32 v3, 2, v57
	v_mov_b32_e32 v14, 0
	s_delay_alu instid0(VALU_DEP_3) | instskip(NEXT) | instid1(VALU_DEP_1)
	v_lshlrev_b64 v[12:13], 3, v[12:13]
	v_add_co_u32 v12, s0, s3, v12
	s_delay_alu instid0(VALU_DEP_1)
	v_add_co_ci_u32_e64 v13, s0, s4, v13, s0
	global_load_b64 v[12:13], v[12:13], off
	v_cmpx_gt_i32_e64 s37, v3
	s_cbranch_execz .LBB107_31
; %bb.28:
	v_mad_u64_u32 v[14:15], null, v3, s28, 0
	s_mov_b32 s11, exec_lo
	s_delay_alu instid0(VALU_DEP_1) | instskip(SKIP_2) | instid1(VALU_DEP_3)
	v_mad_u64_u32 v[16:17], null, v3, s29, v[15:16]
	v_or_b32_e32 v3, 3, v57
	v_mov_b32_e32 v17, 0
	v_dual_mov_b32 v15, v16 :: v_dual_mov_b32 v16, 0
	s_delay_alu instid0(VALU_DEP_1) | instskip(NEXT) | instid1(VALU_DEP_1)
	v_lshlrev_b64 v[14:15], 3, v[14:15]
	v_add_co_u32 v14, s0, s3, v14
	s_delay_alu instid0(VALU_DEP_1)
	v_add_co_ci_u32_e64 v15, s0, s4, v15, s0
	global_load_b64 v[14:15], v[14:15], off
	v_cmpx_gt_i32_e64 s37, v3
	s_cbranch_execz .LBB107_30
; %bb.29:
	v_mad_u64_u32 v[16:17], null, v3, s28, 0
	s_delay_alu instid0(VALU_DEP_1) | instskip(NEXT) | instid1(VALU_DEP_1)
	v_mad_u64_u32 v[19:20], null, v3, s29, v[17:18]
	v_mov_b32_e32 v17, v19
	s_delay_alu instid0(VALU_DEP_1) | instskip(NEXT) | instid1(VALU_DEP_1)
	v_lshlrev_b64 v[16:17], 3, v[16:17]
	v_add_co_u32 v16, s0, s3, v16
	s_delay_alu instid0(VALU_DEP_1)
	v_add_co_ci_u32_e64 v17, s0, s4, v17, s0
	global_load_b64 v[16:17], v[16:17], off
.LBB107_30:
	s_or_b32 exec_lo, exec_lo, s11
.LBB107_31:
	s_delay_alu instid0(SALU_CYCLE_1)
	s_or_b32 exec_lo, exec_lo, s10
.LBB107_32:
	s_delay_alu instid0(SALU_CYCLE_1)
	s_or_b32 exec_lo, exec_lo, s2
.LBB107_33:
	s_delay_alu instid0(SALU_CYCLE_1) | instskip(NEXT) | instid1(SALU_CYCLE_1)
	s_or_b32 exec_lo, exec_lo, s1
	s_mov_b32 s1, exec_lo
	v_cmpx_gt_i32_e64 s36, v2
	s_cbranch_execz .LBB107_41
; %bb.34:
	v_mad_u64_u32 v[19:20], null, v57, s20, 0
	v_mad_u64_u32 v[21:22], null, v18, s20, 0
	v_ashrrev_i32_e32 v3, 31, v2
	v_or_b32_e32 v31, 2, v57
	v_or_b32_e32 v32, 3, v57
	s_lshl_b64 s[2:3], s[6:7], 3
	s_delay_alu instid0(VALU_DEP_3)
	v_lshlrev_b64 v[26:27], 3, v[2:3]
	v_mad_u64_u32 v[23:24], null, v57, s21, v[20:21]
	v_mad_u64_u32 v[24:25], null, v31, s20, 0
	s_add_u32 s0, s16, s2
	s_addc_u32 s4, s17, s3
	v_mov_b32_e32 v3, v22
	s_lshl_b64 s[2:3], s[18:19], 3
	s_delay_alu instid0(VALU_DEP_3) | instskip(SKIP_1) | instid1(VALU_DEP_3)
	v_cndmask_b32_e32 v20, 0, v23, vcc_lo
	v_mad_u64_u32 v[22:23], null, v32, s20, 0
	v_mad_u64_u32 v[28:29], null, v18, s21, v[3:4]
	v_cndmask_b32_e32 v19, 0, v19, vcc_lo
	v_cmp_gt_i32_e32 vcc_lo, s37, v18
	s_add_u32 s2, s0, s2
	s_addc_u32 s3, s4, s3
	v_mov_b32_e32 v3, v25
	s_delay_alu instid0(VALU_DEP_4) | instskip(SKIP_1) | instid1(VALU_DEP_1)
	v_dual_cndmask_b32 v29, 0, v21 :: v_dual_cndmask_b32 v30, 0, v28
	v_lshlrev_b64 v[19:20], 3, v[19:20]
	v_add_co_u32 v18, s0, s2, v19
	s_delay_alu instid0(VALU_DEP_1) | instskip(NEXT) | instid1(VALU_DEP_4)
	v_add_co_ci_u32_e64 v19, s0, s3, v20, s0
	v_lshlrev_b64 v[20:21], 3, v[29:30]
	s_delay_alu instid0(VALU_DEP_3)
	v_add_co_u32 v18, vcc_lo, v18, v26
	v_mad_u64_u32 v[28:29], null, v31, s21, v[3:4]
	v_mov_b32_e32 v3, v23
	v_add_co_ci_u32_e32 v19, vcc_lo, v19, v27, vcc_lo
	v_cmp_gt_i32_e32 vcc_lo, s37, v31
	v_add_co_u32 v20, s0, s2, v20
	s_delay_alu instid0(VALU_DEP_4)
	v_mad_u64_u32 v[29:30], null, v32, s21, v[3:4]
	v_add_co_ci_u32_e64 v21, s0, s3, v21, s0
	v_cndmask_b32_e32 v23, 0, v24, vcc_lo
	v_cndmask_b32_e32 v24, 0, v28, vcc_lo
	v_cmp_gt_i32_e32 vcc_lo, s37, v32
	v_add_co_u32 v20, s0, v20, v26
	s_delay_alu instid0(VALU_DEP_1)
	v_add_co_ci_u32_e64 v21, s0, v21, v27, s0
	v_dual_cndmask_b32 v28, 0, v22 :: v_dual_cndmask_b32 v29, 0, v29
	v_lshlrev_b64 v[22:23], 3, v[23:24]
	s_clause 0x1
	global_load_b64 v[30:31], v[18:19], off
	global_load_b64 v[32:33], v[20:21], off
	s_mov_b32 s0, exec_lo
	v_lshlrev_b64 v[24:25], 3, v[28:29]
	v_add_co_u32 v3, vcc_lo, s2, v22
	v_add_co_ci_u32_e32 v22, vcc_lo, s3, v23, vcc_lo
	s_delay_alu instid0(VALU_DEP_3) | instskip(NEXT) | instid1(VALU_DEP_4)
	v_add_co_u32 v23, vcc_lo, s2, v24
	v_add_co_ci_u32_e32 v28, vcc_lo, s3, v25, vcc_lo
	s_delay_alu instid0(VALU_DEP_4) | instskip(NEXT) | instid1(VALU_DEP_4)
	v_add_co_u32 v24, vcc_lo, v3, v26
	v_add_co_ci_u32_e32 v25, vcc_lo, v22, v27, vcc_lo
	s_delay_alu instid0(VALU_DEP_4) | instskip(NEXT) | instid1(VALU_DEP_4)
	v_add_co_u32 v22, vcc_lo, v23, v26
	v_add_co_ci_u32_e32 v23, vcc_lo, v28, v27, vcc_lo
	s_clause 0x1
	global_load_b64 v[26:27], v[24:25], off
	global_load_b64 v[28:29], v[22:23], off
	s_waitcnt vmcnt(2)
	v_dual_mul_f32 v3, v11, v31 :: v_dual_mul_f32 v34, v13, v33
	v_mul_f32_e32 v33, v12, v33
	s_delay_alu instid0(VALU_DEP_2) | instskip(NEXT) | instid1(VALU_DEP_1)
	v_fma_f32 v3, v10, v30, -v3
	v_dual_fmac_f32 v33, v13, v32 :: v_dual_add_f32 v8, v8, v3
	v_mul_f32_e32 v31, v10, v31
	s_delay_alu instid0(VALU_DEP_1) | instskip(SKIP_1) | instid1(VALU_DEP_2)
	v_fmac_f32_e32 v31, v11, v30
	v_fma_f32 v30, v12, v32, -v34
	v_add_f32_e32 v9, v9, v31
	s_waitcnt vmcnt(1)
	v_dual_mul_f32 v32, v15, v27 :: v_dual_add_nc_u32 v31, 64, v2
	s_waitcnt vmcnt(0)
	v_dual_mul_f32 v27, v14, v27 :: v_dual_mul_f32 v34, v17, v29
	v_mul_f32_e32 v3, v16, v29
	s_delay_alu instid0(VALU_DEP_3) | instskip(NEXT) | instid1(VALU_DEP_3)
	v_fma_f32 v29, v14, v26, -v32
	v_fmac_f32_e32 v27, v15, v26
	v_add_f32_e32 v26, v8, v30
	v_add_f32_e32 v30, v9, v33
	v_fma_f32 v8, v16, v28, -v34
	v_fmac_f32_e32 v3, v17, v28
	s_delay_alu instid0(VALU_DEP_4) | instskip(NEXT) | instid1(VALU_DEP_4)
	v_add_f32_e32 v9, v26, v29
	v_add_f32_e32 v26, v30, v27
	v_cmpx_gt_i32_e64 s36, v31
	s_cbranch_execz .LBB107_40
; %bb.35:
	s_clause 0x3
	global_load_b64 v[27:28], v[18:19], off offset:512
	global_load_b64 v[29:30], v[20:21], off offset:512
	;; [unrolled: 1-line block ×4, first 2 shown]
	s_mov_b32 s2, exec_lo
	s_waitcnt vmcnt(2)
	v_dual_mul_f32 v35, v11, v28 :: v_dual_mul_f32 v36, v13, v30
	v_mul_f32_e32 v28, v10, v28
	s_waitcnt vmcnt(1)
	v_dual_mul_f32 v30, v12, v30 :: v_dual_mul_f32 v37, v15, v32
	s_delay_alu instid0(VALU_DEP_3) | instskip(SKIP_2) | instid1(VALU_DEP_4)
	v_fma_f32 v35, v10, v27, -v35
	v_fma_f32 v36, v12, v29, -v36
	v_mul_f32_e32 v32, v14, v32
	v_fmac_f32_e32 v30, v13, v29
	v_fma_f32 v29, v14, v31, -v37
	v_add_f32_e32 v6, v6, v35
	s_waitcnt vmcnt(0)
	v_dual_fmac_f32 v28, v11, v27 :: v_dual_mul_f32 v27, v17, v34
	s_delay_alu instid0(VALU_DEP_1) | instskip(NEXT) | instid1(VALU_DEP_1)
	v_dual_add_f32 v28, v7, v28 :: v_dual_mul_f32 v7, v16, v34
	v_dual_fmac_f32 v32, v15, v31 :: v_dual_fmac_f32 v7, v17, v33
	s_delay_alu instid0(VALU_DEP_2) | instskip(SKIP_2) | instid1(VALU_DEP_3)
	v_dual_add_f32 v31, v6, v36 :: v_dual_add_f32 v28, v28, v30
	v_add_nc_u32_e32 v30, 0x80, v2
	v_fma_f32 v6, v16, v33, -v27
	v_dual_add_f32 v27, v31, v29 :: v_dual_add_f32 v28, v28, v32
	s_delay_alu instid0(VALU_DEP_3)
	v_cmpx_gt_i32_e64 s36, v30
	s_cbranch_execz .LBB107_39
; %bb.36:
	s_clause 0x3
	global_load_b64 v[29:30], v[18:19], off offset:1024
	global_load_b64 v[31:32], v[20:21], off offset:1024
	;; [unrolled: 1-line block ×4, first 2 shown]
	s_mov_b32 s3, exec_lo
	s_waitcnt vmcnt(2)
	v_dual_mul_f32 v37, v11, v30 :: v_dual_mul_f32 v38, v13, v32
	v_mul_f32_e32 v30, v10, v30
	s_waitcnt vmcnt(1)
	v_dual_mul_f32 v32, v12, v32 :: v_dual_mul_f32 v39, v15, v34
	v_mul_f32_e32 v34, v14, v34
	v_fma_f32 v37, v10, v29, -v37
	v_fmac_f32_e32 v30, v11, v29
	v_fma_f32 v38, v12, v31, -v38
	s_waitcnt vmcnt(0)
	s_delay_alu instid0(VALU_DEP_3) | instskip(NEXT) | instid1(VALU_DEP_3)
	v_dual_mul_f32 v29, v17, v36 :: v_dual_add_f32 v4, v4, v37
	v_dual_add_f32 v30, v5, v30 :: v_dual_mul_f32 v5, v16, v36
	v_fmac_f32_e32 v34, v15, v33
	v_fmac_f32_e32 v32, v13, v31
	v_fma_f32 v31, v14, v33, -v39
	s_delay_alu instid0(VALU_DEP_4) | instskip(NEXT) | instid1(VALU_DEP_3)
	v_dual_add_f32 v4, v4, v38 :: v_dual_fmac_f32 v5, v17, v35
	v_add_f32_e32 v30, v30, v32
	v_add_nc_u32_e32 v32, 0xc0, v2
	v_fma_f32 v2, v16, v35, -v29
	s_delay_alu instid0(VALU_DEP_3) | instskip(NEXT) | instid1(VALU_DEP_3)
	v_dual_add_f32 v4, v4, v31 :: v_dual_add_f32 v29, v30, v34
	v_cmpx_gt_i32_e64 s36, v32
	s_cbranch_execz .LBB107_38
; %bb.37:
	s_clause 0x3
	global_load_b64 v[18:19], v[18:19], off offset:1536
	global_load_b64 v[20:21], v[20:21], off offset:1536
	;; [unrolled: 1-line block ×4, first 2 shown]
	s_waitcnt vmcnt(2)
	v_dual_mul_f32 v30, v11, v19 :: v_dual_mul_f32 v31, v13, v21
	s_waitcnt vmcnt(1)
	v_dual_mul_f32 v19, v10, v19 :: v_dual_mul_f32 v32, v15, v25
	s_delay_alu instid0(VALU_DEP_2) | instskip(SKIP_1) | instid1(VALU_DEP_3)
	v_fma_f32 v10, v10, v18, -v30
	v_mul_f32_e32 v25, v14, v25
	v_fmac_f32_e32 v19, v11, v18
	s_delay_alu instid0(VALU_DEP_3)
	v_add_f32_e32 v0, v0, v10
	s_waitcnt vmcnt(0)
	v_mul_f32_e32 v10, v16, v23
	v_mul_f32_e32 v21, v12, v21
	v_fma_f32 v12, v12, v20, -v31
	v_mul_f32_e32 v11, v17, v23
	v_add_f32_e32 v1, v1, v19
	v_fmac_f32_e32 v10, v17, v22
	s_delay_alu instid0(VALU_DEP_4) | instskip(SKIP_3) | instid1(VALU_DEP_2)
	v_add_f32_e32 v0, v0, v12
	v_fmac_f32_e32 v21, v13, v20
	v_fma_f32 v13, v14, v24, -v32
	v_fma_f32 v11, v16, v22, -v11
	v_dual_add_f32 v0, v0, v13 :: v_dual_fmac_f32 v25, v15, v24
	s_delay_alu instid0(VALU_DEP_1) | instskip(NEXT) | instid1(VALU_DEP_1)
	v_dual_add_f32 v1, v1, v21 :: v_dual_add_f32 v0, v0, v11
	v_add_f32_e32 v1, v1, v25
	s_delay_alu instid0(VALU_DEP_1)
	v_add_f32_e32 v1, v1, v10
.LBB107_38:
	s_or_b32 exec_lo, exec_lo, s3
	s_delay_alu instid0(VALU_DEP_2)
	v_dual_add_f32 v4, v4, v2 :: v_dual_add_f32 v5, v29, v5
.LBB107_39:
	s_or_b32 exec_lo, exec_lo, s2
	s_delay_alu instid0(VALU_DEP_2)
	v_dual_add_f32 v6, v27, v6 :: v_dual_add_f32 v7, v28, v7
.LBB107_40:
	s_or_b32 exec_lo, exec_lo, s0
	s_delay_alu instid0(VALU_DEP_2)
	v_dual_add_f32 v8, v9, v8 :: v_dual_add_f32 v9, v26, v3
.LBB107_41:
	s_or_b32 exec_lo, exec_lo, s1
.LBB107_42:
	v_lshlrev_b32_e32 v2, 8, v56
	s_mov_b32 s0, exec_lo
	s_delay_alu instid0(VALU_DEP_1)
	v_add_lshl_u32 v2, v2, v55, 3
	ds_store_2addr_stride64_b64 v2, v[8:9], v[6:7] offset1:1
	ds_store_2addr_stride64_b64 v2, v[4:5], v[0:1] offset0:2 offset1:3
	s_waitcnt vmcnt(0) lgkmcnt(0)
	s_waitcnt_vscnt null, 0x0
	s_barrier
	buffer_gl0_inv
	v_cmpx_gt_u32_e32 0x100, v54
	s_cbranch_execz .LBB107_47
; %bb.43:
	v_lshlrev_b32_e32 v8, 3, v54
	ds_load_2addr_stride64_b64 v[0:3], v8 offset1:4
	ds_load_2addr_stride64_b64 v[4:7], v8 offset0:8 offset1:12
	s_waitcnt lgkmcnt(1)
	v_dual_add_f32 v1, v1, v3 :: v_dual_add_f32 v0, v0, v2
	s_waitcnt lgkmcnt(0)
	s_delay_alu instid0(VALU_DEP_1) | instskip(SKIP_1) | instid1(VALU_DEP_2)
	v_dual_add_f32 v1, v1, v5 :: v_dual_add_f32 v2, v0, v4
	v_or_b32_e32 v0, s34, v54
	v_dual_add_f32 v3, v1, v7 :: v_dual_add_f32 v2, v2, v6
	s_delay_alu instid0(VALU_DEP_2)
	v_cmp_gt_i32_e32 vcc_lo, s36, v0
	ds_store_b64 v8, v[2:3]
	s_and_b32 exec_lo, exec_lo, vcc_lo
	s_cbranch_execz .LBB107_47
; %bb.44:
	v_ashrrev_i32_e32 v1, 31, v0
	v_mul_lo_u32 v6, v0, s9
	v_mad_u64_u32 v[4:5], null, v0, s8, 0
	v_cmp_neq_f32_e64 s0, s12, 0
	s_delay_alu instid0(VALU_DEP_4) | instskip(SKIP_1) | instid1(VALU_DEP_1)
	v_mul_lo_u32 v1, v1, s8
	v_cmp_neq_f32_e64 s1, s13, 0
	s_or_b32 s0, s0, s1
	s_delay_alu instid0(SALU_CYCLE_1) | instskip(NEXT) | instid1(VALU_DEP_2)
	s_and_not1_b32 vcc_lo, exec_lo, s0
	v_add3_u32 v5, v5, v6, v1
	v_mul_f32_e32 v1, s38, v3
	v_mul_f32_e32 v0, s39, v3
	s_delay_alu instid0(VALU_DEP_3) | instskip(NEXT) | instid1(VALU_DEP_3)
	v_lshlrev_b64 v[3:4], 3, v[4:5]
	v_fmac_f32_e32 v1, s39, v2
	s_delay_alu instid0(VALU_DEP_3)
	v_fma_f32 v0, v2, s38, -v0
	s_cbranch_vccnz .LBB107_46
; %bb.45:
	s_delay_alu instid0(VALU_DEP_3) | instskip(NEXT) | instid1(VALU_DEP_4)
	v_add_co_u32 v5, vcc_lo, s5, v3
	v_add_co_ci_u32_e32 v6, vcc_lo, s33, v4, vcc_lo
	global_load_b64 v[5:6], v[5:6], off
	s_waitcnt vmcnt(0)
	v_mul_f32_e32 v2, s13, v6
	v_mul_f32_e32 v6, s12, v6
	s_delay_alu instid0(VALU_DEP_2) | instskip(NEXT) | instid1(VALU_DEP_2)
	v_fma_f32 v2, s12, v5, -v2
	v_fmac_f32_e32 v6, s13, v5
	s_delay_alu instid0(VALU_DEP_2) | instskip(NEXT) | instid1(VALU_DEP_2)
	v_add_f32_e32 v0, v0, v2
	v_add_f32_e32 v1, v1, v6
.LBB107_46:
	s_delay_alu instid0(VALU_DEP_3) | instskip(NEXT) | instid1(VALU_DEP_4)
	v_add_co_u32 v2, vcc_lo, s5, v3
	v_add_co_ci_u32_e32 v3, vcc_lo, s33, v4, vcc_lo
	global_store_b64 v[2:3], v[0:1], off
.LBB107_47:
	s_nop 0
	s_sendmsg sendmsg(MSG_DEALLOC_VGPRS)
	s_endpgm
	.section	.rodata,"a",@progbits
	.p2align	6, 0x0
	.amdhsa_kernel _ZL20rocblas_gemvn_kernelILi64ELi4El19rocblas_complex_numIfES1_S1_EviiT3_lPKT2_lT1_lS5_lS6_lS2_lPT4_lS6_li
		.amdhsa_group_segment_fixed_size 8192
		.amdhsa_private_segment_fixed_size 0
		.amdhsa_kernarg_size 400
		.amdhsa_user_sgpr_count 14
		.amdhsa_user_sgpr_dispatch_ptr 0
		.amdhsa_user_sgpr_queue_ptr 0
		.amdhsa_user_sgpr_kernarg_segment_ptr 1
		.amdhsa_user_sgpr_dispatch_id 0
		.amdhsa_user_sgpr_private_segment_size 0
		.amdhsa_wavefront_size32 1
		.amdhsa_uses_dynamic_stack 0
		.amdhsa_enable_private_segment 0
		.amdhsa_system_sgpr_workgroup_id_x 1
		.amdhsa_system_sgpr_workgroup_id_y 0
		.amdhsa_system_sgpr_workgroup_id_z 1
		.amdhsa_system_sgpr_workgroup_info 0
		.amdhsa_system_vgpr_workitem_id 1
		.amdhsa_next_free_vgpr 68
		.amdhsa_next_free_sgpr 44
		.amdhsa_reserve_vcc 1
		.amdhsa_float_round_mode_32 0
		.amdhsa_float_round_mode_16_64 0
		.amdhsa_float_denorm_mode_32 3
		.amdhsa_float_denorm_mode_16_64 3
		.amdhsa_dx10_clamp 1
		.amdhsa_ieee_mode 1
		.amdhsa_fp16_overflow 0
		.amdhsa_workgroup_processor_mode 1
		.amdhsa_memory_ordered 1
		.amdhsa_forward_progress 0
		.amdhsa_shared_vgpr_count 0
		.amdhsa_exception_fp_ieee_invalid_op 0
		.amdhsa_exception_fp_denorm_src 0
		.amdhsa_exception_fp_ieee_div_zero 0
		.amdhsa_exception_fp_ieee_overflow 0
		.amdhsa_exception_fp_ieee_underflow 0
		.amdhsa_exception_fp_ieee_inexact 0
		.amdhsa_exception_int_div_zero 0
	.end_amdhsa_kernel
	.section	.text._ZL20rocblas_gemvn_kernelILi64ELi4El19rocblas_complex_numIfES1_S1_EviiT3_lPKT2_lT1_lS5_lS6_lS2_lPT4_lS6_li,"axG",@progbits,_ZL20rocblas_gemvn_kernelILi64ELi4El19rocblas_complex_numIfES1_S1_EviiT3_lPKT2_lT1_lS5_lS6_lS2_lPT4_lS6_li,comdat
.Lfunc_end107:
	.size	_ZL20rocblas_gemvn_kernelILi64ELi4El19rocblas_complex_numIfES1_S1_EviiT3_lPKT2_lT1_lS5_lS6_lS2_lPT4_lS6_li, .Lfunc_end107-_ZL20rocblas_gemvn_kernelILi64ELi4El19rocblas_complex_numIfES1_S1_EviiT3_lPKT2_lT1_lS5_lS6_lS2_lPT4_lS6_li
                                        ; -- End function
	.section	.AMDGPU.csdata,"",@progbits
; Kernel info:
; codeLenInByte = 4092
; NumSgprs: 46
; NumVgprs: 68
; ScratchSize: 0
; MemoryBound: 0
; FloatMode: 240
; IeeeMode: 1
; LDSByteSize: 8192 bytes/workgroup (compile time only)
; SGPRBlocks: 5
; VGPRBlocks: 8
; NumSGPRsForWavesPerEU: 46
; NumVGPRsForWavesPerEU: 68
; Occupancy: 16
; WaveLimiterHint : 1
; COMPUTE_PGM_RSRC2:SCRATCH_EN: 0
; COMPUTE_PGM_RSRC2:USER_SGPR: 14
; COMPUTE_PGM_RSRC2:TRAP_HANDLER: 0
; COMPUTE_PGM_RSRC2:TGID_X_EN: 1
; COMPUTE_PGM_RSRC2:TGID_Y_EN: 0
; COMPUTE_PGM_RSRC2:TGID_Z_EN: 1
; COMPUTE_PGM_RSRC2:TIDIG_COMP_CNT: 1
	.section	.text._ZL20rocblas_gemvn_kernelILi32ELi16Ei19rocblas_complex_numIfEPKS1_S1_EviiT3_lPKT2_lT1_lS7_lS8_lS4_lPT4_lS8_li,"axG",@progbits,_ZL20rocblas_gemvn_kernelILi32ELi16Ei19rocblas_complex_numIfEPKS1_S1_EviiT3_lPKT2_lT1_lS7_lS8_lS4_lPT4_lS8_li,comdat
	.globl	_ZL20rocblas_gemvn_kernelILi32ELi16Ei19rocblas_complex_numIfEPKS1_S1_EviiT3_lPKT2_lT1_lS7_lS8_lS4_lPT4_lS8_li ; -- Begin function _ZL20rocblas_gemvn_kernelILi32ELi16Ei19rocblas_complex_numIfEPKS1_S1_EviiT3_lPKT2_lT1_lS7_lS8_lS4_lPT4_lS8_li
	.p2align	8
	.type	_ZL20rocblas_gemvn_kernelILi32ELi16Ei19rocblas_complex_numIfEPKS1_S1_EviiT3_lPKT2_lT1_lS7_lS8_lS4_lPT4_lS8_li,@function
_ZL20rocblas_gemvn_kernelILi32ELi16Ei19rocblas_complex_numIfEPKS1_S1_EviiT3_lPKT2_lT1_lS7_lS8_lS4_lPT4_lS8_li: ; @_ZL20rocblas_gemvn_kernelILi32ELi16Ei19rocblas_complex_numIfEPKS1_S1_EviiT3_lPKT2_lT1_lS7_lS8_lS4_lPT4_lS8_li
; %bb.0:
	s_load_b64 s[2:3], s[0:1], 0x9c
	s_waitcnt lgkmcnt(0)
	s_lshr_b32 s4, s2, 16
	s_and_b32 s2, s2, 0xffff
	s_and_b32 s3, s3, 0xffff
	s_mul_i32 s2, s4, s2
	s_delay_alu instid0(SALU_CYCLE_1) | instskip(NEXT) | instid1(SALU_CYCLE_1)
	s_mul_i32 s2, s2, s3
	s_cmpk_lg_i32 s2, 0x200
	s_cbranch_scc1 .LBB108_47
; %bb.1:
	s_clause 0x1
	s_load_b256 s[4:11], s[0:1], 0x8
	s_load_b256 s[16:23], s[0:1], 0x50
	s_waitcnt lgkmcnt(0)
	s_mul_i32 s3, s15, s7
	s_mul_hi_u32 s7, s15, s6
	s_mul_i32 s2, s15, s6
	s_add_i32 s3, s7, s3
	s_delay_alu instid0(SALU_CYCLE_1) | instskip(NEXT) | instid1(SALU_CYCLE_1)
	s_lshl_b64 s[2:3], s[2:3], 3
	s_add_u32 s2, s4, s2
	s_addc_u32 s3, s5, s3
	s_mul_hi_u32 s4, s15, s20
	s_load_b64 s[24:25], s[2:3], 0x0
	s_mul_i32 s3, s15, s21
	s_mul_i32 s2, s15, s20
	s_add_i32 s3, s4, s3
	s_delay_alu instid0(SALU_CYCLE_1) | instskip(NEXT) | instid1(SALU_CYCLE_1)
	s_lshl_b64 s[2:3], s[2:3], 3
	s_add_u32 s2, s18, s2
	s_addc_u32 s3, s19, s3
	s_load_b64 s[12:13], s[2:3], 0x0
	s_waitcnt lgkmcnt(0)
	v_cmp_neq_f32_e64 s2, s24, 0
	v_cmp_neq_f32_e64 s3, s25, 0
	s_delay_alu instid0(VALU_DEP_1) | instskip(NEXT) | instid1(SALU_CYCLE_1)
	s_or_b32 s2, s2, s3
	s_and_b32 vcc_lo, exec_lo, s2
	s_mov_b32 s2, -1
	s_cbranch_vccnz .LBB108_3
; %bb.2:
	v_cmp_neq_f32_e64 s2, s12, 1.0
	v_cmp_neq_f32_e64 s3, s13, 0
	s_delay_alu instid0(VALU_DEP_1)
	s_or_b32 s2, s2, s3
.LBB108_3:
	s_delay_alu instid0(SALU_CYCLE_1)
	s_and_not1_b32 vcc_lo, exec_lo, s2
	s_cbranch_vccnz .LBB108_47
; %bb.4:
	s_clause 0x3
	s_load_b64 s[2:3], s[0:1], 0x80
	s_load_b64 s[4:5], s[0:1], 0x70
	s_load_b32 s26, s[0:1], 0x78
	s_load_b64 s[18:19], s[0:1], 0x0
	v_and_b32_e32 v1, 0x3ff, v0
	v_bfe_u32 v53, v0, 10, 10
	s_delay_alu instid0(VALU_DEP_1) | instskip(NEXT) | instid1(VALU_DEP_1)
	v_lshl_add_u32 v0, v53, 5, v1
	v_cmp_gt_u32_e32 vcc_lo, 0x80, v0
	s_waitcnt lgkmcnt(0)
	s_mul_i32 s3, s15, s3
	s_mul_hi_u32 s6, s15, s2
	s_mul_i32 s2, s15, s2
	s_add_i32 s3, s6, s3
	s_delay_alu instid0(SALU_CYCLE_1) | instskip(NEXT) | instid1(SALU_CYCLE_1)
	s_lshl_b64 s[2:3], s[2:3], 3
	s_add_u32 s6, s22, s2
	s_addc_u32 s7, s23, s3
	s_lshl_b64 s[2:3], s[4:5], 3
	s_delay_alu instid0(SALU_CYCLE_1) | instskip(SKIP_2) | instid1(SALU_CYCLE_1)
	s_add_u32 s21, s6, s2
	s_addc_u32 s22, s7, s3
	s_or_b32 s2, s24, s25
	s_bitset0_b32 s2, 31
	s_delay_alu instid0(SALU_CYCLE_1)
	s_cmp_lg_u32 s2, 0
	s_mov_b32 s2, -1
	s_cbranch_scc1 .LBB108_11
; %bb.5:
	s_and_saveexec_b32 s2, vcc_lo
	s_cbranch_execz .LBB108_10
; %bb.6:
	v_lshl_or_b32 v2, s14, 7, v0
	v_mov_b32_e32 v3, 0
	s_ashr_i32 s5, s18, 31
	s_mov_b32 s4, s18
	s_delay_alu instid0(VALU_DEP_1) | instid1(SALU_CYCLE_1)
	v_cmp_gt_i64_e32 vcc_lo, s[4:5], v[2:3]
	s_and_b32 exec_lo, exec_lo, vcc_lo
	s_cbranch_execz .LBB108_10
; %bb.7:
	v_mad_u64_u32 v[4:5], null, s26, v2, 0
	s_ashr_i32 s5, s26, 31
	v_cmp_neq_f32_e64 s3, s12, 0
	v_cmp_neq_f32_e64 s4, s13, 0
	s_delay_alu instid0(VALU_DEP_3) | instskip(NEXT) | instid1(VALU_DEP_2)
	v_mad_u64_u32 v[6:7], null, s5, v2, v[5:6]
	s_or_b32 s3, s3, s4
	s_delay_alu instid0(SALU_CYCLE_1) | instskip(NEXT) | instid1(VALU_DEP_1)
	s_and_not1_b32 vcc_lo, exec_lo, s3
	v_dual_mov_b32 v5, v6 :: v_dual_mov_b32 v6, v3
	s_delay_alu instid0(VALU_DEP_1)
	v_lshlrev_b64 v[4:5], 3, v[4:5]
	s_cbranch_vccnz .LBB108_9
; %bb.8:
	s_delay_alu instid0(VALU_DEP_1) | instskip(NEXT) | instid1(VALU_DEP_2)
	v_add_co_u32 v2, vcc_lo, s21, v4
	v_add_co_ci_u32_e32 v3, vcc_lo, s22, v5, vcc_lo
	global_load_b64 v[2:3], v[2:3], off
	s_waitcnt vmcnt(0)
	v_mul_f32_e32 v6, s12, v3
	s_delay_alu instid0(VALU_DEP_1) | instskip(NEXT) | instid1(VALU_DEP_1)
	v_dual_mul_f32 v7, s13, v3 :: v_dual_fmac_f32 v6, s13, v2
	v_fma_f32 v3, s12, v2, -v7
.LBB108_9:
	s_delay_alu instid0(VALU_DEP_1) | instskip(NEXT) | instid1(VALU_DEP_2)
	v_add_co_u32 v7, vcc_lo, s21, v4
	v_add_co_ci_u32_e32 v8, vcc_lo, s22, v5, vcc_lo
	s_delay_alu instid0(VALU_DEP_3)
	v_mov_b32_e32 v5, v3
	global_store_b64 v[7:8], v[5:6], off
.LBB108_10:
	s_or_b32 exec_lo, exec_lo, s2
	s_mov_b32 s2, 0
.LBB108_11:
	s_delay_alu instid0(SALU_CYCLE_1)
	s_and_not1_b32 vcc_lo, exec_lo, s2
	s_cbranch_vccnz .LBB108_47
; %bb.12:
	s_clause 0x3
	s_load_b128 s[4:7], s[0:1], 0x30
	s_load_b32 s23, s[0:1], 0x28
	s_load_b64 s[2:3], s[0:1], 0x40
	s_load_b32 s20, s[0:1], 0x48
	s_mul_i32 s1, s15, s17
	s_mul_hi_u32 s17, s15, s16
	s_mul_i32 s0, s15, s16
	v_dual_mov_b32 v2, 0 :: v_dual_lshlrev_b32 v55, 2, v53
	v_dual_mov_b32 v3, 0 :: v_dual_mov_b32 v4, 0
	v_dual_mov_b32 v5, 0 :: v_dual_mov_b32 v6, 0
	;; [unrolled: 1-line block ×3, first 2 shown]
	s_waitcnt lgkmcnt(0)
	s_mul_i32 s5, s15, s5
	s_mul_hi_u32 s16, s15, s4
	s_mul_i32 s4, s15, s4
	s_add_i32 s5, s16, s5
	s_delay_alu instid0(SALU_CYCLE_1) | instskip(NEXT) | instid1(SALU_CYCLE_1)
	s_lshl_b64 s[4:5], s[4:5], 3
	s_add_u32 s4, s8, s4
	s_addc_u32 s15, s9, s5
	s_lshl_b64 s[8:9], s[10:11], 3
	s_mov_b32 s10, exec_lo
	s_add_u32 s5, s4, s8
	s_addc_u32 s8, s15, s9
	s_add_i32 s1, s17, s1
	s_delay_alu instid0(SALU_CYCLE_1) | instskip(NEXT) | instid1(SALU_CYCLE_1)
	s_lshl_b64 s[0:1], s[0:1], 3
	s_add_u32 s4, s6, s0
	s_addc_u32 s7, s7, s1
	s_lshl_b64 s[0:1], s[2:3], 3
	s_delay_alu instid0(SALU_CYCLE_1)
	s_add_u32 s6, s4, s0
	s_addc_u32 s7, s7, s1
	s_ashr_i32 s0, s19, 31
	s_lshl_b32 s4, s14, 7
	s_lshr_b32 s0, s0, 26
	v_dual_mov_b32 v7, 0 :: v_dual_add_nc_u32 v54, s4, v1
	s_add_i32 s9, s19, s0
	s_delay_alu instid0(SALU_CYCLE_1) | instskip(NEXT) | instid1(SALU_CYCLE_1)
	s_and_not1_b32 s9, s9, 63
	v_cmpx_gt_i32_e64 s9, v55
	s_cbranch_execz .LBB108_24
; %bb.13:
	v_mul_lo_u32 v3, s23, v55
	v_add_nc_u32_e32 v2, 32, v54
	v_cmp_gt_i32_e32 vcc_lo, s18, v54
	s_lshl_b32 s11, s23, 6
	s_lshl_b32 s15, s20, 6
	s_mov_b32 s14, 0
	s_mov_b32 s16, 0
	s_delay_alu instid0(VALU_DEP_3) | instskip(SKIP_1) | instid1(VALU_DEP_1)
	v_add3_u32 v56, v3, s23, v1
	v_mul_lo_u32 v3, v53, s23
	v_lshl_add_u32 v57, v3, 2, v1
	v_mov_b32_e32 v3, 0
	v_add_nc_u32_e32 v5, 0x60, v54
	v_add_nc_u32_e32 v4, 64, v54
	v_cmp_gt_i32_e64 s0, s18, v2
	s_delay_alu instid0(VALU_DEP_4) | instskip(NEXT) | instid1(VALU_DEP_4)
	v_dual_mov_b32 v7, v3 :: v_dual_add_nc_u32 v2, 2, v55
	v_cmp_gt_i32_e64 s2, s18, v5
	v_mul_lo_u32 v5, v53, s20
	v_mov_b32_e32 v6, v3
	s_delay_alu instid0(VALU_DEP_4)
	v_mad_u64_u32 v[10:11], null, s23, v2, v[1:2]
	v_mov_b32_e32 v9, v3
	v_mul_lo_u32 v58, s20, v2
	v_mov_b32_e32 v8, v3
	v_dual_mov_b32 v5, v3 :: v_dual_lshlrev_b32 v60, 2, v5
	v_cmp_gt_i32_e64 s1, s18, v4
	v_add_nc_u32_e32 v4, 3, v55
	s_delay_alu instid0(VALU_DEP_1)
	v_mad_u64_u32 v[11:12], null, s23, v4, v[1:2]
	v_mad_u64_u32 v[12:13], null, s20, v55, s[20:21]
	v_mul_lo_u32 v59, s20, v4
	v_mov_b32_e32 v2, v3
	v_mov_b32_e32 v4, v3
	s_branch .LBB108_18
.LBB108_14:                             ;   in Loop: Header=BB108_18 Depth=1
	s_or_b32 exec_lo, exec_lo, s28
	s_waitcnt vmcnt(3)
	v_mul_f32_e32 v45, v26, v44
	v_mul_f32_e32 v44, v25, v44
	s_waitcnt vmcnt(1)
	v_dual_mul_f32 v46, v22, v42 :: v_dual_mul_f32 v47, v16, v40
	v_mul_f32_e32 v42, v21, v42
	v_fma_f32 v45, v25, v43, -v45
	v_fmac_f32_e32 v44, v26, v43
	s_waitcnt vmcnt(0)
	v_mul_f32_e32 v43, v14, v38
	v_mul_f32_e32 v38, v13, v38
	v_fma_f32 v46, v21, v41, -v46
	v_dual_add_f32 v4, v4, v45 :: v_dual_add_f32 v5, v5, v44
	s_delay_alu instid0(VALU_DEP_3) | instskip(SKIP_4) | instid1(VALU_DEP_3)
	v_fmac_f32_e32 v38, v14, v37
	v_fmac_f32_e32 v42, v22, v41
	v_mul_f32_e32 v40, v15, v40
	v_fma_f32 v41, v15, v39, -v47
	v_add_f32_e32 v4, v4, v46
	v_dual_add_f32 v5, v5, v42 :: v_dual_fmac_f32 v40, v16, v39
	v_fma_f32 v39, v13, v37, -v43
	s_delay_alu instid0(VALU_DEP_2) | instskip(NEXT) | instid1(VALU_DEP_1)
	v_dual_add_f32 v4, v4, v41 :: v_dual_add_f32 v5, v5, v40
	v_dual_add_f32 v4, v4, v39 :: v_dual_add_f32 v5, v5, v38
.LBB108_15:                             ;   in Loop: Header=BB108_18 Depth=1
	s_or_b32 exec_lo, exec_lo, s27
	s_waitcnt vmcnt(3)
	v_mul_f32_e32 v37, v26, v36
	v_mul_f32_e32 v36, v25, v36
	s_waitcnt vmcnt(1)
	v_dual_mul_f32 v38, v22, v34 :: v_dual_mul_f32 v39, v16, v32
	v_mul_f32_e32 v34, v21, v34
	v_mul_f32_e32 v32, v15, v32
	v_fma_f32 v37, v25, v35, -v37
	s_delay_alu instid0(VALU_DEP_4) | instskip(NEXT) | instid1(VALU_DEP_3)
	v_fma_f32 v38, v21, v33, -v38
	v_fmac_f32_e32 v32, v16, v31
	v_fmac_f32_e32 v34, v22, v33
	;; [unrolled: 1-line block ×3, first 2 shown]
	v_add_f32_e32 v6, v6, v37
	s_waitcnt vmcnt(0)
	v_mul_f32_e32 v35, v14, v30
	v_mul_f32_e32 v30, v13, v30
	v_fma_f32 v33, v15, v31, -v39
	v_dual_add_f32 v7, v7, v36 :: v_dual_add_f32 v6, v6, v38
	s_delay_alu instid0(VALU_DEP_4) | instskip(NEXT) | instid1(VALU_DEP_2)
	v_fma_f32 v31, v13, v29, -v35
	v_dual_fmac_f32 v30, v14, v29 :: v_dual_add_f32 v7, v7, v34
	s_delay_alu instid0(VALU_DEP_1) | instskip(NEXT) | instid1(VALU_DEP_1)
	v_dual_add_f32 v6, v6, v33 :: v_dual_add_f32 v7, v7, v32
	v_dual_add_f32 v6, v6, v31 :: v_dual_add_f32 v7, v7, v30
.LBB108_16:                             ;   in Loop: Header=BB108_18 Depth=1
	s_or_b32 exec_lo, exec_lo, s3
	s_waitcnt vmcnt(3)
	v_mul_f32_e32 v29, v26, v28
	v_mul_f32_e32 v28, v25, v28
	s_waitcnt vmcnt(1)
	v_mul_f32_e32 v31, v16, v20
	v_mul_f32_e32 v20, v15, v20
	v_fma_f32 v25, v25, v27, -v29
	v_fmac_f32_e32 v28, v26, v27
	s_waitcnt vmcnt(0)
	v_mul_f32_e32 v26, v14, v18
	v_mul_f32_e32 v18, v13, v18
	v_fma_f32 v15, v15, v19, -v31
	v_dual_add_f32 v8, v8, v25 :: v_dual_add_f32 v9, v9, v28
	v_fmac_f32_e32 v20, v16, v19
	s_delay_alu instid0(VALU_DEP_4) | instskip(SKIP_3) | instid1(VALU_DEP_2)
	v_fmac_f32_e32 v18, v14, v17
	v_mul_f32_e32 v30, v22, v24
	v_mul_f32_e32 v24, v21, v24
	v_fma_f32 v13, v13, v17, -v26
	v_fmac_f32_e32 v24, v22, v23
	s_delay_alu instid0(VALU_DEP_1) | instskip(NEXT) | instid1(VALU_DEP_1)
	v_add_f32_e32 v9, v9, v24
	v_add_f32_e32 v9, v9, v20
	s_delay_alu instid0(VALU_DEP_1) | instskip(SKIP_1) | instid1(VALU_DEP_1)
	v_add_f32_e32 v9, v9, v18
	v_fma_f32 v21, v21, v23, -v30
	v_add_f32_e32 v8, v8, v21
	s_delay_alu instid0(VALU_DEP_1) | instskip(NEXT) | instid1(VALU_DEP_1)
	v_add_f32_e32 v8, v8, v15
	v_add_f32_e32 v8, v8, v13
.LBB108_17:                             ;   in Loop: Header=BB108_18 Depth=1
	s_or_b32 exec_lo, exec_lo, s17
	v_add_nc_u32_e32 v55, 64, v55
	v_add_nc_u32_e32 v56, s11, v56
	;; [unrolled: 1-line block ×5, first 2 shown]
	v_cmp_le_i32_e64 s3, s9, v55
	s_add_i32 s16, s16, s15
	s_delay_alu instid0(VALU_DEP_1) | instskip(NEXT) | instid1(SALU_CYCLE_1)
	s_or_b32 s14, s3, s14
	s_and_not1_b32 exec_lo, exec_lo, s14
	s_cbranch_execz .LBB108_23
.LBB108_18:                             ; =>This Inner Loop Header: Depth=1
	s_and_saveexec_b32 s17, vcc_lo
	s_cbranch_execz .LBB108_17
; %bb.19:                               ;   in Loop: Header=BB108_18 Depth=1
	v_add_nc_u32_e32 v13, s16, v60
	v_add_nc_u32_e32 v15, s16, v12
	;; [unrolled: 1-line block ×5, first 2 shown]
	v_ashrrev_i32_e32 v14, 31, v13
	v_ashrrev_i32_e32 v16, 31, v15
	;; [unrolled: 1-line block ×4, first 2 shown]
	v_add_nc_u32_e32 v23, s4, v56
	v_lshlrev_b64 v[13:14], 3, v[13:14]
	v_lshlrev_b64 v[15:16], 3, v[15:16]
	;; [unrolled: 1-line block ×3, first 2 shown]
	v_ashrrev_i32_e32 v22, 31, v21
	v_lshlrev_b64 v[19:20], 3, v[19:20]
	v_ashrrev_i32_e32 v24, 31, v23
	v_add_co_u32 v13, s3, s6, v13
	s_delay_alu instid0(VALU_DEP_1)
	v_add_co_ci_u32_e64 v14, s3, s7, v14, s3
	v_add_co_u32 v15, s3, s6, v15
	v_add_nc_u32_e32 v25, s4, v10
	v_add_co_ci_u32_e64 v16, s3, s7, v16, s3
	v_add_co_u32 v17, s3, s6, v17
	v_lshlrev_b64 v[21:22], 3, v[21:22]
	v_add_nc_u32_e32 v27, s4, v11
	v_add_co_ci_u32_e64 v18, s3, s7, v18, s3
	v_add_co_u32 v19, s3, s6, v19
	v_lshlrev_b64 v[23:24], 3, v[23:24]
	v_ashrrev_i32_e32 v26, 31, v25
	v_add_co_ci_u32_e64 v20, s3, s7, v20, s3
	v_add_co_u32 v51, s3, s5, v21
	v_ashrrev_i32_e32 v28, 31, v27
	v_add_co_ci_u32_e64 v52, s3, s8, v22, s3
	v_lshlrev_b64 v[21:22], 3, v[25:26]
	v_add_co_u32 v49, s3, s5, v23
	s_delay_alu instid0(VALU_DEP_1) | instskip(SKIP_1) | instid1(VALU_DEP_4)
	v_add_co_ci_u32_e64 v50, s3, s8, v24, s3
	v_lshlrev_b64 v[23:24], 3, v[27:28]
	v_add_co_u32 v47, s3, s5, v21
	s_delay_alu instid0(VALU_DEP_1) | instskip(NEXT) | instid1(VALU_DEP_3)
	v_add_co_ci_u32_e64 v48, s3, s8, v22, s3
	v_add_co_u32 v45, s3, s5, v23
	s_delay_alu instid0(VALU_DEP_1)
	v_add_co_ci_u32_e64 v46, s3, s8, v24, s3
	s_clause 0x3
	global_load_b64 v[25:26], v[13:14], off
	global_load_b64 v[21:22], v[15:16], off
	;; [unrolled: 1-line block ×4, first 2 shown]
	s_clause 0x3
	global_load_b64 v[27:28], v[51:52], off
	global_load_b64 v[23:24], v[49:50], off
	;; [unrolled: 1-line block ×4, first 2 shown]
	s_and_saveexec_b32 s3, s0
	s_cbranch_execz .LBB108_16
; %bb.20:                               ;   in Loop: Header=BB108_18 Depth=1
	s_clause 0x3
	global_load_b64 v[35:36], v[51:52], off offset:256
	global_load_b64 v[33:34], v[49:50], off offset:256
	global_load_b64 v[31:32], v[47:48], off offset:256
	global_load_b64 v[29:30], v[45:46], off offset:256
	s_and_saveexec_b32 s27, s1
	s_cbranch_execz .LBB108_15
; %bb.21:                               ;   in Loop: Header=BB108_18 Depth=1
	s_clause 0x3
	global_load_b64 v[43:44], v[51:52], off offset:512
	global_load_b64 v[41:42], v[49:50], off offset:512
	global_load_b64 v[39:40], v[47:48], off offset:512
	global_load_b64 v[37:38], v[45:46], off offset:512
	s_and_saveexec_b32 s28, s2
	s_cbranch_execz .LBB108_14
; %bb.22:                               ;   in Loop: Header=BB108_18 Depth=1
	s_clause 0x3
	global_load_b64 v[51:52], v[51:52], off offset:768
	global_load_b64 v[49:50], v[49:50], off offset:768
	global_load_b64 v[47:48], v[47:48], off offset:768
	global_load_b64 v[45:46], v[45:46], off offset:768
	s_waitcnt vmcnt(3)
	v_mul_f32_e32 v61, v26, v52
	v_mul_f32_e32 v52, v25, v52
	s_waitcnt vmcnt(1)
	v_dual_mul_f32 v62, v22, v50 :: v_dual_mul_f32 v63, v16, v48
	v_mul_f32_e32 v50, v21, v50
	v_mul_f32_e32 v48, v15, v48
	v_fma_f32 v61, v25, v51, -v61
	s_delay_alu instid0(VALU_DEP_4) | instskip(NEXT) | instid1(VALU_DEP_4)
	v_fma_f32 v62, v21, v49, -v62
	v_fmac_f32_e32 v50, v22, v49
	v_fmac_f32_e32 v52, v26, v51
	s_waitcnt vmcnt(0)
	v_mul_f32_e32 v51, v14, v46
	v_mul_f32_e32 v46, v13, v46
	v_fma_f32 v49, v15, v47, -v63
	s_delay_alu instid0(VALU_DEP_2) | instskip(SKIP_2) | instid1(VALU_DEP_3)
	v_dual_add_f32 v3, v3, v52 :: v_dual_fmac_f32 v46, v14, v45
	v_fmac_f32_e32 v48, v16, v47
	v_fma_f32 v47, v13, v45, -v51
	v_dual_add_f32 v3, v3, v50 :: v_dual_add_f32 v2, v2, v61
	s_delay_alu instid0(VALU_DEP_1) | instskip(NEXT) | instid1(VALU_DEP_1)
	v_dual_add_f32 v3, v3, v48 :: v_dual_add_f32 v2, v2, v62
	v_dual_add_f32 v3, v3, v46 :: v_dual_add_f32 v2, v2, v49
	s_delay_alu instid0(VALU_DEP_1)
	v_add_f32_e32 v2, v2, v47
	s_branch .LBB108_14
.LBB108_23:
	s_or_b32 exec_lo, exec_lo, s14
.LBB108_24:
	s_delay_alu instid0(SALU_CYCLE_1) | instskip(SKIP_1) | instid1(SALU_CYCLE_1)
	s_or_b32 exec_lo, exec_lo, s10
	s_sub_i32 s0, s19, s9
	s_cmp_lt_i32 s0, 1
	s_cbranch_scc1 .LBB108_42
; %bb.25:
	v_cmp_gt_i32_e32 vcc_lo, s19, v55
	v_dual_mov_b32 v10, 0 :: v_dual_mov_b32 v11, 0
	v_or_b32_e32 v18, 1, v55
	v_dual_mov_b32 v12, 0 :: v_dual_mov_b32 v13, 0
	v_dual_mov_b32 v14, 0 :: v_dual_mov_b32 v15, 0
	;; [unrolled: 1-line block ×3, first 2 shown]
	s_and_saveexec_b32 s1, vcc_lo
	s_cbranch_execz .LBB108_33
; %bb.26:
	v_mul_lo_u32 v10, v55, s20
	v_dual_mov_b32 v17, 0 :: v_dual_mov_b32 v16, 0
	v_dual_mov_b32 v15, 0 :: v_dual_mov_b32 v14, 0
	;; [unrolled: 1-line block ×3, first 2 shown]
	s_mov_b32 s2, exec_lo
	s_delay_alu instid0(VALU_DEP_4) | instskip(NEXT) | instid1(VALU_DEP_1)
	v_ashrrev_i32_e32 v11, 31, v10
	v_lshlrev_b64 v[10:11], 3, v[10:11]
	s_delay_alu instid0(VALU_DEP_1) | instskip(NEXT) | instid1(VALU_DEP_1)
	v_add_co_u32 v10, s0, s6, v10
	v_add_co_ci_u32_e64 v11, s0, s7, v11, s0
	global_load_b64 v[10:11], v[10:11], off
	v_cmpx_gt_i32_e64 s19, v18
	s_cbranch_execz .LBB108_32
; %bb.27:
	v_mul_lo_u32 v12, v18, s20
	v_or_b32_e32 v19, 2, v55
	v_dual_mov_b32 v17, 0 :: v_dual_mov_b32 v16, 0
	v_dual_mov_b32 v15, 0 :: v_dual_mov_b32 v14, 0
	s_mov_b32 s3, exec_lo
	s_delay_alu instid0(VALU_DEP_4) | instskip(NEXT) | instid1(VALU_DEP_1)
	v_ashrrev_i32_e32 v13, 31, v12
	v_lshlrev_b64 v[12:13], 3, v[12:13]
	s_delay_alu instid0(VALU_DEP_1) | instskip(NEXT) | instid1(VALU_DEP_1)
	v_add_co_u32 v12, s0, s6, v12
	v_add_co_ci_u32_e64 v13, s0, s7, v13, s0
	global_load_b64 v[12:13], v[12:13], off
	v_cmpx_gt_i32_e64 s19, v19
	s_cbranch_execz .LBB108_31
; %bb.28:
	v_mul_lo_u32 v14, v19, s20
	v_or_b32_e32 v19, 3, v55
	v_dual_mov_b32 v17, 0 :: v_dual_mov_b32 v16, 0
	s_mov_b32 s9, exec_lo
	s_delay_alu instid0(VALU_DEP_3) | instskip(NEXT) | instid1(VALU_DEP_1)
	v_ashrrev_i32_e32 v15, 31, v14
	v_lshlrev_b64 v[14:15], 3, v[14:15]
	s_delay_alu instid0(VALU_DEP_1) | instskip(NEXT) | instid1(VALU_DEP_1)
	v_add_co_u32 v14, s0, s6, v14
	v_add_co_ci_u32_e64 v15, s0, s7, v15, s0
	global_load_b64 v[14:15], v[14:15], off
	v_cmpx_gt_i32_e64 s19, v19
	s_cbranch_execz .LBB108_30
; %bb.29:
	v_mul_lo_u32 v16, v19, s20
	s_delay_alu instid0(VALU_DEP_1) | instskip(NEXT) | instid1(VALU_DEP_1)
	v_ashrrev_i32_e32 v17, 31, v16
	v_lshlrev_b64 v[16:17], 3, v[16:17]
	s_delay_alu instid0(VALU_DEP_1) | instskip(NEXT) | instid1(VALU_DEP_1)
	v_add_co_u32 v16, s0, s6, v16
	v_add_co_ci_u32_e64 v17, s0, s7, v17, s0
	global_load_b64 v[16:17], v[16:17], off
.LBB108_30:
	s_or_b32 exec_lo, exec_lo, s9
.LBB108_31:
	s_delay_alu instid0(SALU_CYCLE_1)
	s_or_b32 exec_lo, exec_lo, s3
.LBB108_32:
	s_delay_alu instid0(SALU_CYCLE_1)
	s_or_b32 exec_lo, exec_lo, s2
.LBB108_33:
	s_delay_alu instid0(SALU_CYCLE_1) | instskip(NEXT) | instid1(SALU_CYCLE_1)
	s_or_b32 exec_lo, exec_lo, s1
	s_mov_b32 s1, exec_lo
	v_cmpx_gt_i32_e64 s18, v54
	s_cbranch_execz .LBB108_41
; %bb.34:
	v_mul_lo_u32 v19, v55, s23
	v_mul_lo_u32 v20, v18, s23
	v_or_b32_e32 v21, 2, v55
	v_or_b32_e32 v22, 3, v55
	s_mov_b32 s0, exec_lo
	s_delay_alu instid0(VALU_DEP_2)
	v_mul_lo_u32 v23, v21, s23
	v_cndmask_b32_e32 v19, 0, v19, vcc_lo
	v_cmp_gt_i32_e32 vcc_lo, s19, v18
	v_mul_lo_u32 v24, v22, s23
	v_cndmask_b32_e32 v20, 0, v20, vcc_lo
	v_cmp_gt_i32_e32 vcc_lo, s19, v21
	v_add_nc_u32_e32 v18, v19, v54
	s_delay_alu instid0(VALU_DEP_3) | instskip(NEXT) | instid1(VALU_DEP_2)
	v_dual_cndmask_b32 v23, 0, v23 :: v_dual_add_nc_u32 v20, v20, v54
	v_ashrrev_i32_e32 v19, 31, v18
	v_cmp_gt_i32_e32 vcc_lo, s19, v22
	s_delay_alu instid0(VALU_DEP_3) | instskip(NEXT) | instid1(VALU_DEP_3)
	v_ashrrev_i32_e32 v21, 31, v20
	v_lshlrev_b64 v[18:19], 3, v[18:19]
	v_cndmask_b32_e32 v24, 0, v24, vcc_lo
	s_delay_alu instid0(VALU_DEP_3) | instskip(NEXT) | instid1(VALU_DEP_2)
	v_lshlrev_b64 v[20:21], 3, v[20:21]
	v_add_nc_u32_e32 v26, v24, v54
	s_delay_alu instid0(VALU_DEP_4) | instskip(SKIP_1) | instid1(VALU_DEP_4)
	v_add_co_u32 v24, vcc_lo, s5, v18
	v_add_co_ci_u32_e32 v25, vcc_lo, s8, v19, vcc_lo
	v_add_co_u32 v20, vcc_lo, s5, v20
	v_add_co_ci_u32_e32 v21, vcc_lo, s8, v21, vcc_lo
	s_clause 0x1
	global_load_b64 v[28:29], v[24:25], off
	global_load_b64 v[30:31], v[20:21], off
	s_waitcnt vmcnt(0)
	v_dual_mul_f32 v35, v13, v31 :: v_dual_add_nc_u32 v22, v23, v54
	v_dual_mul_f32 v31, v12, v31 :: v_dual_mul_f32 v34, v11, v29
	v_mul_f32_e32 v29, v10, v29
	s_delay_alu instid0(VALU_DEP_3) | instskip(NEXT) | instid1(VALU_DEP_3)
	v_ashrrev_i32_e32 v23, 31, v22
	v_fmac_f32_e32 v31, v13, v30
	s_delay_alu instid0(VALU_DEP_4) | instskip(NEXT) | instid1(VALU_DEP_4)
	v_fma_f32 v34, v10, v28, -v34
	v_fmac_f32_e32 v29, v11, v28
	v_ashrrev_i32_e32 v27, 31, v26
	v_lshlrev_b64 v[18:19], 3, v[22:23]
	v_fma_f32 v28, v12, v30, -v35
	s_delay_alu instid0(VALU_DEP_4) | instskip(NEXT) | instid1(VALU_DEP_4)
	v_dual_add_f32 v8, v8, v34 :: v_dual_add_f32 v29, v9, v29
	v_lshlrev_b64 v[26:27], 3, v[26:27]
	s_delay_alu instid0(VALU_DEP_4) | instskip(SKIP_1) | instid1(VALU_DEP_3)
	v_add_co_u32 v22, vcc_lo, s5, v18
	v_add_co_ci_u32_e32 v23, vcc_lo, s8, v19, vcc_lo
	v_add_co_u32 v18, vcc_lo, s5, v26
	s_delay_alu instid0(VALU_DEP_4)
	v_add_co_ci_u32_e32 v19, vcc_lo, s8, v27, vcc_lo
	s_clause 0x1
	global_load_b64 v[26:27], v[22:23], off
	global_load_b64 v[32:33], v[18:19], off
	s_waitcnt vmcnt(0)
	v_dual_mul_f32 v30, v15, v27 :: v_dual_mul_f32 v35, v17, v33
	v_mul_f32_e32 v27, v14, v27
	v_mul_f32_e32 v9, v16, v33
	s_delay_alu instid0(VALU_DEP_3) | instskip(NEXT) | instid1(VALU_DEP_3)
	v_fma_f32 v30, v14, v26, -v30
	v_dual_fmac_f32 v27, v15, v26 :: v_dual_add_f32 v26, v8, v28
	v_dual_add_f32 v28, v29, v31 :: v_dual_add_nc_u32 v29, 32, v54
	v_fma_f32 v8, v16, v32, -v35
	s_delay_alu instid0(VALU_DEP_3) | instskip(NEXT) | instid1(VALU_DEP_3)
	v_dual_fmac_f32 v9, v17, v32 :: v_dual_add_f32 v26, v26, v30
	v_add_f32_e32 v27, v28, v27
	s_delay_alu instid0(VALU_DEP_4)
	v_cmpx_gt_i32_e64 s18, v29
	s_cbranch_execz .LBB108_40
; %bb.35:
	s_clause 0x3
	global_load_b64 v[28:29], v[24:25], off offset:256
	global_load_b64 v[30:31], v[20:21], off offset:256
	;; [unrolled: 1-line block ×4, first 2 shown]
	s_mov_b32 s2, exec_lo
	s_waitcnt vmcnt(2)
	v_dual_mul_f32 v36, v11, v29 :: v_dual_mul_f32 v37, v13, v31
	v_mul_f32_e32 v29, v10, v29
	s_waitcnt vmcnt(1)
	v_dual_mul_f32 v31, v12, v31 :: v_dual_mul_f32 v38, v15, v33
	s_delay_alu instid0(VALU_DEP_3) | instskip(SKIP_1) | instid1(VALU_DEP_3)
	v_fma_f32 v36, v10, v28, -v36
	v_fma_f32 v37, v12, v30, -v37
	v_fmac_f32_e32 v31, v13, v30
	s_delay_alu instid0(VALU_DEP_4) | instskip(NEXT) | instid1(VALU_DEP_4)
	v_fma_f32 v30, v14, v32, -v38
	v_add_f32_e32 v6, v6, v36
	v_mul_f32_e32 v33, v14, v33
	s_waitcnt vmcnt(0)
	v_dual_fmac_f32 v29, v11, v28 :: v_dual_mul_f32 v28, v17, v35
	s_delay_alu instid0(VALU_DEP_2) | instskip(NEXT) | instid1(VALU_DEP_2)
	v_dual_fmac_f32 v33, v15, v32 :: v_dual_add_f32 v32, v6, v37
	v_add_f32_e32 v29, v7, v29
	v_mul_f32_e32 v7, v16, v35
	s_delay_alu instid0(VALU_DEP_4) | instskip(NEXT) | instid1(VALU_DEP_3)
	v_fma_f32 v6, v16, v34, -v28
	v_dual_add_f32 v28, v32, v30 :: v_dual_add_f32 v29, v29, v31
	v_add_nc_u32_e32 v31, 64, v54
	s_delay_alu instid0(VALU_DEP_4) | instskip(NEXT) | instid1(VALU_DEP_3)
	v_fmac_f32_e32 v7, v17, v34
	v_add_f32_e32 v29, v29, v33
	s_delay_alu instid0(VALU_DEP_3)
	v_cmpx_gt_i32_e64 s18, v31
	s_cbranch_execz .LBB108_39
; %bb.36:
	s_clause 0x3
	global_load_b64 v[30:31], v[24:25], off offset:512
	global_load_b64 v[32:33], v[20:21], off offset:512
	;; [unrolled: 1-line block ×4, first 2 shown]
	s_mov_b32 s3, exec_lo
	s_waitcnt vmcnt(2)
	v_dual_mul_f32 v38, v11, v31 :: v_dual_mul_f32 v39, v13, v33
	v_mul_f32_e32 v31, v10, v31
	s_waitcnt vmcnt(1)
	v_dual_mul_f32 v33, v12, v33 :: v_dual_mul_f32 v40, v15, v35
	s_delay_alu instid0(VALU_DEP_3) | instskip(SKIP_2) | instid1(VALU_DEP_4)
	v_fma_f32 v38, v10, v30, -v38
	v_mul_f32_e32 v35, v14, v35
	v_fma_f32 v39, v12, v32, -v39
	v_fmac_f32_e32 v33, v13, v32
	v_fma_f32 v32, v14, v34, -v40
	v_add_f32_e32 v4, v4, v38
	s_waitcnt vmcnt(0)
	v_dual_fmac_f32 v31, v11, v30 :: v_dual_mul_f32 v30, v17, v37
	s_delay_alu instid0(VALU_DEP_2) | instskip(NEXT) | instid1(VALU_DEP_2)
	v_dual_fmac_f32 v35, v15, v34 :: v_dual_add_f32 v34, v4, v39
	v_add_f32_e32 v31, v5, v31
	v_mul_f32_e32 v5, v16, v37
	s_delay_alu instid0(VALU_DEP_4) | instskip(NEXT) | instid1(VALU_DEP_3)
	v_fma_f32 v4, v16, v36, -v30
	v_dual_add_f32 v30, v34, v32 :: v_dual_add_f32 v31, v31, v33
	v_add_nc_u32_e32 v33, 0x60, v54
	s_delay_alu instid0(VALU_DEP_4) | instskip(NEXT) | instid1(VALU_DEP_3)
	v_fmac_f32_e32 v5, v17, v36
	v_add_f32_e32 v31, v31, v35
	s_delay_alu instid0(VALU_DEP_3)
	v_cmpx_gt_i32_e64 s18, v33
	s_cbranch_execz .LBB108_38
; %bb.37:
	s_clause 0x3
	global_load_b64 v[24:25], v[24:25], off offset:768
	global_load_b64 v[20:21], v[20:21], off offset:768
	;; [unrolled: 1-line block ×4, first 2 shown]
	s_waitcnt vmcnt(3)
	v_mul_f32_e32 v32, v11, v25
	s_waitcnt vmcnt(1)
	v_dual_mul_f32 v25, v10, v25 :: v_dual_mul_f32 v34, v15, v23
	v_mul_f32_e32 v23, v14, v23
	s_delay_alu instid0(VALU_DEP_3) | instskip(SKIP_1) | instid1(VALU_DEP_4)
	v_fma_f32 v10, v10, v24, -v32
	v_mul_f32_e32 v33, v13, v21
	v_fmac_f32_e32 v25, v11, v24
	s_delay_alu instid0(VALU_DEP_4) | instskip(NEXT) | instid1(VALU_DEP_4)
	v_fmac_f32_e32 v23, v15, v22
	v_add_f32_e32 v2, v2, v10
	s_waitcnt vmcnt(0)
	v_mul_f32_e32 v10, v16, v19
	v_mul_f32_e32 v21, v12, v21
	v_fma_f32 v12, v12, v20, -v33
	s_delay_alu instid0(VALU_DEP_3) | instskip(NEXT) | instid1(VALU_DEP_2)
	v_dual_add_f32 v3, v3, v25 :: v_dual_fmac_f32 v10, v17, v18
	v_add_f32_e32 v2, v2, v12
	s_delay_alu instid0(VALU_DEP_4) | instskip(SKIP_1) | instid1(VALU_DEP_1)
	v_fmac_f32_e32 v21, v13, v20
	v_fma_f32 v13, v14, v22, -v34
	v_dual_mul_f32 v11, v17, v19 :: v_dual_add_f32 v2, v2, v13
	s_delay_alu instid0(VALU_DEP_1) | instskip(NEXT) | instid1(VALU_DEP_1)
	v_fma_f32 v11, v16, v18, -v11
	v_dual_add_f32 v2, v2, v11 :: v_dual_add_f32 v3, v3, v21
	s_delay_alu instid0(VALU_DEP_1) | instskip(NEXT) | instid1(VALU_DEP_1)
	v_add_f32_e32 v3, v3, v23
	v_add_f32_e32 v3, v3, v10
.LBB108_38:
	s_or_b32 exec_lo, exec_lo, s3
	s_delay_alu instid0(VALU_DEP_2)
	v_dual_add_f32 v4, v30, v4 :: v_dual_add_f32 v5, v31, v5
.LBB108_39:
	s_or_b32 exec_lo, exec_lo, s2
	s_delay_alu instid0(VALU_DEP_2)
	v_dual_add_f32 v6, v28, v6 :: v_dual_add_f32 v7, v29, v7
.LBB108_40:
	s_or_b32 exec_lo, exec_lo, s0
	s_delay_alu instid0(VALU_DEP_2)
	v_dual_add_f32 v8, v26, v8 :: v_dual_add_f32 v9, v27, v9
.LBB108_41:
	s_or_b32 exec_lo, exec_lo, s1
.LBB108_42:
	s_waitcnt vmcnt(0)
	v_lshlrev_b32_e32 v10, 7, v53
	s_mov_b32 s0, exec_lo
	s_delay_alu instid0(VALU_DEP_1)
	v_add_lshl_u32 v1, v10, v1, 3
	ds_store_2addr_b64 v1, v[8:9], v[6:7] offset1:32
	ds_store_2addr_b64 v1, v[4:5], v[2:3] offset0:64 offset1:96
	s_waitcnt lgkmcnt(0)
	s_waitcnt_vscnt null, 0x0
	s_barrier
	buffer_gl0_inv
	v_cmpx_gt_u32_e32 0x80, v0
	s_cbranch_execz .LBB108_47
; %bb.43:
	v_lshlrev_b32_e32 v13, 3, v0
	v_or_b32_e32 v0, s4, v0
	ds_load_2addr_stride64_b64 v[1:4], v13 offset1:2
	ds_load_2addr_stride64_b64 v[5:8], v13 offset0:4 offset1:6
	ds_load_2addr_stride64_b64 v[9:12], v13 offset0:8 offset1:10
	v_cmp_gt_i32_e32 vcc_lo, s18, v0
	s_waitcnt lgkmcnt(2)
	v_add_f32_e32 v14, v1, v3
	s_waitcnt lgkmcnt(1)
	s_delay_alu instid0(VALU_DEP_1) | instskip(SKIP_4) | instid1(VALU_DEP_1)
	v_add_f32_e32 v5, v14, v5
	v_add_f32_e32 v15, v2, v4
	ds_load_2addr_stride64_b64 v[1:4], v13 offset0:12 offset1:14
	v_add_f32_e32 v14, v5, v7
	s_waitcnt lgkmcnt(1)
	v_dual_add_f32 v6, v15, v6 :: v_dual_add_f32 v9, v14, v9
	s_delay_alu instid0(VALU_DEP_1) | instskip(SKIP_3) | instid1(VALU_DEP_1)
	v_add_f32_e32 v15, v6, v8
	ds_load_2addr_stride64_b64 v[5:8], v13 offset0:16 offset1:18
	v_add_f32_e32 v14, v9, v11
	s_waitcnt lgkmcnt(1)
	v_dual_add_f32 v10, v15, v10 :: v_dual_add_f32 v1, v14, v1
	s_delay_alu instid0(VALU_DEP_1) | instskip(SKIP_3) | instid1(VALU_DEP_1)
	;; [unrolled: 6-line block ×3, first 2 shown]
	v_add_f32_e32 v15, v2, v4
	ds_load_2addr_stride64_b64 v[1:4], v13 offset0:24 offset1:26
	v_add_f32_e32 v14, v5, v7
	v_add_f32_e32 v6, v15, v6
	v_add_f32_e32 v15, v6, v8
	ds_load_2addr_stride64_b64 v[5:8], v13 offset0:28 offset1:30
	s_waitcnt lgkmcnt(2)
	v_dual_add_f32 v9, v14, v9 :: v_dual_add_f32 v10, v15, v10
	s_delay_alu instid0(VALU_DEP_1) | instskip(SKIP_1) | instid1(VALU_DEP_1)
	v_dual_add_f32 v9, v9, v11 :: v_dual_add_f32 v10, v10, v12
	s_waitcnt lgkmcnt(1)
	v_dual_add_f32 v1, v9, v1 :: v_dual_add_f32 v2, v10, v2
	s_delay_alu instid0(VALU_DEP_1) | instskip(SKIP_1) | instid1(VALU_DEP_1)
	v_dual_add_f32 v1, v1, v3 :: v_dual_add_f32 v2, v2, v4
	s_waitcnt lgkmcnt(0)
	v_add_f32_e32 v1, v1, v5
	s_delay_alu instid0(VALU_DEP_1) | instskip(NEXT) | instid1(VALU_DEP_1)
	v_dual_add_f32 v3, v2, v6 :: v_dual_add_f32 v2, v1, v7
	v_add_f32_e32 v3, v3, v8
	ds_store_b64 v13, v[2:3]
	s_and_b32 exec_lo, exec_lo, vcc_lo
	s_cbranch_execz .LBB108_47
; %bb.44:
	v_mul_lo_u32 v4, v0, s26
	v_mul_f32_e32 v1, s24, v3
	v_mul_f32_e32 v0, s25, v3
	v_cmp_neq_f32_e64 s0, s12, 0
	v_cmp_neq_f32_e64 s1, s13, 0
	s_delay_alu instid0(VALU_DEP_4) | instskip(NEXT) | instid1(VALU_DEP_4)
	v_fmac_f32_e32 v1, s25, v2
	v_fma_f32 v0, v2, s24, -v0
	v_ashrrev_i32_e32 v5, 31, v4
	s_delay_alu instid0(VALU_DEP_4) | instskip(NEXT) | instid1(SALU_CYCLE_1)
	s_or_b32 s0, s0, s1
	s_and_not1_b32 vcc_lo, exec_lo, s0
	s_delay_alu instid0(VALU_DEP_1)
	v_lshlrev_b64 v[3:4], 3, v[4:5]
	s_cbranch_vccnz .LBB108_46
; %bb.45:
	s_delay_alu instid0(VALU_DEP_1) | instskip(NEXT) | instid1(VALU_DEP_2)
	v_add_co_u32 v5, vcc_lo, s21, v3
	v_add_co_ci_u32_e32 v6, vcc_lo, s22, v4, vcc_lo
	global_load_b64 v[5:6], v[5:6], off
	s_waitcnt vmcnt(0)
	v_mul_f32_e32 v2, s13, v6
	v_mul_f32_e32 v6, s12, v6
	s_delay_alu instid0(VALU_DEP_2) | instskip(NEXT) | instid1(VALU_DEP_2)
	v_fma_f32 v2, s12, v5, -v2
	v_fmac_f32_e32 v6, s13, v5
	s_delay_alu instid0(VALU_DEP_2) | instskip(NEXT) | instid1(VALU_DEP_2)
	v_add_f32_e32 v0, v0, v2
	v_add_f32_e32 v1, v1, v6
.LBB108_46:
	s_delay_alu instid0(VALU_DEP_1) | instskip(NEXT) | instid1(VALU_DEP_2)
	v_add_co_u32 v2, vcc_lo, s21, v3
	v_add_co_ci_u32_e32 v3, vcc_lo, s22, v4, vcc_lo
	global_store_b64 v[2:3], v[0:1], off
.LBB108_47:
	s_nop 0
	s_sendmsg sendmsg(MSG_DEALLOC_VGPRS)
	s_endpgm
	.section	.rodata,"a",@progbits
	.p2align	6, 0x0
	.amdhsa_kernel _ZL20rocblas_gemvn_kernelILi32ELi16Ei19rocblas_complex_numIfEPKS1_S1_EviiT3_lPKT2_lT1_lS7_lS8_lS4_lPT4_lS8_li
		.amdhsa_group_segment_fixed_size 16384
		.amdhsa_private_segment_fixed_size 0
		.amdhsa_kernarg_size 400
		.amdhsa_user_sgpr_count 14
		.amdhsa_user_sgpr_dispatch_ptr 0
		.amdhsa_user_sgpr_queue_ptr 0
		.amdhsa_user_sgpr_kernarg_segment_ptr 1
		.amdhsa_user_sgpr_dispatch_id 0
		.amdhsa_user_sgpr_private_segment_size 0
		.amdhsa_wavefront_size32 1
		.amdhsa_uses_dynamic_stack 0
		.amdhsa_enable_private_segment 0
		.amdhsa_system_sgpr_workgroup_id_x 1
		.amdhsa_system_sgpr_workgroup_id_y 0
		.amdhsa_system_sgpr_workgroup_id_z 1
		.amdhsa_system_sgpr_workgroup_info 0
		.amdhsa_system_vgpr_workitem_id 1
		.amdhsa_next_free_vgpr 64
		.amdhsa_next_free_sgpr 29
		.amdhsa_reserve_vcc 1
		.amdhsa_float_round_mode_32 0
		.amdhsa_float_round_mode_16_64 0
		.amdhsa_float_denorm_mode_32 3
		.amdhsa_float_denorm_mode_16_64 3
		.amdhsa_dx10_clamp 1
		.amdhsa_ieee_mode 1
		.amdhsa_fp16_overflow 0
		.amdhsa_workgroup_processor_mode 1
		.amdhsa_memory_ordered 1
		.amdhsa_forward_progress 0
		.amdhsa_shared_vgpr_count 0
		.amdhsa_exception_fp_ieee_invalid_op 0
		.amdhsa_exception_fp_denorm_src 0
		.amdhsa_exception_fp_ieee_div_zero 0
		.amdhsa_exception_fp_ieee_overflow 0
		.amdhsa_exception_fp_ieee_underflow 0
		.amdhsa_exception_fp_ieee_inexact 0
		.amdhsa_exception_int_div_zero 0
	.end_amdhsa_kernel
	.section	.text._ZL20rocblas_gemvn_kernelILi32ELi16Ei19rocblas_complex_numIfEPKS1_S1_EviiT3_lPKT2_lT1_lS7_lS8_lS4_lPT4_lS8_li,"axG",@progbits,_ZL20rocblas_gemvn_kernelILi32ELi16Ei19rocblas_complex_numIfEPKS1_S1_EviiT3_lPKT2_lT1_lS7_lS8_lS4_lPT4_lS8_li,comdat
.Lfunc_end108:
	.size	_ZL20rocblas_gemvn_kernelILi32ELi16Ei19rocblas_complex_numIfEPKS1_S1_EviiT3_lPKT2_lT1_lS7_lS8_lS4_lPT4_lS8_li, .Lfunc_end108-_ZL20rocblas_gemvn_kernelILi32ELi16Ei19rocblas_complex_numIfEPKS1_S1_EviiT3_lPKT2_lT1_lS7_lS8_lS4_lPT4_lS8_li
                                        ; -- End function
	.section	.AMDGPU.csdata,"",@progbits
; Kernel info:
; codeLenInByte = 4104
; NumSgprs: 31
; NumVgprs: 64
; ScratchSize: 0
; MemoryBound: 0
; FloatMode: 240
; IeeeMode: 1
; LDSByteSize: 16384 bytes/workgroup (compile time only)
; SGPRBlocks: 3
; VGPRBlocks: 7
; NumSGPRsForWavesPerEU: 31
; NumVGPRsForWavesPerEU: 64
; Occupancy: 16
; WaveLimiterHint : 1
; COMPUTE_PGM_RSRC2:SCRATCH_EN: 0
; COMPUTE_PGM_RSRC2:USER_SGPR: 14
; COMPUTE_PGM_RSRC2:TRAP_HANDLER: 0
; COMPUTE_PGM_RSRC2:TGID_X_EN: 1
; COMPUTE_PGM_RSRC2:TGID_Y_EN: 0
; COMPUTE_PGM_RSRC2:TGID_Z_EN: 1
; COMPUTE_PGM_RSRC2:TIDIG_COMP_CNT: 1
	.section	.text._ZL20rocblas_gemvn_kernelILi32ELi16El19rocblas_complex_numIfEPKS1_S1_EviiT3_lPKT2_lT1_lS7_lS8_lS4_lPT4_lS8_li,"axG",@progbits,_ZL20rocblas_gemvn_kernelILi32ELi16El19rocblas_complex_numIfEPKS1_S1_EviiT3_lPKT2_lT1_lS7_lS8_lS4_lPT4_lS8_li,comdat
	.globl	_ZL20rocblas_gemvn_kernelILi32ELi16El19rocblas_complex_numIfEPKS1_S1_EviiT3_lPKT2_lT1_lS7_lS8_lS4_lPT4_lS8_li ; -- Begin function _ZL20rocblas_gemvn_kernelILi32ELi16El19rocblas_complex_numIfEPKS1_S1_EviiT3_lPKT2_lT1_lS7_lS8_lS4_lPT4_lS8_li
	.p2align	8
	.type	_ZL20rocblas_gemvn_kernelILi32ELi16El19rocblas_complex_numIfEPKS1_S1_EviiT3_lPKT2_lT1_lS7_lS8_lS4_lPT4_lS8_li,@function
_ZL20rocblas_gemvn_kernelILi32ELi16El19rocblas_complex_numIfEPKS1_S1_EviiT3_lPKT2_lT1_lS7_lS8_lS4_lPT4_lS8_li: ; @_ZL20rocblas_gemvn_kernelILi32ELi16El19rocblas_complex_numIfEPKS1_S1_EviiT3_lPKT2_lT1_lS7_lS8_lS4_lPT4_lS8_li
; %bb.0:
	s_load_b64 s[2:3], s[0:1], 0x9c
	s_waitcnt lgkmcnt(0)
	s_lshr_b32 s4, s2, 16
	s_and_b32 s2, s2, 0xffff
	s_and_b32 s3, s3, 0xffff
	s_mul_i32 s2, s4, s2
	s_delay_alu instid0(SALU_CYCLE_1) | instskip(NEXT) | instid1(SALU_CYCLE_1)
	s_mul_i32 s2, s2, s3
	s_cmpk_lg_i32 s2, 0x200
	s_cbranch_scc1 .LBB109_47
; %bb.1:
	s_clause 0x1
	s_load_b512 s[36:51], s[0:1], 0x8
	s_load_b512 s[16:31], s[0:1], 0x48
	s_waitcnt lgkmcnt(0)
	s_mul_i32 s3, s15, s39
	s_mul_hi_u32 s4, s15, s38
	s_mul_i32 s2, s15, s38
	s_add_i32 s3, s4, s3
	s_mul_hi_u32 s4, s15, s22
	s_lshl_b64 s[2:3], s[2:3], 3
	s_delay_alu instid0(SALU_CYCLE_1)
	s_add_u32 s2, s36, s2
	s_addc_u32 s3, s37, s3
	s_load_b64 s[8:9], s[2:3], 0x0
	s_mul_i32 s3, s15, s23
	s_mul_i32 s2, s15, s22
	s_add_i32 s3, s4, s3
	s_delay_alu instid0(SALU_CYCLE_1) | instskip(NEXT) | instid1(SALU_CYCLE_1)
	s_lshl_b64 s[2:3], s[2:3], 3
	s_add_u32 s2, s20, s2
	s_addc_u32 s3, s21, s3
	s_load_b64 s[6:7], s[2:3], 0x0
	s_waitcnt lgkmcnt(0)
	v_cmp_neq_f32_e64 s2, s8, 0
	v_cmp_neq_f32_e64 s3, s9, 0
	s_delay_alu instid0(VALU_DEP_1) | instskip(NEXT) | instid1(SALU_CYCLE_1)
	s_or_b32 s2, s2, s3
	s_and_b32 vcc_lo, exec_lo, s2
	s_mov_b32 s2, -1
	s_cbranch_vccnz .LBB109_3
; %bb.2:
	v_cmp_neq_f32_e64 s2, s6, 1.0
	v_cmp_neq_f32_e64 s3, s7, 0
	s_delay_alu instid0(VALU_DEP_1)
	s_or_b32 s2, s2, s3
.LBB109_3:
	s_delay_alu instid0(SALU_CYCLE_1)
	s_and_not1_b32 vcc_lo, exec_lo, s2
	s_cbranch_vccnz .LBB109_47
; %bb.4:
	s_load_b64 s[10:11], s[0:1], 0x0
	s_mul_i32 s2, s15, s31
	s_mul_hi_u32 s3, s15, s30
	v_and_b32_e32 v55, 0x3ff, v0
	v_bfe_u32 v56, v0, 10, 10
	s_add_i32 s3, s3, s2
	s_mul_i32 s2, s15, s30
	s_delay_alu instid0(SALU_CYCLE_1) | instskip(NEXT) | instid1(VALU_DEP_1)
	s_lshl_b64 s[0:1], s[2:3], 3
	v_lshl_add_u32 v54, v56, 5, v55
	s_add_u32 s2, s24, s0
	s_addc_u32 s3, s25, s1
	s_lshl_b64 s[0:1], s[26:27], 3
	s_delay_alu instid0(SALU_CYCLE_1) | instskip(SKIP_4) | instid1(SALU_CYCLE_1)
	s_add_u32 s5, s2, s0
	s_addc_u32 s24, s3, s1
	s_or_b32 s0, s8, s9
	v_cmp_gt_u32_e32 vcc_lo, 0x80, v54
	s_bitset0_b32 s0, 31
	s_cmp_lg_u32 s0, 0
	s_mov_b32 s0, -1
	s_cbranch_scc1 .LBB109_11
; %bb.5:
	s_and_saveexec_b32 s0, vcc_lo
	s_cbranch_execz .LBB109_10
; %bb.6:
	v_lshl_or_b32 v0, s14, 7, v54
	v_mov_b32_e32 v1, 0
	s_waitcnt lgkmcnt(0)
	s_ashr_i32 s3, s10, 31
	s_mov_b32 s2, s10
	s_delay_alu instid0(VALU_DEP_1) | instid1(SALU_CYCLE_1)
	v_cmp_gt_i64_e32 vcc_lo, s[2:3], v[0:1]
	s_and_b32 exec_lo, exec_lo, vcc_lo
	s_cbranch_execz .LBB109_10
; %bb.7:
	v_mad_u64_u32 v[2:3], null, v0, s28, 0
	v_cmp_neq_f32_e64 s1, s6, 0
	v_cmp_neq_f32_e64 s2, s7, 0
	s_delay_alu instid0(VALU_DEP_1) | instskip(NEXT) | instid1(VALU_DEP_3)
	s_or_b32 s1, s1, s2
	v_mad_u64_u32 v[4:5], null, v0, s29, v[3:4]
	s_and_not1_b32 vcc_lo, exec_lo, s1
	s_delay_alu instid0(VALU_DEP_1) | instskip(NEXT) | instid1(VALU_DEP_1)
	v_dual_mov_b32 v3, v4 :: v_dual_mov_b32 v4, v1
	v_lshlrev_b64 v[2:3], 3, v[2:3]
	s_cbranch_vccnz .LBB109_9
; %bb.8:
	s_delay_alu instid0(VALU_DEP_1) | instskip(NEXT) | instid1(VALU_DEP_2)
	v_add_co_u32 v0, vcc_lo, s5, v2
	v_add_co_ci_u32_e32 v1, vcc_lo, s24, v3, vcc_lo
	global_load_b64 v[0:1], v[0:1], off
	s_waitcnt vmcnt(0)
	v_mul_f32_e32 v4, s6, v1
	s_delay_alu instid0(VALU_DEP_1) | instskip(NEXT) | instid1(VALU_DEP_1)
	v_dual_mul_f32 v5, s7, v1 :: v_dual_fmac_f32 v4, s7, v0
	v_fma_f32 v1, s6, v0, -v5
.LBB109_9:
	s_delay_alu instid0(VALU_DEP_1) | instskip(NEXT) | instid1(VALU_DEP_2)
	v_add_co_u32 v5, vcc_lo, s5, v2
	v_add_co_ci_u32_e32 v6, vcc_lo, s24, v3, vcc_lo
	s_delay_alu instid0(VALU_DEP_3)
	v_mov_b32_e32 v3, v1
	global_store_b64 v[5:6], v[3:4], off
.LBB109_10:
	s_or_b32 exec_lo, exec_lo, s0
	s_mov_b32 s0, 0
.LBB109_11:
	s_delay_alu instid0(SALU_CYCLE_1)
	s_and_not1_b32 vcc_lo, exec_lo, s0
	s_cbranch_vccnz .LBB109_47
; %bb.12:
	s_mul_i32 s0, s15, s47
	s_mul_hi_u32 s1, s15, s46
	s_lshl_b32 s25, s14, 7
	s_add_i32 s13, s1, s0
	s_waitcnt lgkmcnt(0)
	s_ashr_i32 s1, s11, 31
	v_dual_mov_b32 v0, 0 :: v_dual_lshlrev_b32 v57, 2, v56
	s_lshr_b32 s1, s1, 26
	v_dual_mov_b32 v1, 0 :: v_dual_add_nc_u32 v2, s25, v55
	v_dual_mov_b32 v5, 0 :: v_dual_mov_b32 v4, 0
	v_dual_mov_b32 v7, 0 :: v_dual_mov_b32 v6, 0
	;; [unrolled: 1-line block ×3, first 2 shown]
	s_mul_i32 s0, s15, s19
	s_mul_hi_u32 s2, s15, s18
	s_add_i32 s26, s11, s1
	s_mul_i32 s12, s15, s46
	s_and_not1_b32 s26, s26, 63
	s_add_i32 s19, s2, s0
	s_mul_i32 s18, s15, s18
	s_mov_b32 s27, exec_lo
	v_cmpx_gt_i32_e64 s26, v57
	s_cbranch_execz .LBB109_24
; %bb.13:
	v_mad_u64_u32 v[0:1], null, s16, v56, 0
	s_lshl_b64 s[0:1], s[50:51], 3
	v_add_nc_u32_e32 v10, 0x60, v2
	s_lshl_b64 s[2:3], s[18:19], 3
	s_add_u32 s0, s48, s0
	s_addc_u32 s4, s49, s1
	s_add_u32 s14, s0, s2
	s_delay_alu instid0(VALU_DEP_2)
	v_mad_u64_u32 v[4:5], null, s17, v56, v[1:2]
	v_lshlrev_b32_e32 v16, 2, v56
	v_cmp_gt_i32_e64 s2, s10, v10
	s_addc_u32 s4, s4, s3
	v_ashrrev_i32_e32 v3, 31, v2
	s_lshl_b64 s[20:21], s[42:43], 3
	s_lshl_b64 s[22:23], s[12:13], 3
	s_delay_alu instid0(VALU_DEP_4)
	v_mov_b32_e32 v1, v4
	v_or_b32_e32 v9, 3, v16
	v_or_b32_e32 v17, 2, v16
	v_lshlrev_b64 v[12:13], 3, v[2:3]
	v_cmp_gt_i32_e32 vcc_lo, s10, v2
	v_lshlrev_b64 v[0:1], 5, v[0:1]
	v_mad_u64_u32 v[5:6], null, s44, v9, 0
	v_add_nc_u32_e32 v7, 32, v2
	s_mov_b32 s30, 0
	s_delay_alu instid0(VALU_DEP_3) | instskip(NEXT) | instid1(VALU_DEP_1)
	v_add_co_u32 v10, s3, s14, v0
	v_add_co_ci_u32_e64 v11, s3, s4, v1, s3
	s_delay_alu instid0(VALU_DEP_4) | instskip(SKIP_3) | instid1(VALU_DEP_3)
	v_mov_b32_e32 v4, v6
	v_mad_u64_u32 v[0:1], null, s44, v56, 0
	v_cmp_gt_i32_e64 s0, s10, v7
	s_lshl_b64 s[14:15], s[16:17], 9
	v_mad_u64_u32 v[6:7], null, s45, v9, v[4:5]
	s_add_u32 s3, s40, s20
	s_addc_u32 s4, s41, s21
	s_delay_alu instid0(VALU_DEP_3) | instskip(SKIP_2) | instid1(VALU_DEP_3)
	v_mad_u64_u32 v[14:15], null, s45, v56, v[1:2]
	v_add_nc_u32_e32 v8, 64, v2
	s_add_u32 s20, s3, s22
	v_lshlrev_b64 v[3:4], 3, v[5:6]
	v_mad_u64_u32 v[5:6], null, s44, v16, s[44:45]
	s_delay_alu instid0(VALU_DEP_3) | instskip(SKIP_2) | instid1(VALU_DEP_4)
	v_cmp_gt_i32_e64 s1, s10, v8
	v_mad_u64_u32 v[7:8], null, s44, v17, 0
	s_addc_u32 s4, s4, s23
	v_add_co_u32 v3, s3, s20, v3
	s_delay_alu instid0(VALU_DEP_1) | instskip(SKIP_1) | instid1(VALU_DEP_3)
	v_add_co_ci_u32_e64 v58, s3, s4, v4, s3
	s_lshl_b64 s[22:23], s[16:17], 3
	v_mov_b32_e32 v1, v8
	s_delay_alu instid0(VALU_DEP_1) | instskip(SKIP_2) | instid1(VALU_DEP_2)
	v_mad_u64_u32 v[8:9], null, s45, v17, v[1:2]
	v_mov_b32_e32 v1, v14
	v_mad_u64_u32 v[14:15], null, s45, v16, v[6:7]
	v_lshlrev_b64 v[0:1], 5, v[0:1]
	s_delay_alu instid0(VALU_DEP_4) | instskip(NEXT) | instid1(VALU_DEP_3)
	v_lshlrev_b64 v[7:8], 3, v[7:8]
	v_mov_b32_e32 v6, v14
	s_delay_alu instid0(VALU_DEP_3) | instskip(NEXT) | instid1(VALU_DEP_1)
	v_add_co_u32 v59, s3, s20, v0
	v_add_co_ci_u32_e64 v60, s3, s4, v1, s3
	v_mov_b32_e32 v1, 0
	s_delay_alu instid0(VALU_DEP_4) | instskip(SKIP_1) | instid1(VALU_DEP_1)
	v_lshlrev_b64 v[4:5], 3, v[5:6]
	v_add_co_u32 v61, s3, s20, v7
	v_add_co_ci_u32_e64 v62, s3, s4, v8, s3
	s_delay_alu instid0(VALU_DEP_4) | instskip(NEXT) | instid1(VALU_DEP_4)
	v_mov_b32_e32 v0, v1
	v_add_co_u32 v63, s3, s20, v4
	s_delay_alu instid0(VALU_DEP_1)
	v_add_co_ci_u32_e64 v64, s3, s4, v5, s3
	v_mov_b32_e32 v5, v1
	v_mov_b32_e32 v4, v1
	;; [unrolled: 1-line block ×6, first 2 shown]
	s_lshl_b64 s[20:21], s[44:45], 9
	s_branch .LBB109_18
.LBB109_14:                             ;   in Loop: Header=BB109_18 Depth=1
	s_or_b32 exec_lo, exec_lo, s33
	s_waitcnt vmcnt(2)
	v_dual_mul_f32 v46, v27, v45 :: v_dual_mul_f32 v47, v17, v43
	v_mul_f32_e32 v45, v26, v45
	s_waitcnt vmcnt(1)
	v_dual_mul_f32 v43, v16, v43 :: v_dual_mul_f32 v48, v15, v41
	s_delay_alu instid0(VALU_DEP_3) | instskip(SKIP_2) | instid1(VALU_DEP_4)
	v_fma_f32 v46, v26, v44, -v46
	v_mul_f32_e32 v41, v14, v41
	v_fma_f32 v47, v16, v42, -v47
	v_fmac_f32_e32 v43, v17, v42
	v_fma_f32 v42, v14, v40, -v48
	v_dual_add_f32 v4, v4, v46 :: v_dual_fmac_f32 v45, v27, v44
	s_waitcnt vmcnt(0)
	v_mul_f32_e32 v44, v19, v39
	v_fmac_f32_e32 v41, v15, v40
	v_mul_f32_e32 v39, v18, v39
	v_dual_add_f32 v4, v4, v47 :: v_dual_add_f32 v5, v5, v45
	s_delay_alu instid0(VALU_DEP_4) | instskip(NEXT) | instid1(VALU_DEP_3)
	v_fma_f32 v40, v18, v38, -v44
	v_fmac_f32_e32 v39, v19, v38
	s_delay_alu instid0(VALU_DEP_3) | instskip(NEXT) | instid1(VALU_DEP_1)
	v_add_f32_e32 v4, v4, v42
	v_dual_add_f32 v4, v4, v40 :: v_dual_add_f32 v5, v5, v43
	s_delay_alu instid0(VALU_DEP_1) | instskip(NEXT) | instid1(VALU_DEP_1)
	v_add_f32_e32 v5, v5, v41
	v_add_f32_e32 v5, v5, v39
.LBB109_15:                             ;   in Loop: Header=BB109_18 Depth=1
	s_or_b32 exec_lo, exec_lo, s31
	s_waitcnt vmcnt(2)
	v_dual_mul_f32 v38, v27, v37 :: v_dual_mul_f32 v39, v17, v35
	v_mul_f32_e32 v37, v26, v37
	s_waitcnt vmcnt(1)
	v_dual_mul_f32 v35, v16, v35 :: v_dual_mul_f32 v40, v15, v33
	s_delay_alu instid0(VALU_DEP_3)
	v_fma_f32 v38, v26, v36, -v38
	v_fma_f32 v39, v16, v34, -v39
	v_fmac_f32_e32 v37, v27, v36
	s_waitcnt vmcnt(0)
	v_dual_mul_f32 v33, v14, v33 :: v_dual_mul_f32 v36, v19, v31
	v_add_f32_e32 v6, v6, v38
	v_fmac_f32_e32 v35, v17, v34
	v_fma_f32 v34, v14, v32, -v40
	v_mul_f32_e32 v31, v18, v31
	s_delay_alu instid0(VALU_DEP_4) | instskip(SKIP_2) | instid1(VALU_DEP_4)
	v_dual_fmac_f32 v33, v15, v32 :: v_dual_add_f32 v6, v6, v39
	v_add_f32_e32 v7, v7, v37
	v_fma_f32 v32, v18, v30, -v36
	v_fmac_f32_e32 v31, v19, v30
	s_delay_alu instid0(VALU_DEP_3) | instskip(NEXT) | instid1(VALU_DEP_1)
	v_dual_add_f32 v6, v6, v34 :: v_dual_add_f32 v7, v7, v35
	v_dual_add_f32 v6, v6, v32 :: v_dual_add_f32 v7, v7, v33
	s_delay_alu instid0(VALU_DEP_1)
	v_add_f32_e32 v7, v7, v31
.LBB109_16:                             ;   in Loop: Header=BB109_18 Depth=1
	s_or_b32 exec_lo, exec_lo, s3
	s_waitcnt vmcnt(3)
	v_mul_f32_e32 v30, v27, v29
	s_waitcnt vmcnt(1)
	v_dual_mul_f32 v29, v26, v29 :: v_dual_mul_f32 v32, v15, v23
	v_mul_f32_e32 v23, v14, v23
	s_delay_alu instid0(VALU_DEP_3)
	v_fma_f32 v26, v26, v28, -v30
	v_mul_f32_e32 v31, v17, v25
	v_mul_f32_e32 v25, v16, v25
	v_fma_f32 v14, v14, v22, -v32
	v_fmac_f32_e32 v23, v15, v22
	v_add_f32_e32 v8, v8, v26
	v_fma_f32 v16, v16, v24, -v31
	v_fmac_f32_e32 v25, v17, v24
	s_waitcnt vmcnt(0)
	s_delay_alu instid0(VALU_DEP_2) | instskip(SKIP_1) | instid1(VALU_DEP_2)
	v_dual_mul_f32 v17, v18, v21 :: v_dual_add_f32 v8, v8, v16
	v_fmac_f32_e32 v29, v27, v28
	v_dual_fmac_f32 v17, v19, v20 :: v_dual_add_f32 v8, v8, v14
	s_delay_alu instid0(VALU_DEP_2) | instskip(SKIP_1) | instid1(VALU_DEP_2)
	v_add_f32_e32 v9, v9, v29
	v_mul_f32_e32 v27, v19, v21
	v_add_f32_e32 v9, v9, v25
	s_delay_alu instid0(VALU_DEP_2) | instskip(NEXT) | instid1(VALU_DEP_2)
	v_fma_f32 v15, v18, v20, -v27
	v_add_f32_e32 v9, v9, v23
	s_delay_alu instid0(VALU_DEP_1)
	v_dual_add_f32 v8, v8, v15 :: v_dual_add_f32 v9, v9, v17
.LBB109_17:                             ;   in Loop: Header=BB109_18 Depth=1
	s_or_b32 exec_lo, exec_lo, s4
	v_add_co_u32 v10, s3, v10, s14
	s_delay_alu instid0(VALU_DEP_1) | instskip(SKIP_1) | instid1(VALU_DEP_1)
	v_add_co_ci_u32_e64 v11, s3, s15, v11, s3
	v_add_co_u32 v3, s3, v3, s20
	v_add_co_ci_u32_e64 v58, s3, s21, v58, s3
	v_add_co_u32 v59, s3, v59, s20
	v_add_nc_u32_e32 v57, 64, v57
	v_add_co_ci_u32_e64 v60, s3, s21, v60, s3
	v_add_co_u32 v61, s3, v61, s20
	s_delay_alu instid0(VALU_DEP_1) | instskip(NEXT) | instid1(VALU_DEP_4)
	v_add_co_ci_u32_e64 v62, s3, s21, v62, s3
	v_cmp_le_i32_e64 s3, s26, v57
	v_add_co_u32 v63, s4, v63, s20
	s_delay_alu instid0(VALU_DEP_1) | instskip(NEXT) | instid1(VALU_DEP_3)
	v_add_co_ci_u32_e64 v64, s4, s21, v64, s4
	s_or_b32 s30, s3, s30
	s_delay_alu instid0(SALU_CYCLE_1)
	s_and_not1_b32 exec_lo, exec_lo, s30
	s_cbranch_execz .LBB109_23
.LBB109_18:                             ; =>This Inner Loop Header: Depth=1
	s_and_saveexec_b32 s4, vcc_lo
	s_cbranch_execz .LBB109_17
; %bb.19:                               ;   in Loop: Header=BB109_18 Depth=1
	v_add_co_u32 v14, s3, v10, s22
	s_delay_alu instid0(VALU_DEP_1) | instskip(NEXT) | instid1(VALU_DEP_2)
	v_add_co_ci_u32_e64 v15, s3, s23, v11, s3
	v_add_co_u32 v18, s3, v14, s22
	s_delay_alu instid0(VALU_DEP_1) | instskip(SKIP_4) | instid1(VALU_DEP_1)
	v_add_co_ci_u32_e64 v19, s3, s23, v15, s3
	s_clause 0x1
	global_load_b64 v[16:17], v[14:15], off
	global_load_b64 v[14:15], v[18:19], off
	v_add_co_u32 v18, s3, v18, s22
	v_add_co_ci_u32_e64 v19, s3, s23, v19, s3
	v_add_co_u32 v52, s3, v59, v12
	s_delay_alu instid0(VALU_DEP_1) | instskip(SKIP_1) | instid1(VALU_DEP_1)
	v_add_co_ci_u32_e64 v53, s3, v60, v13, s3
	v_add_co_u32 v50, s3, v63, v12
	v_add_co_ci_u32_e64 v51, s3, v64, v13, s3
	v_add_co_u32 v48, s3, v61, v12
	s_delay_alu instid0(VALU_DEP_1) | instskip(SKIP_1) | instid1(VALU_DEP_1)
	v_add_co_ci_u32_e64 v49, s3, v62, v13, s3
	v_add_co_u32 v46, s3, v3, v12
	v_add_co_ci_u32_e64 v47, s3, v58, v13, s3
	s_clause 0x1
	global_load_b64 v[26:27], v[10:11], off
	global_load_b64 v[18:19], v[18:19], off
	;; [unrolled: 1-line block ×6, first 2 shown]
	s_and_saveexec_b32 s3, s0
	s_cbranch_execz .LBB109_16
; %bb.20:                               ;   in Loop: Header=BB109_18 Depth=1
	global_load_b64 v[36:37], v[52:53], off offset:256
	global_load_b64 v[34:35], v[50:51], off offset:256
	global_load_b64 v[32:33], v[48:49], off offset:256
	global_load_b64 v[30:31], v[46:47], off offset:256
	s_and_saveexec_b32 s31, s1
	s_cbranch_execz .LBB109_15
; %bb.21:                               ;   in Loop: Header=BB109_18 Depth=1
	global_load_b64 v[44:45], v[52:53], off offset:512
	global_load_b64 v[42:43], v[50:51], off offset:512
	global_load_b64 v[40:41], v[48:49], off offset:512
	global_load_b64 v[38:39], v[46:47], off offset:512
	;; [unrolled: 7-line block ×3, first 2 shown]
	s_waitcnt vmcnt(2)
	v_dual_mul_f32 v65, v27, v53 :: v_dual_mul_f32 v66, v17, v51
	v_mul_f32_e32 v53, v26, v53
	v_mul_f32_e32 v51, v16, v51
	s_delay_alu instid0(VALU_DEP_3) | instskip(NEXT) | instid1(VALU_DEP_4)
	v_fma_f32 v65, v26, v52, -v65
	v_fma_f32 v66, v16, v50, -v66
	s_delay_alu instid0(VALU_DEP_4)
	v_fmac_f32_e32 v53, v27, v52
	s_waitcnt vmcnt(0)
	v_dual_mul_f32 v52, v19, v47 :: v_dual_fmac_f32 v51, v17, v50
	v_add_f32_e32 v0, v0, v65
	v_mul_f32_e32 v67, v15, v49
	v_add_f32_e32 v1, v1, v53
	s_delay_alu instid0(VALU_DEP_3) | instskip(NEXT) | instid1(VALU_DEP_3)
	v_dual_mul_f32 v47, v18, v47 :: v_dual_add_f32 v0, v0, v66
	v_fma_f32 v50, v14, v48, -v67
	v_mul_f32_e32 v49, v14, v49
	s_delay_alu instid0(VALU_DEP_3) | instskip(NEXT) | instid1(VALU_DEP_2)
	v_fmac_f32_e32 v47, v19, v46
	v_dual_add_f32 v0, v0, v50 :: v_dual_fmac_f32 v49, v15, v48
	v_fma_f32 v48, v18, v46, -v52
	s_delay_alu instid0(VALU_DEP_1) | instskip(NEXT) | instid1(VALU_DEP_1)
	v_dual_add_f32 v0, v0, v48 :: v_dual_add_f32 v1, v1, v51
	v_add_f32_e32 v1, v1, v49
	s_delay_alu instid0(VALU_DEP_1)
	v_add_f32_e32 v1, v1, v47
	s_branch .LBB109_14
.LBB109_23:
	s_or_b32 exec_lo, exec_lo, s30
.LBB109_24:
	s_delay_alu instid0(SALU_CYCLE_1) | instskip(SKIP_1) | instid1(SALU_CYCLE_1)
	s_or_b32 exec_lo, exec_lo, s27
	s_sub_i32 s0, s11, s26
	s_cmp_lt_i32 s0, 1
	s_cbranch_scc1 .LBB109_42
; %bb.25:
	v_cmp_gt_i32_e32 vcc_lo, s11, v57
	v_dual_mov_b32 v10, 0 :: v_dual_mov_b32 v11, 0
	v_or_b32_e32 v18, 1, v57
	v_dual_mov_b32 v12, 0 :: v_dual_mov_b32 v13, 0
	v_dual_mov_b32 v14, 0 :: v_dual_mov_b32 v15, 0
	;; [unrolled: 1-line block ×3, first 2 shown]
	s_and_saveexec_b32 s1, vcc_lo
	s_cbranch_execz .LBB109_33
; %bb.26:
	v_mad_u64_u32 v[10:11], null, v57, s16, 0
	s_lshl_b64 s[2:3], s[18:19], 3
	v_dual_mov_b32 v17, 0 :: v_dual_mov_b32 v14, 0
	s_add_u32 s0, s48, s2
	s_addc_u32 s2, s49, s3
	s_lshl_b64 s[14:15], s[50:51], 3
	s_delay_alu instid0(VALU_DEP_2) | instskip(SKIP_3) | instid1(VALU_DEP_2)
	v_dual_mov_b32 v3, v11 :: v_dual_mov_b32 v16, 0
	s_add_u32 s3, s0, s14
	s_addc_u32 s4, s2, s15
	v_mov_b32_e32 v15, 0
	v_mad_u64_u32 v[11:12], null, v57, s17, v[3:4]
	v_dual_mov_b32 v12, 0 :: v_dual_mov_b32 v13, 0
	s_mov_b32 s2, exec_lo
	s_delay_alu instid0(VALU_DEP_2) | instskip(NEXT) | instid1(VALU_DEP_1)
	v_lshlrev_b64 v[10:11], 3, v[10:11]
	v_add_co_u32 v10, s0, s3, v10
	s_delay_alu instid0(VALU_DEP_1)
	v_add_co_ci_u32_e64 v11, s0, s4, v11, s0
	global_load_b64 v[10:11], v[10:11], off
	v_cmpx_gt_i32_e64 s11, v18
	s_cbranch_execz .LBB109_32
; %bb.27:
	v_mad_u64_u32 v[12:13], null, v18, s16, 0
	v_mov_b32_e32 v17, 0
	v_mov_b32_e32 v15, 0
	s_mov_b32 s14, exec_lo
	s_delay_alu instid0(VALU_DEP_3) | instskip(NEXT) | instid1(VALU_DEP_1)
	v_dual_mov_b32 v16, 0 :: v_dual_mov_b32 v3, v13
	v_mad_u64_u32 v[13:14], null, v18, s17, v[3:4]
	v_or_b32_e32 v3, 2, v57
	v_mov_b32_e32 v14, 0
	s_delay_alu instid0(VALU_DEP_3) | instskip(NEXT) | instid1(VALU_DEP_1)
	v_lshlrev_b64 v[12:13], 3, v[12:13]
	v_add_co_u32 v12, s0, s3, v12
	s_delay_alu instid0(VALU_DEP_1)
	v_add_co_ci_u32_e64 v13, s0, s4, v13, s0
	global_load_b64 v[12:13], v[12:13], off
	v_cmpx_gt_i32_e64 s11, v3
	s_cbranch_execz .LBB109_31
; %bb.28:
	v_mad_u64_u32 v[14:15], null, v3, s16, 0
	s_mov_b32 s15, exec_lo
	s_delay_alu instid0(VALU_DEP_1) | instskip(SKIP_2) | instid1(VALU_DEP_3)
	v_mad_u64_u32 v[16:17], null, v3, s17, v[15:16]
	v_or_b32_e32 v3, 3, v57
	v_mov_b32_e32 v17, 0
	v_dual_mov_b32 v15, v16 :: v_dual_mov_b32 v16, 0
	s_delay_alu instid0(VALU_DEP_1) | instskip(NEXT) | instid1(VALU_DEP_1)
	v_lshlrev_b64 v[14:15], 3, v[14:15]
	v_add_co_u32 v14, s0, s3, v14
	s_delay_alu instid0(VALU_DEP_1)
	v_add_co_ci_u32_e64 v15, s0, s4, v15, s0
	global_load_b64 v[14:15], v[14:15], off
	v_cmpx_gt_i32_e64 s11, v3
	s_cbranch_execz .LBB109_30
; %bb.29:
	v_mad_u64_u32 v[16:17], null, v3, s16, 0
	s_delay_alu instid0(VALU_DEP_1) | instskip(NEXT) | instid1(VALU_DEP_1)
	v_mad_u64_u32 v[19:20], null, v3, s17, v[17:18]
	v_mov_b32_e32 v17, v19
	s_delay_alu instid0(VALU_DEP_1) | instskip(NEXT) | instid1(VALU_DEP_1)
	v_lshlrev_b64 v[16:17], 3, v[16:17]
	v_add_co_u32 v16, s0, s3, v16
	s_delay_alu instid0(VALU_DEP_1)
	v_add_co_ci_u32_e64 v17, s0, s4, v17, s0
	global_load_b64 v[16:17], v[16:17], off
.LBB109_30:
	s_or_b32 exec_lo, exec_lo, s15
.LBB109_31:
	s_delay_alu instid0(SALU_CYCLE_1)
	s_or_b32 exec_lo, exec_lo, s14
.LBB109_32:
	s_delay_alu instid0(SALU_CYCLE_1)
	s_or_b32 exec_lo, exec_lo, s2
.LBB109_33:
	s_delay_alu instid0(SALU_CYCLE_1) | instskip(NEXT) | instid1(SALU_CYCLE_1)
	s_or_b32 exec_lo, exec_lo, s1
	s_mov_b32 s1, exec_lo
	v_cmpx_gt_i32_e64 s10, v2
	s_cbranch_execz .LBB109_41
; %bb.34:
	v_mad_u64_u32 v[19:20], null, v57, s44, 0
	v_mad_u64_u32 v[21:22], null, v18, s44, 0
	v_ashrrev_i32_e32 v3, 31, v2
	v_or_b32_e32 v31, 2, v57
	v_or_b32_e32 v32, 3, v57
	s_lshl_b64 s[2:3], s[12:13], 3
	s_delay_alu instid0(VALU_DEP_3)
	v_lshlrev_b64 v[26:27], 3, v[2:3]
	v_mad_u64_u32 v[23:24], null, v57, s45, v[20:21]
	v_mad_u64_u32 v[24:25], null, v31, s44, 0
	s_add_u32 s0, s40, s2
	s_addc_u32 s4, s41, s3
	v_mov_b32_e32 v3, v22
	s_lshl_b64 s[2:3], s[42:43], 3
	s_delay_alu instid0(VALU_DEP_3) | instskip(SKIP_1) | instid1(VALU_DEP_3)
	v_cndmask_b32_e32 v20, 0, v23, vcc_lo
	v_mad_u64_u32 v[22:23], null, v32, s44, 0
	v_mad_u64_u32 v[28:29], null, v18, s45, v[3:4]
	v_cndmask_b32_e32 v19, 0, v19, vcc_lo
	v_cmp_gt_i32_e32 vcc_lo, s11, v18
	s_add_u32 s2, s0, s2
	s_addc_u32 s3, s4, s3
	v_mov_b32_e32 v3, v25
	s_delay_alu instid0(VALU_DEP_4) | instskip(SKIP_1) | instid1(VALU_DEP_1)
	v_dual_cndmask_b32 v29, 0, v21 :: v_dual_cndmask_b32 v30, 0, v28
	v_lshlrev_b64 v[19:20], 3, v[19:20]
	v_add_co_u32 v18, s0, s2, v19
	s_delay_alu instid0(VALU_DEP_1) | instskip(NEXT) | instid1(VALU_DEP_4)
	v_add_co_ci_u32_e64 v19, s0, s3, v20, s0
	v_lshlrev_b64 v[20:21], 3, v[29:30]
	s_delay_alu instid0(VALU_DEP_3)
	v_add_co_u32 v18, vcc_lo, v18, v26
	v_mad_u64_u32 v[28:29], null, v31, s45, v[3:4]
	v_mov_b32_e32 v3, v23
	v_add_co_ci_u32_e32 v19, vcc_lo, v19, v27, vcc_lo
	v_cmp_gt_i32_e32 vcc_lo, s11, v31
	v_add_co_u32 v20, s0, s2, v20
	s_delay_alu instid0(VALU_DEP_4)
	v_mad_u64_u32 v[29:30], null, v32, s45, v[3:4]
	v_add_co_ci_u32_e64 v21, s0, s3, v21, s0
	v_cndmask_b32_e32 v23, 0, v24, vcc_lo
	v_cndmask_b32_e32 v24, 0, v28, vcc_lo
	v_cmp_gt_i32_e32 vcc_lo, s11, v32
	v_add_co_u32 v20, s0, v20, v26
	s_delay_alu instid0(VALU_DEP_1)
	v_add_co_ci_u32_e64 v21, s0, v21, v27, s0
	v_dual_cndmask_b32 v28, 0, v22 :: v_dual_cndmask_b32 v29, 0, v29
	v_lshlrev_b64 v[22:23], 3, v[23:24]
	s_clause 0x1
	global_load_b64 v[30:31], v[18:19], off
	global_load_b64 v[32:33], v[20:21], off
	s_mov_b32 s0, exec_lo
	v_lshlrev_b64 v[24:25], 3, v[28:29]
	v_add_co_u32 v3, vcc_lo, s2, v22
	v_add_co_ci_u32_e32 v22, vcc_lo, s3, v23, vcc_lo
	s_delay_alu instid0(VALU_DEP_3) | instskip(NEXT) | instid1(VALU_DEP_4)
	v_add_co_u32 v23, vcc_lo, s2, v24
	v_add_co_ci_u32_e32 v28, vcc_lo, s3, v25, vcc_lo
	s_delay_alu instid0(VALU_DEP_4) | instskip(NEXT) | instid1(VALU_DEP_4)
	v_add_co_u32 v24, vcc_lo, v3, v26
	v_add_co_ci_u32_e32 v25, vcc_lo, v22, v27, vcc_lo
	s_delay_alu instid0(VALU_DEP_4) | instskip(NEXT) | instid1(VALU_DEP_4)
	v_add_co_u32 v22, vcc_lo, v23, v26
	v_add_co_ci_u32_e32 v23, vcc_lo, v28, v27, vcc_lo
	s_clause 0x1
	global_load_b64 v[26:27], v[24:25], off
	global_load_b64 v[28:29], v[22:23], off
	s_waitcnt vmcnt(2)
	v_dual_mul_f32 v3, v11, v31 :: v_dual_mul_f32 v34, v13, v33
	v_mul_f32_e32 v33, v12, v33
	s_delay_alu instid0(VALU_DEP_2) | instskip(NEXT) | instid1(VALU_DEP_1)
	v_fma_f32 v3, v10, v30, -v3
	v_dual_fmac_f32 v33, v13, v32 :: v_dual_add_f32 v8, v8, v3
	v_mul_f32_e32 v31, v10, v31
	s_delay_alu instid0(VALU_DEP_1) | instskip(SKIP_1) | instid1(VALU_DEP_2)
	v_fmac_f32_e32 v31, v11, v30
	v_fma_f32 v30, v12, v32, -v34
	v_add_f32_e32 v9, v9, v31
	s_waitcnt vmcnt(1)
	v_dual_mul_f32 v32, v15, v27 :: v_dual_add_nc_u32 v31, 32, v2
	s_waitcnt vmcnt(0)
	v_dual_mul_f32 v27, v14, v27 :: v_dual_mul_f32 v34, v17, v29
	v_mul_f32_e32 v3, v16, v29
	s_delay_alu instid0(VALU_DEP_3) | instskip(NEXT) | instid1(VALU_DEP_3)
	v_fma_f32 v29, v14, v26, -v32
	v_fmac_f32_e32 v27, v15, v26
	v_add_f32_e32 v26, v8, v30
	v_add_f32_e32 v30, v9, v33
	v_fma_f32 v8, v16, v28, -v34
	v_fmac_f32_e32 v3, v17, v28
	s_delay_alu instid0(VALU_DEP_4) | instskip(NEXT) | instid1(VALU_DEP_4)
	v_add_f32_e32 v9, v26, v29
	v_add_f32_e32 v26, v30, v27
	v_cmpx_gt_i32_e64 s10, v31
	s_cbranch_execz .LBB109_40
; %bb.35:
	s_clause 0x3
	global_load_b64 v[27:28], v[18:19], off offset:256
	global_load_b64 v[29:30], v[20:21], off offset:256
	;; [unrolled: 1-line block ×4, first 2 shown]
	s_mov_b32 s2, exec_lo
	s_waitcnt vmcnt(2)
	v_dual_mul_f32 v35, v11, v28 :: v_dual_mul_f32 v36, v13, v30
	v_mul_f32_e32 v28, v10, v28
	s_waitcnt vmcnt(1)
	v_dual_mul_f32 v30, v12, v30 :: v_dual_mul_f32 v37, v15, v32
	s_delay_alu instid0(VALU_DEP_3) | instskip(SKIP_2) | instid1(VALU_DEP_4)
	v_fma_f32 v35, v10, v27, -v35
	v_fma_f32 v36, v12, v29, -v36
	v_mul_f32_e32 v32, v14, v32
	v_fmac_f32_e32 v30, v13, v29
	v_fma_f32 v29, v14, v31, -v37
	v_add_f32_e32 v6, v6, v35
	s_waitcnt vmcnt(0)
	v_dual_fmac_f32 v28, v11, v27 :: v_dual_mul_f32 v27, v17, v34
	s_delay_alu instid0(VALU_DEP_1) | instskip(NEXT) | instid1(VALU_DEP_1)
	v_dual_add_f32 v28, v7, v28 :: v_dual_mul_f32 v7, v16, v34
	v_dual_fmac_f32 v32, v15, v31 :: v_dual_fmac_f32 v7, v17, v33
	s_delay_alu instid0(VALU_DEP_2) | instskip(SKIP_2) | instid1(VALU_DEP_3)
	v_dual_add_f32 v31, v6, v36 :: v_dual_add_f32 v28, v28, v30
	v_add_nc_u32_e32 v30, 64, v2
	v_fma_f32 v6, v16, v33, -v27
	v_dual_add_f32 v27, v31, v29 :: v_dual_add_f32 v28, v28, v32
	s_delay_alu instid0(VALU_DEP_3)
	v_cmpx_gt_i32_e64 s10, v30
	s_cbranch_execz .LBB109_39
; %bb.36:
	s_clause 0x3
	global_load_b64 v[29:30], v[18:19], off offset:512
	global_load_b64 v[31:32], v[20:21], off offset:512
	;; [unrolled: 1-line block ×4, first 2 shown]
	s_mov_b32 s3, exec_lo
	s_waitcnt vmcnt(2)
	v_dual_mul_f32 v37, v11, v30 :: v_dual_mul_f32 v38, v13, v32
	v_mul_f32_e32 v30, v10, v30
	s_waitcnt vmcnt(1)
	v_dual_mul_f32 v32, v12, v32 :: v_dual_mul_f32 v39, v15, v34
	v_mul_f32_e32 v34, v14, v34
	v_fma_f32 v37, v10, v29, -v37
	v_fmac_f32_e32 v30, v11, v29
	v_fma_f32 v38, v12, v31, -v38
	s_waitcnt vmcnt(0)
	s_delay_alu instid0(VALU_DEP_3) | instskip(NEXT) | instid1(VALU_DEP_3)
	v_dual_mul_f32 v29, v17, v36 :: v_dual_add_f32 v4, v4, v37
	v_dual_add_f32 v30, v5, v30 :: v_dual_mul_f32 v5, v16, v36
	v_fmac_f32_e32 v34, v15, v33
	v_fmac_f32_e32 v32, v13, v31
	v_fma_f32 v31, v14, v33, -v39
	s_delay_alu instid0(VALU_DEP_4) | instskip(NEXT) | instid1(VALU_DEP_3)
	v_dual_add_f32 v4, v4, v38 :: v_dual_fmac_f32 v5, v17, v35
	v_add_f32_e32 v30, v30, v32
	v_add_nc_u32_e32 v32, 0x60, v2
	v_fma_f32 v2, v16, v35, -v29
	s_delay_alu instid0(VALU_DEP_3) | instskip(NEXT) | instid1(VALU_DEP_3)
	v_dual_add_f32 v4, v4, v31 :: v_dual_add_f32 v29, v30, v34
	v_cmpx_gt_i32_e64 s10, v32
	s_cbranch_execz .LBB109_38
; %bb.37:
	s_clause 0x3
	global_load_b64 v[18:19], v[18:19], off offset:768
	global_load_b64 v[20:21], v[20:21], off offset:768
	;; [unrolled: 1-line block ×4, first 2 shown]
	s_waitcnt vmcnt(2)
	v_dual_mul_f32 v30, v11, v19 :: v_dual_mul_f32 v31, v13, v21
	s_waitcnt vmcnt(1)
	v_dual_mul_f32 v19, v10, v19 :: v_dual_mul_f32 v32, v15, v25
	s_delay_alu instid0(VALU_DEP_2) | instskip(SKIP_1) | instid1(VALU_DEP_3)
	v_fma_f32 v10, v10, v18, -v30
	v_mul_f32_e32 v25, v14, v25
	v_fmac_f32_e32 v19, v11, v18
	s_delay_alu instid0(VALU_DEP_3)
	v_add_f32_e32 v0, v0, v10
	s_waitcnt vmcnt(0)
	v_mul_f32_e32 v10, v16, v23
	v_mul_f32_e32 v21, v12, v21
	v_fma_f32 v12, v12, v20, -v31
	v_mul_f32_e32 v11, v17, v23
	v_add_f32_e32 v1, v1, v19
	v_fmac_f32_e32 v10, v17, v22
	s_delay_alu instid0(VALU_DEP_4) | instskip(SKIP_3) | instid1(VALU_DEP_2)
	v_add_f32_e32 v0, v0, v12
	v_fmac_f32_e32 v21, v13, v20
	v_fma_f32 v13, v14, v24, -v32
	v_fma_f32 v11, v16, v22, -v11
	v_dual_add_f32 v0, v0, v13 :: v_dual_fmac_f32 v25, v15, v24
	s_delay_alu instid0(VALU_DEP_1) | instskip(NEXT) | instid1(VALU_DEP_1)
	v_dual_add_f32 v1, v1, v21 :: v_dual_add_f32 v0, v0, v11
	v_add_f32_e32 v1, v1, v25
	s_delay_alu instid0(VALU_DEP_1)
	v_add_f32_e32 v1, v1, v10
.LBB109_38:
	s_or_b32 exec_lo, exec_lo, s3
	s_delay_alu instid0(VALU_DEP_2)
	v_dual_add_f32 v4, v4, v2 :: v_dual_add_f32 v5, v29, v5
.LBB109_39:
	s_or_b32 exec_lo, exec_lo, s2
	s_delay_alu instid0(VALU_DEP_2)
	v_dual_add_f32 v6, v27, v6 :: v_dual_add_f32 v7, v28, v7
.LBB109_40:
	s_or_b32 exec_lo, exec_lo, s0
	s_delay_alu instid0(VALU_DEP_2)
	v_dual_add_f32 v8, v9, v8 :: v_dual_add_f32 v9, v26, v3
.LBB109_41:
	s_or_b32 exec_lo, exec_lo, s1
.LBB109_42:
	v_lshlrev_b32_e32 v2, 7, v56
	s_mov_b32 s0, exec_lo
	s_delay_alu instid0(VALU_DEP_1)
	v_add_lshl_u32 v2, v2, v55, 3
	ds_store_2addr_b64 v2, v[8:9], v[6:7] offset1:32
	ds_store_2addr_b64 v2, v[4:5], v[0:1] offset0:64 offset1:96
	s_waitcnt vmcnt(0) lgkmcnt(0)
	s_waitcnt_vscnt null, 0x0
	s_barrier
	buffer_gl0_inv
	v_cmpx_gt_u32_e32 0x80, v54
	s_cbranch_execz .LBB109_47
; %bb.43:
	v_lshlrev_b32_e32 v12, 3, v54
	ds_load_2addr_stride64_b64 v[0:3], v12 offset1:2
	ds_load_2addr_stride64_b64 v[4:7], v12 offset0:4 offset1:6
	ds_load_2addr_stride64_b64 v[8:11], v12 offset0:8 offset1:10
	s_waitcnt lgkmcnt(2)
	v_dual_add_f32 v13, v0, v2 :: v_dual_add_f32 v14, v1, v3
	s_waitcnt lgkmcnt(1)
	s_delay_alu instid0(VALU_DEP_1) | instskip(SKIP_3) | instid1(VALU_DEP_1)
	v_add_f32_e32 v5, v14, v5
	ds_load_2addr_stride64_b64 v[0:3], v12 offset0:12 offset1:14
	v_add_f32_e32 v14, v5, v7
	s_waitcnt lgkmcnt(1)
	v_dual_add_f32 v4, v13, v4 :: v_dual_add_f32 v9, v14, v9
	s_delay_alu instid0(VALU_DEP_1) | instskip(SKIP_3) | instid1(VALU_DEP_1)
	v_add_f32_e32 v13, v4, v6
	ds_load_2addr_stride64_b64 v[4:7], v12 offset0:16 offset1:18
	v_add_f32_e32 v14, v9, v11
	s_waitcnt lgkmcnt(1)
	v_dual_add_f32 v8, v13, v8 :: v_dual_add_f32 v1, v14, v1
	;; [unrolled: 6-line block ×4, first 2 shown]
	s_delay_alu instid0(VALU_DEP_1) | instskip(SKIP_4) | instid1(VALU_DEP_1)
	v_add_f32_e32 v13, v4, v6
	ds_load_2addr_stride64_b64 v[4:7], v12 offset0:28 offset1:30
	v_add_f32_e32 v9, v9, v11
	v_add_f32_e32 v8, v13, v8
	s_waitcnt lgkmcnt(1)
	v_dual_add_f32 v8, v8, v10 :: v_dual_add_f32 v1, v9, v1
	s_delay_alu instid0(VALU_DEP_1) | instskip(SKIP_1) | instid1(VALU_DEP_1)
	v_dual_add_f32 v0, v8, v0 :: v_dual_add_f32 v1, v1, v3
	s_waitcnt lgkmcnt(0)
	v_dual_add_f32 v0, v0, v2 :: v_dual_add_f32 v1, v1, v5
	s_delay_alu instid0(VALU_DEP_1) | instskip(SKIP_1) | instid1(VALU_DEP_2)
	v_add_f32_e32 v2, v0, v4
	v_or_b32_e32 v0, s25, v54
	v_dual_add_f32 v3, v1, v7 :: v_dual_add_f32 v2, v2, v6
	s_delay_alu instid0(VALU_DEP_2)
	v_cmp_gt_i32_e32 vcc_lo, s10, v0
	ds_store_b64 v12, v[2:3]
	s_and_b32 exec_lo, exec_lo, vcc_lo
	s_cbranch_execz .LBB109_47
; %bb.44:
	v_ashrrev_i32_e32 v1, 31, v0
	v_mul_lo_u32 v6, v0, s29
	v_mad_u64_u32 v[4:5], null, v0, s28, 0
	v_cmp_neq_f32_e64 s0, s6, 0
	s_delay_alu instid0(VALU_DEP_4) | instskip(SKIP_1) | instid1(VALU_DEP_1)
	v_mul_lo_u32 v1, v1, s28
	v_cmp_neq_f32_e64 s1, s7, 0
	s_or_b32 s0, s0, s1
	s_delay_alu instid0(SALU_CYCLE_1) | instskip(NEXT) | instid1(VALU_DEP_2)
	s_and_not1_b32 vcc_lo, exec_lo, s0
	v_add3_u32 v5, v5, v6, v1
	v_mul_f32_e32 v1, s8, v3
	v_mul_f32_e32 v0, s9, v3
	s_delay_alu instid0(VALU_DEP_3) | instskip(NEXT) | instid1(VALU_DEP_3)
	v_lshlrev_b64 v[3:4], 3, v[4:5]
	v_fmac_f32_e32 v1, s9, v2
	s_delay_alu instid0(VALU_DEP_3)
	v_fma_f32 v0, v2, s8, -v0
	s_cbranch_vccnz .LBB109_46
; %bb.45:
	s_delay_alu instid0(VALU_DEP_3) | instskip(NEXT) | instid1(VALU_DEP_4)
	v_add_co_u32 v5, vcc_lo, s5, v3
	v_add_co_ci_u32_e32 v6, vcc_lo, s24, v4, vcc_lo
	global_load_b64 v[5:6], v[5:6], off
	s_waitcnt vmcnt(0)
	v_mul_f32_e32 v2, s7, v6
	v_mul_f32_e32 v6, s6, v6
	s_delay_alu instid0(VALU_DEP_2) | instskip(NEXT) | instid1(VALU_DEP_2)
	v_fma_f32 v2, s6, v5, -v2
	v_fmac_f32_e32 v6, s7, v5
	s_delay_alu instid0(VALU_DEP_2) | instskip(NEXT) | instid1(VALU_DEP_2)
	v_add_f32_e32 v0, v0, v2
	v_add_f32_e32 v1, v1, v6
.LBB109_46:
	s_delay_alu instid0(VALU_DEP_3) | instskip(NEXT) | instid1(VALU_DEP_4)
	v_add_co_u32 v2, vcc_lo, s5, v3
	v_add_co_ci_u32_e32 v3, vcc_lo, s24, v4, vcc_lo
	global_store_b64 v[2:3], v[0:1], off
.LBB109_47:
	s_nop 0
	s_sendmsg sendmsg(MSG_DEALLOC_VGPRS)
	s_endpgm
	.section	.rodata,"a",@progbits
	.p2align	6, 0x0
	.amdhsa_kernel _ZL20rocblas_gemvn_kernelILi32ELi16El19rocblas_complex_numIfEPKS1_S1_EviiT3_lPKT2_lT1_lS7_lS8_lS4_lPT4_lS8_li
		.amdhsa_group_segment_fixed_size 16384
		.amdhsa_private_segment_fixed_size 0
		.amdhsa_kernarg_size 400
		.amdhsa_user_sgpr_count 14
		.amdhsa_user_sgpr_dispatch_ptr 0
		.amdhsa_user_sgpr_queue_ptr 0
		.amdhsa_user_sgpr_kernarg_segment_ptr 1
		.amdhsa_user_sgpr_dispatch_id 0
		.amdhsa_user_sgpr_private_segment_size 0
		.amdhsa_wavefront_size32 1
		.amdhsa_uses_dynamic_stack 0
		.amdhsa_enable_private_segment 0
		.amdhsa_system_sgpr_workgroup_id_x 1
		.amdhsa_system_sgpr_workgroup_id_y 0
		.amdhsa_system_sgpr_workgroup_id_z 1
		.amdhsa_system_sgpr_workgroup_info 0
		.amdhsa_system_vgpr_workitem_id 1
		.amdhsa_next_free_vgpr 68
		.amdhsa_next_free_sgpr 52
		.amdhsa_reserve_vcc 1
		.amdhsa_float_round_mode_32 0
		.amdhsa_float_round_mode_16_64 0
		.amdhsa_float_denorm_mode_32 3
		.amdhsa_float_denorm_mode_16_64 3
		.amdhsa_dx10_clamp 1
		.amdhsa_ieee_mode 1
		.amdhsa_fp16_overflow 0
		.amdhsa_workgroup_processor_mode 1
		.amdhsa_memory_ordered 1
		.amdhsa_forward_progress 0
		.amdhsa_shared_vgpr_count 0
		.amdhsa_exception_fp_ieee_invalid_op 0
		.amdhsa_exception_fp_denorm_src 0
		.amdhsa_exception_fp_ieee_div_zero 0
		.amdhsa_exception_fp_ieee_overflow 0
		.amdhsa_exception_fp_ieee_underflow 0
		.amdhsa_exception_fp_ieee_inexact 0
		.amdhsa_exception_int_div_zero 0
	.end_amdhsa_kernel
	.section	.text._ZL20rocblas_gemvn_kernelILi32ELi16El19rocblas_complex_numIfEPKS1_S1_EviiT3_lPKT2_lT1_lS7_lS8_lS4_lPT4_lS8_li,"axG",@progbits,_ZL20rocblas_gemvn_kernelILi32ELi16El19rocblas_complex_numIfEPKS1_S1_EviiT3_lPKT2_lT1_lS7_lS8_lS4_lPT4_lS8_li,comdat
.Lfunc_end109:
	.size	_ZL20rocblas_gemvn_kernelILi32ELi16El19rocblas_complex_numIfEPKS1_S1_EviiT3_lPKT2_lT1_lS7_lS8_lS4_lPT4_lS8_li, .Lfunc_end109-_ZL20rocblas_gemvn_kernelILi32ELi16El19rocblas_complex_numIfEPKS1_S1_EviiT3_lPKT2_lT1_lS7_lS8_lS4_lPT4_lS8_li
                                        ; -- End function
	.section	.AMDGPU.csdata,"",@progbits
; Kernel info:
; codeLenInByte = 4344
; NumSgprs: 54
; NumVgprs: 68
; ScratchSize: 0
; MemoryBound: 0
; FloatMode: 240
; IeeeMode: 1
; LDSByteSize: 16384 bytes/workgroup (compile time only)
; SGPRBlocks: 6
; VGPRBlocks: 8
; NumSGPRsForWavesPerEU: 54
; NumVGPRsForWavesPerEU: 68
; Occupancy: 16
; WaveLimiterHint : 0
; COMPUTE_PGM_RSRC2:SCRATCH_EN: 0
; COMPUTE_PGM_RSRC2:USER_SGPR: 14
; COMPUTE_PGM_RSRC2:TRAP_HANDLER: 0
; COMPUTE_PGM_RSRC2:TGID_X_EN: 1
; COMPUTE_PGM_RSRC2:TGID_Y_EN: 0
; COMPUTE_PGM_RSRC2:TGID_Z_EN: 1
; COMPUTE_PGM_RSRC2:TIDIG_COMP_CNT: 1
	.section	.text._ZL20rocblas_gemvn_kernelILi32ELi16Ei19rocblas_complex_numIfES1_S1_EviiT3_lPKT2_lT1_lS5_lS6_lS2_lPT4_lS6_li,"axG",@progbits,_ZL20rocblas_gemvn_kernelILi32ELi16Ei19rocblas_complex_numIfES1_S1_EviiT3_lPKT2_lT1_lS5_lS6_lS2_lPT4_lS6_li,comdat
	.globl	_ZL20rocblas_gemvn_kernelILi32ELi16Ei19rocblas_complex_numIfES1_S1_EviiT3_lPKT2_lT1_lS5_lS6_lS2_lPT4_lS6_li ; -- Begin function _ZL20rocblas_gemvn_kernelILi32ELi16Ei19rocblas_complex_numIfES1_S1_EviiT3_lPKT2_lT1_lS5_lS6_lS2_lPT4_lS6_li
	.p2align	8
	.type	_ZL20rocblas_gemvn_kernelILi32ELi16Ei19rocblas_complex_numIfES1_S1_EviiT3_lPKT2_lT1_lS5_lS6_lS2_lPT4_lS6_li,@function
_ZL20rocblas_gemvn_kernelILi32ELi16Ei19rocblas_complex_numIfES1_S1_EviiT3_lPKT2_lT1_lS5_lS6_lS2_lPT4_lS6_li: ; @_ZL20rocblas_gemvn_kernelILi32ELi16Ei19rocblas_complex_numIfES1_S1_EviiT3_lPKT2_lT1_lS5_lS6_lS2_lPT4_lS6_li
; %bb.0:
	s_load_b64 s[2:3], s[0:1], 0x9c
	s_waitcnt lgkmcnt(0)
	s_lshr_b32 s4, s2, 16
	s_and_b32 s2, s2, 0xffff
	s_and_b32 s3, s3, 0xffff
	s_mul_i32 s2, s4, s2
	s_delay_alu instid0(SALU_CYCLE_1) | instskip(NEXT) | instid1(SALU_CYCLE_1)
	s_mul_i32 s2, s2, s3
	s_cmpk_lg_i32 s2, 0x200
	s_cbranch_scc1 .LBB110_47
; %bb.1:
	s_clause 0x1
	s_load_b128 s[4:7], s[0:1], 0x0
	s_load_b64 s[12:13], s[0:1], 0x58
	s_waitcnt lgkmcnt(0)
	v_cmp_neq_f32_e64 s2, s6, 0
	v_cmp_neq_f32_e64 s3, s7, 0
	s_delay_alu instid0(VALU_DEP_1) | instskip(NEXT) | instid1(SALU_CYCLE_1)
	s_or_b32 s2, s2, s3
	s_and_b32 vcc_lo, exec_lo, s2
	s_mov_b32 s2, -1
	s_cbranch_vccnz .LBB110_3
; %bb.2:
	v_cmp_neq_f32_e64 s2, s12, 1.0
	v_cmp_neq_f32_e64 s3, s13, 0
	s_delay_alu instid0(VALU_DEP_1)
	s_or_b32 s2, s2, s3
.LBB110_3:
	s_delay_alu instid0(SALU_CYCLE_1)
	s_and_not1_b32 vcc_lo, exec_lo, s2
	s_cbranch_vccnz .LBB110_47
; %bb.4:
	s_clause 0x2
	s_load_b64 s[2:3], s[0:1], 0x80
	s_load_b128 s[8:11], s[0:1], 0x68
	s_load_b32 s23, s[0:1], 0x78
	v_and_b32_e32 v1, 0x3ff, v0
	v_bfe_u32 v53, v0, 10, 10
	s_delay_alu instid0(VALU_DEP_1) | instskip(NEXT) | instid1(VALU_DEP_1)
	v_lshl_add_u32 v0, v53, 5, v1
	v_cmp_gt_u32_e32 vcc_lo, 0x80, v0
	s_waitcnt lgkmcnt(0)
	s_mul_i32 s3, s15, s3
	s_mul_hi_u32 s16, s15, s2
	s_mul_i32 s2, s15, s2
	s_add_i32 s3, s16, s3
	s_delay_alu instid0(SALU_CYCLE_1) | instskip(NEXT) | instid1(SALU_CYCLE_1)
	s_lshl_b64 s[2:3], s[2:3], 3
	s_add_u32 s8, s8, s2
	s_addc_u32 s9, s9, s3
	s_lshl_b64 s[2:3], s[10:11], 3
	s_delay_alu instid0(SALU_CYCLE_1) | instskip(SKIP_2) | instid1(SALU_CYCLE_1)
	s_add_u32 s21, s8, s2
	s_addc_u32 s22, s9, s3
	s_or_b32 s2, s6, s7
	s_bitset0_b32 s2, 31
	s_delay_alu instid0(SALU_CYCLE_1)
	s_cmp_lg_u32 s2, 0
	s_mov_b32 s2, -1
	s_cbranch_scc1 .LBB110_11
; %bb.5:
	s_and_saveexec_b32 s2, vcc_lo
	s_cbranch_execz .LBB110_10
; %bb.6:
	v_lshl_or_b32 v2, s14, 7, v0
	v_mov_b32_e32 v3, 0
	s_ashr_i32 s9, s4, 31
	s_mov_b32 s8, s4
	s_delay_alu instid0(VALU_DEP_1) | instid1(SALU_CYCLE_1)
	v_cmp_gt_i64_e32 vcc_lo, s[8:9], v[2:3]
	s_and_b32 exec_lo, exec_lo, vcc_lo
	s_cbranch_execz .LBB110_10
; %bb.7:
	v_mad_u64_u32 v[4:5], null, s23, v2, 0
	s_ashr_i32 s9, s23, 31
	v_cmp_neq_f32_e64 s3, s12, 0
	v_cmp_neq_f32_e64 s8, s13, 0
	s_delay_alu instid0(VALU_DEP_3) | instskip(NEXT) | instid1(VALU_DEP_2)
	v_mad_u64_u32 v[6:7], null, s9, v2, v[5:6]
	s_or_b32 s3, s3, s8
	s_delay_alu instid0(SALU_CYCLE_1) | instskip(NEXT) | instid1(VALU_DEP_1)
	s_and_not1_b32 vcc_lo, exec_lo, s3
	v_dual_mov_b32 v5, v6 :: v_dual_mov_b32 v6, v3
	s_delay_alu instid0(VALU_DEP_1)
	v_lshlrev_b64 v[4:5], 3, v[4:5]
	s_cbranch_vccnz .LBB110_9
; %bb.8:
	s_delay_alu instid0(VALU_DEP_1) | instskip(NEXT) | instid1(VALU_DEP_2)
	v_add_co_u32 v2, vcc_lo, s21, v4
	v_add_co_ci_u32_e32 v3, vcc_lo, s22, v5, vcc_lo
	global_load_b64 v[2:3], v[2:3], off
	s_waitcnt vmcnt(0)
	v_mul_f32_e32 v6, s12, v3
	s_delay_alu instid0(VALU_DEP_1) | instskip(NEXT) | instid1(VALU_DEP_1)
	v_dual_mul_f32 v7, s13, v3 :: v_dual_fmac_f32 v6, s13, v2
	v_fma_f32 v3, s12, v2, -v7
.LBB110_9:
	s_delay_alu instid0(VALU_DEP_1) | instskip(NEXT) | instid1(VALU_DEP_2)
	v_add_co_u32 v7, vcc_lo, s21, v4
	v_add_co_ci_u32_e32 v8, vcc_lo, s22, v5, vcc_lo
	s_delay_alu instid0(VALU_DEP_3)
	v_mov_b32_e32 v5, v3
	global_store_b64 v[7:8], v[5:6], off
.LBB110_10:
	s_or_b32 exec_lo, exec_lo, s2
	s_mov_b32 s2, 0
.LBB110_11:
	s_delay_alu instid0(SALU_CYCLE_1)
	s_and_not1_b32 vcc_lo, exec_lo, s2
	s_cbranch_vccnz .LBB110_47
; %bb.12:
	s_clause 0x5
	s_load_b128 s[8:11], s[0:1], 0x30
	s_load_b64 s[2:3], s[0:1], 0x50
	s_load_b128 s[16:19], s[0:1], 0x18
	s_load_b32 s20, s[0:1], 0x48
	s_load_b32 s24, s[0:1], 0x28
	s_load_b64 s[0:1], s[0:1], 0x40
	v_dual_mov_b32 v2, 0 :: v_dual_lshlrev_b32 v55, 2, v53
	v_dual_mov_b32 v3, 0 :: v_dual_mov_b32 v4, 0
	v_dual_mov_b32 v5, 0 :: v_dual_mov_b32 v6, 0
	;; [unrolled: 1-line block ×3, first 2 shown]
	s_waitcnt lgkmcnt(0)
	s_mul_i32 s9, s15, s9
	s_mul_hi_u32 s25, s15, s8
	s_mul_i32 s8, s15, s8
	s_add_i32 s9, s25, s9
	s_mul_i32 s3, s15, s3
	s_lshl_b64 s[8:9], s[8:9], 3
	s_mul_hi_u32 s25, s15, s2
	s_add_u32 s8, s16, s8
	s_addc_u32 s26, s17, s9
	s_lshl_b64 s[16:17], s[18:19], 3
	s_mul_i32 s2, s15, s2
	s_add_u32 s9, s8, s16
	s_addc_u32 s15, s26, s17
	s_add_i32 s3, s25, s3
	s_mov_b32 s16, exec_lo
	s_lshl_b64 s[2:3], s[2:3], 3
	s_delay_alu instid0(SALU_CYCLE_1) | instskip(SKIP_2) | instid1(SALU_CYCLE_1)
	s_add_u32 s2, s10, s2
	s_addc_u32 s3, s11, s3
	s_lshl_b64 s[0:1], s[0:1], 3
	s_add_u32 s10, s2, s0
	s_addc_u32 s11, s3, s1
	s_ashr_i32 s0, s5, 31
	s_lshl_b32 s8, s14, 7
	s_lshr_b32 s0, s0, 26
	v_dual_mov_b32 v7, 0 :: v_dual_add_nc_u32 v54, s8, v1
	s_add_i32 s0, s5, s0
	s_delay_alu instid0(SALU_CYCLE_1) | instskip(NEXT) | instid1(SALU_CYCLE_1)
	s_and_b32 s14, s0, 0xffffffc0
	v_cmpx_gt_i32_e64 s14, v55
	s_cbranch_execz .LBB110_24
; %bb.13:
	v_mul_lo_u32 v3, s24, v55
	v_add_nc_u32_e32 v2, 32, v54
	v_cmp_gt_i32_e32 vcc_lo, s4, v54
	s_lshl_b32 s17, s24, 6
	s_lshl_b32 s19, s20, 6
	s_mov_b32 s18, 0
	s_mov_b32 s25, 0
	s_delay_alu instid0(VALU_DEP_3) | instskip(SKIP_1) | instid1(VALU_DEP_1)
	v_add3_u32 v56, v3, s24, v1
	v_mul_lo_u32 v3, v53, s24
	v_lshl_add_u32 v57, v3, 2, v1
	v_mov_b32_e32 v3, 0
	v_add_nc_u32_e32 v5, 0x60, v54
	v_add_nc_u32_e32 v4, 64, v54
	v_cmp_gt_i32_e64 s0, s4, v2
	s_delay_alu instid0(VALU_DEP_4) | instskip(NEXT) | instid1(VALU_DEP_4)
	v_dual_mov_b32 v7, v3 :: v_dual_add_nc_u32 v2, 2, v55
	v_cmp_gt_i32_e64 s2, s4, v5
	v_mul_lo_u32 v5, v53, s20
	v_mov_b32_e32 v6, v3
	s_delay_alu instid0(VALU_DEP_4)
	v_mad_u64_u32 v[10:11], null, s24, v2, v[1:2]
	v_mov_b32_e32 v9, v3
	v_mul_lo_u32 v58, s20, v2
	v_mov_b32_e32 v8, v3
	v_dual_mov_b32 v5, v3 :: v_dual_lshlrev_b32 v60, 2, v5
	v_cmp_gt_i32_e64 s1, s4, v4
	v_add_nc_u32_e32 v4, 3, v55
	s_delay_alu instid0(VALU_DEP_1)
	v_mad_u64_u32 v[11:12], null, s24, v4, v[1:2]
	v_mad_u64_u32 v[12:13], null, s20, v55, s[20:21]
	v_mul_lo_u32 v59, s20, v4
	v_mov_b32_e32 v2, v3
	v_mov_b32_e32 v4, v3
	s_branch .LBB110_18
.LBB110_14:                             ;   in Loop: Header=BB110_18 Depth=1
	s_or_b32 exec_lo, exec_lo, s28
	s_waitcnt vmcnt(3)
	v_mul_f32_e32 v45, v26, v44
	v_mul_f32_e32 v44, v25, v44
	s_waitcnt vmcnt(1)
	v_dual_mul_f32 v46, v22, v42 :: v_dual_mul_f32 v47, v16, v40
	v_mul_f32_e32 v42, v21, v42
	v_fma_f32 v45, v25, v43, -v45
	v_fmac_f32_e32 v44, v26, v43
	s_waitcnt vmcnt(0)
	v_mul_f32_e32 v43, v14, v38
	v_mul_f32_e32 v38, v13, v38
	v_fma_f32 v46, v21, v41, -v46
	v_dual_add_f32 v4, v4, v45 :: v_dual_add_f32 v5, v5, v44
	s_delay_alu instid0(VALU_DEP_3) | instskip(SKIP_4) | instid1(VALU_DEP_3)
	v_fmac_f32_e32 v38, v14, v37
	v_fmac_f32_e32 v42, v22, v41
	v_mul_f32_e32 v40, v15, v40
	v_fma_f32 v41, v15, v39, -v47
	v_add_f32_e32 v4, v4, v46
	v_dual_add_f32 v5, v5, v42 :: v_dual_fmac_f32 v40, v16, v39
	v_fma_f32 v39, v13, v37, -v43
	s_delay_alu instid0(VALU_DEP_2) | instskip(NEXT) | instid1(VALU_DEP_1)
	v_dual_add_f32 v4, v4, v41 :: v_dual_add_f32 v5, v5, v40
	v_dual_add_f32 v4, v4, v39 :: v_dual_add_f32 v5, v5, v38
.LBB110_15:                             ;   in Loop: Header=BB110_18 Depth=1
	s_or_b32 exec_lo, exec_lo, s27
	s_waitcnt vmcnt(3)
	v_mul_f32_e32 v37, v26, v36
	v_mul_f32_e32 v36, v25, v36
	s_waitcnt vmcnt(1)
	v_dual_mul_f32 v38, v22, v34 :: v_dual_mul_f32 v39, v16, v32
	v_mul_f32_e32 v34, v21, v34
	v_mul_f32_e32 v32, v15, v32
	v_fma_f32 v37, v25, v35, -v37
	s_delay_alu instid0(VALU_DEP_4) | instskip(NEXT) | instid1(VALU_DEP_3)
	v_fma_f32 v38, v21, v33, -v38
	v_fmac_f32_e32 v32, v16, v31
	v_fmac_f32_e32 v34, v22, v33
	;; [unrolled: 1-line block ×3, first 2 shown]
	v_add_f32_e32 v6, v6, v37
	s_waitcnt vmcnt(0)
	v_mul_f32_e32 v35, v14, v30
	v_mul_f32_e32 v30, v13, v30
	v_fma_f32 v33, v15, v31, -v39
	v_dual_add_f32 v7, v7, v36 :: v_dual_add_f32 v6, v6, v38
	s_delay_alu instid0(VALU_DEP_4) | instskip(NEXT) | instid1(VALU_DEP_2)
	v_fma_f32 v31, v13, v29, -v35
	v_dual_fmac_f32 v30, v14, v29 :: v_dual_add_f32 v7, v7, v34
	s_delay_alu instid0(VALU_DEP_1) | instskip(NEXT) | instid1(VALU_DEP_1)
	v_dual_add_f32 v6, v6, v33 :: v_dual_add_f32 v7, v7, v32
	v_dual_add_f32 v6, v6, v31 :: v_dual_add_f32 v7, v7, v30
.LBB110_16:                             ;   in Loop: Header=BB110_18 Depth=1
	s_or_b32 exec_lo, exec_lo, s3
	s_waitcnt vmcnt(3)
	v_mul_f32_e32 v29, v26, v28
	v_mul_f32_e32 v28, v25, v28
	s_waitcnt vmcnt(1)
	v_mul_f32_e32 v31, v16, v20
	v_mul_f32_e32 v20, v15, v20
	v_fma_f32 v25, v25, v27, -v29
	v_fmac_f32_e32 v28, v26, v27
	s_waitcnt vmcnt(0)
	v_mul_f32_e32 v26, v14, v18
	v_mul_f32_e32 v18, v13, v18
	v_fma_f32 v15, v15, v19, -v31
	v_dual_add_f32 v8, v8, v25 :: v_dual_add_f32 v9, v9, v28
	v_fmac_f32_e32 v20, v16, v19
	s_delay_alu instid0(VALU_DEP_4) | instskip(SKIP_3) | instid1(VALU_DEP_2)
	v_fmac_f32_e32 v18, v14, v17
	v_mul_f32_e32 v30, v22, v24
	v_mul_f32_e32 v24, v21, v24
	v_fma_f32 v13, v13, v17, -v26
	v_fmac_f32_e32 v24, v22, v23
	s_delay_alu instid0(VALU_DEP_1) | instskip(NEXT) | instid1(VALU_DEP_1)
	v_add_f32_e32 v9, v9, v24
	v_add_f32_e32 v9, v9, v20
	s_delay_alu instid0(VALU_DEP_1) | instskip(SKIP_1) | instid1(VALU_DEP_1)
	v_add_f32_e32 v9, v9, v18
	v_fma_f32 v21, v21, v23, -v30
	v_add_f32_e32 v8, v8, v21
	s_delay_alu instid0(VALU_DEP_1) | instskip(NEXT) | instid1(VALU_DEP_1)
	v_add_f32_e32 v8, v8, v15
	v_add_f32_e32 v8, v8, v13
.LBB110_17:                             ;   in Loop: Header=BB110_18 Depth=1
	s_or_b32 exec_lo, exec_lo, s26
	v_add_nc_u32_e32 v55, 64, v55
	v_add_nc_u32_e32 v56, s17, v56
	;; [unrolled: 1-line block ×5, first 2 shown]
	v_cmp_le_i32_e64 s3, s14, v55
	s_add_i32 s25, s25, s19
	s_delay_alu instid0(VALU_DEP_1) | instskip(NEXT) | instid1(SALU_CYCLE_1)
	s_or_b32 s18, s3, s18
	s_and_not1_b32 exec_lo, exec_lo, s18
	s_cbranch_execz .LBB110_23
.LBB110_18:                             ; =>This Inner Loop Header: Depth=1
	s_and_saveexec_b32 s26, vcc_lo
	s_cbranch_execz .LBB110_17
; %bb.19:                               ;   in Loop: Header=BB110_18 Depth=1
	v_add_nc_u32_e32 v13, s25, v60
	v_add_nc_u32_e32 v15, s25, v12
	;; [unrolled: 1-line block ×5, first 2 shown]
	v_ashrrev_i32_e32 v14, 31, v13
	v_ashrrev_i32_e32 v16, 31, v15
	;; [unrolled: 1-line block ×4, first 2 shown]
	v_add_nc_u32_e32 v23, s8, v56
	v_lshlrev_b64 v[13:14], 3, v[13:14]
	v_lshlrev_b64 v[15:16], 3, v[15:16]
	;; [unrolled: 1-line block ×3, first 2 shown]
	v_ashrrev_i32_e32 v22, 31, v21
	v_lshlrev_b64 v[19:20], 3, v[19:20]
	v_ashrrev_i32_e32 v24, 31, v23
	v_add_co_u32 v13, s3, s10, v13
	s_delay_alu instid0(VALU_DEP_1)
	v_add_co_ci_u32_e64 v14, s3, s11, v14, s3
	v_add_co_u32 v15, s3, s10, v15
	v_add_nc_u32_e32 v25, s8, v10
	v_add_co_ci_u32_e64 v16, s3, s11, v16, s3
	v_add_co_u32 v17, s3, s10, v17
	v_lshlrev_b64 v[21:22], 3, v[21:22]
	v_add_nc_u32_e32 v27, s8, v11
	v_add_co_ci_u32_e64 v18, s3, s11, v18, s3
	v_add_co_u32 v19, s3, s10, v19
	v_lshlrev_b64 v[23:24], 3, v[23:24]
	v_ashrrev_i32_e32 v26, 31, v25
	v_add_co_ci_u32_e64 v20, s3, s11, v20, s3
	v_add_co_u32 v51, s3, s9, v21
	v_ashrrev_i32_e32 v28, 31, v27
	v_add_co_ci_u32_e64 v52, s3, s15, v22, s3
	v_lshlrev_b64 v[21:22], 3, v[25:26]
	v_add_co_u32 v49, s3, s9, v23
	s_delay_alu instid0(VALU_DEP_1) | instskip(SKIP_1) | instid1(VALU_DEP_4)
	v_add_co_ci_u32_e64 v50, s3, s15, v24, s3
	v_lshlrev_b64 v[23:24], 3, v[27:28]
	v_add_co_u32 v47, s3, s9, v21
	s_delay_alu instid0(VALU_DEP_1) | instskip(NEXT) | instid1(VALU_DEP_3)
	v_add_co_ci_u32_e64 v48, s3, s15, v22, s3
	v_add_co_u32 v45, s3, s9, v23
	s_delay_alu instid0(VALU_DEP_1)
	v_add_co_ci_u32_e64 v46, s3, s15, v24, s3
	s_clause 0x3
	global_load_b64 v[25:26], v[13:14], off
	global_load_b64 v[21:22], v[15:16], off
	;; [unrolled: 1-line block ×4, first 2 shown]
	s_clause 0x3
	global_load_b64 v[27:28], v[51:52], off
	global_load_b64 v[23:24], v[49:50], off
	;; [unrolled: 1-line block ×4, first 2 shown]
	s_and_saveexec_b32 s3, s0
	s_cbranch_execz .LBB110_16
; %bb.20:                               ;   in Loop: Header=BB110_18 Depth=1
	s_clause 0x3
	global_load_b64 v[35:36], v[51:52], off offset:256
	global_load_b64 v[33:34], v[49:50], off offset:256
	global_load_b64 v[31:32], v[47:48], off offset:256
	global_load_b64 v[29:30], v[45:46], off offset:256
	s_and_saveexec_b32 s27, s1
	s_cbranch_execz .LBB110_15
; %bb.21:                               ;   in Loop: Header=BB110_18 Depth=1
	s_clause 0x3
	global_load_b64 v[43:44], v[51:52], off offset:512
	global_load_b64 v[41:42], v[49:50], off offset:512
	global_load_b64 v[39:40], v[47:48], off offset:512
	global_load_b64 v[37:38], v[45:46], off offset:512
	;; [unrolled: 8-line block ×3, first 2 shown]
	s_waitcnt vmcnt(3)
	v_mul_f32_e32 v61, v26, v52
	v_mul_f32_e32 v52, v25, v52
	s_waitcnt vmcnt(1)
	v_dual_mul_f32 v62, v22, v50 :: v_dual_mul_f32 v63, v16, v48
	v_mul_f32_e32 v50, v21, v50
	v_mul_f32_e32 v48, v15, v48
	v_fma_f32 v61, v25, v51, -v61
	s_delay_alu instid0(VALU_DEP_4) | instskip(NEXT) | instid1(VALU_DEP_4)
	v_fma_f32 v62, v21, v49, -v62
	v_fmac_f32_e32 v50, v22, v49
	v_fmac_f32_e32 v52, v26, v51
	s_waitcnt vmcnt(0)
	v_mul_f32_e32 v51, v14, v46
	v_mul_f32_e32 v46, v13, v46
	v_fma_f32 v49, v15, v47, -v63
	s_delay_alu instid0(VALU_DEP_2) | instskip(SKIP_2) | instid1(VALU_DEP_3)
	v_dual_add_f32 v3, v3, v52 :: v_dual_fmac_f32 v46, v14, v45
	v_fmac_f32_e32 v48, v16, v47
	v_fma_f32 v47, v13, v45, -v51
	v_dual_add_f32 v3, v3, v50 :: v_dual_add_f32 v2, v2, v61
	s_delay_alu instid0(VALU_DEP_1) | instskip(NEXT) | instid1(VALU_DEP_1)
	v_dual_add_f32 v3, v3, v48 :: v_dual_add_f32 v2, v2, v62
	v_dual_add_f32 v3, v3, v46 :: v_dual_add_f32 v2, v2, v49
	s_delay_alu instid0(VALU_DEP_1)
	v_add_f32_e32 v2, v2, v47
	s_branch .LBB110_14
.LBB110_23:
	s_or_b32 exec_lo, exec_lo, s18
.LBB110_24:
	s_delay_alu instid0(SALU_CYCLE_1) | instskip(SKIP_1) | instid1(SALU_CYCLE_1)
	s_or_b32 exec_lo, exec_lo, s16
	s_sub_i32 s0, s5, s14
	s_cmp_lt_i32 s0, 1
	s_cbranch_scc1 .LBB110_42
; %bb.25:
	v_cmp_gt_i32_e32 vcc_lo, s5, v55
	v_dual_mov_b32 v10, 0 :: v_dual_mov_b32 v11, 0
	v_or_b32_e32 v18, 1, v55
	v_dual_mov_b32 v12, 0 :: v_dual_mov_b32 v13, 0
	v_dual_mov_b32 v14, 0 :: v_dual_mov_b32 v15, 0
	;; [unrolled: 1-line block ×3, first 2 shown]
	s_and_saveexec_b32 s1, vcc_lo
	s_cbranch_execz .LBB110_33
; %bb.26:
	v_mul_lo_u32 v10, v55, s20
	v_dual_mov_b32 v17, 0 :: v_dual_mov_b32 v16, 0
	v_dual_mov_b32 v15, 0 :: v_dual_mov_b32 v14, 0
	;; [unrolled: 1-line block ×3, first 2 shown]
	s_mov_b32 s2, exec_lo
	s_delay_alu instid0(VALU_DEP_4) | instskip(NEXT) | instid1(VALU_DEP_1)
	v_ashrrev_i32_e32 v11, 31, v10
	v_lshlrev_b64 v[10:11], 3, v[10:11]
	s_delay_alu instid0(VALU_DEP_1) | instskip(NEXT) | instid1(VALU_DEP_1)
	v_add_co_u32 v10, s0, s10, v10
	v_add_co_ci_u32_e64 v11, s0, s11, v11, s0
	global_load_b64 v[10:11], v[10:11], off
	v_cmpx_gt_i32_e64 s5, v18
	s_cbranch_execz .LBB110_32
; %bb.27:
	v_mul_lo_u32 v12, v18, s20
	v_or_b32_e32 v19, 2, v55
	v_dual_mov_b32 v17, 0 :: v_dual_mov_b32 v16, 0
	v_dual_mov_b32 v15, 0 :: v_dual_mov_b32 v14, 0
	s_mov_b32 s3, exec_lo
	s_delay_alu instid0(VALU_DEP_4) | instskip(NEXT) | instid1(VALU_DEP_1)
	v_ashrrev_i32_e32 v13, 31, v12
	v_lshlrev_b64 v[12:13], 3, v[12:13]
	s_delay_alu instid0(VALU_DEP_1) | instskip(NEXT) | instid1(VALU_DEP_1)
	v_add_co_u32 v12, s0, s10, v12
	v_add_co_ci_u32_e64 v13, s0, s11, v13, s0
	global_load_b64 v[12:13], v[12:13], off
	v_cmpx_gt_i32_e64 s5, v19
	s_cbranch_execz .LBB110_31
; %bb.28:
	v_mul_lo_u32 v14, v19, s20
	v_or_b32_e32 v19, 3, v55
	v_dual_mov_b32 v17, 0 :: v_dual_mov_b32 v16, 0
	s_mov_b32 s14, exec_lo
	s_delay_alu instid0(VALU_DEP_3) | instskip(NEXT) | instid1(VALU_DEP_1)
	v_ashrrev_i32_e32 v15, 31, v14
	v_lshlrev_b64 v[14:15], 3, v[14:15]
	s_delay_alu instid0(VALU_DEP_1) | instskip(NEXT) | instid1(VALU_DEP_1)
	v_add_co_u32 v14, s0, s10, v14
	v_add_co_ci_u32_e64 v15, s0, s11, v15, s0
	global_load_b64 v[14:15], v[14:15], off
	v_cmpx_gt_i32_e64 s5, v19
	s_cbranch_execz .LBB110_30
; %bb.29:
	v_mul_lo_u32 v16, v19, s20
	s_delay_alu instid0(VALU_DEP_1) | instskip(NEXT) | instid1(VALU_DEP_1)
	v_ashrrev_i32_e32 v17, 31, v16
	v_lshlrev_b64 v[16:17], 3, v[16:17]
	s_delay_alu instid0(VALU_DEP_1) | instskip(NEXT) | instid1(VALU_DEP_1)
	v_add_co_u32 v16, s0, s10, v16
	v_add_co_ci_u32_e64 v17, s0, s11, v17, s0
	global_load_b64 v[16:17], v[16:17], off
.LBB110_30:
	s_or_b32 exec_lo, exec_lo, s14
.LBB110_31:
	s_delay_alu instid0(SALU_CYCLE_1)
	s_or_b32 exec_lo, exec_lo, s3
.LBB110_32:
	s_delay_alu instid0(SALU_CYCLE_1)
	s_or_b32 exec_lo, exec_lo, s2
.LBB110_33:
	s_delay_alu instid0(SALU_CYCLE_1) | instskip(NEXT) | instid1(SALU_CYCLE_1)
	s_or_b32 exec_lo, exec_lo, s1
	s_mov_b32 s1, exec_lo
	v_cmpx_gt_i32_e64 s4, v54
	s_cbranch_execz .LBB110_41
; %bb.34:
	v_mul_lo_u32 v19, v55, s24
	v_mul_lo_u32 v20, v18, s24
	v_or_b32_e32 v21, 2, v55
	v_or_b32_e32 v22, 3, v55
	s_mov_b32 s0, exec_lo
	s_delay_alu instid0(VALU_DEP_2)
	v_mul_lo_u32 v23, v21, s24
	v_cndmask_b32_e32 v19, 0, v19, vcc_lo
	v_cmp_gt_i32_e32 vcc_lo, s5, v18
	v_mul_lo_u32 v24, v22, s24
	v_cndmask_b32_e32 v20, 0, v20, vcc_lo
	v_cmp_gt_i32_e32 vcc_lo, s5, v21
	v_add_nc_u32_e32 v18, v19, v54
	s_delay_alu instid0(VALU_DEP_3) | instskip(NEXT) | instid1(VALU_DEP_2)
	v_dual_cndmask_b32 v23, 0, v23 :: v_dual_add_nc_u32 v20, v20, v54
	v_ashrrev_i32_e32 v19, 31, v18
	v_cmp_gt_i32_e32 vcc_lo, s5, v22
	s_delay_alu instid0(VALU_DEP_3) | instskip(NEXT) | instid1(VALU_DEP_3)
	v_ashrrev_i32_e32 v21, 31, v20
	v_lshlrev_b64 v[18:19], 3, v[18:19]
	v_cndmask_b32_e32 v24, 0, v24, vcc_lo
	s_delay_alu instid0(VALU_DEP_3) | instskip(NEXT) | instid1(VALU_DEP_2)
	v_lshlrev_b64 v[20:21], 3, v[20:21]
	v_add_nc_u32_e32 v26, v24, v54
	s_delay_alu instid0(VALU_DEP_4) | instskip(SKIP_1) | instid1(VALU_DEP_4)
	v_add_co_u32 v24, vcc_lo, s9, v18
	v_add_co_ci_u32_e32 v25, vcc_lo, s15, v19, vcc_lo
	v_add_co_u32 v20, vcc_lo, s9, v20
	v_add_co_ci_u32_e32 v21, vcc_lo, s15, v21, vcc_lo
	s_clause 0x1
	global_load_b64 v[28:29], v[24:25], off
	global_load_b64 v[30:31], v[20:21], off
	s_waitcnt vmcnt(0)
	v_dual_mul_f32 v35, v13, v31 :: v_dual_add_nc_u32 v22, v23, v54
	v_dual_mul_f32 v31, v12, v31 :: v_dual_mul_f32 v34, v11, v29
	v_mul_f32_e32 v29, v10, v29
	s_delay_alu instid0(VALU_DEP_3) | instskip(NEXT) | instid1(VALU_DEP_3)
	v_ashrrev_i32_e32 v23, 31, v22
	v_fmac_f32_e32 v31, v13, v30
	s_delay_alu instid0(VALU_DEP_4) | instskip(NEXT) | instid1(VALU_DEP_4)
	v_fma_f32 v34, v10, v28, -v34
	v_fmac_f32_e32 v29, v11, v28
	v_ashrrev_i32_e32 v27, 31, v26
	v_lshlrev_b64 v[18:19], 3, v[22:23]
	v_fma_f32 v28, v12, v30, -v35
	s_delay_alu instid0(VALU_DEP_4) | instskip(NEXT) | instid1(VALU_DEP_4)
	v_dual_add_f32 v8, v8, v34 :: v_dual_add_f32 v29, v9, v29
	v_lshlrev_b64 v[26:27], 3, v[26:27]
	s_delay_alu instid0(VALU_DEP_4) | instskip(SKIP_1) | instid1(VALU_DEP_3)
	v_add_co_u32 v22, vcc_lo, s9, v18
	v_add_co_ci_u32_e32 v23, vcc_lo, s15, v19, vcc_lo
	v_add_co_u32 v18, vcc_lo, s9, v26
	s_delay_alu instid0(VALU_DEP_4)
	v_add_co_ci_u32_e32 v19, vcc_lo, s15, v27, vcc_lo
	s_clause 0x1
	global_load_b64 v[26:27], v[22:23], off
	global_load_b64 v[32:33], v[18:19], off
	s_waitcnt vmcnt(0)
	v_dual_mul_f32 v30, v15, v27 :: v_dual_mul_f32 v35, v17, v33
	v_mul_f32_e32 v27, v14, v27
	v_mul_f32_e32 v9, v16, v33
	s_delay_alu instid0(VALU_DEP_3) | instskip(NEXT) | instid1(VALU_DEP_3)
	v_fma_f32 v30, v14, v26, -v30
	v_dual_fmac_f32 v27, v15, v26 :: v_dual_add_f32 v26, v8, v28
	v_dual_add_f32 v28, v29, v31 :: v_dual_add_nc_u32 v29, 32, v54
	v_fma_f32 v8, v16, v32, -v35
	s_delay_alu instid0(VALU_DEP_3) | instskip(NEXT) | instid1(VALU_DEP_3)
	v_dual_fmac_f32 v9, v17, v32 :: v_dual_add_f32 v26, v26, v30
	v_add_f32_e32 v27, v28, v27
	s_delay_alu instid0(VALU_DEP_4)
	v_cmpx_gt_i32_e64 s4, v29
	s_cbranch_execz .LBB110_40
; %bb.35:
	s_clause 0x3
	global_load_b64 v[28:29], v[24:25], off offset:256
	global_load_b64 v[30:31], v[20:21], off offset:256
	;; [unrolled: 1-line block ×4, first 2 shown]
	s_mov_b32 s2, exec_lo
	s_waitcnt vmcnt(2)
	v_dual_mul_f32 v36, v11, v29 :: v_dual_mul_f32 v37, v13, v31
	v_mul_f32_e32 v29, v10, v29
	s_waitcnt vmcnt(1)
	v_dual_mul_f32 v31, v12, v31 :: v_dual_mul_f32 v38, v15, v33
	s_delay_alu instid0(VALU_DEP_3) | instskip(SKIP_1) | instid1(VALU_DEP_3)
	v_fma_f32 v36, v10, v28, -v36
	v_fma_f32 v37, v12, v30, -v37
	v_fmac_f32_e32 v31, v13, v30
	s_delay_alu instid0(VALU_DEP_4) | instskip(NEXT) | instid1(VALU_DEP_4)
	v_fma_f32 v30, v14, v32, -v38
	v_add_f32_e32 v6, v6, v36
	v_mul_f32_e32 v33, v14, v33
	s_waitcnt vmcnt(0)
	v_dual_fmac_f32 v29, v11, v28 :: v_dual_mul_f32 v28, v17, v35
	s_delay_alu instid0(VALU_DEP_2) | instskip(NEXT) | instid1(VALU_DEP_2)
	v_dual_fmac_f32 v33, v15, v32 :: v_dual_add_f32 v32, v6, v37
	v_add_f32_e32 v29, v7, v29
	v_mul_f32_e32 v7, v16, v35
	s_delay_alu instid0(VALU_DEP_4) | instskip(NEXT) | instid1(VALU_DEP_3)
	v_fma_f32 v6, v16, v34, -v28
	v_dual_add_f32 v28, v32, v30 :: v_dual_add_f32 v29, v29, v31
	v_add_nc_u32_e32 v31, 64, v54
	s_delay_alu instid0(VALU_DEP_4) | instskip(NEXT) | instid1(VALU_DEP_3)
	v_fmac_f32_e32 v7, v17, v34
	v_add_f32_e32 v29, v29, v33
	s_delay_alu instid0(VALU_DEP_3)
	v_cmpx_gt_i32_e64 s4, v31
	s_cbranch_execz .LBB110_39
; %bb.36:
	s_clause 0x3
	global_load_b64 v[30:31], v[24:25], off offset:512
	global_load_b64 v[32:33], v[20:21], off offset:512
	;; [unrolled: 1-line block ×4, first 2 shown]
	s_mov_b32 s3, exec_lo
	s_waitcnt vmcnt(2)
	v_dual_mul_f32 v38, v11, v31 :: v_dual_mul_f32 v39, v13, v33
	v_mul_f32_e32 v31, v10, v31
	s_waitcnt vmcnt(1)
	v_dual_mul_f32 v33, v12, v33 :: v_dual_mul_f32 v40, v15, v35
	s_delay_alu instid0(VALU_DEP_3) | instskip(SKIP_2) | instid1(VALU_DEP_4)
	v_fma_f32 v38, v10, v30, -v38
	v_mul_f32_e32 v35, v14, v35
	v_fma_f32 v39, v12, v32, -v39
	v_fmac_f32_e32 v33, v13, v32
	v_fma_f32 v32, v14, v34, -v40
	v_add_f32_e32 v4, v4, v38
	s_waitcnt vmcnt(0)
	v_dual_fmac_f32 v31, v11, v30 :: v_dual_mul_f32 v30, v17, v37
	s_delay_alu instid0(VALU_DEP_2) | instskip(NEXT) | instid1(VALU_DEP_2)
	v_dual_fmac_f32 v35, v15, v34 :: v_dual_add_f32 v34, v4, v39
	v_add_f32_e32 v31, v5, v31
	v_mul_f32_e32 v5, v16, v37
	s_delay_alu instid0(VALU_DEP_4) | instskip(NEXT) | instid1(VALU_DEP_3)
	v_fma_f32 v4, v16, v36, -v30
	v_dual_add_f32 v30, v34, v32 :: v_dual_add_f32 v31, v31, v33
	v_add_nc_u32_e32 v33, 0x60, v54
	s_delay_alu instid0(VALU_DEP_4) | instskip(NEXT) | instid1(VALU_DEP_3)
	v_fmac_f32_e32 v5, v17, v36
	v_add_f32_e32 v31, v31, v35
	s_delay_alu instid0(VALU_DEP_3)
	v_cmpx_gt_i32_e64 s4, v33
	s_cbranch_execz .LBB110_38
; %bb.37:
	s_clause 0x3
	global_load_b64 v[24:25], v[24:25], off offset:768
	global_load_b64 v[20:21], v[20:21], off offset:768
	global_load_b64 v[22:23], v[22:23], off offset:768
	global_load_b64 v[18:19], v[18:19], off offset:768
	s_waitcnt vmcnt(3)
	v_mul_f32_e32 v32, v11, v25
	s_waitcnt vmcnt(1)
	v_dual_mul_f32 v25, v10, v25 :: v_dual_mul_f32 v34, v15, v23
	v_mul_f32_e32 v23, v14, v23
	s_delay_alu instid0(VALU_DEP_3) | instskip(SKIP_1) | instid1(VALU_DEP_4)
	v_fma_f32 v10, v10, v24, -v32
	v_mul_f32_e32 v33, v13, v21
	v_fmac_f32_e32 v25, v11, v24
	s_delay_alu instid0(VALU_DEP_4) | instskip(NEXT) | instid1(VALU_DEP_4)
	v_fmac_f32_e32 v23, v15, v22
	v_add_f32_e32 v2, v2, v10
	s_waitcnt vmcnt(0)
	v_mul_f32_e32 v10, v16, v19
	v_mul_f32_e32 v21, v12, v21
	v_fma_f32 v12, v12, v20, -v33
	s_delay_alu instid0(VALU_DEP_3) | instskip(NEXT) | instid1(VALU_DEP_2)
	v_dual_add_f32 v3, v3, v25 :: v_dual_fmac_f32 v10, v17, v18
	v_add_f32_e32 v2, v2, v12
	s_delay_alu instid0(VALU_DEP_4) | instskip(SKIP_1) | instid1(VALU_DEP_1)
	v_fmac_f32_e32 v21, v13, v20
	v_fma_f32 v13, v14, v22, -v34
	v_dual_mul_f32 v11, v17, v19 :: v_dual_add_f32 v2, v2, v13
	s_delay_alu instid0(VALU_DEP_1) | instskip(NEXT) | instid1(VALU_DEP_1)
	v_fma_f32 v11, v16, v18, -v11
	v_dual_add_f32 v2, v2, v11 :: v_dual_add_f32 v3, v3, v21
	s_delay_alu instid0(VALU_DEP_1) | instskip(NEXT) | instid1(VALU_DEP_1)
	v_add_f32_e32 v3, v3, v23
	v_add_f32_e32 v3, v3, v10
.LBB110_38:
	s_or_b32 exec_lo, exec_lo, s3
	s_delay_alu instid0(VALU_DEP_2)
	v_dual_add_f32 v4, v30, v4 :: v_dual_add_f32 v5, v31, v5
.LBB110_39:
	s_or_b32 exec_lo, exec_lo, s2
	s_delay_alu instid0(VALU_DEP_2)
	v_dual_add_f32 v6, v28, v6 :: v_dual_add_f32 v7, v29, v7
.LBB110_40:
	s_or_b32 exec_lo, exec_lo, s0
	s_delay_alu instid0(VALU_DEP_2)
	v_dual_add_f32 v8, v26, v8 :: v_dual_add_f32 v9, v27, v9
.LBB110_41:
	s_or_b32 exec_lo, exec_lo, s1
.LBB110_42:
	s_waitcnt vmcnt(0)
	v_lshlrev_b32_e32 v10, 7, v53
	s_mov_b32 s0, exec_lo
	s_delay_alu instid0(VALU_DEP_1)
	v_add_lshl_u32 v1, v10, v1, 3
	ds_store_2addr_b64 v1, v[8:9], v[6:7] offset1:32
	ds_store_2addr_b64 v1, v[4:5], v[2:3] offset0:64 offset1:96
	s_waitcnt lgkmcnt(0)
	s_waitcnt_vscnt null, 0x0
	s_barrier
	buffer_gl0_inv
	v_cmpx_gt_u32_e32 0x80, v0
	s_cbranch_execz .LBB110_47
; %bb.43:
	v_lshlrev_b32_e32 v13, 3, v0
	v_or_b32_e32 v0, s8, v0
	ds_load_2addr_stride64_b64 v[1:4], v13 offset1:2
	ds_load_2addr_stride64_b64 v[5:8], v13 offset0:4 offset1:6
	ds_load_2addr_stride64_b64 v[9:12], v13 offset0:8 offset1:10
	v_cmp_gt_i32_e32 vcc_lo, s4, v0
	s_waitcnt lgkmcnt(2)
	v_add_f32_e32 v14, v1, v3
	s_waitcnt lgkmcnt(1)
	s_delay_alu instid0(VALU_DEP_1) | instskip(SKIP_4) | instid1(VALU_DEP_1)
	v_add_f32_e32 v5, v14, v5
	v_add_f32_e32 v15, v2, v4
	ds_load_2addr_stride64_b64 v[1:4], v13 offset0:12 offset1:14
	v_add_f32_e32 v14, v5, v7
	s_waitcnt lgkmcnt(1)
	v_dual_add_f32 v6, v15, v6 :: v_dual_add_f32 v9, v14, v9
	s_delay_alu instid0(VALU_DEP_1) | instskip(SKIP_3) | instid1(VALU_DEP_1)
	v_add_f32_e32 v15, v6, v8
	ds_load_2addr_stride64_b64 v[5:8], v13 offset0:16 offset1:18
	v_add_f32_e32 v14, v9, v11
	s_waitcnt lgkmcnt(1)
	v_dual_add_f32 v10, v15, v10 :: v_dual_add_f32 v1, v14, v1
	s_delay_alu instid0(VALU_DEP_1) | instskip(SKIP_3) | instid1(VALU_DEP_1)
	;; [unrolled: 6-line block ×3, first 2 shown]
	v_add_f32_e32 v15, v2, v4
	ds_load_2addr_stride64_b64 v[1:4], v13 offset0:24 offset1:26
	v_add_f32_e32 v14, v5, v7
	v_add_f32_e32 v6, v15, v6
	v_add_f32_e32 v15, v6, v8
	ds_load_2addr_stride64_b64 v[5:8], v13 offset0:28 offset1:30
	s_waitcnt lgkmcnt(2)
	v_dual_add_f32 v9, v14, v9 :: v_dual_add_f32 v10, v15, v10
	s_delay_alu instid0(VALU_DEP_1) | instskip(SKIP_1) | instid1(VALU_DEP_1)
	v_dual_add_f32 v9, v9, v11 :: v_dual_add_f32 v10, v10, v12
	s_waitcnt lgkmcnt(1)
	v_dual_add_f32 v1, v9, v1 :: v_dual_add_f32 v2, v10, v2
	s_delay_alu instid0(VALU_DEP_1) | instskip(SKIP_1) | instid1(VALU_DEP_1)
	v_dual_add_f32 v1, v1, v3 :: v_dual_add_f32 v2, v2, v4
	s_waitcnt lgkmcnt(0)
	v_add_f32_e32 v1, v1, v5
	s_delay_alu instid0(VALU_DEP_1) | instskip(NEXT) | instid1(VALU_DEP_1)
	v_dual_add_f32 v3, v2, v6 :: v_dual_add_f32 v2, v1, v7
	v_add_f32_e32 v3, v3, v8
	ds_store_b64 v13, v[2:3]
	s_and_b32 exec_lo, exec_lo, vcc_lo
	s_cbranch_execz .LBB110_47
; %bb.44:
	v_mul_lo_u32 v4, v0, s23
	v_mul_f32_e32 v1, s6, v3
	v_mul_f32_e32 v0, s7, v3
	v_cmp_neq_f32_e64 s0, s12, 0
	v_cmp_neq_f32_e64 s1, s13, 0
	s_delay_alu instid0(VALU_DEP_4) | instskip(NEXT) | instid1(VALU_DEP_4)
	v_fmac_f32_e32 v1, s7, v2
	v_fma_f32 v0, v2, s6, -v0
	v_ashrrev_i32_e32 v5, 31, v4
	s_delay_alu instid0(VALU_DEP_4) | instskip(NEXT) | instid1(SALU_CYCLE_1)
	s_or_b32 s0, s0, s1
	s_and_not1_b32 vcc_lo, exec_lo, s0
	s_delay_alu instid0(VALU_DEP_1)
	v_lshlrev_b64 v[3:4], 3, v[4:5]
	s_cbranch_vccnz .LBB110_46
; %bb.45:
	s_delay_alu instid0(VALU_DEP_1) | instskip(NEXT) | instid1(VALU_DEP_2)
	v_add_co_u32 v5, vcc_lo, s21, v3
	v_add_co_ci_u32_e32 v6, vcc_lo, s22, v4, vcc_lo
	global_load_b64 v[5:6], v[5:6], off
	s_waitcnt vmcnt(0)
	v_mul_f32_e32 v2, s13, v6
	v_mul_f32_e32 v6, s12, v6
	s_delay_alu instid0(VALU_DEP_2) | instskip(NEXT) | instid1(VALU_DEP_2)
	v_fma_f32 v2, s12, v5, -v2
	v_fmac_f32_e32 v6, s13, v5
	s_delay_alu instid0(VALU_DEP_2) | instskip(NEXT) | instid1(VALU_DEP_2)
	v_add_f32_e32 v0, v0, v2
	v_add_f32_e32 v1, v1, v6
.LBB110_46:
	s_delay_alu instid0(VALU_DEP_1) | instskip(NEXT) | instid1(VALU_DEP_2)
	v_add_co_u32 v2, vcc_lo, s21, v3
	v_add_co_ci_u32_e32 v3, vcc_lo, s22, v4, vcc_lo
	global_store_b64 v[2:3], v[0:1], off
.LBB110_47:
	s_nop 0
	s_sendmsg sendmsg(MSG_DEALLOC_VGPRS)
	s_endpgm
	.section	.rodata,"a",@progbits
	.p2align	6, 0x0
	.amdhsa_kernel _ZL20rocblas_gemvn_kernelILi32ELi16Ei19rocblas_complex_numIfES1_S1_EviiT3_lPKT2_lT1_lS5_lS6_lS2_lPT4_lS6_li
		.amdhsa_group_segment_fixed_size 16384
		.amdhsa_private_segment_fixed_size 0
		.amdhsa_kernarg_size 400
		.amdhsa_user_sgpr_count 14
		.amdhsa_user_sgpr_dispatch_ptr 0
		.amdhsa_user_sgpr_queue_ptr 0
		.amdhsa_user_sgpr_kernarg_segment_ptr 1
		.amdhsa_user_sgpr_dispatch_id 0
		.amdhsa_user_sgpr_private_segment_size 0
		.amdhsa_wavefront_size32 1
		.amdhsa_uses_dynamic_stack 0
		.amdhsa_enable_private_segment 0
		.amdhsa_system_sgpr_workgroup_id_x 1
		.amdhsa_system_sgpr_workgroup_id_y 0
		.amdhsa_system_sgpr_workgroup_id_z 1
		.amdhsa_system_sgpr_workgroup_info 0
		.amdhsa_system_vgpr_workitem_id 1
		.amdhsa_next_free_vgpr 64
		.amdhsa_next_free_sgpr 29
		.amdhsa_reserve_vcc 1
		.amdhsa_float_round_mode_32 0
		.amdhsa_float_round_mode_16_64 0
		.amdhsa_float_denorm_mode_32 3
		.amdhsa_float_denorm_mode_16_64 3
		.amdhsa_dx10_clamp 1
		.amdhsa_ieee_mode 1
		.amdhsa_fp16_overflow 0
		.amdhsa_workgroup_processor_mode 1
		.amdhsa_memory_ordered 1
		.amdhsa_forward_progress 0
		.amdhsa_shared_vgpr_count 0
		.amdhsa_exception_fp_ieee_invalid_op 0
		.amdhsa_exception_fp_denorm_src 0
		.amdhsa_exception_fp_ieee_div_zero 0
		.amdhsa_exception_fp_ieee_overflow 0
		.amdhsa_exception_fp_ieee_underflow 0
		.amdhsa_exception_fp_ieee_inexact 0
		.amdhsa_exception_int_div_zero 0
	.end_amdhsa_kernel
	.section	.text._ZL20rocblas_gemvn_kernelILi32ELi16Ei19rocblas_complex_numIfES1_S1_EviiT3_lPKT2_lT1_lS5_lS6_lS2_lPT4_lS6_li,"axG",@progbits,_ZL20rocblas_gemvn_kernelILi32ELi16Ei19rocblas_complex_numIfES1_S1_EviiT3_lPKT2_lT1_lS5_lS6_lS2_lPT4_lS6_li,comdat
.Lfunc_end110:
	.size	_ZL20rocblas_gemvn_kernelILi32ELi16Ei19rocblas_complex_numIfES1_S1_EviiT3_lPKT2_lT1_lS5_lS6_lS2_lPT4_lS6_li, .Lfunc_end110-_ZL20rocblas_gemvn_kernelILi32ELi16Ei19rocblas_complex_numIfES1_S1_EviiT3_lPKT2_lT1_lS5_lS6_lS2_lPT4_lS6_li
                                        ; -- End function
	.section	.AMDGPU.csdata,"",@progbits
; Kernel info:
; codeLenInByte = 4024
; NumSgprs: 31
; NumVgprs: 64
; ScratchSize: 0
; MemoryBound: 0
; FloatMode: 240
; IeeeMode: 1
; LDSByteSize: 16384 bytes/workgroup (compile time only)
; SGPRBlocks: 3
; VGPRBlocks: 7
; NumSGPRsForWavesPerEU: 31
; NumVGPRsForWavesPerEU: 64
; Occupancy: 16
; WaveLimiterHint : 1
; COMPUTE_PGM_RSRC2:SCRATCH_EN: 0
; COMPUTE_PGM_RSRC2:USER_SGPR: 14
; COMPUTE_PGM_RSRC2:TRAP_HANDLER: 0
; COMPUTE_PGM_RSRC2:TGID_X_EN: 1
; COMPUTE_PGM_RSRC2:TGID_Y_EN: 0
; COMPUTE_PGM_RSRC2:TGID_Z_EN: 1
; COMPUTE_PGM_RSRC2:TIDIG_COMP_CNT: 1
	.section	.text._ZL20rocblas_gemvn_kernelILi32ELi16El19rocblas_complex_numIfES1_S1_EviiT3_lPKT2_lT1_lS5_lS6_lS2_lPT4_lS6_li,"axG",@progbits,_ZL20rocblas_gemvn_kernelILi32ELi16El19rocblas_complex_numIfES1_S1_EviiT3_lPKT2_lT1_lS5_lS6_lS2_lPT4_lS6_li,comdat
	.globl	_ZL20rocblas_gemvn_kernelILi32ELi16El19rocblas_complex_numIfES1_S1_EviiT3_lPKT2_lT1_lS5_lS6_lS2_lPT4_lS6_li ; -- Begin function _ZL20rocblas_gemvn_kernelILi32ELi16El19rocblas_complex_numIfES1_S1_EviiT3_lPKT2_lT1_lS5_lS6_lS2_lPT4_lS6_li
	.p2align	8
	.type	_ZL20rocblas_gemvn_kernelILi32ELi16El19rocblas_complex_numIfES1_S1_EviiT3_lPKT2_lT1_lS5_lS6_lS2_lPT4_lS6_li,@function
_ZL20rocblas_gemvn_kernelILi32ELi16El19rocblas_complex_numIfES1_S1_EviiT3_lPKT2_lT1_lS5_lS6_lS2_lPT4_lS6_li: ; @_ZL20rocblas_gemvn_kernelILi32ELi16El19rocblas_complex_numIfES1_S1_EviiT3_lPKT2_lT1_lS5_lS6_lS2_lPT4_lS6_li
; %bb.0:
	s_load_b64 s[2:3], s[0:1], 0x9c
	s_waitcnt lgkmcnt(0)
	s_lshr_b32 s4, s2, 16
	s_and_b32 s2, s2, 0xffff
	s_and_b32 s3, s3, 0xffff
	s_mul_i32 s2, s4, s2
	s_delay_alu instid0(SALU_CYCLE_1) | instskip(NEXT) | instid1(SALU_CYCLE_1)
	s_mul_i32 s2, s2, s3
	s_cmpk_lg_i32 s2, 0x200
	s_cbranch_scc1 .LBB111_47
; %bb.1:
	s_clause 0x1
	s_load_b128 s[36:39], s[0:1], 0x0
	s_load_b64 s[12:13], s[0:1], 0x58
	s_waitcnt lgkmcnt(0)
	v_cmp_neq_f32_e64 s2, s38, 0
	v_cmp_neq_f32_e64 s3, s39, 0
	s_delay_alu instid0(VALU_DEP_1) | instskip(NEXT) | instid1(SALU_CYCLE_1)
	s_or_b32 s2, s2, s3
	s_and_b32 vcc_lo, exec_lo, s2
	s_mov_b32 s2, -1
	s_cbranch_vccnz .LBB111_3
; %bb.2:
	v_cmp_neq_f32_e64 s2, s12, 1.0
	v_cmp_neq_f32_e64 s3, s13, 0
	s_delay_alu instid0(VALU_DEP_1)
	s_or_b32 s2, s2, s3
.LBB111_3:
	s_delay_alu instid0(SALU_CYCLE_1)
	s_and_not1_b32 vcc_lo, exec_lo, s2
	s_cbranch_vccnz .LBB111_47
; %bb.4:
	s_load_b256 s[4:11], s[0:1], 0x68
	v_and_b32_e32 v55, 0x3ff, v0
	v_bfe_u32 v56, v0, 10, 10
	s_delay_alu instid0(VALU_DEP_1) | instskip(NEXT) | instid1(VALU_DEP_1)
	v_lshl_add_u32 v54, v56, 5, v55
	v_cmp_gt_u32_e32 vcc_lo, 0x80, v54
	s_waitcnt lgkmcnt(0)
	s_mul_i32 s3, s15, s11
	s_mul_hi_u32 s11, s15, s10
	s_mul_i32 s2, s15, s10
	s_add_i32 s3, s11, s3
	s_delay_alu instid0(SALU_CYCLE_1) | instskip(NEXT) | instid1(SALU_CYCLE_1)
	s_lshl_b64 s[2:3], s[2:3], 3
	s_add_u32 s4, s4, s2
	s_addc_u32 s10, s5, s3
	s_lshl_b64 s[2:3], s[6:7], 3
	s_delay_alu instid0(SALU_CYCLE_1) | instskip(SKIP_2) | instid1(SALU_CYCLE_1)
	s_add_u32 s5, s4, s2
	s_addc_u32 s33, s10, s3
	s_or_b32 s2, s38, s39
	s_bitset0_b32 s2, 31
	s_delay_alu instid0(SALU_CYCLE_1)
	s_cmp_lg_u32 s2, 0
	s_mov_b32 s2, -1
	s_cbranch_scc1 .LBB111_11
; %bb.5:
	s_and_saveexec_b32 s2, vcc_lo
	s_cbranch_execz .LBB111_10
; %bb.6:
	v_lshl_or_b32 v0, s14, 7, v54
	v_mov_b32_e32 v1, 0
	s_ashr_i32 s7, s36, 31
	s_mov_b32 s6, s36
	s_delay_alu instid0(VALU_DEP_1) | instid1(SALU_CYCLE_1)
	v_cmp_gt_i64_e32 vcc_lo, s[6:7], v[0:1]
	s_and_b32 exec_lo, exec_lo, vcc_lo
	s_cbranch_execz .LBB111_10
; %bb.7:
	v_mad_u64_u32 v[2:3], null, v0, s8, 0
	v_cmp_neq_f32_e64 s3, s12, 0
	v_cmp_neq_f32_e64 s4, s13, 0
	s_delay_alu instid0(VALU_DEP_1) | instskip(NEXT) | instid1(VALU_DEP_3)
	s_or_b32 s3, s3, s4
	v_mad_u64_u32 v[4:5], null, v0, s9, v[3:4]
	s_and_not1_b32 vcc_lo, exec_lo, s3
	s_delay_alu instid0(VALU_DEP_1) | instskip(NEXT) | instid1(VALU_DEP_1)
	v_dual_mov_b32 v3, v4 :: v_dual_mov_b32 v4, v1
	v_lshlrev_b64 v[2:3], 3, v[2:3]
	s_cbranch_vccnz .LBB111_9
; %bb.8:
	s_delay_alu instid0(VALU_DEP_1) | instskip(NEXT) | instid1(VALU_DEP_2)
	v_add_co_u32 v0, vcc_lo, s5, v2
	v_add_co_ci_u32_e32 v1, vcc_lo, s33, v3, vcc_lo
	global_load_b64 v[0:1], v[0:1], off
	s_waitcnt vmcnt(0)
	v_mul_f32_e32 v4, s12, v1
	s_delay_alu instid0(VALU_DEP_1) | instskip(NEXT) | instid1(VALU_DEP_1)
	v_dual_mul_f32 v5, s13, v1 :: v_dual_fmac_f32 v4, s13, v0
	v_fma_f32 v1, s12, v0, -v5
.LBB111_9:
	s_delay_alu instid0(VALU_DEP_1) | instskip(NEXT) | instid1(VALU_DEP_2)
	v_add_co_u32 v5, vcc_lo, s5, v2
	v_add_co_ci_u32_e32 v6, vcc_lo, s33, v3, vcc_lo
	s_delay_alu instid0(VALU_DEP_3)
	v_mov_b32_e32 v3, v1
	global_store_b64 v[5:6], v[3:4], off
.LBB111_10:
	s_or_b32 exec_lo, exec_lo, s2
	s_mov_b32 s2, 0
.LBB111_11:
	s_delay_alu instid0(SALU_CYCLE_1)
	s_and_not1_b32 vcc_lo, exec_lo, s2
	s_cbranch_vccnz .LBB111_47
; %bb.12:
	s_load_b512 s[16:31], s[0:1], 0x18
	s_ashr_i32 s0, s37, 31
	s_lshl_b32 s34, s14, 7
	s_lshr_b32 s0, s0, 26
	v_dual_mov_b32 v0, 0 :: v_dual_lshlrev_b32 v57, 2, v56
	v_dual_mov_b32 v1, 0 :: v_dual_mov_b32 v4, 0
	v_dual_mov_b32 v5, 0 :: v_dual_mov_b32 v6, 0
	v_dual_mov_b32 v7, 0 :: v_dual_mov_b32 v8, 0
	v_dual_mov_b32 v9, 0 :: v_dual_add_nc_u32 v2, s34, v55
	s_add_i32 s35, s37, s0
	s_mov_b32 s40, exec_lo
	s_and_not1_b32 s35, s35, 63
	s_waitcnt lgkmcnt(0)
	s_mul_i32 s0, s15, s23
	s_mul_hi_u32 s1, s15, s22
	s_mul_i32 s2, s15, s31
	s_mul_hi_u32 s3, s15, s30
	s_mul_i32 s6, s15, s22
	s_add_i32 s7, s1, s0
	s_add_i32 s11, s3, s2
	s_mul_i32 s10, s15, s30
	v_cmpx_gt_i32_e64 s35, v57
	s_cbranch_execz .LBB111_24
; %bb.13:
	v_mad_u64_u32 v[0:1], null, s28, v56, 0
	s_lshl_b64 s[0:1], s[26:27], 3
	v_add_nc_u32_e32 v10, 0x60, v2
	s_lshl_b64 s[2:3], s[10:11], 3
	s_add_u32 s0, s24, s0
	s_addc_u32 s4, s25, s1
	s_add_u32 s14, s0, s2
	s_delay_alu instid0(VALU_DEP_2)
	v_mad_u64_u32 v[4:5], null, s29, v56, v[1:2]
	v_lshlrev_b32_e32 v16, 2, v56
	v_cmp_gt_i32_e64 s2, s36, v10
	s_addc_u32 s4, s4, s3
	v_ashrrev_i32_e32 v3, 31, v2
	s_lshl_b64 s[22:23], s[18:19], 3
	s_lshl_b64 s[30:31], s[6:7], 3
	s_delay_alu instid0(VALU_DEP_4)
	v_mov_b32_e32 v1, v4
	v_or_b32_e32 v9, 3, v16
	v_or_b32_e32 v17, 2, v16
	v_lshlrev_b64 v[12:13], 3, v[2:3]
	v_cmp_gt_i32_e32 vcc_lo, s36, v2
	v_lshlrev_b64 v[0:1], 5, v[0:1]
	v_mad_u64_u32 v[5:6], null, s20, v9, 0
	v_add_nc_u32_e32 v7, 32, v2
	s_mov_b32 s41, 0
	s_delay_alu instid0(VALU_DEP_3) | instskip(NEXT) | instid1(VALU_DEP_1)
	v_add_co_u32 v10, s3, s14, v0
	v_add_co_ci_u32_e64 v11, s3, s4, v1, s3
	s_delay_alu instid0(VALU_DEP_4) | instskip(SKIP_3) | instid1(VALU_DEP_3)
	v_mov_b32_e32 v4, v6
	v_mad_u64_u32 v[0:1], null, s20, v56, 0
	v_cmp_gt_i32_e64 s0, s36, v7
	s_lshl_b64 s[14:15], s[28:29], 9
	v_mad_u64_u32 v[6:7], null, s21, v9, v[4:5]
	s_add_u32 s3, s16, s22
	s_addc_u32 s4, s17, s23
	s_delay_alu instid0(VALU_DEP_3) | instskip(SKIP_2) | instid1(VALU_DEP_3)
	v_mad_u64_u32 v[14:15], null, s21, v56, v[1:2]
	v_add_nc_u32_e32 v8, 64, v2
	s_add_u32 s22, s3, s30
	v_lshlrev_b64 v[3:4], 3, v[5:6]
	v_mad_u64_u32 v[5:6], null, s20, v16, s[20:21]
	s_delay_alu instid0(VALU_DEP_3) | instskip(SKIP_2) | instid1(VALU_DEP_4)
	v_cmp_gt_i32_e64 s1, s36, v8
	v_mad_u64_u32 v[7:8], null, s20, v17, 0
	s_addc_u32 s4, s4, s31
	v_add_co_u32 v3, s3, s22, v3
	s_delay_alu instid0(VALU_DEP_1) | instskip(SKIP_1) | instid1(VALU_DEP_3)
	v_add_co_ci_u32_e64 v58, s3, s4, v4, s3
	s_lshl_b64 s[30:31], s[28:29], 3
	v_mov_b32_e32 v1, v8
	s_delay_alu instid0(VALU_DEP_1) | instskip(SKIP_2) | instid1(VALU_DEP_2)
	v_mad_u64_u32 v[8:9], null, s21, v17, v[1:2]
	v_mov_b32_e32 v1, v14
	v_mad_u64_u32 v[14:15], null, s21, v16, v[6:7]
	v_lshlrev_b64 v[0:1], 5, v[0:1]
	s_delay_alu instid0(VALU_DEP_4) | instskip(NEXT) | instid1(VALU_DEP_3)
	v_lshlrev_b64 v[7:8], 3, v[7:8]
	v_mov_b32_e32 v6, v14
	s_delay_alu instid0(VALU_DEP_3) | instskip(NEXT) | instid1(VALU_DEP_1)
	v_add_co_u32 v59, s3, s22, v0
	v_add_co_ci_u32_e64 v60, s3, s4, v1, s3
	v_mov_b32_e32 v1, 0
	s_delay_alu instid0(VALU_DEP_4) | instskip(SKIP_1) | instid1(VALU_DEP_1)
	v_lshlrev_b64 v[4:5], 3, v[5:6]
	v_add_co_u32 v61, s3, s22, v7
	v_add_co_ci_u32_e64 v62, s3, s4, v8, s3
	s_delay_alu instid0(VALU_DEP_4) | instskip(NEXT) | instid1(VALU_DEP_4)
	v_mov_b32_e32 v0, v1
	v_add_co_u32 v63, s3, s22, v4
	s_delay_alu instid0(VALU_DEP_1)
	v_add_co_ci_u32_e64 v64, s3, s4, v5, s3
	v_mov_b32_e32 v5, v1
	v_mov_b32_e32 v4, v1
	;; [unrolled: 1-line block ×6, first 2 shown]
	s_lshl_b64 s[22:23], s[20:21], 9
	s_branch .LBB111_18
.LBB111_14:                             ;   in Loop: Header=BB111_18 Depth=1
	s_or_b32 exec_lo, exec_lo, s43
	s_waitcnt vmcnt(2)
	v_dual_mul_f32 v46, v27, v45 :: v_dual_mul_f32 v47, v17, v43
	v_mul_f32_e32 v45, v26, v45
	s_waitcnt vmcnt(1)
	v_dual_mul_f32 v43, v16, v43 :: v_dual_mul_f32 v48, v15, v41
	s_delay_alu instid0(VALU_DEP_3) | instskip(SKIP_2) | instid1(VALU_DEP_4)
	v_fma_f32 v46, v26, v44, -v46
	v_mul_f32_e32 v41, v14, v41
	v_fma_f32 v47, v16, v42, -v47
	v_fmac_f32_e32 v43, v17, v42
	v_fma_f32 v42, v14, v40, -v48
	v_dual_add_f32 v4, v4, v46 :: v_dual_fmac_f32 v45, v27, v44
	s_waitcnt vmcnt(0)
	v_mul_f32_e32 v44, v19, v39
	v_fmac_f32_e32 v41, v15, v40
	v_mul_f32_e32 v39, v18, v39
	v_dual_add_f32 v4, v4, v47 :: v_dual_add_f32 v5, v5, v45
	s_delay_alu instid0(VALU_DEP_4) | instskip(NEXT) | instid1(VALU_DEP_3)
	v_fma_f32 v40, v18, v38, -v44
	v_fmac_f32_e32 v39, v19, v38
	s_delay_alu instid0(VALU_DEP_3) | instskip(NEXT) | instid1(VALU_DEP_1)
	v_add_f32_e32 v4, v4, v42
	v_dual_add_f32 v4, v4, v40 :: v_dual_add_f32 v5, v5, v43
	s_delay_alu instid0(VALU_DEP_1) | instskip(NEXT) | instid1(VALU_DEP_1)
	v_add_f32_e32 v5, v5, v41
	v_add_f32_e32 v5, v5, v39
.LBB111_15:                             ;   in Loop: Header=BB111_18 Depth=1
	s_or_b32 exec_lo, exec_lo, s42
	s_waitcnt vmcnt(2)
	v_dual_mul_f32 v38, v27, v37 :: v_dual_mul_f32 v39, v17, v35
	v_mul_f32_e32 v37, v26, v37
	s_waitcnt vmcnt(1)
	v_dual_mul_f32 v35, v16, v35 :: v_dual_mul_f32 v40, v15, v33
	s_delay_alu instid0(VALU_DEP_3)
	v_fma_f32 v38, v26, v36, -v38
	v_fma_f32 v39, v16, v34, -v39
	v_fmac_f32_e32 v37, v27, v36
	s_waitcnt vmcnt(0)
	v_dual_mul_f32 v33, v14, v33 :: v_dual_mul_f32 v36, v19, v31
	v_add_f32_e32 v6, v6, v38
	v_fmac_f32_e32 v35, v17, v34
	v_fma_f32 v34, v14, v32, -v40
	v_mul_f32_e32 v31, v18, v31
	s_delay_alu instid0(VALU_DEP_4) | instskip(SKIP_2) | instid1(VALU_DEP_4)
	v_dual_fmac_f32 v33, v15, v32 :: v_dual_add_f32 v6, v6, v39
	v_add_f32_e32 v7, v7, v37
	v_fma_f32 v32, v18, v30, -v36
	v_fmac_f32_e32 v31, v19, v30
	s_delay_alu instid0(VALU_DEP_3) | instskip(NEXT) | instid1(VALU_DEP_1)
	v_dual_add_f32 v6, v6, v34 :: v_dual_add_f32 v7, v7, v35
	v_dual_add_f32 v6, v6, v32 :: v_dual_add_f32 v7, v7, v33
	s_delay_alu instid0(VALU_DEP_1)
	v_add_f32_e32 v7, v7, v31
.LBB111_16:                             ;   in Loop: Header=BB111_18 Depth=1
	s_or_b32 exec_lo, exec_lo, s3
	s_waitcnt vmcnt(3)
	v_mul_f32_e32 v30, v27, v29
	s_waitcnt vmcnt(1)
	v_dual_mul_f32 v29, v26, v29 :: v_dual_mul_f32 v32, v15, v23
	v_mul_f32_e32 v23, v14, v23
	s_delay_alu instid0(VALU_DEP_3)
	v_fma_f32 v26, v26, v28, -v30
	v_mul_f32_e32 v31, v17, v25
	v_mul_f32_e32 v25, v16, v25
	v_fma_f32 v14, v14, v22, -v32
	v_fmac_f32_e32 v23, v15, v22
	v_add_f32_e32 v8, v8, v26
	v_fma_f32 v16, v16, v24, -v31
	v_fmac_f32_e32 v25, v17, v24
	s_waitcnt vmcnt(0)
	s_delay_alu instid0(VALU_DEP_2) | instskip(SKIP_1) | instid1(VALU_DEP_2)
	v_dual_mul_f32 v17, v18, v21 :: v_dual_add_f32 v8, v8, v16
	v_fmac_f32_e32 v29, v27, v28
	v_dual_fmac_f32 v17, v19, v20 :: v_dual_add_f32 v8, v8, v14
	s_delay_alu instid0(VALU_DEP_2) | instskip(SKIP_1) | instid1(VALU_DEP_2)
	v_add_f32_e32 v9, v9, v29
	v_mul_f32_e32 v27, v19, v21
	v_add_f32_e32 v9, v9, v25
	s_delay_alu instid0(VALU_DEP_2) | instskip(NEXT) | instid1(VALU_DEP_2)
	v_fma_f32 v15, v18, v20, -v27
	v_add_f32_e32 v9, v9, v23
	s_delay_alu instid0(VALU_DEP_1)
	v_dual_add_f32 v8, v8, v15 :: v_dual_add_f32 v9, v9, v17
.LBB111_17:                             ;   in Loop: Header=BB111_18 Depth=1
	s_or_b32 exec_lo, exec_lo, s4
	v_add_co_u32 v10, s3, v10, s14
	s_delay_alu instid0(VALU_DEP_1) | instskip(SKIP_1) | instid1(VALU_DEP_1)
	v_add_co_ci_u32_e64 v11, s3, s15, v11, s3
	v_add_co_u32 v3, s3, v3, s22
	v_add_co_ci_u32_e64 v58, s3, s23, v58, s3
	v_add_co_u32 v59, s3, v59, s22
	v_add_nc_u32_e32 v57, 64, v57
	v_add_co_ci_u32_e64 v60, s3, s23, v60, s3
	v_add_co_u32 v61, s3, v61, s22
	s_delay_alu instid0(VALU_DEP_1) | instskip(NEXT) | instid1(VALU_DEP_4)
	v_add_co_ci_u32_e64 v62, s3, s23, v62, s3
	v_cmp_le_i32_e64 s3, s35, v57
	v_add_co_u32 v63, s4, v63, s22
	s_delay_alu instid0(VALU_DEP_1) | instskip(NEXT) | instid1(VALU_DEP_3)
	v_add_co_ci_u32_e64 v64, s4, s23, v64, s4
	s_or_b32 s41, s3, s41
	s_delay_alu instid0(SALU_CYCLE_1)
	s_and_not1_b32 exec_lo, exec_lo, s41
	s_cbranch_execz .LBB111_23
.LBB111_18:                             ; =>This Inner Loop Header: Depth=1
	s_and_saveexec_b32 s4, vcc_lo
	s_cbranch_execz .LBB111_17
; %bb.19:                               ;   in Loop: Header=BB111_18 Depth=1
	v_add_co_u32 v14, s3, v10, s30
	s_delay_alu instid0(VALU_DEP_1) | instskip(NEXT) | instid1(VALU_DEP_2)
	v_add_co_ci_u32_e64 v15, s3, s31, v11, s3
	v_add_co_u32 v18, s3, v14, s30
	s_delay_alu instid0(VALU_DEP_1) | instskip(SKIP_4) | instid1(VALU_DEP_1)
	v_add_co_ci_u32_e64 v19, s3, s31, v15, s3
	s_clause 0x1
	global_load_b64 v[16:17], v[14:15], off
	global_load_b64 v[14:15], v[18:19], off
	v_add_co_u32 v18, s3, v18, s30
	v_add_co_ci_u32_e64 v19, s3, s31, v19, s3
	v_add_co_u32 v52, s3, v59, v12
	s_delay_alu instid0(VALU_DEP_1) | instskip(SKIP_1) | instid1(VALU_DEP_1)
	v_add_co_ci_u32_e64 v53, s3, v60, v13, s3
	v_add_co_u32 v50, s3, v63, v12
	v_add_co_ci_u32_e64 v51, s3, v64, v13, s3
	v_add_co_u32 v48, s3, v61, v12
	s_delay_alu instid0(VALU_DEP_1) | instskip(SKIP_1) | instid1(VALU_DEP_1)
	v_add_co_ci_u32_e64 v49, s3, v62, v13, s3
	v_add_co_u32 v46, s3, v3, v12
	v_add_co_ci_u32_e64 v47, s3, v58, v13, s3
	s_clause 0x1
	global_load_b64 v[26:27], v[10:11], off
	global_load_b64 v[18:19], v[18:19], off
	global_load_b64 v[28:29], v[52:53], off
	global_load_b64 v[24:25], v[50:51], off
	global_load_b64 v[22:23], v[48:49], off
	global_load_b64 v[20:21], v[46:47], off
	s_and_saveexec_b32 s3, s0
	s_cbranch_execz .LBB111_16
; %bb.20:                               ;   in Loop: Header=BB111_18 Depth=1
	global_load_b64 v[36:37], v[52:53], off offset:256
	global_load_b64 v[34:35], v[50:51], off offset:256
	global_load_b64 v[32:33], v[48:49], off offset:256
	global_load_b64 v[30:31], v[46:47], off offset:256
	s_and_saveexec_b32 s42, s1
	s_cbranch_execz .LBB111_15
; %bb.21:                               ;   in Loop: Header=BB111_18 Depth=1
	global_load_b64 v[44:45], v[52:53], off offset:512
	global_load_b64 v[42:43], v[50:51], off offset:512
	global_load_b64 v[40:41], v[48:49], off offset:512
	global_load_b64 v[38:39], v[46:47], off offset:512
	s_and_saveexec_b32 s43, s2
	s_cbranch_execz .LBB111_14
; %bb.22:                               ;   in Loop: Header=BB111_18 Depth=1
	global_load_b64 v[52:53], v[52:53], off offset:768
	global_load_b64 v[50:51], v[50:51], off offset:768
	global_load_b64 v[48:49], v[48:49], off offset:768
	global_load_b64 v[46:47], v[46:47], off offset:768
	s_waitcnt vmcnt(2)
	v_dual_mul_f32 v65, v27, v53 :: v_dual_mul_f32 v66, v17, v51
	v_mul_f32_e32 v53, v26, v53
	v_mul_f32_e32 v51, v16, v51
	s_delay_alu instid0(VALU_DEP_3) | instskip(NEXT) | instid1(VALU_DEP_4)
	v_fma_f32 v65, v26, v52, -v65
	v_fma_f32 v66, v16, v50, -v66
	s_delay_alu instid0(VALU_DEP_4)
	v_fmac_f32_e32 v53, v27, v52
	s_waitcnt vmcnt(0)
	v_dual_mul_f32 v52, v19, v47 :: v_dual_fmac_f32 v51, v17, v50
	v_add_f32_e32 v0, v0, v65
	v_mul_f32_e32 v67, v15, v49
	v_add_f32_e32 v1, v1, v53
	s_delay_alu instid0(VALU_DEP_3) | instskip(NEXT) | instid1(VALU_DEP_3)
	v_dual_mul_f32 v47, v18, v47 :: v_dual_add_f32 v0, v0, v66
	v_fma_f32 v50, v14, v48, -v67
	v_mul_f32_e32 v49, v14, v49
	s_delay_alu instid0(VALU_DEP_3) | instskip(NEXT) | instid1(VALU_DEP_2)
	v_fmac_f32_e32 v47, v19, v46
	v_dual_add_f32 v0, v0, v50 :: v_dual_fmac_f32 v49, v15, v48
	v_fma_f32 v48, v18, v46, -v52
	s_delay_alu instid0(VALU_DEP_1) | instskip(NEXT) | instid1(VALU_DEP_1)
	v_dual_add_f32 v0, v0, v48 :: v_dual_add_f32 v1, v1, v51
	v_add_f32_e32 v1, v1, v49
	s_delay_alu instid0(VALU_DEP_1)
	v_add_f32_e32 v1, v1, v47
	s_branch .LBB111_14
.LBB111_23:
	s_or_b32 exec_lo, exec_lo, s41
.LBB111_24:
	s_delay_alu instid0(SALU_CYCLE_1) | instskip(SKIP_1) | instid1(SALU_CYCLE_1)
	s_or_b32 exec_lo, exec_lo, s40
	s_sub_i32 s0, s37, s35
	s_cmp_lt_i32 s0, 1
	s_cbranch_scc1 .LBB111_42
; %bb.25:
	v_cmp_gt_i32_e32 vcc_lo, s37, v57
	v_dual_mov_b32 v10, 0 :: v_dual_mov_b32 v11, 0
	v_or_b32_e32 v18, 1, v57
	v_dual_mov_b32 v12, 0 :: v_dual_mov_b32 v13, 0
	v_dual_mov_b32 v14, 0 :: v_dual_mov_b32 v15, 0
	;; [unrolled: 1-line block ×3, first 2 shown]
	s_and_saveexec_b32 s1, vcc_lo
	s_cbranch_execz .LBB111_33
; %bb.26:
	v_mad_u64_u32 v[10:11], null, v57, s28, 0
	s_lshl_b64 s[2:3], s[10:11], 3
	v_dual_mov_b32 v17, 0 :: v_dual_mov_b32 v14, 0
	s_add_u32 s0, s24, s2
	s_addc_u32 s2, s25, s3
	s_lshl_b64 s[10:11], s[26:27], 3
	s_delay_alu instid0(VALU_DEP_2) | instskip(SKIP_3) | instid1(VALU_DEP_2)
	v_dual_mov_b32 v3, v11 :: v_dual_mov_b32 v16, 0
	s_add_u32 s3, s0, s10
	s_addc_u32 s4, s2, s11
	v_mov_b32_e32 v15, 0
	v_mad_u64_u32 v[11:12], null, v57, s29, v[3:4]
	v_dual_mov_b32 v12, 0 :: v_dual_mov_b32 v13, 0
	s_mov_b32 s2, exec_lo
	s_delay_alu instid0(VALU_DEP_2) | instskip(NEXT) | instid1(VALU_DEP_1)
	v_lshlrev_b64 v[10:11], 3, v[10:11]
	v_add_co_u32 v10, s0, s3, v10
	s_delay_alu instid0(VALU_DEP_1)
	v_add_co_ci_u32_e64 v11, s0, s4, v11, s0
	global_load_b64 v[10:11], v[10:11], off
	v_cmpx_gt_i32_e64 s37, v18
	s_cbranch_execz .LBB111_32
; %bb.27:
	v_mad_u64_u32 v[12:13], null, v18, s28, 0
	v_mov_b32_e32 v17, 0
	v_mov_b32_e32 v15, 0
	s_mov_b32 s10, exec_lo
	s_delay_alu instid0(VALU_DEP_3) | instskip(NEXT) | instid1(VALU_DEP_1)
	v_dual_mov_b32 v16, 0 :: v_dual_mov_b32 v3, v13
	v_mad_u64_u32 v[13:14], null, v18, s29, v[3:4]
	v_or_b32_e32 v3, 2, v57
	v_mov_b32_e32 v14, 0
	s_delay_alu instid0(VALU_DEP_3) | instskip(NEXT) | instid1(VALU_DEP_1)
	v_lshlrev_b64 v[12:13], 3, v[12:13]
	v_add_co_u32 v12, s0, s3, v12
	s_delay_alu instid0(VALU_DEP_1)
	v_add_co_ci_u32_e64 v13, s0, s4, v13, s0
	global_load_b64 v[12:13], v[12:13], off
	v_cmpx_gt_i32_e64 s37, v3
	s_cbranch_execz .LBB111_31
; %bb.28:
	v_mad_u64_u32 v[14:15], null, v3, s28, 0
	s_mov_b32 s11, exec_lo
	s_delay_alu instid0(VALU_DEP_1) | instskip(SKIP_2) | instid1(VALU_DEP_3)
	v_mad_u64_u32 v[16:17], null, v3, s29, v[15:16]
	v_or_b32_e32 v3, 3, v57
	v_mov_b32_e32 v17, 0
	v_dual_mov_b32 v15, v16 :: v_dual_mov_b32 v16, 0
	s_delay_alu instid0(VALU_DEP_1) | instskip(NEXT) | instid1(VALU_DEP_1)
	v_lshlrev_b64 v[14:15], 3, v[14:15]
	v_add_co_u32 v14, s0, s3, v14
	s_delay_alu instid0(VALU_DEP_1)
	v_add_co_ci_u32_e64 v15, s0, s4, v15, s0
	global_load_b64 v[14:15], v[14:15], off
	v_cmpx_gt_i32_e64 s37, v3
	s_cbranch_execz .LBB111_30
; %bb.29:
	v_mad_u64_u32 v[16:17], null, v3, s28, 0
	s_delay_alu instid0(VALU_DEP_1) | instskip(NEXT) | instid1(VALU_DEP_1)
	v_mad_u64_u32 v[19:20], null, v3, s29, v[17:18]
	v_mov_b32_e32 v17, v19
	s_delay_alu instid0(VALU_DEP_1) | instskip(NEXT) | instid1(VALU_DEP_1)
	v_lshlrev_b64 v[16:17], 3, v[16:17]
	v_add_co_u32 v16, s0, s3, v16
	s_delay_alu instid0(VALU_DEP_1)
	v_add_co_ci_u32_e64 v17, s0, s4, v17, s0
	global_load_b64 v[16:17], v[16:17], off
.LBB111_30:
	s_or_b32 exec_lo, exec_lo, s11
.LBB111_31:
	s_delay_alu instid0(SALU_CYCLE_1)
	s_or_b32 exec_lo, exec_lo, s10
.LBB111_32:
	s_delay_alu instid0(SALU_CYCLE_1)
	s_or_b32 exec_lo, exec_lo, s2
.LBB111_33:
	s_delay_alu instid0(SALU_CYCLE_1) | instskip(NEXT) | instid1(SALU_CYCLE_1)
	s_or_b32 exec_lo, exec_lo, s1
	s_mov_b32 s1, exec_lo
	v_cmpx_gt_i32_e64 s36, v2
	s_cbranch_execz .LBB111_41
; %bb.34:
	v_mad_u64_u32 v[19:20], null, v57, s20, 0
	v_mad_u64_u32 v[21:22], null, v18, s20, 0
	v_ashrrev_i32_e32 v3, 31, v2
	v_or_b32_e32 v31, 2, v57
	v_or_b32_e32 v32, 3, v57
	s_lshl_b64 s[2:3], s[6:7], 3
	s_delay_alu instid0(VALU_DEP_3)
	v_lshlrev_b64 v[26:27], 3, v[2:3]
	v_mad_u64_u32 v[23:24], null, v57, s21, v[20:21]
	v_mad_u64_u32 v[24:25], null, v31, s20, 0
	s_add_u32 s0, s16, s2
	s_addc_u32 s4, s17, s3
	v_mov_b32_e32 v3, v22
	s_lshl_b64 s[2:3], s[18:19], 3
	s_delay_alu instid0(VALU_DEP_3) | instskip(SKIP_1) | instid1(VALU_DEP_3)
	v_cndmask_b32_e32 v20, 0, v23, vcc_lo
	v_mad_u64_u32 v[22:23], null, v32, s20, 0
	v_mad_u64_u32 v[28:29], null, v18, s21, v[3:4]
	v_cndmask_b32_e32 v19, 0, v19, vcc_lo
	v_cmp_gt_i32_e32 vcc_lo, s37, v18
	s_add_u32 s2, s0, s2
	s_addc_u32 s3, s4, s3
	v_mov_b32_e32 v3, v25
	s_delay_alu instid0(VALU_DEP_4) | instskip(SKIP_1) | instid1(VALU_DEP_1)
	v_dual_cndmask_b32 v29, 0, v21 :: v_dual_cndmask_b32 v30, 0, v28
	v_lshlrev_b64 v[19:20], 3, v[19:20]
	v_add_co_u32 v18, s0, s2, v19
	s_delay_alu instid0(VALU_DEP_1) | instskip(NEXT) | instid1(VALU_DEP_4)
	v_add_co_ci_u32_e64 v19, s0, s3, v20, s0
	v_lshlrev_b64 v[20:21], 3, v[29:30]
	s_delay_alu instid0(VALU_DEP_3)
	v_add_co_u32 v18, vcc_lo, v18, v26
	v_mad_u64_u32 v[28:29], null, v31, s21, v[3:4]
	v_mov_b32_e32 v3, v23
	v_add_co_ci_u32_e32 v19, vcc_lo, v19, v27, vcc_lo
	v_cmp_gt_i32_e32 vcc_lo, s37, v31
	v_add_co_u32 v20, s0, s2, v20
	s_delay_alu instid0(VALU_DEP_4)
	v_mad_u64_u32 v[29:30], null, v32, s21, v[3:4]
	v_add_co_ci_u32_e64 v21, s0, s3, v21, s0
	v_cndmask_b32_e32 v23, 0, v24, vcc_lo
	v_cndmask_b32_e32 v24, 0, v28, vcc_lo
	v_cmp_gt_i32_e32 vcc_lo, s37, v32
	v_add_co_u32 v20, s0, v20, v26
	s_delay_alu instid0(VALU_DEP_1)
	v_add_co_ci_u32_e64 v21, s0, v21, v27, s0
	v_dual_cndmask_b32 v28, 0, v22 :: v_dual_cndmask_b32 v29, 0, v29
	v_lshlrev_b64 v[22:23], 3, v[23:24]
	s_clause 0x1
	global_load_b64 v[30:31], v[18:19], off
	global_load_b64 v[32:33], v[20:21], off
	s_mov_b32 s0, exec_lo
	v_lshlrev_b64 v[24:25], 3, v[28:29]
	v_add_co_u32 v3, vcc_lo, s2, v22
	v_add_co_ci_u32_e32 v22, vcc_lo, s3, v23, vcc_lo
	s_delay_alu instid0(VALU_DEP_3) | instskip(NEXT) | instid1(VALU_DEP_4)
	v_add_co_u32 v23, vcc_lo, s2, v24
	v_add_co_ci_u32_e32 v28, vcc_lo, s3, v25, vcc_lo
	s_delay_alu instid0(VALU_DEP_4) | instskip(NEXT) | instid1(VALU_DEP_4)
	v_add_co_u32 v24, vcc_lo, v3, v26
	v_add_co_ci_u32_e32 v25, vcc_lo, v22, v27, vcc_lo
	s_delay_alu instid0(VALU_DEP_4) | instskip(NEXT) | instid1(VALU_DEP_4)
	v_add_co_u32 v22, vcc_lo, v23, v26
	v_add_co_ci_u32_e32 v23, vcc_lo, v28, v27, vcc_lo
	s_clause 0x1
	global_load_b64 v[26:27], v[24:25], off
	global_load_b64 v[28:29], v[22:23], off
	s_waitcnt vmcnt(2)
	v_dual_mul_f32 v3, v11, v31 :: v_dual_mul_f32 v34, v13, v33
	v_mul_f32_e32 v33, v12, v33
	s_delay_alu instid0(VALU_DEP_2) | instskip(NEXT) | instid1(VALU_DEP_1)
	v_fma_f32 v3, v10, v30, -v3
	v_dual_fmac_f32 v33, v13, v32 :: v_dual_add_f32 v8, v8, v3
	v_mul_f32_e32 v31, v10, v31
	s_delay_alu instid0(VALU_DEP_1) | instskip(SKIP_1) | instid1(VALU_DEP_2)
	v_fmac_f32_e32 v31, v11, v30
	v_fma_f32 v30, v12, v32, -v34
	v_add_f32_e32 v9, v9, v31
	s_waitcnt vmcnt(1)
	v_dual_mul_f32 v32, v15, v27 :: v_dual_add_nc_u32 v31, 32, v2
	s_waitcnt vmcnt(0)
	v_dual_mul_f32 v27, v14, v27 :: v_dual_mul_f32 v34, v17, v29
	v_mul_f32_e32 v3, v16, v29
	s_delay_alu instid0(VALU_DEP_3) | instskip(NEXT) | instid1(VALU_DEP_3)
	v_fma_f32 v29, v14, v26, -v32
	v_fmac_f32_e32 v27, v15, v26
	v_add_f32_e32 v26, v8, v30
	v_add_f32_e32 v30, v9, v33
	v_fma_f32 v8, v16, v28, -v34
	v_fmac_f32_e32 v3, v17, v28
	s_delay_alu instid0(VALU_DEP_4) | instskip(NEXT) | instid1(VALU_DEP_4)
	v_add_f32_e32 v9, v26, v29
	v_add_f32_e32 v26, v30, v27
	v_cmpx_gt_i32_e64 s36, v31
	s_cbranch_execz .LBB111_40
; %bb.35:
	s_clause 0x3
	global_load_b64 v[27:28], v[18:19], off offset:256
	global_load_b64 v[29:30], v[20:21], off offset:256
	global_load_b64 v[31:32], v[24:25], off offset:256
	global_load_b64 v[33:34], v[22:23], off offset:256
	s_mov_b32 s2, exec_lo
	s_waitcnt vmcnt(2)
	v_dual_mul_f32 v35, v11, v28 :: v_dual_mul_f32 v36, v13, v30
	v_mul_f32_e32 v28, v10, v28
	s_waitcnt vmcnt(1)
	v_dual_mul_f32 v30, v12, v30 :: v_dual_mul_f32 v37, v15, v32
	s_delay_alu instid0(VALU_DEP_3) | instskip(SKIP_2) | instid1(VALU_DEP_4)
	v_fma_f32 v35, v10, v27, -v35
	v_fma_f32 v36, v12, v29, -v36
	v_mul_f32_e32 v32, v14, v32
	v_fmac_f32_e32 v30, v13, v29
	v_fma_f32 v29, v14, v31, -v37
	v_add_f32_e32 v6, v6, v35
	s_waitcnt vmcnt(0)
	v_dual_fmac_f32 v28, v11, v27 :: v_dual_mul_f32 v27, v17, v34
	s_delay_alu instid0(VALU_DEP_1) | instskip(NEXT) | instid1(VALU_DEP_1)
	v_dual_add_f32 v28, v7, v28 :: v_dual_mul_f32 v7, v16, v34
	v_dual_fmac_f32 v32, v15, v31 :: v_dual_fmac_f32 v7, v17, v33
	s_delay_alu instid0(VALU_DEP_2) | instskip(SKIP_2) | instid1(VALU_DEP_3)
	v_dual_add_f32 v31, v6, v36 :: v_dual_add_f32 v28, v28, v30
	v_add_nc_u32_e32 v30, 64, v2
	v_fma_f32 v6, v16, v33, -v27
	v_dual_add_f32 v27, v31, v29 :: v_dual_add_f32 v28, v28, v32
	s_delay_alu instid0(VALU_DEP_3)
	v_cmpx_gt_i32_e64 s36, v30
	s_cbranch_execz .LBB111_39
; %bb.36:
	s_clause 0x3
	global_load_b64 v[29:30], v[18:19], off offset:512
	global_load_b64 v[31:32], v[20:21], off offset:512
	;; [unrolled: 1-line block ×4, first 2 shown]
	s_mov_b32 s3, exec_lo
	s_waitcnt vmcnt(2)
	v_dual_mul_f32 v37, v11, v30 :: v_dual_mul_f32 v38, v13, v32
	v_mul_f32_e32 v30, v10, v30
	s_waitcnt vmcnt(1)
	v_dual_mul_f32 v32, v12, v32 :: v_dual_mul_f32 v39, v15, v34
	v_mul_f32_e32 v34, v14, v34
	v_fma_f32 v37, v10, v29, -v37
	v_fmac_f32_e32 v30, v11, v29
	v_fma_f32 v38, v12, v31, -v38
	s_waitcnt vmcnt(0)
	s_delay_alu instid0(VALU_DEP_3) | instskip(NEXT) | instid1(VALU_DEP_3)
	v_dual_mul_f32 v29, v17, v36 :: v_dual_add_f32 v4, v4, v37
	v_dual_add_f32 v30, v5, v30 :: v_dual_mul_f32 v5, v16, v36
	v_fmac_f32_e32 v34, v15, v33
	v_fmac_f32_e32 v32, v13, v31
	v_fma_f32 v31, v14, v33, -v39
	s_delay_alu instid0(VALU_DEP_4) | instskip(NEXT) | instid1(VALU_DEP_3)
	v_dual_add_f32 v4, v4, v38 :: v_dual_fmac_f32 v5, v17, v35
	v_add_f32_e32 v30, v30, v32
	v_add_nc_u32_e32 v32, 0x60, v2
	v_fma_f32 v2, v16, v35, -v29
	s_delay_alu instid0(VALU_DEP_3) | instskip(NEXT) | instid1(VALU_DEP_3)
	v_dual_add_f32 v4, v4, v31 :: v_dual_add_f32 v29, v30, v34
	v_cmpx_gt_i32_e64 s36, v32
	s_cbranch_execz .LBB111_38
; %bb.37:
	s_clause 0x3
	global_load_b64 v[18:19], v[18:19], off offset:768
	global_load_b64 v[20:21], v[20:21], off offset:768
	global_load_b64 v[24:25], v[24:25], off offset:768
	global_load_b64 v[22:23], v[22:23], off offset:768
	s_waitcnt vmcnt(2)
	v_dual_mul_f32 v30, v11, v19 :: v_dual_mul_f32 v31, v13, v21
	s_waitcnt vmcnt(1)
	v_dual_mul_f32 v19, v10, v19 :: v_dual_mul_f32 v32, v15, v25
	s_delay_alu instid0(VALU_DEP_2) | instskip(SKIP_1) | instid1(VALU_DEP_3)
	v_fma_f32 v10, v10, v18, -v30
	v_mul_f32_e32 v25, v14, v25
	v_fmac_f32_e32 v19, v11, v18
	s_delay_alu instid0(VALU_DEP_3)
	v_add_f32_e32 v0, v0, v10
	s_waitcnt vmcnt(0)
	v_mul_f32_e32 v10, v16, v23
	v_mul_f32_e32 v21, v12, v21
	v_fma_f32 v12, v12, v20, -v31
	v_mul_f32_e32 v11, v17, v23
	v_add_f32_e32 v1, v1, v19
	v_fmac_f32_e32 v10, v17, v22
	s_delay_alu instid0(VALU_DEP_4) | instskip(SKIP_3) | instid1(VALU_DEP_2)
	v_add_f32_e32 v0, v0, v12
	v_fmac_f32_e32 v21, v13, v20
	v_fma_f32 v13, v14, v24, -v32
	v_fma_f32 v11, v16, v22, -v11
	v_dual_add_f32 v0, v0, v13 :: v_dual_fmac_f32 v25, v15, v24
	s_delay_alu instid0(VALU_DEP_1) | instskip(NEXT) | instid1(VALU_DEP_1)
	v_dual_add_f32 v1, v1, v21 :: v_dual_add_f32 v0, v0, v11
	v_add_f32_e32 v1, v1, v25
	s_delay_alu instid0(VALU_DEP_1)
	v_add_f32_e32 v1, v1, v10
.LBB111_38:
	s_or_b32 exec_lo, exec_lo, s3
	s_delay_alu instid0(VALU_DEP_2)
	v_dual_add_f32 v4, v4, v2 :: v_dual_add_f32 v5, v29, v5
.LBB111_39:
	s_or_b32 exec_lo, exec_lo, s2
	s_delay_alu instid0(VALU_DEP_2)
	v_dual_add_f32 v6, v27, v6 :: v_dual_add_f32 v7, v28, v7
.LBB111_40:
	s_or_b32 exec_lo, exec_lo, s0
	s_delay_alu instid0(VALU_DEP_2)
	v_dual_add_f32 v8, v9, v8 :: v_dual_add_f32 v9, v26, v3
.LBB111_41:
	s_or_b32 exec_lo, exec_lo, s1
.LBB111_42:
	v_lshlrev_b32_e32 v2, 7, v56
	s_mov_b32 s0, exec_lo
	s_delay_alu instid0(VALU_DEP_1)
	v_add_lshl_u32 v2, v2, v55, 3
	ds_store_2addr_b64 v2, v[8:9], v[6:7] offset1:32
	ds_store_2addr_b64 v2, v[4:5], v[0:1] offset0:64 offset1:96
	s_waitcnt vmcnt(0) lgkmcnt(0)
	s_waitcnt_vscnt null, 0x0
	s_barrier
	buffer_gl0_inv
	v_cmpx_gt_u32_e32 0x80, v54
	s_cbranch_execz .LBB111_47
; %bb.43:
	v_lshlrev_b32_e32 v12, 3, v54
	ds_load_2addr_stride64_b64 v[0:3], v12 offset1:2
	ds_load_2addr_stride64_b64 v[4:7], v12 offset0:4 offset1:6
	ds_load_2addr_stride64_b64 v[8:11], v12 offset0:8 offset1:10
	s_waitcnt lgkmcnt(2)
	v_dual_add_f32 v13, v0, v2 :: v_dual_add_f32 v14, v1, v3
	s_waitcnt lgkmcnt(1)
	s_delay_alu instid0(VALU_DEP_1) | instskip(SKIP_3) | instid1(VALU_DEP_1)
	v_add_f32_e32 v5, v14, v5
	ds_load_2addr_stride64_b64 v[0:3], v12 offset0:12 offset1:14
	v_add_f32_e32 v14, v5, v7
	s_waitcnt lgkmcnt(1)
	v_dual_add_f32 v4, v13, v4 :: v_dual_add_f32 v9, v14, v9
	s_delay_alu instid0(VALU_DEP_1) | instskip(SKIP_3) | instid1(VALU_DEP_1)
	v_add_f32_e32 v13, v4, v6
	ds_load_2addr_stride64_b64 v[4:7], v12 offset0:16 offset1:18
	v_add_f32_e32 v14, v9, v11
	s_waitcnt lgkmcnt(1)
	v_dual_add_f32 v8, v13, v8 :: v_dual_add_f32 v1, v14, v1
	;; [unrolled: 6-line block ×4, first 2 shown]
	s_delay_alu instid0(VALU_DEP_1) | instskip(SKIP_4) | instid1(VALU_DEP_1)
	v_add_f32_e32 v13, v4, v6
	ds_load_2addr_stride64_b64 v[4:7], v12 offset0:28 offset1:30
	v_add_f32_e32 v9, v9, v11
	v_add_f32_e32 v8, v13, v8
	s_waitcnt lgkmcnt(1)
	v_dual_add_f32 v8, v8, v10 :: v_dual_add_f32 v1, v9, v1
	s_delay_alu instid0(VALU_DEP_1) | instskip(SKIP_1) | instid1(VALU_DEP_1)
	v_dual_add_f32 v0, v8, v0 :: v_dual_add_f32 v1, v1, v3
	s_waitcnt lgkmcnt(0)
	v_dual_add_f32 v0, v0, v2 :: v_dual_add_f32 v1, v1, v5
	s_delay_alu instid0(VALU_DEP_1) | instskip(SKIP_1) | instid1(VALU_DEP_2)
	v_add_f32_e32 v2, v0, v4
	v_or_b32_e32 v0, s34, v54
	v_dual_add_f32 v3, v1, v7 :: v_dual_add_f32 v2, v2, v6
	s_delay_alu instid0(VALU_DEP_2)
	v_cmp_gt_i32_e32 vcc_lo, s36, v0
	ds_store_b64 v12, v[2:3]
	s_and_b32 exec_lo, exec_lo, vcc_lo
	s_cbranch_execz .LBB111_47
; %bb.44:
	v_ashrrev_i32_e32 v1, 31, v0
	v_mul_lo_u32 v6, v0, s9
	v_mad_u64_u32 v[4:5], null, v0, s8, 0
	v_cmp_neq_f32_e64 s0, s12, 0
	s_delay_alu instid0(VALU_DEP_4) | instskip(SKIP_1) | instid1(VALU_DEP_1)
	v_mul_lo_u32 v1, v1, s8
	v_cmp_neq_f32_e64 s1, s13, 0
	s_or_b32 s0, s0, s1
	s_delay_alu instid0(SALU_CYCLE_1) | instskip(NEXT) | instid1(VALU_DEP_2)
	s_and_not1_b32 vcc_lo, exec_lo, s0
	v_add3_u32 v5, v5, v6, v1
	v_mul_f32_e32 v1, s38, v3
	v_mul_f32_e32 v0, s39, v3
	s_delay_alu instid0(VALU_DEP_3) | instskip(NEXT) | instid1(VALU_DEP_3)
	v_lshlrev_b64 v[3:4], 3, v[4:5]
	v_fmac_f32_e32 v1, s39, v2
	s_delay_alu instid0(VALU_DEP_3)
	v_fma_f32 v0, v2, s38, -v0
	s_cbranch_vccnz .LBB111_46
; %bb.45:
	s_delay_alu instid0(VALU_DEP_3) | instskip(NEXT) | instid1(VALU_DEP_4)
	v_add_co_u32 v5, vcc_lo, s5, v3
	v_add_co_ci_u32_e32 v6, vcc_lo, s33, v4, vcc_lo
	global_load_b64 v[5:6], v[5:6], off
	s_waitcnt vmcnt(0)
	v_mul_f32_e32 v2, s13, v6
	v_mul_f32_e32 v6, s12, v6
	s_delay_alu instid0(VALU_DEP_2) | instskip(NEXT) | instid1(VALU_DEP_2)
	v_fma_f32 v2, s12, v5, -v2
	v_fmac_f32_e32 v6, s13, v5
	s_delay_alu instid0(VALU_DEP_2) | instskip(NEXT) | instid1(VALU_DEP_2)
	v_add_f32_e32 v0, v0, v2
	v_add_f32_e32 v1, v1, v6
.LBB111_46:
	s_delay_alu instid0(VALU_DEP_3) | instskip(NEXT) | instid1(VALU_DEP_4)
	v_add_co_u32 v2, vcc_lo, s5, v3
	v_add_co_ci_u32_e32 v3, vcc_lo, s33, v4, vcc_lo
	global_store_b64 v[2:3], v[0:1], off
.LBB111_47:
	s_nop 0
	s_sendmsg sendmsg(MSG_DEALLOC_VGPRS)
	s_endpgm
	.section	.rodata,"a",@progbits
	.p2align	6, 0x0
	.amdhsa_kernel _ZL20rocblas_gemvn_kernelILi32ELi16El19rocblas_complex_numIfES1_S1_EviiT3_lPKT2_lT1_lS5_lS6_lS2_lPT4_lS6_li
		.amdhsa_group_segment_fixed_size 16384
		.amdhsa_private_segment_fixed_size 0
		.amdhsa_kernarg_size 400
		.amdhsa_user_sgpr_count 14
		.amdhsa_user_sgpr_dispatch_ptr 0
		.amdhsa_user_sgpr_queue_ptr 0
		.amdhsa_user_sgpr_kernarg_segment_ptr 1
		.amdhsa_user_sgpr_dispatch_id 0
		.amdhsa_user_sgpr_private_segment_size 0
		.amdhsa_wavefront_size32 1
		.amdhsa_uses_dynamic_stack 0
		.amdhsa_enable_private_segment 0
		.amdhsa_system_sgpr_workgroup_id_x 1
		.amdhsa_system_sgpr_workgroup_id_y 0
		.amdhsa_system_sgpr_workgroup_id_z 1
		.amdhsa_system_sgpr_workgroup_info 0
		.amdhsa_system_vgpr_workitem_id 1
		.amdhsa_next_free_vgpr 68
		.amdhsa_next_free_sgpr 44
		.amdhsa_reserve_vcc 1
		.amdhsa_float_round_mode_32 0
		.amdhsa_float_round_mode_16_64 0
		.amdhsa_float_denorm_mode_32 3
		.amdhsa_float_denorm_mode_16_64 3
		.amdhsa_dx10_clamp 1
		.amdhsa_ieee_mode 1
		.amdhsa_fp16_overflow 0
		.amdhsa_workgroup_processor_mode 1
		.amdhsa_memory_ordered 1
		.amdhsa_forward_progress 0
		.amdhsa_shared_vgpr_count 0
		.amdhsa_exception_fp_ieee_invalid_op 0
		.amdhsa_exception_fp_denorm_src 0
		.amdhsa_exception_fp_ieee_div_zero 0
		.amdhsa_exception_fp_ieee_overflow 0
		.amdhsa_exception_fp_ieee_underflow 0
		.amdhsa_exception_fp_ieee_inexact 0
		.amdhsa_exception_int_div_zero 0
	.end_amdhsa_kernel
	.section	.text._ZL20rocblas_gemvn_kernelILi32ELi16El19rocblas_complex_numIfES1_S1_EviiT3_lPKT2_lT1_lS5_lS6_lS2_lPT4_lS6_li,"axG",@progbits,_ZL20rocblas_gemvn_kernelILi32ELi16El19rocblas_complex_numIfES1_S1_EviiT3_lPKT2_lT1_lS5_lS6_lS2_lPT4_lS6_li,comdat
.Lfunc_end111:
	.size	_ZL20rocblas_gemvn_kernelILi32ELi16El19rocblas_complex_numIfES1_S1_EviiT3_lPKT2_lT1_lS5_lS6_lS2_lPT4_lS6_li, .Lfunc_end111-_ZL20rocblas_gemvn_kernelILi32ELi16El19rocblas_complex_numIfES1_S1_EviiT3_lPKT2_lT1_lS5_lS6_lS2_lPT4_lS6_li
                                        ; -- End function
	.section	.AMDGPU.csdata,"",@progbits
; Kernel info:
; codeLenInByte = 4276
; NumSgprs: 46
; NumVgprs: 68
; ScratchSize: 0
; MemoryBound: 0
; FloatMode: 240
; IeeeMode: 1
; LDSByteSize: 16384 bytes/workgroup (compile time only)
; SGPRBlocks: 5
; VGPRBlocks: 8
; NumSGPRsForWavesPerEU: 46
; NumVGPRsForWavesPerEU: 68
; Occupancy: 16
; WaveLimiterHint : 1
; COMPUTE_PGM_RSRC2:SCRATCH_EN: 0
; COMPUTE_PGM_RSRC2:USER_SGPR: 14
; COMPUTE_PGM_RSRC2:TRAP_HANDLER: 0
; COMPUTE_PGM_RSRC2:TGID_X_EN: 1
; COMPUTE_PGM_RSRC2:TGID_Y_EN: 0
; COMPUTE_PGM_RSRC2:TGID_Z_EN: 1
; COMPUTE_PGM_RSRC2:TIDIG_COMP_CNT: 1
	.section	.text._ZL20rocblas_gemvn_kernelILi64ELi16Ei19rocblas_complex_numIfEPKS1_S1_EviiT3_lPKT2_lT1_lS7_lS8_lS4_lPT4_lS8_li,"axG",@progbits,_ZL20rocblas_gemvn_kernelILi64ELi16Ei19rocblas_complex_numIfEPKS1_S1_EviiT3_lPKT2_lT1_lS7_lS8_lS4_lPT4_lS8_li,comdat
	.globl	_ZL20rocblas_gemvn_kernelILi64ELi16Ei19rocblas_complex_numIfEPKS1_S1_EviiT3_lPKT2_lT1_lS7_lS8_lS4_lPT4_lS8_li ; -- Begin function _ZL20rocblas_gemvn_kernelILi64ELi16Ei19rocblas_complex_numIfEPKS1_S1_EviiT3_lPKT2_lT1_lS7_lS8_lS4_lPT4_lS8_li
	.p2align	8
	.type	_ZL20rocblas_gemvn_kernelILi64ELi16Ei19rocblas_complex_numIfEPKS1_S1_EviiT3_lPKT2_lT1_lS7_lS8_lS4_lPT4_lS8_li,@function
_ZL20rocblas_gemvn_kernelILi64ELi16Ei19rocblas_complex_numIfEPKS1_S1_EviiT3_lPKT2_lT1_lS7_lS8_lS4_lPT4_lS8_li: ; @_ZL20rocblas_gemvn_kernelILi64ELi16Ei19rocblas_complex_numIfEPKS1_S1_EviiT3_lPKT2_lT1_lS7_lS8_lS4_lPT4_lS8_li
; %bb.0:
	s_load_b64 s[2:3], s[0:1], 0x9c
	s_waitcnt lgkmcnt(0)
	s_lshr_b32 s4, s2, 16
	s_and_b32 s2, s2, 0xffff
	s_and_b32 s3, s3, 0xffff
	s_mul_i32 s2, s4, s2
	s_delay_alu instid0(SALU_CYCLE_1) | instskip(NEXT) | instid1(SALU_CYCLE_1)
	s_mul_i32 s2, s2, s3
	s_cmpk_lg_i32 s2, 0x400
	s_cbranch_scc1 .LBB112_47
; %bb.1:
	s_clause 0x1
	s_load_b256 s[4:11], s[0:1], 0x8
	s_load_b256 s[16:23], s[0:1], 0x50
	s_waitcnt lgkmcnt(0)
	s_mul_i32 s3, s15, s7
	s_mul_hi_u32 s7, s15, s6
	s_mul_i32 s2, s15, s6
	s_add_i32 s3, s7, s3
	s_delay_alu instid0(SALU_CYCLE_1) | instskip(NEXT) | instid1(SALU_CYCLE_1)
	s_lshl_b64 s[2:3], s[2:3], 3
	s_add_u32 s2, s4, s2
	s_addc_u32 s3, s5, s3
	s_mul_hi_u32 s4, s15, s20
	s_load_b64 s[24:25], s[2:3], 0x0
	s_mul_i32 s3, s15, s21
	s_mul_i32 s2, s15, s20
	s_add_i32 s3, s4, s3
	s_delay_alu instid0(SALU_CYCLE_1) | instskip(NEXT) | instid1(SALU_CYCLE_1)
	s_lshl_b64 s[2:3], s[2:3], 3
	s_add_u32 s2, s18, s2
	s_addc_u32 s3, s19, s3
	s_load_b64 s[12:13], s[2:3], 0x0
	s_waitcnt lgkmcnt(0)
	v_cmp_neq_f32_e64 s2, s24, 0
	v_cmp_neq_f32_e64 s3, s25, 0
	s_delay_alu instid0(VALU_DEP_1) | instskip(NEXT) | instid1(SALU_CYCLE_1)
	s_or_b32 s2, s2, s3
	s_and_b32 vcc_lo, exec_lo, s2
	s_mov_b32 s2, -1
	s_cbranch_vccnz .LBB112_3
; %bb.2:
	v_cmp_neq_f32_e64 s2, s12, 1.0
	v_cmp_neq_f32_e64 s3, s13, 0
	s_delay_alu instid0(VALU_DEP_1)
	s_or_b32 s2, s2, s3
.LBB112_3:
	s_delay_alu instid0(SALU_CYCLE_1)
	s_and_not1_b32 vcc_lo, exec_lo, s2
	s_cbranch_vccnz .LBB112_47
; %bb.4:
	s_clause 0x3
	s_load_b64 s[2:3], s[0:1], 0x80
	s_load_b64 s[4:5], s[0:1], 0x70
	s_load_b32 s26, s[0:1], 0x78
	s_load_b64 s[18:19], s[0:1], 0x0
	v_and_b32_e32 v1, 0x3ff, v0
	v_bfe_u32 v53, v0, 10, 10
	s_delay_alu instid0(VALU_DEP_1) | instskip(NEXT) | instid1(VALU_DEP_1)
	v_lshl_add_u32 v0, v53, 6, v1
	v_cmp_gt_u32_e32 vcc_lo, 0x100, v0
	s_waitcnt lgkmcnt(0)
	s_mul_i32 s3, s15, s3
	s_mul_hi_u32 s6, s15, s2
	s_mul_i32 s2, s15, s2
	s_add_i32 s3, s6, s3
	s_delay_alu instid0(SALU_CYCLE_1) | instskip(NEXT) | instid1(SALU_CYCLE_1)
	s_lshl_b64 s[2:3], s[2:3], 3
	s_add_u32 s6, s22, s2
	s_addc_u32 s7, s23, s3
	s_lshl_b64 s[2:3], s[4:5], 3
	s_delay_alu instid0(SALU_CYCLE_1) | instskip(SKIP_2) | instid1(SALU_CYCLE_1)
	s_add_u32 s21, s6, s2
	s_addc_u32 s22, s7, s3
	s_or_b32 s2, s24, s25
	s_bitset0_b32 s2, 31
	s_delay_alu instid0(SALU_CYCLE_1)
	s_cmp_lg_u32 s2, 0
	s_mov_b32 s2, -1
	s_cbranch_scc1 .LBB112_11
; %bb.5:
	s_and_saveexec_b32 s2, vcc_lo
	s_cbranch_execz .LBB112_10
; %bb.6:
	v_lshl_or_b32 v2, s14, 8, v0
	v_mov_b32_e32 v3, 0
	s_ashr_i32 s5, s18, 31
	s_mov_b32 s4, s18
	s_delay_alu instid0(VALU_DEP_1) | instid1(SALU_CYCLE_1)
	v_cmp_gt_i64_e32 vcc_lo, s[4:5], v[2:3]
	s_and_b32 exec_lo, exec_lo, vcc_lo
	s_cbranch_execz .LBB112_10
; %bb.7:
	v_mad_u64_u32 v[4:5], null, s26, v2, 0
	s_ashr_i32 s5, s26, 31
	v_cmp_neq_f32_e64 s3, s12, 0
	v_cmp_neq_f32_e64 s4, s13, 0
	s_delay_alu instid0(VALU_DEP_3) | instskip(NEXT) | instid1(VALU_DEP_2)
	v_mad_u64_u32 v[6:7], null, s5, v2, v[5:6]
	s_or_b32 s3, s3, s4
	s_delay_alu instid0(SALU_CYCLE_1) | instskip(NEXT) | instid1(VALU_DEP_1)
	s_and_not1_b32 vcc_lo, exec_lo, s3
	v_dual_mov_b32 v5, v6 :: v_dual_mov_b32 v6, v3
	s_delay_alu instid0(VALU_DEP_1)
	v_lshlrev_b64 v[4:5], 3, v[4:5]
	s_cbranch_vccnz .LBB112_9
; %bb.8:
	s_delay_alu instid0(VALU_DEP_1) | instskip(NEXT) | instid1(VALU_DEP_2)
	v_add_co_u32 v2, vcc_lo, s21, v4
	v_add_co_ci_u32_e32 v3, vcc_lo, s22, v5, vcc_lo
	global_load_b64 v[2:3], v[2:3], off
	s_waitcnt vmcnt(0)
	v_mul_f32_e32 v6, s12, v3
	s_delay_alu instid0(VALU_DEP_1) | instskip(NEXT) | instid1(VALU_DEP_1)
	v_dual_mul_f32 v7, s13, v3 :: v_dual_fmac_f32 v6, s13, v2
	v_fma_f32 v3, s12, v2, -v7
.LBB112_9:
	s_delay_alu instid0(VALU_DEP_1) | instskip(NEXT) | instid1(VALU_DEP_2)
	v_add_co_u32 v7, vcc_lo, s21, v4
	v_add_co_ci_u32_e32 v8, vcc_lo, s22, v5, vcc_lo
	s_delay_alu instid0(VALU_DEP_3)
	v_mov_b32_e32 v5, v3
	global_store_b64 v[7:8], v[5:6], off
.LBB112_10:
	s_or_b32 exec_lo, exec_lo, s2
	s_mov_b32 s2, 0
.LBB112_11:
	s_delay_alu instid0(SALU_CYCLE_1)
	s_and_not1_b32 vcc_lo, exec_lo, s2
	s_cbranch_vccnz .LBB112_47
; %bb.12:
	s_clause 0x3
	s_load_b128 s[4:7], s[0:1], 0x30
	s_load_b32 s23, s[0:1], 0x28
	s_load_b64 s[2:3], s[0:1], 0x40
	s_load_b32 s20, s[0:1], 0x48
	s_mul_i32 s1, s15, s17
	s_mul_hi_u32 s17, s15, s16
	s_mul_i32 s0, s15, s16
	v_dual_mov_b32 v2, 0 :: v_dual_lshlrev_b32 v55, 2, v53
	v_dual_mov_b32 v3, 0 :: v_dual_mov_b32 v4, 0
	v_dual_mov_b32 v5, 0 :: v_dual_mov_b32 v6, 0
	;; [unrolled: 1-line block ×3, first 2 shown]
	s_waitcnt lgkmcnt(0)
	s_mul_i32 s5, s15, s5
	s_mul_hi_u32 s16, s15, s4
	s_mul_i32 s4, s15, s4
	s_add_i32 s5, s16, s5
	s_delay_alu instid0(SALU_CYCLE_1) | instskip(NEXT) | instid1(SALU_CYCLE_1)
	s_lshl_b64 s[4:5], s[4:5], 3
	s_add_u32 s4, s8, s4
	s_addc_u32 s15, s9, s5
	s_lshl_b64 s[8:9], s[10:11], 3
	s_mov_b32 s10, exec_lo
	s_add_u32 s5, s4, s8
	s_addc_u32 s8, s15, s9
	s_add_i32 s1, s17, s1
	s_delay_alu instid0(SALU_CYCLE_1) | instskip(NEXT) | instid1(SALU_CYCLE_1)
	s_lshl_b64 s[0:1], s[0:1], 3
	s_add_u32 s4, s6, s0
	s_addc_u32 s7, s7, s1
	s_lshl_b64 s[0:1], s[2:3], 3
	s_delay_alu instid0(SALU_CYCLE_1)
	s_add_u32 s6, s4, s0
	s_addc_u32 s7, s7, s1
	s_ashr_i32 s0, s19, 31
	s_lshl_b32 s4, s14, 8
	s_lshr_b32 s0, s0, 26
	v_dual_mov_b32 v7, 0 :: v_dual_add_nc_u32 v54, s4, v1
	s_add_i32 s9, s19, s0
	s_delay_alu instid0(SALU_CYCLE_1) | instskip(NEXT) | instid1(SALU_CYCLE_1)
	s_and_not1_b32 s9, s9, 63
	v_cmpx_gt_i32_e64 s9, v55
	s_cbranch_execz .LBB112_24
; %bb.13:
	v_mul_lo_u32 v3, s23, v55
	v_add_nc_u32_e32 v2, 64, v54
	v_cmp_gt_i32_e32 vcc_lo, s18, v54
	s_lshl_b32 s11, s23, 6
	s_lshl_b32 s15, s20, 6
	s_mov_b32 s14, 0
	s_mov_b32 s16, 0
	s_delay_alu instid0(VALU_DEP_3) | instskip(SKIP_1) | instid1(VALU_DEP_1)
	v_add3_u32 v56, v3, s23, v1
	v_mul_lo_u32 v3, v53, s23
	v_lshl_add_u32 v57, v3, 2, v1
	v_mov_b32_e32 v3, 0
	v_add_nc_u32_e32 v5, 0xc0, v54
	v_add_nc_u32_e32 v4, 0x80, v54
	v_cmp_gt_i32_e64 s0, s18, v2
	s_delay_alu instid0(VALU_DEP_4) | instskip(NEXT) | instid1(VALU_DEP_4)
	v_dual_mov_b32 v7, v3 :: v_dual_add_nc_u32 v2, 2, v55
	v_cmp_gt_i32_e64 s2, s18, v5
	v_mul_lo_u32 v5, v53, s20
	v_mov_b32_e32 v6, v3
	s_delay_alu instid0(VALU_DEP_4)
	v_mad_u64_u32 v[10:11], null, s23, v2, v[1:2]
	v_mov_b32_e32 v9, v3
	v_mul_lo_u32 v58, s20, v2
	v_mov_b32_e32 v8, v3
	v_dual_mov_b32 v5, v3 :: v_dual_lshlrev_b32 v60, 2, v5
	v_cmp_gt_i32_e64 s1, s18, v4
	v_add_nc_u32_e32 v4, 3, v55
	s_delay_alu instid0(VALU_DEP_1)
	v_mad_u64_u32 v[11:12], null, s23, v4, v[1:2]
	v_mad_u64_u32 v[12:13], null, s20, v55, s[20:21]
	v_mul_lo_u32 v59, s20, v4
	v_mov_b32_e32 v2, v3
	v_mov_b32_e32 v4, v3
	s_branch .LBB112_18
.LBB112_14:                             ;   in Loop: Header=BB112_18 Depth=1
	s_or_b32 exec_lo, exec_lo, s28
	s_waitcnt vmcnt(3)
	v_mul_f32_e32 v45, v26, v44
	v_mul_f32_e32 v44, v25, v44
	s_waitcnt vmcnt(1)
	v_dual_mul_f32 v46, v22, v42 :: v_dual_mul_f32 v47, v16, v40
	v_mul_f32_e32 v42, v21, v42
	v_fma_f32 v45, v25, v43, -v45
	v_fmac_f32_e32 v44, v26, v43
	s_waitcnt vmcnt(0)
	v_mul_f32_e32 v43, v14, v38
	v_mul_f32_e32 v38, v13, v38
	v_fma_f32 v46, v21, v41, -v46
	v_dual_add_f32 v4, v4, v45 :: v_dual_add_f32 v5, v5, v44
	s_delay_alu instid0(VALU_DEP_3) | instskip(SKIP_4) | instid1(VALU_DEP_3)
	v_fmac_f32_e32 v38, v14, v37
	v_fmac_f32_e32 v42, v22, v41
	v_mul_f32_e32 v40, v15, v40
	v_fma_f32 v41, v15, v39, -v47
	v_add_f32_e32 v4, v4, v46
	v_dual_add_f32 v5, v5, v42 :: v_dual_fmac_f32 v40, v16, v39
	v_fma_f32 v39, v13, v37, -v43
	s_delay_alu instid0(VALU_DEP_2) | instskip(NEXT) | instid1(VALU_DEP_1)
	v_dual_add_f32 v4, v4, v41 :: v_dual_add_f32 v5, v5, v40
	v_dual_add_f32 v4, v4, v39 :: v_dual_add_f32 v5, v5, v38
.LBB112_15:                             ;   in Loop: Header=BB112_18 Depth=1
	s_or_b32 exec_lo, exec_lo, s27
	s_waitcnt vmcnt(3)
	v_mul_f32_e32 v37, v26, v36
	v_mul_f32_e32 v36, v25, v36
	s_waitcnt vmcnt(1)
	v_dual_mul_f32 v38, v22, v34 :: v_dual_mul_f32 v39, v16, v32
	v_mul_f32_e32 v34, v21, v34
	v_mul_f32_e32 v32, v15, v32
	v_fma_f32 v37, v25, v35, -v37
	s_delay_alu instid0(VALU_DEP_4) | instskip(NEXT) | instid1(VALU_DEP_3)
	v_fma_f32 v38, v21, v33, -v38
	v_fmac_f32_e32 v32, v16, v31
	v_fmac_f32_e32 v34, v22, v33
	;; [unrolled: 1-line block ×3, first 2 shown]
	v_add_f32_e32 v6, v6, v37
	s_waitcnt vmcnt(0)
	v_mul_f32_e32 v35, v14, v30
	v_mul_f32_e32 v30, v13, v30
	v_fma_f32 v33, v15, v31, -v39
	v_dual_add_f32 v7, v7, v36 :: v_dual_add_f32 v6, v6, v38
	s_delay_alu instid0(VALU_DEP_4) | instskip(NEXT) | instid1(VALU_DEP_2)
	v_fma_f32 v31, v13, v29, -v35
	v_dual_fmac_f32 v30, v14, v29 :: v_dual_add_f32 v7, v7, v34
	s_delay_alu instid0(VALU_DEP_1) | instskip(NEXT) | instid1(VALU_DEP_1)
	v_dual_add_f32 v6, v6, v33 :: v_dual_add_f32 v7, v7, v32
	v_dual_add_f32 v6, v6, v31 :: v_dual_add_f32 v7, v7, v30
.LBB112_16:                             ;   in Loop: Header=BB112_18 Depth=1
	s_or_b32 exec_lo, exec_lo, s3
	s_waitcnt vmcnt(3)
	v_mul_f32_e32 v29, v26, v28
	v_mul_f32_e32 v28, v25, v28
	s_waitcnt vmcnt(1)
	v_mul_f32_e32 v31, v16, v20
	v_mul_f32_e32 v20, v15, v20
	v_fma_f32 v25, v25, v27, -v29
	v_fmac_f32_e32 v28, v26, v27
	s_waitcnt vmcnt(0)
	v_mul_f32_e32 v26, v14, v18
	v_mul_f32_e32 v18, v13, v18
	v_fma_f32 v15, v15, v19, -v31
	v_dual_add_f32 v8, v8, v25 :: v_dual_add_f32 v9, v9, v28
	v_fmac_f32_e32 v20, v16, v19
	s_delay_alu instid0(VALU_DEP_4) | instskip(SKIP_3) | instid1(VALU_DEP_2)
	v_fmac_f32_e32 v18, v14, v17
	v_mul_f32_e32 v30, v22, v24
	v_mul_f32_e32 v24, v21, v24
	v_fma_f32 v13, v13, v17, -v26
	v_fmac_f32_e32 v24, v22, v23
	s_delay_alu instid0(VALU_DEP_1) | instskip(NEXT) | instid1(VALU_DEP_1)
	v_add_f32_e32 v9, v9, v24
	v_add_f32_e32 v9, v9, v20
	s_delay_alu instid0(VALU_DEP_1) | instskip(SKIP_1) | instid1(VALU_DEP_1)
	v_add_f32_e32 v9, v9, v18
	v_fma_f32 v21, v21, v23, -v30
	v_add_f32_e32 v8, v8, v21
	s_delay_alu instid0(VALU_DEP_1) | instskip(NEXT) | instid1(VALU_DEP_1)
	v_add_f32_e32 v8, v8, v15
	v_add_f32_e32 v8, v8, v13
.LBB112_17:                             ;   in Loop: Header=BB112_18 Depth=1
	s_or_b32 exec_lo, exec_lo, s17
	v_add_nc_u32_e32 v55, 64, v55
	v_add_nc_u32_e32 v56, s11, v56
	;; [unrolled: 1-line block ×5, first 2 shown]
	v_cmp_le_i32_e64 s3, s9, v55
	s_add_i32 s16, s16, s15
	s_delay_alu instid0(VALU_DEP_1) | instskip(NEXT) | instid1(SALU_CYCLE_1)
	s_or_b32 s14, s3, s14
	s_and_not1_b32 exec_lo, exec_lo, s14
	s_cbranch_execz .LBB112_23
.LBB112_18:                             ; =>This Inner Loop Header: Depth=1
	s_and_saveexec_b32 s17, vcc_lo
	s_cbranch_execz .LBB112_17
; %bb.19:                               ;   in Loop: Header=BB112_18 Depth=1
	v_add_nc_u32_e32 v13, s16, v60
	v_add_nc_u32_e32 v15, s16, v12
	;; [unrolled: 1-line block ×5, first 2 shown]
	v_ashrrev_i32_e32 v14, 31, v13
	v_ashrrev_i32_e32 v16, 31, v15
	;; [unrolled: 1-line block ×4, first 2 shown]
	v_add_nc_u32_e32 v23, s4, v56
	v_lshlrev_b64 v[13:14], 3, v[13:14]
	v_lshlrev_b64 v[15:16], 3, v[15:16]
	;; [unrolled: 1-line block ×3, first 2 shown]
	v_ashrrev_i32_e32 v22, 31, v21
	v_lshlrev_b64 v[19:20], 3, v[19:20]
	v_ashrrev_i32_e32 v24, 31, v23
	v_add_co_u32 v13, s3, s6, v13
	s_delay_alu instid0(VALU_DEP_1)
	v_add_co_ci_u32_e64 v14, s3, s7, v14, s3
	v_add_co_u32 v15, s3, s6, v15
	v_add_nc_u32_e32 v25, s4, v10
	v_add_co_ci_u32_e64 v16, s3, s7, v16, s3
	v_add_co_u32 v17, s3, s6, v17
	v_lshlrev_b64 v[21:22], 3, v[21:22]
	v_add_nc_u32_e32 v27, s4, v11
	v_add_co_ci_u32_e64 v18, s3, s7, v18, s3
	v_add_co_u32 v19, s3, s6, v19
	v_lshlrev_b64 v[23:24], 3, v[23:24]
	v_ashrrev_i32_e32 v26, 31, v25
	v_add_co_ci_u32_e64 v20, s3, s7, v20, s3
	v_add_co_u32 v51, s3, s5, v21
	v_ashrrev_i32_e32 v28, 31, v27
	v_add_co_ci_u32_e64 v52, s3, s8, v22, s3
	v_lshlrev_b64 v[21:22], 3, v[25:26]
	v_add_co_u32 v49, s3, s5, v23
	s_delay_alu instid0(VALU_DEP_1) | instskip(SKIP_1) | instid1(VALU_DEP_4)
	v_add_co_ci_u32_e64 v50, s3, s8, v24, s3
	v_lshlrev_b64 v[23:24], 3, v[27:28]
	v_add_co_u32 v47, s3, s5, v21
	s_delay_alu instid0(VALU_DEP_1) | instskip(NEXT) | instid1(VALU_DEP_3)
	v_add_co_ci_u32_e64 v48, s3, s8, v22, s3
	v_add_co_u32 v45, s3, s5, v23
	s_delay_alu instid0(VALU_DEP_1)
	v_add_co_ci_u32_e64 v46, s3, s8, v24, s3
	s_clause 0x3
	global_load_b64 v[25:26], v[13:14], off
	global_load_b64 v[21:22], v[15:16], off
	;; [unrolled: 1-line block ×4, first 2 shown]
	s_clause 0x3
	global_load_b64 v[27:28], v[51:52], off
	global_load_b64 v[23:24], v[49:50], off
	;; [unrolled: 1-line block ×4, first 2 shown]
	s_and_saveexec_b32 s3, s0
	s_cbranch_execz .LBB112_16
; %bb.20:                               ;   in Loop: Header=BB112_18 Depth=1
	s_clause 0x3
	global_load_b64 v[35:36], v[51:52], off offset:512
	global_load_b64 v[33:34], v[49:50], off offset:512
	global_load_b64 v[31:32], v[47:48], off offset:512
	global_load_b64 v[29:30], v[45:46], off offset:512
	s_and_saveexec_b32 s27, s1
	s_cbranch_execz .LBB112_15
; %bb.21:                               ;   in Loop: Header=BB112_18 Depth=1
	s_clause 0x3
	global_load_b64 v[43:44], v[51:52], off offset:1024
	global_load_b64 v[41:42], v[49:50], off offset:1024
	global_load_b64 v[39:40], v[47:48], off offset:1024
	global_load_b64 v[37:38], v[45:46], off offset:1024
	;; [unrolled: 8-line block ×3, first 2 shown]
	s_waitcnt vmcnt(3)
	v_mul_f32_e32 v61, v26, v52
	v_mul_f32_e32 v52, v25, v52
	s_waitcnt vmcnt(1)
	v_dual_mul_f32 v62, v22, v50 :: v_dual_mul_f32 v63, v16, v48
	v_mul_f32_e32 v50, v21, v50
	v_mul_f32_e32 v48, v15, v48
	v_fma_f32 v61, v25, v51, -v61
	s_delay_alu instid0(VALU_DEP_4) | instskip(NEXT) | instid1(VALU_DEP_4)
	v_fma_f32 v62, v21, v49, -v62
	v_fmac_f32_e32 v50, v22, v49
	v_fmac_f32_e32 v52, v26, v51
	s_waitcnt vmcnt(0)
	v_mul_f32_e32 v51, v14, v46
	v_mul_f32_e32 v46, v13, v46
	v_fma_f32 v49, v15, v47, -v63
	s_delay_alu instid0(VALU_DEP_2) | instskip(SKIP_2) | instid1(VALU_DEP_3)
	v_dual_add_f32 v3, v3, v52 :: v_dual_fmac_f32 v46, v14, v45
	v_fmac_f32_e32 v48, v16, v47
	v_fma_f32 v47, v13, v45, -v51
	v_dual_add_f32 v3, v3, v50 :: v_dual_add_f32 v2, v2, v61
	s_delay_alu instid0(VALU_DEP_1) | instskip(NEXT) | instid1(VALU_DEP_1)
	v_dual_add_f32 v3, v3, v48 :: v_dual_add_f32 v2, v2, v62
	v_dual_add_f32 v3, v3, v46 :: v_dual_add_f32 v2, v2, v49
	s_delay_alu instid0(VALU_DEP_1)
	v_add_f32_e32 v2, v2, v47
	s_branch .LBB112_14
.LBB112_23:
	s_or_b32 exec_lo, exec_lo, s14
.LBB112_24:
	s_delay_alu instid0(SALU_CYCLE_1) | instskip(SKIP_1) | instid1(SALU_CYCLE_1)
	s_or_b32 exec_lo, exec_lo, s10
	s_sub_i32 s0, s19, s9
	s_cmp_lt_i32 s0, 1
	s_cbranch_scc1 .LBB112_42
; %bb.25:
	v_cmp_gt_i32_e32 vcc_lo, s19, v55
	v_dual_mov_b32 v10, 0 :: v_dual_mov_b32 v11, 0
	v_or_b32_e32 v18, 1, v55
	v_dual_mov_b32 v12, 0 :: v_dual_mov_b32 v13, 0
	v_dual_mov_b32 v14, 0 :: v_dual_mov_b32 v15, 0
	;; [unrolled: 1-line block ×3, first 2 shown]
	s_and_saveexec_b32 s1, vcc_lo
	s_cbranch_execz .LBB112_33
; %bb.26:
	v_mul_lo_u32 v10, v55, s20
	v_dual_mov_b32 v17, 0 :: v_dual_mov_b32 v16, 0
	v_dual_mov_b32 v15, 0 :: v_dual_mov_b32 v14, 0
	;; [unrolled: 1-line block ×3, first 2 shown]
	s_mov_b32 s2, exec_lo
	s_delay_alu instid0(VALU_DEP_4) | instskip(NEXT) | instid1(VALU_DEP_1)
	v_ashrrev_i32_e32 v11, 31, v10
	v_lshlrev_b64 v[10:11], 3, v[10:11]
	s_delay_alu instid0(VALU_DEP_1) | instskip(NEXT) | instid1(VALU_DEP_1)
	v_add_co_u32 v10, s0, s6, v10
	v_add_co_ci_u32_e64 v11, s0, s7, v11, s0
	global_load_b64 v[10:11], v[10:11], off
	v_cmpx_gt_i32_e64 s19, v18
	s_cbranch_execz .LBB112_32
; %bb.27:
	v_mul_lo_u32 v12, v18, s20
	v_or_b32_e32 v19, 2, v55
	v_dual_mov_b32 v17, 0 :: v_dual_mov_b32 v16, 0
	v_dual_mov_b32 v15, 0 :: v_dual_mov_b32 v14, 0
	s_mov_b32 s3, exec_lo
	s_delay_alu instid0(VALU_DEP_4) | instskip(NEXT) | instid1(VALU_DEP_1)
	v_ashrrev_i32_e32 v13, 31, v12
	v_lshlrev_b64 v[12:13], 3, v[12:13]
	s_delay_alu instid0(VALU_DEP_1) | instskip(NEXT) | instid1(VALU_DEP_1)
	v_add_co_u32 v12, s0, s6, v12
	v_add_co_ci_u32_e64 v13, s0, s7, v13, s0
	global_load_b64 v[12:13], v[12:13], off
	v_cmpx_gt_i32_e64 s19, v19
	s_cbranch_execz .LBB112_31
; %bb.28:
	v_mul_lo_u32 v14, v19, s20
	v_or_b32_e32 v19, 3, v55
	v_dual_mov_b32 v17, 0 :: v_dual_mov_b32 v16, 0
	s_mov_b32 s9, exec_lo
	s_delay_alu instid0(VALU_DEP_3) | instskip(NEXT) | instid1(VALU_DEP_1)
	v_ashrrev_i32_e32 v15, 31, v14
	v_lshlrev_b64 v[14:15], 3, v[14:15]
	s_delay_alu instid0(VALU_DEP_1) | instskip(NEXT) | instid1(VALU_DEP_1)
	v_add_co_u32 v14, s0, s6, v14
	v_add_co_ci_u32_e64 v15, s0, s7, v15, s0
	global_load_b64 v[14:15], v[14:15], off
	v_cmpx_gt_i32_e64 s19, v19
	s_cbranch_execz .LBB112_30
; %bb.29:
	v_mul_lo_u32 v16, v19, s20
	s_delay_alu instid0(VALU_DEP_1) | instskip(NEXT) | instid1(VALU_DEP_1)
	v_ashrrev_i32_e32 v17, 31, v16
	v_lshlrev_b64 v[16:17], 3, v[16:17]
	s_delay_alu instid0(VALU_DEP_1) | instskip(NEXT) | instid1(VALU_DEP_1)
	v_add_co_u32 v16, s0, s6, v16
	v_add_co_ci_u32_e64 v17, s0, s7, v17, s0
	global_load_b64 v[16:17], v[16:17], off
.LBB112_30:
	s_or_b32 exec_lo, exec_lo, s9
.LBB112_31:
	s_delay_alu instid0(SALU_CYCLE_1)
	s_or_b32 exec_lo, exec_lo, s3
.LBB112_32:
	s_delay_alu instid0(SALU_CYCLE_1)
	s_or_b32 exec_lo, exec_lo, s2
.LBB112_33:
	s_delay_alu instid0(SALU_CYCLE_1) | instskip(NEXT) | instid1(SALU_CYCLE_1)
	s_or_b32 exec_lo, exec_lo, s1
	s_mov_b32 s1, exec_lo
	v_cmpx_gt_i32_e64 s18, v54
	s_cbranch_execz .LBB112_41
; %bb.34:
	v_mul_lo_u32 v19, v55, s23
	v_mul_lo_u32 v20, v18, s23
	v_or_b32_e32 v21, 2, v55
	v_or_b32_e32 v22, 3, v55
	s_mov_b32 s0, exec_lo
	s_delay_alu instid0(VALU_DEP_2)
	v_mul_lo_u32 v23, v21, s23
	v_cndmask_b32_e32 v19, 0, v19, vcc_lo
	v_cmp_gt_i32_e32 vcc_lo, s19, v18
	v_mul_lo_u32 v24, v22, s23
	v_cndmask_b32_e32 v20, 0, v20, vcc_lo
	v_cmp_gt_i32_e32 vcc_lo, s19, v21
	v_add_nc_u32_e32 v18, v19, v54
	s_delay_alu instid0(VALU_DEP_3) | instskip(NEXT) | instid1(VALU_DEP_2)
	v_dual_cndmask_b32 v23, 0, v23 :: v_dual_add_nc_u32 v20, v20, v54
	v_ashrrev_i32_e32 v19, 31, v18
	v_cmp_gt_i32_e32 vcc_lo, s19, v22
	s_delay_alu instid0(VALU_DEP_3) | instskip(NEXT) | instid1(VALU_DEP_3)
	v_ashrrev_i32_e32 v21, 31, v20
	v_lshlrev_b64 v[18:19], 3, v[18:19]
	v_cndmask_b32_e32 v24, 0, v24, vcc_lo
	s_delay_alu instid0(VALU_DEP_3) | instskip(NEXT) | instid1(VALU_DEP_2)
	v_lshlrev_b64 v[20:21], 3, v[20:21]
	v_add_nc_u32_e32 v26, v24, v54
	s_delay_alu instid0(VALU_DEP_4) | instskip(SKIP_1) | instid1(VALU_DEP_4)
	v_add_co_u32 v24, vcc_lo, s5, v18
	v_add_co_ci_u32_e32 v25, vcc_lo, s8, v19, vcc_lo
	v_add_co_u32 v20, vcc_lo, s5, v20
	v_add_co_ci_u32_e32 v21, vcc_lo, s8, v21, vcc_lo
	s_clause 0x1
	global_load_b64 v[28:29], v[24:25], off
	global_load_b64 v[30:31], v[20:21], off
	s_waitcnt vmcnt(0)
	v_dual_mul_f32 v35, v13, v31 :: v_dual_add_nc_u32 v22, v23, v54
	v_dual_mul_f32 v31, v12, v31 :: v_dual_mul_f32 v34, v11, v29
	v_mul_f32_e32 v29, v10, v29
	s_delay_alu instid0(VALU_DEP_3) | instskip(NEXT) | instid1(VALU_DEP_3)
	v_ashrrev_i32_e32 v23, 31, v22
	v_fmac_f32_e32 v31, v13, v30
	s_delay_alu instid0(VALU_DEP_4) | instskip(NEXT) | instid1(VALU_DEP_4)
	v_fma_f32 v34, v10, v28, -v34
	v_fmac_f32_e32 v29, v11, v28
	v_ashrrev_i32_e32 v27, 31, v26
	v_lshlrev_b64 v[18:19], 3, v[22:23]
	v_fma_f32 v28, v12, v30, -v35
	s_delay_alu instid0(VALU_DEP_4) | instskip(NEXT) | instid1(VALU_DEP_4)
	v_dual_add_f32 v8, v8, v34 :: v_dual_add_f32 v29, v9, v29
	v_lshlrev_b64 v[26:27], 3, v[26:27]
	s_delay_alu instid0(VALU_DEP_4) | instskip(SKIP_1) | instid1(VALU_DEP_3)
	v_add_co_u32 v22, vcc_lo, s5, v18
	v_add_co_ci_u32_e32 v23, vcc_lo, s8, v19, vcc_lo
	v_add_co_u32 v18, vcc_lo, s5, v26
	s_delay_alu instid0(VALU_DEP_4)
	v_add_co_ci_u32_e32 v19, vcc_lo, s8, v27, vcc_lo
	s_clause 0x1
	global_load_b64 v[26:27], v[22:23], off
	global_load_b64 v[32:33], v[18:19], off
	s_waitcnt vmcnt(0)
	v_dual_mul_f32 v30, v15, v27 :: v_dual_mul_f32 v35, v17, v33
	v_mul_f32_e32 v27, v14, v27
	v_mul_f32_e32 v9, v16, v33
	s_delay_alu instid0(VALU_DEP_3) | instskip(NEXT) | instid1(VALU_DEP_3)
	v_fma_f32 v30, v14, v26, -v30
	v_dual_fmac_f32 v27, v15, v26 :: v_dual_add_f32 v26, v8, v28
	v_dual_add_f32 v28, v29, v31 :: v_dual_add_nc_u32 v29, 64, v54
	v_fma_f32 v8, v16, v32, -v35
	s_delay_alu instid0(VALU_DEP_3) | instskip(NEXT) | instid1(VALU_DEP_3)
	v_dual_fmac_f32 v9, v17, v32 :: v_dual_add_f32 v26, v26, v30
	v_add_f32_e32 v27, v28, v27
	s_delay_alu instid0(VALU_DEP_4)
	v_cmpx_gt_i32_e64 s18, v29
	s_cbranch_execz .LBB112_40
; %bb.35:
	s_clause 0x3
	global_load_b64 v[28:29], v[24:25], off offset:512
	global_load_b64 v[30:31], v[20:21], off offset:512
	;; [unrolled: 1-line block ×4, first 2 shown]
	s_mov_b32 s2, exec_lo
	s_waitcnt vmcnt(2)
	v_dual_mul_f32 v36, v11, v29 :: v_dual_mul_f32 v37, v13, v31
	v_mul_f32_e32 v29, v10, v29
	s_waitcnt vmcnt(1)
	v_dual_mul_f32 v31, v12, v31 :: v_dual_mul_f32 v38, v15, v33
	s_delay_alu instid0(VALU_DEP_3) | instskip(SKIP_1) | instid1(VALU_DEP_3)
	v_fma_f32 v36, v10, v28, -v36
	v_fma_f32 v37, v12, v30, -v37
	v_fmac_f32_e32 v31, v13, v30
	s_delay_alu instid0(VALU_DEP_4) | instskip(NEXT) | instid1(VALU_DEP_4)
	v_fma_f32 v30, v14, v32, -v38
	v_add_f32_e32 v6, v6, v36
	v_mul_f32_e32 v33, v14, v33
	s_waitcnt vmcnt(0)
	v_dual_fmac_f32 v29, v11, v28 :: v_dual_mul_f32 v28, v17, v35
	s_delay_alu instid0(VALU_DEP_2) | instskip(NEXT) | instid1(VALU_DEP_2)
	v_dual_fmac_f32 v33, v15, v32 :: v_dual_add_f32 v32, v6, v37
	v_add_f32_e32 v29, v7, v29
	v_mul_f32_e32 v7, v16, v35
	s_delay_alu instid0(VALU_DEP_4) | instskip(NEXT) | instid1(VALU_DEP_3)
	v_fma_f32 v6, v16, v34, -v28
	v_dual_add_f32 v28, v32, v30 :: v_dual_add_f32 v29, v29, v31
	v_add_nc_u32_e32 v31, 0x80, v54
	s_delay_alu instid0(VALU_DEP_4) | instskip(NEXT) | instid1(VALU_DEP_3)
	v_fmac_f32_e32 v7, v17, v34
	v_add_f32_e32 v29, v29, v33
	s_delay_alu instid0(VALU_DEP_3)
	v_cmpx_gt_i32_e64 s18, v31
	s_cbranch_execz .LBB112_39
; %bb.36:
	s_clause 0x3
	global_load_b64 v[30:31], v[24:25], off offset:1024
	global_load_b64 v[32:33], v[20:21], off offset:1024
	;; [unrolled: 1-line block ×4, first 2 shown]
	s_mov_b32 s3, exec_lo
	s_waitcnt vmcnt(2)
	v_dual_mul_f32 v38, v11, v31 :: v_dual_mul_f32 v39, v13, v33
	v_mul_f32_e32 v31, v10, v31
	s_waitcnt vmcnt(1)
	v_dual_mul_f32 v33, v12, v33 :: v_dual_mul_f32 v40, v15, v35
	s_delay_alu instid0(VALU_DEP_3) | instskip(SKIP_2) | instid1(VALU_DEP_4)
	v_fma_f32 v38, v10, v30, -v38
	v_mul_f32_e32 v35, v14, v35
	v_fma_f32 v39, v12, v32, -v39
	v_fmac_f32_e32 v33, v13, v32
	v_fma_f32 v32, v14, v34, -v40
	v_add_f32_e32 v4, v4, v38
	s_waitcnt vmcnt(0)
	v_dual_fmac_f32 v31, v11, v30 :: v_dual_mul_f32 v30, v17, v37
	s_delay_alu instid0(VALU_DEP_2) | instskip(NEXT) | instid1(VALU_DEP_2)
	v_dual_fmac_f32 v35, v15, v34 :: v_dual_add_f32 v34, v4, v39
	v_add_f32_e32 v31, v5, v31
	v_mul_f32_e32 v5, v16, v37
	s_delay_alu instid0(VALU_DEP_4) | instskip(NEXT) | instid1(VALU_DEP_3)
	v_fma_f32 v4, v16, v36, -v30
	v_dual_add_f32 v30, v34, v32 :: v_dual_add_f32 v31, v31, v33
	v_add_nc_u32_e32 v33, 0xc0, v54
	s_delay_alu instid0(VALU_DEP_4) | instskip(NEXT) | instid1(VALU_DEP_3)
	v_fmac_f32_e32 v5, v17, v36
	v_add_f32_e32 v31, v31, v35
	s_delay_alu instid0(VALU_DEP_3)
	v_cmpx_gt_i32_e64 s18, v33
	s_cbranch_execz .LBB112_38
; %bb.37:
	s_clause 0x3
	global_load_b64 v[24:25], v[24:25], off offset:1536
	global_load_b64 v[20:21], v[20:21], off offset:1536
	;; [unrolled: 1-line block ×4, first 2 shown]
	s_waitcnt vmcnt(3)
	v_mul_f32_e32 v32, v11, v25
	s_waitcnt vmcnt(1)
	v_dual_mul_f32 v25, v10, v25 :: v_dual_mul_f32 v34, v15, v23
	v_mul_f32_e32 v23, v14, v23
	s_delay_alu instid0(VALU_DEP_3) | instskip(SKIP_1) | instid1(VALU_DEP_4)
	v_fma_f32 v10, v10, v24, -v32
	v_mul_f32_e32 v33, v13, v21
	v_fmac_f32_e32 v25, v11, v24
	s_delay_alu instid0(VALU_DEP_4) | instskip(NEXT) | instid1(VALU_DEP_4)
	v_fmac_f32_e32 v23, v15, v22
	v_add_f32_e32 v2, v2, v10
	s_waitcnt vmcnt(0)
	v_mul_f32_e32 v10, v16, v19
	v_mul_f32_e32 v21, v12, v21
	v_fma_f32 v12, v12, v20, -v33
	s_delay_alu instid0(VALU_DEP_3) | instskip(NEXT) | instid1(VALU_DEP_2)
	v_dual_add_f32 v3, v3, v25 :: v_dual_fmac_f32 v10, v17, v18
	v_add_f32_e32 v2, v2, v12
	s_delay_alu instid0(VALU_DEP_4) | instskip(SKIP_1) | instid1(VALU_DEP_1)
	v_fmac_f32_e32 v21, v13, v20
	v_fma_f32 v13, v14, v22, -v34
	v_dual_mul_f32 v11, v17, v19 :: v_dual_add_f32 v2, v2, v13
	s_delay_alu instid0(VALU_DEP_1) | instskip(NEXT) | instid1(VALU_DEP_1)
	v_fma_f32 v11, v16, v18, -v11
	v_dual_add_f32 v2, v2, v11 :: v_dual_add_f32 v3, v3, v21
	s_delay_alu instid0(VALU_DEP_1) | instskip(NEXT) | instid1(VALU_DEP_1)
	v_add_f32_e32 v3, v3, v23
	v_add_f32_e32 v3, v3, v10
.LBB112_38:
	s_or_b32 exec_lo, exec_lo, s3
	s_delay_alu instid0(VALU_DEP_2)
	v_dual_add_f32 v4, v30, v4 :: v_dual_add_f32 v5, v31, v5
.LBB112_39:
	s_or_b32 exec_lo, exec_lo, s2
	s_delay_alu instid0(VALU_DEP_2)
	v_dual_add_f32 v6, v28, v6 :: v_dual_add_f32 v7, v29, v7
.LBB112_40:
	s_or_b32 exec_lo, exec_lo, s0
	s_delay_alu instid0(VALU_DEP_2)
	v_dual_add_f32 v8, v26, v8 :: v_dual_add_f32 v9, v27, v9
.LBB112_41:
	s_or_b32 exec_lo, exec_lo, s1
.LBB112_42:
	s_waitcnt vmcnt(0)
	v_lshlrev_b32_e32 v10, 8, v53
	s_mov_b32 s0, exec_lo
	s_delay_alu instid0(VALU_DEP_1)
	v_add_lshl_u32 v1, v10, v1, 3
	ds_store_2addr_stride64_b64 v1, v[8:9], v[6:7] offset1:1
	ds_store_2addr_stride64_b64 v1, v[4:5], v[2:3] offset0:2 offset1:3
	s_waitcnt lgkmcnt(0)
	s_waitcnt_vscnt null, 0x0
	s_barrier
	buffer_gl0_inv
	v_cmpx_gt_u32_e32 0x100, v0
	s_cbranch_execz .LBB112_47
; %bb.43:
	v_lshlrev_b32_e32 v13, 3, v0
	v_or_b32_e32 v0, s4, v0
	ds_load_2addr_stride64_b64 v[1:4], v13 offset1:4
	ds_load_2addr_stride64_b64 v[5:8], v13 offset0:8 offset1:12
	ds_load_2addr_stride64_b64 v[9:12], v13 offset0:16 offset1:20
	v_cmp_gt_i32_e32 vcc_lo, s18, v0
	s_waitcnt lgkmcnt(2)
	v_add_f32_e32 v14, v1, v3
	s_waitcnt lgkmcnt(1)
	s_delay_alu instid0(VALU_DEP_1) | instskip(SKIP_4) | instid1(VALU_DEP_1)
	v_add_f32_e32 v5, v14, v5
	v_add_f32_e32 v15, v2, v4
	ds_load_2addr_stride64_b64 v[1:4], v13 offset0:24 offset1:28
	v_add_f32_e32 v14, v5, v7
	s_waitcnt lgkmcnt(1)
	v_dual_add_f32 v6, v15, v6 :: v_dual_add_f32 v9, v14, v9
	s_delay_alu instid0(VALU_DEP_1) | instskip(SKIP_3) | instid1(VALU_DEP_1)
	v_add_f32_e32 v15, v6, v8
	ds_load_2addr_stride64_b64 v[5:8], v13 offset0:32 offset1:36
	v_add_f32_e32 v14, v9, v11
	s_waitcnt lgkmcnt(1)
	v_dual_add_f32 v10, v15, v10 :: v_dual_add_f32 v1, v14, v1
	s_delay_alu instid0(VALU_DEP_1) | instskip(SKIP_3) | instid1(VALU_DEP_1)
	;; [unrolled: 6-line block ×3, first 2 shown]
	v_add_f32_e32 v15, v2, v4
	ds_load_2addr_stride64_b64 v[1:4], v13 offset0:48 offset1:52
	v_add_f32_e32 v14, v5, v7
	v_add_f32_e32 v6, v15, v6
	;; [unrolled: 1-line block ×3, first 2 shown]
	ds_load_2addr_stride64_b64 v[5:8], v13 offset0:56 offset1:60
	s_waitcnt lgkmcnt(2)
	v_dual_add_f32 v9, v14, v9 :: v_dual_add_f32 v10, v15, v10
	s_delay_alu instid0(VALU_DEP_1) | instskip(SKIP_1) | instid1(VALU_DEP_1)
	v_dual_add_f32 v9, v9, v11 :: v_dual_add_f32 v10, v10, v12
	s_waitcnt lgkmcnt(1)
	v_dual_add_f32 v1, v9, v1 :: v_dual_add_f32 v2, v10, v2
	s_delay_alu instid0(VALU_DEP_1) | instskip(SKIP_1) | instid1(VALU_DEP_1)
	v_dual_add_f32 v1, v1, v3 :: v_dual_add_f32 v2, v2, v4
	s_waitcnt lgkmcnt(0)
	v_add_f32_e32 v1, v1, v5
	s_delay_alu instid0(VALU_DEP_1) | instskip(NEXT) | instid1(VALU_DEP_1)
	v_dual_add_f32 v3, v2, v6 :: v_dual_add_f32 v2, v1, v7
	v_add_f32_e32 v3, v3, v8
	ds_store_b64 v13, v[2:3]
	s_and_b32 exec_lo, exec_lo, vcc_lo
	s_cbranch_execz .LBB112_47
; %bb.44:
	v_mul_lo_u32 v4, v0, s26
	v_mul_f32_e32 v1, s24, v3
	v_mul_f32_e32 v0, s25, v3
	v_cmp_neq_f32_e64 s0, s12, 0
	v_cmp_neq_f32_e64 s1, s13, 0
	s_delay_alu instid0(VALU_DEP_4) | instskip(NEXT) | instid1(VALU_DEP_4)
	v_fmac_f32_e32 v1, s25, v2
	v_fma_f32 v0, v2, s24, -v0
	v_ashrrev_i32_e32 v5, 31, v4
	s_delay_alu instid0(VALU_DEP_4) | instskip(NEXT) | instid1(SALU_CYCLE_1)
	s_or_b32 s0, s0, s1
	s_and_not1_b32 vcc_lo, exec_lo, s0
	s_delay_alu instid0(VALU_DEP_1)
	v_lshlrev_b64 v[3:4], 3, v[4:5]
	s_cbranch_vccnz .LBB112_46
; %bb.45:
	s_delay_alu instid0(VALU_DEP_1) | instskip(NEXT) | instid1(VALU_DEP_2)
	v_add_co_u32 v5, vcc_lo, s21, v3
	v_add_co_ci_u32_e32 v6, vcc_lo, s22, v4, vcc_lo
	global_load_b64 v[5:6], v[5:6], off
	s_waitcnt vmcnt(0)
	v_mul_f32_e32 v2, s13, v6
	v_mul_f32_e32 v6, s12, v6
	s_delay_alu instid0(VALU_DEP_2) | instskip(NEXT) | instid1(VALU_DEP_2)
	v_fma_f32 v2, s12, v5, -v2
	v_fmac_f32_e32 v6, s13, v5
	s_delay_alu instid0(VALU_DEP_2) | instskip(NEXT) | instid1(VALU_DEP_2)
	v_add_f32_e32 v0, v0, v2
	v_add_f32_e32 v1, v1, v6
.LBB112_46:
	s_delay_alu instid0(VALU_DEP_1) | instskip(NEXT) | instid1(VALU_DEP_2)
	v_add_co_u32 v2, vcc_lo, s21, v3
	v_add_co_ci_u32_e32 v3, vcc_lo, s22, v4, vcc_lo
	global_store_b64 v[2:3], v[0:1], off
.LBB112_47:
	s_nop 0
	s_sendmsg sendmsg(MSG_DEALLOC_VGPRS)
	s_endpgm
	.section	.rodata,"a",@progbits
	.p2align	6, 0x0
	.amdhsa_kernel _ZL20rocblas_gemvn_kernelILi64ELi16Ei19rocblas_complex_numIfEPKS1_S1_EviiT3_lPKT2_lT1_lS7_lS8_lS4_lPT4_lS8_li
		.amdhsa_group_segment_fixed_size 32768
		.amdhsa_private_segment_fixed_size 0
		.amdhsa_kernarg_size 400
		.amdhsa_user_sgpr_count 14
		.amdhsa_user_sgpr_dispatch_ptr 0
		.amdhsa_user_sgpr_queue_ptr 0
		.amdhsa_user_sgpr_kernarg_segment_ptr 1
		.amdhsa_user_sgpr_dispatch_id 0
		.amdhsa_user_sgpr_private_segment_size 0
		.amdhsa_wavefront_size32 1
		.amdhsa_uses_dynamic_stack 0
		.amdhsa_enable_private_segment 0
		.amdhsa_system_sgpr_workgroup_id_x 1
		.amdhsa_system_sgpr_workgroup_id_y 0
		.amdhsa_system_sgpr_workgroup_id_z 1
		.amdhsa_system_sgpr_workgroup_info 0
		.amdhsa_system_vgpr_workitem_id 1
		.amdhsa_next_free_vgpr 64
		.amdhsa_next_free_sgpr 29
		.amdhsa_reserve_vcc 1
		.amdhsa_float_round_mode_32 0
		.amdhsa_float_round_mode_16_64 0
		.amdhsa_float_denorm_mode_32 3
		.amdhsa_float_denorm_mode_16_64 3
		.amdhsa_dx10_clamp 1
		.amdhsa_ieee_mode 1
		.amdhsa_fp16_overflow 0
		.amdhsa_workgroup_processor_mode 1
		.amdhsa_memory_ordered 1
		.amdhsa_forward_progress 0
		.amdhsa_shared_vgpr_count 0
		.amdhsa_exception_fp_ieee_invalid_op 0
		.amdhsa_exception_fp_denorm_src 0
		.amdhsa_exception_fp_ieee_div_zero 0
		.amdhsa_exception_fp_ieee_overflow 0
		.amdhsa_exception_fp_ieee_underflow 0
		.amdhsa_exception_fp_ieee_inexact 0
		.amdhsa_exception_int_div_zero 0
	.end_amdhsa_kernel
	.section	.text._ZL20rocblas_gemvn_kernelILi64ELi16Ei19rocblas_complex_numIfEPKS1_S1_EviiT3_lPKT2_lT1_lS7_lS8_lS4_lPT4_lS8_li,"axG",@progbits,_ZL20rocblas_gemvn_kernelILi64ELi16Ei19rocblas_complex_numIfEPKS1_S1_EviiT3_lPKT2_lT1_lS7_lS8_lS4_lPT4_lS8_li,comdat
.Lfunc_end112:
	.size	_ZL20rocblas_gemvn_kernelILi64ELi16Ei19rocblas_complex_numIfEPKS1_S1_EviiT3_lPKT2_lT1_lS7_lS8_lS4_lPT4_lS8_li, .Lfunc_end112-_ZL20rocblas_gemvn_kernelILi64ELi16Ei19rocblas_complex_numIfEPKS1_S1_EviiT3_lPKT2_lT1_lS7_lS8_lS4_lPT4_lS8_li
                                        ; -- End function
	.section	.AMDGPU.csdata,"",@progbits
; Kernel info:
; codeLenInByte = 4112
; NumSgprs: 31
; NumVgprs: 64
; ScratchSize: 0
; MemoryBound: 0
; FloatMode: 240
; IeeeMode: 1
; LDSByteSize: 32768 bytes/workgroup (compile time only)
; SGPRBlocks: 3
; VGPRBlocks: 7
; NumSGPRsForWavesPerEU: 31
; NumVGPRsForWavesPerEU: 64
; Occupancy: 16
; WaveLimiterHint : 1
; COMPUTE_PGM_RSRC2:SCRATCH_EN: 0
; COMPUTE_PGM_RSRC2:USER_SGPR: 14
; COMPUTE_PGM_RSRC2:TRAP_HANDLER: 0
; COMPUTE_PGM_RSRC2:TGID_X_EN: 1
; COMPUTE_PGM_RSRC2:TGID_Y_EN: 0
; COMPUTE_PGM_RSRC2:TGID_Z_EN: 1
; COMPUTE_PGM_RSRC2:TIDIG_COMP_CNT: 1
	.section	.text._ZL20rocblas_gemvn_kernelILi64ELi16El19rocblas_complex_numIfEPKS1_S1_EviiT3_lPKT2_lT1_lS7_lS8_lS4_lPT4_lS8_li,"axG",@progbits,_ZL20rocblas_gemvn_kernelILi64ELi16El19rocblas_complex_numIfEPKS1_S1_EviiT3_lPKT2_lT1_lS7_lS8_lS4_lPT4_lS8_li,comdat
	.globl	_ZL20rocblas_gemvn_kernelILi64ELi16El19rocblas_complex_numIfEPKS1_S1_EviiT3_lPKT2_lT1_lS7_lS8_lS4_lPT4_lS8_li ; -- Begin function _ZL20rocblas_gemvn_kernelILi64ELi16El19rocblas_complex_numIfEPKS1_S1_EviiT3_lPKT2_lT1_lS7_lS8_lS4_lPT4_lS8_li
	.p2align	8
	.type	_ZL20rocblas_gemvn_kernelILi64ELi16El19rocblas_complex_numIfEPKS1_S1_EviiT3_lPKT2_lT1_lS7_lS8_lS4_lPT4_lS8_li,@function
_ZL20rocblas_gemvn_kernelILi64ELi16El19rocblas_complex_numIfEPKS1_S1_EviiT3_lPKT2_lT1_lS7_lS8_lS4_lPT4_lS8_li: ; @_ZL20rocblas_gemvn_kernelILi64ELi16El19rocblas_complex_numIfEPKS1_S1_EviiT3_lPKT2_lT1_lS7_lS8_lS4_lPT4_lS8_li
; %bb.0:
	s_load_b64 s[2:3], s[0:1], 0x9c
	s_waitcnt lgkmcnt(0)
	s_lshr_b32 s4, s2, 16
	s_and_b32 s2, s2, 0xffff
	s_and_b32 s3, s3, 0xffff
	s_mul_i32 s2, s4, s2
	s_delay_alu instid0(SALU_CYCLE_1) | instskip(NEXT) | instid1(SALU_CYCLE_1)
	s_mul_i32 s2, s2, s3
	s_cmpk_lg_i32 s2, 0x400
	s_cbranch_scc1 .LBB113_47
; %bb.1:
	s_clause 0x1
	s_load_b512 s[36:51], s[0:1], 0x8
	s_load_b512 s[16:31], s[0:1], 0x48
	s_waitcnt lgkmcnt(0)
	s_mul_i32 s3, s15, s39
	s_mul_hi_u32 s4, s15, s38
	s_mul_i32 s2, s15, s38
	s_add_i32 s3, s4, s3
	s_mul_hi_u32 s4, s15, s22
	s_lshl_b64 s[2:3], s[2:3], 3
	s_delay_alu instid0(SALU_CYCLE_1)
	s_add_u32 s2, s36, s2
	s_addc_u32 s3, s37, s3
	s_load_b64 s[8:9], s[2:3], 0x0
	s_mul_i32 s3, s15, s23
	s_mul_i32 s2, s15, s22
	s_add_i32 s3, s4, s3
	s_delay_alu instid0(SALU_CYCLE_1) | instskip(NEXT) | instid1(SALU_CYCLE_1)
	s_lshl_b64 s[2:3], s[2:3], 3
	s_add_u32 s2, s20, s2
	s_addc_u32 s3, s21, s3
	s_load_b64 s[6:7], s[2:3], 0x0
	s_waitcnt lgkmcnt(0)
	v_cmp_neq_f32_e64 s2, s8, 0
	v_cmp_neq_f32_e64 s3, s9, 0
	s_delay_alu instid0(VALU_DEP_1) | instskip(NEXT) | instid1(SALU_CYCLE_1)
	s_or_b32 s2, s2, s3
	s_and_b32 vcc_lo, exec_lo, s2
	s_mov_b32 s2, -1
	s_cbranch_vccnz .LBB113_3
; %bb.2:
	v_cmp_neq_f32_e64 s2, s6, 1.0
	v_cmp_neq_f32_e64 s3, s7, 0
	s_delay_alu instid0(VALU_DEP_1)
	s_or_b32 s2, s2, s3
.LBB113_3:
	s_delay_alu instid0(SALU_CYCLE_1)
	s_and_not1_b32 vcc_lo, exec_lo, s2
	s_cbranch_vccnz .LBB113_47
; %bb.4:
	s_load_b64 s[10:11], s[0:1], 0x0
	s_mul_i32 s2, s15, s31
	s_mul_hi_u32 s3, s15, s30
	v_and_b32_e32 v55, 0x3ff, v0
	v_bfe_u32 v56, v0, 10, 10
	s_add_i32 s3, s3, s2
	s_mul_i32 s2, s15, s30
	s_delay_alu instid0(SALU_CYCLE_1) | instskip(NEXT) | instid1(VALU_DEP_1)
	s_lshl_b64 s[0:1], s[2:3], 3
	v_lshl_add_u32 v54, v56, 6, v55
	s_add_u32 s2, s24, s0
	s_addc_u32 s3, s25, s1
	s_lshl_b64 s[0:1], s[26:27], 3
	s_delay_alu instid0(SALU_CYCLE_1) | instskip(SKIP_4) | instid1(SALU_CYCLE_1)
	s_add_u32 s5, s2, s0
	s_addc_u32 s24, s3, s1
	s_or_b32 s0, s8, s9
	v_cmp_gt_u32_e32 vcc_lo, 0x100, v54
	s_bitset0_b32 s0, 31
	s_cmp_lg_u32 s0, 0
	s_mov_b32 s0, -1
	s_cbranch_scc1 .LBB113_11
; %bb.5:
	s_and_saveexec_b32 s0, vcc_lo
	s_cbranch_execz .LBB113_10
; %bb.6:
	v_lshl_or_b32 v0, s14, 8, v54
	v_mov_b32_e32 v1, 0
	s_waitcnt lgkmcnt(0)
	s_ashr_i32 s3, s10, 31
	s_mov_b32 s2, s10
	s_delay_alu instid0(VALU_DEP_1) | instid1(SALU_CYCLE_1)
	v_cmp_gt_i64_e32 vcc_lo, s[2:3], v[0:1]
	s_and_b32 exec_lo, exec_lo, vcc_lo
	s_cbranch_execz .LBB113_10
; %bb.7:
	v_mad_u64_u32 v[2:3], null, v0, s28, 0
	v_cmp_neq_f32_e64 s1, s6, 0
	v_cmp_neq_f32_e64 s2, s7, 0
	s_delay_alu instid0(VALU_DEP_1) | instskip(NEXT) | instid1(VALU_DEP_3)
	s_or_b32 s1, s1, s2
	v_mad_u64_u32 v[4:5], null, v0, s29, v[3:4]
	s_and_not1_b32 vcc_lo, exec_lo, s1
	s_delay_alu instid0(VALU_DEP_1) | instskip(NEXT) | instid1(VALU_DEP_1)
	v_dual_mov_b32 v3, v4 :: v_dual_mov_b32 v4, v1
	v_lshlrev_b64 v[2:3], 3, v[2:3]
	s_cbranch_vccnz .LBB113_9
; %bb.8:
	s_delay_alu instid0(VALU_DEP_1) | instskip(NEXT) | instid1(VALU_DEP_2)
	v_add_co_u32 v0, vcc_lo, s5, v2
	v_add_co_ci_u32_e32 v1, vcc_lo, s24, v3, vcc_lo
	global_load_b64 v[0:1], v[0:1], off
	s_waitcnt vmcnt(0)
	v_mul_f32_e32 v4, s6, v1
	s_delay_alu instid0(VALU_DEP_1) | instskip(NEXT) | instid1(VALU_DEP_1)
	v_dual_mul_f32 v5, s7, v1 :: v_dual_fmac_f32 v4, s7, v0
	v_fma_f32 v1, s6, v0, -v5
.LBB113_9:
	s_delay_alu instid0(VALU_DEP_1) | instskip(NEXT) | instid1(VALU_DEP_2)
	v_add_co_u32 v5, vcc_lo, s5, v2
	v_add_co_ci_u32_e32 v6, vcc_lo, s24, v3, vcc_lo
	s_delay_alu instid0(VALU_DEP_3)
	v_mov_b32_e32 v3, v1
	global_store_b64 v[5:6], v[3:4], off
.LBB113_10:
	s_or_b32 exec_lo, exec_lo, s0
	s_mov_b32 s0, 0
.LBB113_11:
	s_delay_alu instid0(SALU_CYCLE_1)
	s_and_not1_b32 vcc_lo, exec_lo, s0
	s_cbranch_vccnz .LBB113_47
; %bb.12:
	s_mul_i32 s0, s15, s47
	s_mul_hi_u32 s1, s15, s46
	s_lshl_b32 s25, s14, 8
	s_add_i32 s13, s1, s0
	s_waitcnt lgkmcnt(0)
	s_ashr_i32 s1, s11, 31
	v_dual_mov_b32 v0, 0 :: v_dual_lshlrev_b32 v57, 2, v56
	s_lshr_b32 s1, s1, 26
	v_dual_mov_b32 v1, 0 :: v_dual_add_nc_u32 v2, s25, v55
	v_dual_mov_b32 v5, 0 :: v_dual_mov_b32 v4, 0
	v_dual_mov_b32 v7, 0 :: v_dual_mov_b32 v6, 0
	;; [unrolled: 1-line block ×3, first 2 shown]
	s_mul_i32 s0, s15, s19
	s_mul_hi_u32 s2, s15, s18
	s_add_i32 s26, s11, s1
	s_mul_i32 s12, s15, s46
	s_and_not1_b32 s26, s26, 63
	s_add_i32 s19, s2, s0
	s_mul_i32 s18, s15, s18
	s_mov_b32 s27, exec_lo
	v_cmpx_gt_i32_e64 s26, v57
	s_cbranch_execz .LBB113_24
; %bb.13:
	v_mad_u64_u32 v[0:1], null, s16, v56, 0
	s_lshl_b64 s[0:1], s[50:51], 3
	v_add_nc_u32_e32 v10, 0xc0, v2
	s_lshl_b64 s[2:3], s[18:19], 3
	s_add_u32 s0, s48, s0
	s_addc_u32 s4, s49, s1
	s_add_u32 s14, s0, s2
	s_delay_alu instid0(VALU_DEP_2)
	v_mad_u64_u32 v[4:5], null, s17, v56, v[1:2]
	v_lshlrev_b32_e32 v16, 2, v56
	v_cmp_gt_i32_e64 s2, s10, v10
	s_addc_u32 s4, s4, s3
	v_ashrrev_i32_e32 v3, 31, v2
	s_lshl_b64 s[20:21], s[42:43], 3
	s_lshl_b64 s[22:23], s[12:13], 3
	s_delay_alu instid0(VALU_DEP_4)
	v_mov_b32_e32 v1, v4
	v_or_b32_e32 v9, 3, v16
	v_or_b32_e32 v17, 2, v16
	v_lshlrev_b64 v[12:13], 3, v[2:3]
	v_cmp_gt_i32_e32 vcc_lo, s10, v2
	v_lshlrev_b64 v[0:1], 5, v[0:1]
	v_mad_u64_u32 v[5:6], null, s44, v9, 0
	v_add_nc_u32_e32 v7, 64, v2
	s_mov_b32 s30, 0
	s_delay_alu instid0(VALU_DEP_3) | instskip(NEXT) | instid1(VALU_DEP_1)
	v_add_co_u32 v10, s3, s14, v0
	v_add_co_ci_u32_e64 v11, s3, s4, v1, s3
	s_delay_alu instid0(VALU_DEP_4) | instskip(SKIP_3) | instid1(VALU_DEP_3)
	v_mov_b32_e32 v4, v6
	v_mad_u64_u32 v[0:1], null, s44, v56, 0
	v_cmp_gt_i32_e64 s0, s10, v7
	s_lshl_b64 s[14:15], s[16:17], 9
	v_mad_u64_u32 v[6:7], null, s45, v9, v[4:5]
	s_add_u32 s3, s40, s20
	s_addc_u32 s4, s41, s21
	s_delay_alu instid0(VALU_DEP_3) | instskip(SKIP_2) | instid1(VALU_DEP_3)
	v_mad_u64_u32 v[14:15], null, s45, v56, v[1:2]
	v_add_nc_u32_e32 v8, 0x80, v2
	s_add_u32 s20, s3, s22
	v_lshlrev_b64 v[3:4], 3, v[5:6]
	v_mad_u64_u32 v[5:6], null, s44, v16, s[44:45]
	s_delay_alu instid0(VALU_DEP_3) | instskip(SKIP_2) | instid1(VALU_DEP_4)
	v_cmp_gt_i32_e64 s1, s10, v8
	v_mad_u64_u32 v[7:8], null, s44, v17, 0
	s_addc_u32 s4, s4, s23
	v_add_co_u32 v3, s3, s20, v3
	s_delay_alu instid0(VALU_DEP_1) | instskip(SKIP_1) | instid1(VALU_DEP_3)
	v_add_co_ci_u32_e64 v58, s3, s4, v4, s3
	s_lshl_b64 s[22:23], s[16:17], 3
	v_mov_b32_e32 v1, v8
	s_delay_alu instid0(VALU_DEP_1) | instskip(SKIP_2) | instid1(VALU_DEP_2)
	v_mad_u64_u32 v[8:9], null, s45, v17, v[1:2]
	v_mov_b32_e32 v1, v14
	v_mad_u64_u32 v[14:15], null, s45, v16, v[6:7]
	v_lshlrev_b64 v[0:1], 5, v[0:1]
	s_delay_alu instid0(VALU_DEP_4) | instskip(NEXT) | instid1(VALU_DEP_3)
	v_lshlrev_b64 v[7:8], 3, v[7:8]
	v_mov_b32_e32 v6, v14
	s_delay_alu instid0(VALU_DEP_3) | instskip(NEXT) | instid1(VALU_DEP_1)
	v_add_co_u32 v59, s3, s20, v0
	v_add_co_ci_u32_e64 v60, s3, s4, v1, s3
	v_mov_b32_e32 v1, 0
	s_delay_alu instid0(VALU_DEP_4) | instskip(SKIP_1) | instid1(VALU_DEP_1)
	v_lshlrev_b64 v[4:5], 3, v[5:6]
	v_add_co_u32 v61, s3, s20, v7
	v_add_co_ci_u32_e64 v62, s3, s4, v8, s3
	s_delay_alu instid0(VALU_DEP_4) | instskip(NEXT) | instid1(VALU_DEP_4)
	v_mov_b32_e32 v0, v1
	v_add_co_u32 v63, s3, s20, v4
	s_delay_alu instid0(VALU_DEP_1)
	v_add_co_ci_u32_e64 v64, s3, s4, v5, s3
	v_mov_b32_e32 v5, v1
	v_mov_b32_e32 v4, v1
	;; [unrolled: 1-line block ×6, first 2 shown]
	s_lshl_b64 s[20:21], s[44:45], 9
	s_branch .LBB113_18
.LBB113_14:                             ;   in Loop: Header=BB113_18 Depth=1
	s_or_b32 exec_lo, exec_lo, s33
	s_waitcnt vmcnt(2)
	v_dual_mul_f32 v46, v27, v45 :: v_dual_mul_f32 v47, v17, v43
	v_mul_f32_e32 v45, v26, v45
	s_waitcnt vmcnt(1)
	v_dual_mul_f32 v43, v16, v43 :: v_dual_mul_f32 v48, v15, v41
	s_delay_alu instid0(VALU_DEP_3) | instskip(SKIP_2) | instid1(VALU_DEP_4)
	v_fma_f32 v46, v26, v44, -v46
	v_mul_f32_e32 v41, v14, v41
	v_fma_f32 v47, v16, v42, -v47
	v_fmac_f32_e32 v43, v17, v42
	v_fma_f32 v42, v14, v40, -v48
	v_dual_add_f32 v4, v4, v46 :: v_dual_fmac_f32 v45, v27, v44
	s_waitcnt vmcnt(0)
	v_mul_f32_e32 v44, v19, v39
	v_fmac_f32_e32 v41, v15, v40
	v_mul_f32_e32 v39, v18, v39
	v_dual_add_f32 v4, v4, v47 :: v_dual_add_f32 v5, v5, v45
	s_delay_alu instid0(VALU_DEP_4) | instskip(NEXT) | instid1(VALU_DEP_3)
	v_fma_f32 v40, v18, v38, -v44
	v_fmac_f32_e32 v39, v19, v38
	s_delay_alu instid0(VALU_DEP_3) | instskip(NEXT) | instid1(VALU_DEP_1)
	v_add_f32_e32 v4, v4, v42
	v_dual_add_f32 v4, v4, v40 :: v_dual_add_f32 v5, v5, v43
	s_delay_alu instid0(VALU_DEP_1) | instskip(NEXT) | instid1(VALU_DEP_1)
	v_add_f32_e32 v5, v5, v41
	v_add_f32_e32 v5, v5, v39
.LBB113_15:                             ;   in Loop: Header=BB113_18 Depth=1
	s_or_b32 exec_lo, exec_lo, s31
	s_waitcnt vmcnt(2)
	v_dual_mul_f32 v38, v27, v37 :: v_dual_mul_f32 v39, v17, v35
	v_mul_f32_e32 v37, v26, v37
	s_waitcnt vmcnt(1)
	v_dual_mul_f32 v35, v16, v35 :: v_dual_mul_f32 v40, v15, v33
	s_delay_alu instid0(VALU_DEP_3)
	v_fma_f32 v38, v26, v36, -v38
	v_fma_f32 v39, v16, v34, -v39
	v_fmac_f32_e32 v37, v27, v36
	s_waitcnt vmcnt(0)
	v_dual_mul_f32 v33, v14, v33 :: v_dual_mul_f32 v36, v19, v31
	v_add_f32_e32 v6, v6, v38
	v_fmac_f32_e32 v35, v17, v34
	v_fma_f32 v34, v14, v32, -v40
	v_mul_f32_e32 v31, v18, v31
	s_delay_alu instid0(VALU_DEP_4) | instskip(SKIP_2) | instid1(VALU_DEP_4)
	v_dual_fmac_f32 v33, v15, v32 :: v_dual_add_f32 v6, v6, v39
	v_add_f32_e32 v7, v7, v37
	v_fma_f32 v32, v18, v30, -v36
	v_fmac_f32_e32 v31, v19, v30
	s_delay_alu instid0(VALU_DEP_3) | instskip(NEXT) | instid1(VALU_DEP_1)
	v_dual_add_f32 v6, v6, v34 :: v_dual_add_f32 v7, v7, v35
	v_dual_add_f32 v6, v6, v32 :: v_dual_add_f32 v7, v7, v33
	s_delay_alu instid0(VALU_DEP_1)
	v_add_f32_e32 v7, v7, v31
.LBB113_16:                             ;   in Loop: Header=BB113_18 Depth=1
	s_or_b32 exec_lo, exec_lo, s3
	s_waitcnt vmcnt(3)
	v_mul_f32_e32 v30, v27, v29
	s_waitcnt vmcnt(1)
	v_dual_mul_f32 v29, v26, v29 :: v_dual_mul_f32 v32, v15, v23
	v_mul_f32_e32 v23, v14, v23
	s_delay_alu instid0(VALU_DEP_3)
	v_fma_f32 v26, v26, v28, -v30
	v_mul_f32_e32 v31, v17, v25
	v_mul_f32_e32 v25, v16, v25
	v_fma_f32 v14, v14, v22, -v32
	v_fmac_f32_e32 v23, v15, v22
	v_add_f32_e32 v8, v8, v26
	v_fma_f32 v16, v16, v24, -v31
	v_fmac_f32_e32 v25, v17, v24
	s_waitcnt vmcnt(0)
	s_delay_alu instid0(VALU_DEP_2) | instskip(SKIP_1) | instid1(VALU_DEP_2)
	v_dual_mul_f32 v17, v18, v21 :: v_dual_add_f32 v8, v8, v16
	v_fmac_f32_e32 v29, v27, v28
	v_dual_fmac_f32 v17, v19, v20 :: v_dual_add_f32 v8, v8, v14
	s_delay_alu instid0(VALU_DEP_2) | instskip(SKIP_1) | instid1(VALU_DEP_2)
	v_add_f32_e32 v9, v9, v29
	v_mul_f32_e32 v27, v19, v21
	v_add_f32_e32 v9, v9, v25
	s_delay_alu instid0(VALU_DEP_2) | instskip(NEXT) | instid1(VALU_DEP_2)
	v_fma_f32 v15, v18, v20, -v27
	v_add_f32_e32 v9, v9, v23
	s_delay_alu instid0(VALU_DEP_1)
	v_dual_add_f32 v8, v8, v15 :: v_dual_add_f32 v9, v9, v17
.LBB113_17:                             ;   in Loop: Header=BB113_18 Depth=1
	s_or_b32 exec_lo, exec_lo, s4
	v_add_co_u32 v10, s3, v10, s14
	s_delay_alu instid0(VALU_DEP_1) | instskip(SKIP_1) | instid1(VALU_DEP_1)
	v_add_co_ci_u32_e64 v11, s3, s15, v11, s3
	v_add_co_u32 v3, s3, v3, s20
	v_add_co_ci_u32_e64 v58, s3, s21, v58, s3
	v_add_co_u32 v59, s3, v59, s20
	v_add_nc_u32_e32 v57, 64, v57
	v_add_co_ci_u32_e64 v60, s3, s21, v60, s3
	v_add_co_u32 v61, s3, v61, s20
	s_delay_alu instid0(VALU_DEP_1) | instskip(NEXT) | instid1(VALU_DEP_4)
	v_add_co_ci_u32_e64 v62, s3, s21, v62, s3
	v_cmp_le_i32_e64 s3, s26, v57
	v_add_co_u32 v63, s4, v63, s20
	s_delay_alu instid0(VALU_DEP_1) | instskip(NEXT) | instid1(VALU_DEP_3)
	v_add_co_ci_u32_e64 v64, s4, s21, v64, s4
	s_or_b32 s30, s3, s30
	s_delay_alu instid0(SALU_CYCLE_1)
	s_and_not1_b32 exec_lo, exec_lo, s30
	s_cbranch_execz .LBB113_23
.LBB113_18:                             ; =>This Inner Loop Header: Depth=1
	s_and_saveexec_b32 s4, vcc_lo
	s_cbranch_execz .LBB113_17
; %bb.19:                               ;   in Loop: Header=BB113_18 Depth=1
	v_add_co_u32 v14, s3, v10, s22
	s_delay_alu instid0(VALU_DEP_1) | instskip(NEXT) | instid1(VALU_DEP_2)
	v_add_co_ci_u32_e64 v15, s3, s23, v11, s3
	v_add_co_u32 v18, s3, v14, s22
	s_delay_alu instid0(VALU_DEP_1) | instskip(SKIP_4) | instid1(VALU_DEP_1)
	v_add_co_ci_u32_e64 v19, s3, s23, v15, s3
	s_clause 0x1
	global_load_b64 v[16:17], v[14:15], off
	global_load_b64 v[14:15], v[18:19], off
	v_add_co_u32 v18, s3, v18, s22
	v_add_co_ci_u32_e64 v19, s3, s23, v19, s3
	v_add_co_u32 v52, s3, v59, v12
	s_delay_alu instid0(VALU_DEP_1) | instskip(SKIP_1) | instid1(VALU_DEP_1)
	v_add_co_ci_u32_e64 v53, s3, v60, v13, s3
	v_add_co_u32 v50, s3, v63, v12
	v_add_co_ci_u32_e64 v51, s3, v64, v13, s3
	v_add_co_u32 v48, s3, v61, v12
	s_delay_alu instid0(VALU_DEP_1) | instskip(SKIP_1) | instid1(VALU_DEP_1)
	v_add_co_ci_u32_e64 v49, s3, v62, v13, s3
	v_add_co_u32 v46, s3, v3, v12
	v_add_co_ci_u32_e64 v47, s3, v58, v13, s3
	s_clause 0x1
	global_load_b64 v[26:27], v[10:11], off
	global_load_b64 v[18:19], v[18:19], off
	;; [unrolled: 1-line block ×6, first 2 shown]
	s_and_saveexec_b32 s3, s0
	s_cbranch_execz .LBB113_16
; %bb.20:                               ;   in Loop: Header=BB113_18 Depth=1
	global_load_b64 v[36:37], v[52:53], off offset:512
	global_load_b64 v[34:35], v[50:51], off offset:512
	global_load_b64 v[32:33], v[48:49], off offset:512
	global_load_b64 v[30:31], v[46:47], off offset:512
	s_and_saveexec_b32 s31, s1
	s_cbranch_execz .LBB113_15
; %bb.21:                               ;   in Loop: Header=BB113_18 Depth=1
	global_load_b64 v[44:45], v[52:53], off offset:1024
	global_load_b64 v[42:43], v[50:51], off offset:1024
	global_load_b64 v[40:41], v[48:49], off offset:1024
	global_load_b64 v[38:39], v[46:47], off offset:1024
	;; [unrolled: 7-line block ×3, first 2 shown]
	s_waitcnt vmcnt(2)
	v_dual_mul_f32 v65, v27, v53 :: v_dual_mul_f32 v66, v17, v51
	v_mul_f32_e32 v53, v26, v53
	v_mul_f32_e32 v51, v16, v51
	s_delay_alu instid0(VALU_DEP_3) | instskip(NEXT) | instid1(VALU_DEP_4)
	v_fma_f32 v65, v26, v52, -v65
	v_fma_f32 v66, v16, v50, -v66
	s_delay_alu instid0(VALU_DEP_4)
	v_fmac_f32_e32 v53, v27, v52
	s_waitcnt vmcnt(0)
	v_dual_mul_f32 v52, v19, v47 :: v_dual_fmac_f32 v51, v17, v50
	v_add_f32_e32 v0, v0, v65
	v_mul_f32_e32 v67, v15, v49
	v_add_f32_e32 v1, v1, v53
	s_delay_alu instid0(VALU_DEP_3) | instskip(NEXT) | instid1(VALU_DEP_3)
	v_dual_mul_f32 v47, v18, v47 :: v_dual_add_f32 v0, v0, v66
	v_fma_f32 v50, v14, v48, -v67
	v_mul_f32_e32 v49, v14, v49
	s_delay_alu instid0(VALU_DEP_3) | instskip(NEXT) | instid1(VALU_DEP_2)
	v_fmac_f32_e32 v47, v19, v46
	v_dual_add_f32 v0, v0, v50 :: v_dual_fmac_f32 v49, v15, v48
	v_fma_f32 v48, v18, v46, -v52
	s_delay_alu instid0(VALU_DEP_1) | instskip(NEXT) | instid1(VALU_DEP_1)
	v_dual_add_f32 v0, v0, v48 :: v_dual_add_f32 v1, v1, v51
	v_add_f32_e32 v1, v1, v49
	s_delay_alu instid0(VALU_DEP_1)
	v_add_f32_e32 v1, v1, v47
	s_branch .LBB113_14
.LBB113_23:
	s_or_b32 exec_lo, exec_lo, s30
.LBB113_24:
	s_delay_alu instid0(SALU_CYCLE_1) | instskip(SKIP_1) | instid1(SALU_CYCLE_1)
	s_or_b32 exec_lo, exec_lo, s27
	s_sub_i32 s0, s11, s26
	s_cmp_lt_i32 s0, 1
	s_cbranch_scc1 .LBB113_42
; %bb.25:
	v_cmp_gt_i32_e32 vcc_lo, s11, v57
	v_dual_mov_b32 v10, 0 :: v_dual_mov_b32 v11, 0
	v_or_b32_e32 v18, 1, v57
	v_dual_mov_b32 v12, 0 :: v_dual_mov_b32 v13, 0
	v_dual_mov_b32 v14, 0 :: v_dual_mov_b32 v15, 0
	;; [unrolled: 1-line block ×3, first 2 shown]
	s_and_saveexec_b32 s1, vcc_lo
	s_cbranch_execz .LBB113_33
; %bb.26:
	v_mad_u64_u32 v[10:11], null, v57, s16, 0
	s_lshl_b64 s[2:3], s[18:19], 3
	v_dual_mov_b32 v17, 0 :: v_dual_mov_b32 v14, 0
	s_add_u32 s0, s48, s2
	s_addc_u32 s2, s49, s3
	s_lshl_b64 s[14:15], s[50:51], 3
	s_delay_alu instid0(VALU_DEP_2) | instskip(SKIP_3) | instid1(VALU_DEP_2)
	v_dual_mov_b32 v3, v11 :: v_dual_mov_b32 v16, 0
	s_add_u32 s3, s0, s14
	s_addc_u32 s4, s2, s15
	v_mov_b32_e32 v15, 0
	v_mad_u64_u32 v[11:12], null, v57, s17, v[3:4]
	v_dual_mov_b32 v12, 0 :: v_dual_mov_b32 v13, 0
	s_mov_b32 s2, exec_lo
	s_delay_alu instid0(VALU_DEP_2) | instskip(NEXT) | instid1(VALU_DEP_1)
	v_lshlrev_b64 v[10:11], 3, v[10:11]
	v_add_co_u32 v10, s0, s3, v10
	s_delay_alu instid0(VALU_DEP_1)
	v_add_co_ci_u32_e64 v11, s0, s4, v11, s0
	global_load_b64 v[10:11], v[10:11], off
	v_cmpx_gt_i32_e64 s11, v18
	s_cbranch_execz .LBB113_32
; %bb.27:
	v_mad_u64_u32 v[12:13], null, v18, s16, 0
	v_mov_b32_e32 v17, 0
	v_mov_b32_e32 v15, 0
	s_mov_b32 s14, exec_lo
	s_delay_alu instid0(VALU_DEP_3) | instskip(NEXT) | instid1(VALU_DEP_1)
	v_dual_mov_b32 v16, 0 :: v_dual_mov_b32 v3, v13
	v_mad_u64_u32 v[13:14], null, v18, s17, v[3:4]
	v_or_b32_e32 v3, 2, v57
	v_mov_b32_e32 v14, 0
	s_delay_alu instid0(VALU_DEP_3) | instskip(NEXT) | instid1(VALU_DEP_1)
	v_lshlrev_b64 v[12:13], 3, v[12:13]
	v_add_co_u32 v12, s0, s3, v12
	s_delay_alu instid0(VALU_DEP_1)
	v_add_co_ci_u32_e64 v13, s0, s4, v13, s0
	global_load_b64 v[12:13], v[12:13], off
	v_cmpx_gt_i32_e64 s11, v3
	s_cbranch_execz .LBB113_31
; %bb.28:
	v_mad_u64_u32 v[14:15], null, v3, s16, 0
	s_mov_b32 s15, exec_lo
	s_delay_alu instid0(VALU_DEP_1) | instskip(SKIP_2) | instid1(VALU_DEP_3)
	v_mad_u64_u32 v[16:17], null, v3, s17, v[15:16]
	v_or_b32_e32 v3, 3, v57
	v_mov_b32_e32 v17, 0
	v_dual_mov_b32 v15, v16 :: v_dual_mov_b32 v16, 0
	s_delay_alu instid0(VALU_DEP_1) | instskip(NEXT) | instid1(VALU_DEP_1)
	v_lshlrev_b64 v[14:15], 3, v[14:15]
	v_add_co_u32 v14, s0, s3, v14
	s_delay_alu instid0(VALU_DEP_1)
	v_add_co_ci_u32_e64 v15, s0, s4, v15, s0
	global_load_b64 v[14:15], v[14:15], off
	v_cmpx_gt_i32_e64 s11, v3
	s_cbranch_execz .LBB113_30
; %bb.29:
	v_mad_u64_u32 v[16:17], null, v3, s16, 0
	s_delay_alu instid0(VALU_DEP_1) | instskip(NEXT) | instid1(VALU_DEP_1)
	v_mad_u64_u32 v[19:20], null, v3, s17, v[17:18]
	v_mov_b32_e32 v17, v19
	s_delay_alu instid0(VALU_DEP_1) | instskip(NEXT) | instid1(VALU_DEP_1)
	v_lshlrev_b64 v[16:17], 3, v[16:17]
	v_add_co_u32 v16, s0, s3, v16
	s_delay_alu instid0(VALU_DEP_1)
	v_add_co_ci_u32_e64 v17, s0, s4, v17, s0
	global_load_b64 v[16:17], v[16:17], off
.LBB113_30:
	s_or_b32 exec_lo, exec_lo, s15
.LBB113_31:
	s_delay_alu instid0(SALU_CYCLE_1)
	s_or_b32 exec_lo, exec_lo, s14
.LBB113_32:
	s_delay_alu instid0(SALU_CYCLE_1)
	s_or_b32 exec_lo, exec_lo, s2
.LBB113_33:
	s_delay_alu instid0(SALU_CYCLE_1) | instskip(NEXT) | instid1(SALU_CYCLE_1)
	s_or_b32 exec_lo, exec_lo, s1
	s_mov_b32 s1, exec_lo
	v_cmpx_gt_i32_e64 s10, v2
	s_cbranch_execz .LBB113_41
; %bb.34:
	v_mad_u64_u32 v[19:20], null, v57, s44, 0
	v_mad_u64_u32 v[21:22], null, v18, s44, 0
	v_ashrrev_i32_e32 v3, 31, v2
	v_or_b32_e32 v31, 2, v57
	v_or_b32_e32 v32, 3, v57
	s_lshl_b64 s[2:3], s[12:13], 3
	s_delay_alu instid0(VALU_DEP_3)
	v_lshlrev_b64 v[26:27], 3, v[2:3]
	v_mad_u64_u32 v[23:24], null, v57, s45, v[20:21]
	v_mad_u64_u32 v[24:25], null, v31, s44, 0
	s_add_u32 s0, s40, s2
	s_addc_u32 s4, s41, s3
	v_mov_b32_e32 v3, v22
	s_lshl_b64 s[2:3], s[42:43], 3
	s_delay_alu instid0(VALU_DEP_3) | instskip(SKIP_1) | instid1(VALU_DEP_3)
	v_cndmask_b32_e32 v20, 0, v23, vcc_lo
	v_mad_u64_u32 v[22:23], null, v32, s44, 0
	v_mad_u64_u32 v[28:29], null, v18, s45, v[3:4]
	v_cndmask_b32_e32 v19, 0, v19, vcc_lo
	v_cmp_gt_i32_e32 vcc_lo, s11, v18
	s_add_u32 s2, s0, s2
	s_addc_u32 s3, s4, s3
	v_mov_b32_e32 v3, v25
	s_delay_alu instid0(VALU_DEP_4) | instskip(SKIP_1) | instid1(VALU_DEP_1)
	v_dual_cndmask_b32 v29, 0, v21 :: v_dual_cndmask_b32 v30, 0, v28
	v_lshlrev_b64 v[19:20], 3, v[19:20]
	v_add_co_u32 v18, s0, s2, v19
	s_delay_alu instid0(VALU_DEP_1) | instskip(NEXT) | instid1(VALU_DEP_4)
	v_add_co_ci_u32_e64 v19, s0, s3, v20, s0
	v_lshlrev_b64 v[20:21], 3, v[29:30]
	s_delay_alu instid0(VALU_DEP_3)
	v_add_co_u32 v18, vcc_lo, v18, v26
	v_mad_u64_u32 v[28:29], null, v31, s45, v[3:4]
	v_mov_b32_e32 v3, v23
	v_add_co_ci_u32_e32 v19, vcc_lo, v19, v27, vcc_lo
	v_cmp_gt_i32_e32 vcc_lo, s11, v31
	v_add_co_u32 v20, s0, s2, v20
	s_delay_alu instid0(VALU_DEP_4)
	v_mad_u64_u32 v[29:30], null, v32, s45, v[3:4]
	v_add_co_ci_u32_e64 v21, s0, s3, v21, s0
	v_cndmask_b32_e32 v23, 0, v24, vcc_lo
	v_cndmask_b32_e32 v24, 0, v28, vcc_lo
	v_cmp_gt_i32_e32 vcc_lo, s11, v32
	v_add_co_u32 v20, s0, v20, v26
	s_delay_alu instid0(VALU_DEP_1)
	v_add_co_ci_u32_e64 v21, s0, v21, v27, s0
	v_dual_cndmask_b32 v28, 0, v22 :: v_dual_cndmask_b32 v29, 0, v29
	v_lshlrev_b64 v[22:23], 3, v[23:24]
	s_clause 0x1
	global_load_b64 v[30:31], v[18:19], off
	global_load_b64 v[32:33], v[20:21], off
	s_mov_b32 s0, exec_lo
	v_lshlrev_b64 v[24:25], 3, v[28:29]
	v_add_co_u32 v3, vcc_lo, s2, v22
	v_add_co_ci_u32_e32 v22, vcc_lo, s3, v23, vcc_lo
	s_delay_alu instid0(VALU_DEP_3) | instskip(NEXT) | instid1(VALU_DEP_4)
	v_add_co_u32 v23, vcc_lo, s2, v24
	v_add_co_ci_u32_e32 v28, vcc_lo, s3, v25, vcc_lo
	s_delay_alu instid0(VALU_DEP_4) | instskip(NEXT) | instid1(VALU_DEP_4)
	v_add_co_u32 v24, vcc_lo, v3, v26
	v_add_co_ci_u32_e32 v25, vcc_lo, v22, v27, vcc_lo
	s_delay_alu instid0(VALU_DEP_4) | instskip(NEXT) | instid1(VALU_DEP_4)
	v_add_co_u32 v22, vcc_lo, v23, v26
	v_add_co_ci_u32_e32 v23, vcc_lo, v28, v27, vcc_lo
	s_clause 0x1
	global_load_b64 v[26:27], v[24:25], off
	global_load_b64 v[28:29], v[22:23], off
	s_waitcnt vmcnt(2)
	v_dual_mul_f32 v3, v11, v31 :: v_dual_mul_f32 v34, v13, v33
	v_mul_f32_e32 v33, v12, v33
	s_delay_alu instid0(VALU_DEP_2) | instskip(NEXT) | instid1(VALU_DEP_1)
	v_fma_f32 v3, v10, v30, -v3
	v_dual_fmac_f32 v33, v13, v32 :: v_dual_add_f32 v8, v8, v3
	v_mul_f32_e32 v31, v10, v31
	s_delay_alu instid0(VALU_DEP_1) | instskip(SKIP_1) | instid1(VALU_DEP_2)
	v_fmac_f32_e32 v31, v11, v30
	v_fma_f32 v30, v12, v32, -v34
	v_add_f32_e32 v9, v9, v31
	s_waitcnt vmcnt(1)
	v_dual_mul_f32 v32, v15, v27 :: v_dual_add_nc_u32 v31, 64, v2
	s_waitcnt vmcnt(0)
	v_dual_mul_f32 v27, v14, v27 :: v_dual_mul_f32 v34, v17, v29
	v_mul_f32_e32 v3, v16, v29
	s_delay_alu instid0(VALU_DEP_3) | instskip(NEXT) | instid1(VALU_DEP_3)
	v_fma_f32 v29, v14, v26, -v32
	v_fmac_f32_e32 v27, v15, v26
	v_add_f32_e32 v26, v8, v30
	v_add_f32_e32 v30, v9, v33
	v_fma_f32 v8, v16, v28, -v34
	v_fmac_f32_e32 v3, v17, v28
	s_delay_alu instid0(VALU_DEP_4) | instskip(NEXT) | instid1(VALU_DEP_4)
	v_add_f32_e32 v9, v26, v29
	v_add_f32_e32 v26, v30, v27
	v_cmpx_gt_i32_e64 s10, v31
	s_cbranch_execz .LBB113_40
; %bb.35:
	s_clause 0x3
	global_load_b64 v[27:28], v[18:19], off offset:512
	global_load_b64 v[29:30], v[20:21], off offset:512
	;; [unrolled: 1-line block ×4, first 2 shown]
	s_mov_b32 s2, exec_lo
	s_waitcnt vmcnt(2)
	v_dual_mul_f32 v35, v11, v28 :: v_dual_mul_f32 v36, v13, v30
	v_mul_f32_e32 v28, v10, v28
	s_waitcnt vmcnt(1)
	v_dual_mul_f32 v30, v12, v30 :: v_dual_mul_f32 v37, v15, v32
	s_delay_alu instid0(VALU_DEP_3) | instskip(SKIP_2) | instid1(VALU_DEP_4)
	v_fma_f32 v35, v10, v27, -v35
	v_fma_f32 v36, v12, v29, -v36
	v_mul_f32_e32 v32, v14, v32
	v_fmac_f32_e32 v30, v13, v29
	v_fma_f32 v29, v14, v31, -v37
	v_add_f32_e32 v6, v6, v35
	s_waitcnt vmcnt(0)
	v_dual_fmac_f32 v28, v11, v27 :: v_dual_mul_f32 v27, v17, v34
	s_delay_alu instid0(VALU_DEP_1) | instskip(NEXT) | instid1(VALU_DEP_1)
	v_dual_add_f32 v28, v7, v28 :: v_dual_mul_f32 v7, v16, v34
	v_dual_fmac_f32 v32, v15, v31 :: v_dual_fmac_f32 v7, v17, v33
	s_delay_alu instid0(VALU_DEP_2) | instskip(SKIP_2) | instid1(VALU_DEP_3)
	v_dual_add_f32 v31, v6, v36 :: v_dual_add_f32 v28, v28, v30
	v_add_nc_u32_e32 v30, 0x80, v2
	v_fma_f32 v6, v16, v33, -v27
	v_dual_add_f32 v27, v31, v29 :: v_dual_add_f32 v28, v28, v32
	s_delay_alu instid0(VALU_DEP_3)
	v_cmpx_gt_i32_e64 s10, v30
	s_cbranch_execz .LBB113_39
; %bb.36:
	s_clause 0x3
	global_load_b64 v[29:30], v[18:19], off offset:1024
	global_load_b64 v[31:32], v[20:21], off offset:1024
	;; [unrolled: 1-line block ×4, first 2 shown]
	s_mov_b32 s3, exec_lo
	s_waitcnt vmcnt(2)
	v_dual_mul_f32 v37, v11, v30 :: v_dual_mul_f32 v38, v13, v32
	v_mul_f32_e32 v30, v10, v30
	s_waitcnt vmcnt(1)
	v_dual_mul_f32 v32, v12, v32 :: v_dual_mul_f32 v39, v15, v34
	v_mul_f32_e32 v34, v14, v34
	v_fma_f32 v37, v10, v29, -v37
	v_fmac_f32_e32 v30, v11, v29
	v_fma_f32 v38, v12, v31, -v38
	s_waitcnt vmcnt(0)
	s_delay_alu instid0(VALU_DEP_3) | instskip(NEXT) | instid1(VALU_DEP_3)
	v_dual_mul_f32 v29, v17, v36 :: v_dual_add_f32 v4, v4, v37
	v_dual_add_f32 v30, v5, v30 :: v_dual_mul_f32 v5, v16, v36
	v_fmac_f32_e32 v34, v15, v33
	v_fmac_f32_e32 v32, v13, v31
	v_fma_f32 v31, v14, v33, -v39
	s_delay_alu instid0(VALU_DEP_4) | instskip(NEXT) | instid1(VALU_DEP_3)
	v_dual_add_f32 v4, v4, v38 :: v_dual_fmac_f32 v5, v17, v35
	v_add_f32_e32 v30, v30, v32
	v_add_nc_u32_e32 v32, 0xc0, v2
	v_fma_f32 v2, v16, v35, -v29
	s_delay_alu instid0(VALU_DEP_3) | instskip(NEXT) | instid1(VALU_DEP_3)
	v_dual_add_f32 v4, v4, v31 :: v_dual_add_f32 v29, v30, v34
	v_cmpx_gt_i32_e64 s10, v32
	s_cbranch_execz .LBB113_38
; %bb.37:
	s_clause 0x3
	global_load_b64 v[18:19], v[18:19], off offset:1536
	global_load_b64 v[20:21], v[20:21], off offset:1536
	;; [unrolled: 1-line block ×4, first 2 shown]
	s_waitcnt vmcnt(2)
	v_dual_mul_f32 v30, v11, v19 :: v_dual_mul_f32 v31, v13, v21
	s_waitcnt vmcnt(1)
	v_dual_mul_f32 v19, v10, v19 :: v_dual_mul_f32 v32, v15, v25
	s_delay_alu instid0(VALU_DEP_2) | instskip(SKIP_1) | instid1(VALU_DEP_3)
	v_fma_f32 v10, v10, v18, -v30
	v_mul_f32_e32 v25, v14, v25
	v_fmac_f32_e32 v19, v11, v18
	s_delay_alu instid0(VALU_DEP_3)
	v_add_f32_e32 v0, v0, v10
	s_waitcnt vmcnt(0)
	v_mul_f32_e32 v10, v16, v23
	v_mul_f32_e32 v21, v12, v21
	v_fma_f32 v12, v12, v20, -v31
	v_mul_f32_e32 v11, v17, v23
	v_add_f32_e32 v1, v1, v19
	v_fmac_f32_e32 v10, v17, v22
	s_delay_alu instid0(VALU_DEP_4) | instskip(SKIP_3) | instid1(VALU_DEP_2)
	v_add_f32_e32 v0, v0, v12
	v_fmac_f32_e32 v21, v13, v20
	v_fma_f32 v13, v14, v24, -v32
	v_fma_f32 v11, v16, v22, -v11
	v_dual_add_f32 v0, v0, v13 :: v_dual_fmac_f32 v25, v15, v24
	s_delay_alu instid0(VALU_DEP_1) | instskip(NEXT) | instid1(VALU_DEP_1)
	v_dual_add_f32 v1, v1, v21 :: v_dual_add_f32 v0, v0, v11
	v_add_f32_e32 v1, v1, v25
	s_delay_alu instid0(VALU_DEP_1)
	v_add_f32_e32 v1, v1, v10
.LBB113_38:
	s_or_b32 exec_lo, exec_lo, s3
	s_delay_alu instid0(VALU_DEP_2)
	v_dual_add_f32 v4, v4, v2 :: v_dual_add_f32 v5, v29, v5
.LBB113_39:
	s_or_b32 exec_lo, exec_lo, s2
	s_delay_alu instid0(VALU_DEP_2)
	v_dual_add_f32 v6, v27, v6 :: v_dual_add_f32 v7, v28, v7
.LBB113_40:
	s_or_b32 exec_lo, exec_lo, s0
	s_delay_alu instid0(VALU_DEP_2)
	v_dual_add_f32 v8, v9, v8 :: v_dual_add_f32 v9, v26, v3
.LBB113_41:
	s_or_b32 exec_lo, exec_lo, s1
.LBB113_42:
	v_lshlrev_b32_e32 v2, 8, v56
	s_mov_b32 s0, exec_lo
	s_delay_alu instid0(VALU_DEP_1)
	v_add_lshl_u32 v2, v2, v55, 3
	ds_store_2addr_stride64_b64 v2, v[8:9], v[6:7] offset1:1
	ds_store_2addr_stride64_b64 v2, v[4:5], v[0:1] offset0:2 offset1:3
	s_waitcnt vmcnt(0) lgkmcnt(0)
	s_waitcnt_vscnt null, 0x0
	s_barrier
	buffer_gl0_inv
	v_cmpx_gt_u32_e32 0x100, v54
	s_cbranch_execz .LBB113_47
; %bb.43:
	v_lshlrev_b32_e32 v12, 3, v54
	ds_load_2addr_stride64_b64 v[0:3], v12 offset1:4
	ds_load_2addr_stride64_b64 v[4:7], v12 offset0:8 offset1:12
	ds_load_2addr_stride64_b64 v[8:11], v12 offset0:16 offset1:20
	s_waitcnt lgkmcnt(2)
	v_dual_add_f32 v13, v0, v2 :: v_dual_add_f32 v14, v1, v3
	s_waitcnt lgkmcnt(1)
	s_delay_alu instid0(VALU_DEP_1) | instskip(SKIP_3) | instid1(VALU_DEP_1)
	v_add_f32_e32 v5, v14, v5
	ds_load_2addr_stride64_b64 v[0:3], v12 offset0:24 offset1:28
	v_add_f32_e32 v14, v5, v7
	s_waitcnt lgkmcnt(1)
	v_dual_add_f32 v4, v13, v4 :: v_dual_add_f32 v9, v14, v9
	s_delay_alu instid0(VALU_DEP_1) | instskip(SKIP_3) | instid1(VALU_DEP_1)
	v_add_f32_e32 v13, v4, v6
	ds_load_2addr_stride64_b64 v[4:7], v12 offset0:32 offset1:36
	v_add_f32_e32 v14, v9, v11
	s_waitcnt lgkmcnt(1)
	v_dual_add_f32 v8, v13, v8 :: v_dual_add_f32 v1, v14, v1
	s_delay_alu instid0(VALU_DEP_1) | instskip(SKIP_3) | instid1(VALU_DEP_1)
	v_add_f32_e32 v13, v8, v10
	ds_load_2addr_stride64_b64 v[8:11], v12 offset0:40 offset1:44
	v_add_f32_e32 v14, v1, v3
	s_waitcnt lgkmcnt(1)
	v_dual_add_f32 v0, v13, v0 :: v_dual_add_f32 v5, v14, v5
	s_delay_alu instid0(VALU_DEP_1) | instskip(SKIP_3) | instid1(VALU_DEP_1)
	v_add_f32_e32 v13, v0, v2
	ds_load_2addr_stride64_b64 v[0:3], v12 offset0:48 offset1:52
	v_add_f32_e32 v14, v5, v7
	s_waitcnt lgkmcnt(1)
	v_dual_add_f32 v4, v13, v4 :: v_dual_add_f32 v9, v14, v9
	s_delay_alu instid0(VALU_DEP_1) | instskip(SKIP_4) | instid1(VALU_DEP_1)
	v_add_f32_e32 v13, v4, v6
	ds_load_2addr_stride64_b64 v[4:7], v12 offset0:56 offset1:60
	v_add_f32_e32 v9, v9, v11
	v_add_f32_e32 v8, v13, v8
	s_waitcnt lgkmcnt(1)
	v_dual_add_f32 v8, v8, v10 :: v_dual_add_f32 v1, v9, v1
	s_delay_alu instid0(VALU_DEP_1) | instskip(SKIP_1) | instid1(VALU_DEP_1)
	v_dual_add_f32 v0, v8, v0 :: v_dual_add_f32 v1, v1, v3
	s_waitcnt lgkmcnt(0)
	v_dual_add_f32 v0, v0, v2 :: v_dual_add_f32 v1, v1, v5
	s_delay_alu instid0(VALU_DEP_1) | instskip(SKIP_1) | instid1(VALU_DEP_2)
	v_add_f32_e32 v2, v0, v4
	v_or_b32_e32 v0, s25, v54
	v_dual_add_f32 v3, v1, v7 :: v_dual_add_f32 v2, v2, v6
	s_delay_alu instid0(VALU_DEP_2)
	v_cmp_gt_i32_e32 vcc_lo, s10, v0
	ds_store_b64 v12, v[2:3]
	s_and_b32 exec_lo, exec_lo, vcc_lo
	s_cbranch_execz .LBB113_47
; %bb.44:
	v_ashrrev_i32_e32 v1, 31, v0
	v_mul_lo_u32 v6, v0, s29
	v_mad_u64_u32 v[4:5], null, v0, s28, 0
	v_cmp_neq_f32_e64 s0, s6, 0
	s_delay_alu instid0(VALU_DEP_4) | instskip(SKIP_1) | instid1(VALU_DEP_1)
	v_mul_lo_u32 v1, v1, s28
	v_cmp_neq_f32_e64 s1, s7, 0
	s_or_b32 s0, s0, s1
	s_delay_alu instid0(SALU_CYCLE_1) | instskip(NEXT) | instid1(VALU_DEP_2)
	s_and_not1_b32 vcc_lo, exec_lo, s0
	v_add3_u32 v5, v5, v6, v1
	v_mul_f32_e32 v1, s8, v3
	v_mul_f32_e32 v0, s9, v3
	s_delay_alu instid0(VALU_DEP_3) | instskip(NEXT) | instid1(VALU_DEP_3)
	v_lshlrev_b64 v[3:4], 3, v[4:5]
	v_fmac_f32_e32 v1, s9, v2
	s_delay_alu instid0(VALU_DEP_3)
	v_fma_f32 v0, v2, s8, -v0
	s_cbranch_vccnz .LBB113_46
; %bb.45:
	s_delay_alu instid0(VALU_DEP_3) | instskip(NEXT) | instid1(VALU_DEP_4)
	v_add_co_u32 v5, vcc_lo, s5, v3
	v_add_co_ci_u32_e32 v6, vcc_lo, s24, v4, vcc_lo
	global_load_b64 v[5:6], v[5:6], off
	s_waitcnt vmcnt(0)
	v_mul_f32_e32 v2, s7, v6
	v_mul_f32_e32 v6, s6, v6
	s_delay_alu instid0(VALU_DEP_2) | instskip(NEXT) | instid1(VALU_DEP_2)
	v_fma_f32 v2, s6, v5, -v2
	v_fmac_f32_e32 v6, s7, v5
	s_delay_alu instid0(VALU_DEP_2) | instskip(NEXT) | instid1(VALU_DEP_2)
	v_add_f32_e32 v0, v0, v2
	v_add_f32_e32 v1, v1, v6
.LBB113_46:
	s_delay_alu instid0(VALU_DEP_3) | instskip(NEXT) | instid1(VALU_DEP_4)
	v_add_co_u32 v2, vcc_lo, s5, v3
	v_add_co_ci_u32_e32 v3, vcc_lo, s24, v4, vcc_lo
	global_store_b64 v[2:3], v[0:1], off
.LBB113_47:
	s_nop 0
	s_sendmsg sendmsg(MSG_DEALLOC_VGPRS)
	s_endpgm
	.section	.rodata,"a",@progbits
	.p2align	6, 0x0
	.amdhsa_kernel _ZL20rocblas_gemvn_kernelILi64ELi16El19rocblas_complex_numIfEPKS1_S1_EviiT3_lPKT2_lT1_lS7_lS8_lS4_lPT4_lS8_li
		.amdhsa_group_segment_fixed_size 32768
		.amdhsa_private_segment_fixed_size 0
		.amdhsa_kernarg_size 400
		.amdhsa_user_sgpr_count 14
		.amdhsa_user_sgpr_dispatch_ptr 0
		.amdhsa_user_sgpr_queue_ptr 0
		.amdhsa_user_sgpr_kernarg_segment_ptr 1
		.amdhsa_user_sgpr_dispatch_id 0
		.amdhsa_user_sgpr_private_segment_size 0
		.amdhsa_wavefront_size32 1
		.amdhsa_uses_dynamic_stack 0
		.amdhsa_enable_private_segment 0
		.amdhsa_system_sgpr_workgroup_id_x 1
		.amdhsa_system_sgpr_workgroup_id_y 0
		.amdhsa_system_sgpr_workgroup_id_z 1
		.amdhsa_system_sgpr_workgroup_info 0
		.amdhsa_system_vgpr_workitem_id 1
		.amdhsa_next_free_vgpr 68
		.amdhsa_next_free_sgpr 52
		.amdhsa_reserve_vcc 1
		.amdhsa_float_round_mode_32 0
		.amdhsa_float_round_mode_16_64 0
		.amdhsa_float_denorm_mode_32 3
		.amdhsa_float_denorm_mode_16_64 3
		.amdhsa_dx10_clamp 1
		.amdhsa_ieee_mode 1
		.amdhsa_fp16_overflow 0
		.amdhsa_workgroup_processor_mode 1
		.amdhsa_memory_ordered 1
		.amdhsa_forward_progress 0
		.amdhsa_shared_vgpr_count 0
		.amdhsa_exception_fp_ieee_invalid_op 0
		.amdhsa_exception_fp_denorm_src 0
		.amdhsa_exception_fp_ieee_div_zero 0
		.amdhsa_exception_fp_ieee_overflow 0
		.amdhsa_exception_fp_ieee_underflow 0
		.amdhsa_exception_fp_ieee_inexact 0
		.amdhsa_exception_int_div_zero 0
	.end_amdhsa_kernel
	.section	.text._ZL20rocblas_gemvn_kernelILi64ELi16El19rocblas_complex_numIfEPKS1_S1_EviiT3_lPKT2_lT1_lS7_lS8_lS4_lPT4_lS8_li,"axG",@progbits,_ZL20rocblas_gemvn_kernelILi64ELi16El19rocblas_complex_numIfEPKS1_S1_EviiT3_lPKT2_lT1_lS7_lS8_lS4_lPT4_lS8_li,comdat
.Lfunc_end113:
	.size	_ZL20rocblas_gemvn_kernelILi64ELi16El19rocblas_complex_numIfEPKS1_S1_EviiT3_lPKT2_lT1_lS7_lS8_lS4_lPT4_lS8_li, .Lfunc_end113-_ZL20rocblas_gemvn_kernelILi64ELi16El19rocblas_complex_numIfEPKS1_S1_EviiT3_lPKT2_lT1_lS7_lS8_lS4_lPT4_lS8_li
                                        ; -- End function
	.section	.AMDGPU.csdata,"",@progbits
; Kernel info:
; codeLenInByte = 4352
; NumSgprs: 54
; NumVgprs: 68
; ScratchSize: 0
; MemoryBound: 0
; FloatMode: 240
; IeeeMode: 1
; LDSByteSize: 32768 bytes/workgroup (compile time only)
; SGPRBlocks: 6
; VGPRBlocks: 8
; NumSGPRsForWavesPerEU: 54
; NumVGPRsForWavesPerEU: 68
; Occupancy: 16
; WaveLimiterHint : 0
; COMPUTE_PGM_RSRC2:SCRATCH_EN: 0
; COMPUTE_PGM_RSRC2:USER_SGPR: 14
; COMPUTE_PGM_RSRC2:TRAP_HANDLER: 0
; COMPUTE_PGM_RSRC2:TGID_X_EN: 1
; COMPUTE_PGM_RSRC2:TGID_Y_EN: 0
; COMPUTE_PGM_RSRC2:TGID_Z_EN: 1
; COMPUTE_PGM_RSRC2:TIDIG_COMP_CNT: 1
	.section	.text._ZL20rocblas_gemvn_kernelILi64ELi16Ei19rocblas_complex_numIfES1_S1_EviiT3_lPKT2_lT1_lS5_lS6_lS2_lPT4_lS6_li,"axG",@progbits,_ZL20rocblas_gemvn_kernelILi64ELi16Ei19rocblas_complex_numIfES1_S1_EviiT3_lPKT2_lT1_lS5_lS6_lS2_lPT4_lS6_li,comdat
	.globl	_ZL20rocblas_gemvn_kernelILi64ELi16Ei19rocblas_complex_numIfES1_S1_EviiT3_lPKT2_lT1_lS5_lS6_lS2_lPT4_lS6_li ; -- Begin function _ZL20rocblas_gemvn_kernelILi64ELi16Ei19rocblas_complex_numIfES1_S1_EviiT3_lPKT2_lT1_lS5_lS6_lS2_lPT4_lS6_li
	.p2align	8
	.type	_ZL20rocblas_gemvn_kernelILi64ELi16Ei19rocblas_complex_numIfES1_S1_EviiT3_lPKT2_lT1_lS5_lS6_lS2_lPT4_lS6_li,@function
_ZL20rocblas_gemvn_kernelILi64ELi16Ei19rocblas_complex_numIfES1_S1_EviiT3_lPKT2_lT1_lS5_lS6_lS2_lPT4_lS6_li: ; @_ZL20rocblas_gemvn_kernelILi64ELi16Ei19rocblas_complex_numIfES1_S1_EviiT3_lPKT2_lT1_lS5_lS6_lS2_lPT4_lS6_li
; %bb.0:
	s_load_b64 s[2:3], s[0:1], 0x9c
	s_waitcnt lgkmcnt(0)
	s_lshr_b32 s4, s2, 16
	s_and_b32 s2, s2, 0xffff
	s_and_b32 s3, s3, 0xffff
	s_mul_i32 s2, s4, s2
	s_delay_alu instid0(SALU_CYCLE_1) | instskip(NEXT) | instid1(SALU_CYCLE_1)
	s_mul_i32 s2, s2, s3
	s_cmpk_lg_i32 s2, 0x400
	s_cbranch_scc1 .LBB114_47
; %bb.1:
	s_clause 0x1
	s_load_b128 s[4:7], s[0:1], 0x0
	s_load_b64 s[12:13], s[0:1], 0x58
	s_waitcnt lgkmcnt(0)
	v_cmp_neq_f32_e64 s2, s6, 0
	v_cmp_neq_f32_e64 s3, s7, 0
	s_delay_alu instid0(VALU_DEP_1) | instskip(NEXT) | instid1(SALU_CYCLE_1)
	s_or_b32 s2, s2, s3
	s_and_b32 vcc_lo, exec_lo, s2
	s_mov_b32 s2, -1
	s_cbranch_vccnz .LBB114_3
; %bb.2:
	v_cmp_neq_f32_e64 s2, s12, 1.0
	v_cmp_neq_f32_e64 s3, s13, 0
	s_delay_alu instid0(VALU_DEP_1)
	s_or_b32 s2, s2, s3
.LBB114_3:
	s_delay_alu instid0(SALU_CYCLE_1)
	s_and_not1_b32 vcc_lo, exec_lo, s2
	s_cbranch_vccnz .LBB114_47
; %bb.4:
	s_clause 0x2
	s_load_b64 s[2:3], s[0:1], 0x80
	s_load_b128 s[8:11], s[0:1], 0x68
	s_load_b32 s23, s[0:1], 0x78
	v_and_b32_e32 v1, 0x3ff, v0
	v_bfe_u32 v53, v0, 10, 10
	s_delay_alu instid0(VALU_DEP_1) | instskip(NEXT) | instid1(VALU_DEP_1)
	v_lshl_add_u32 v0, v53, 6, v1
	v_cmp_gt_u32_e32 vcc_lo, 0x100, v0
	s_waitcnt lgkmcnt(0)
	s_mul_i32 s3, s15, s3
	s_mul_hi_u32 s16, s15, s2
	s_mul_i32 s2, s15, s2
	s_add_i32 s3, s16, s3
	s_delay_alu instid0(SALU_CYCLE_1) | instskip(NEXT) | instid1(SALU_CYCLE_1)
	s_lshl_b64 s[2:3], s[2:3], 3
	s_add_u32 s8, s8, s2
	s_addc_u32 s9, s9, s3
	s_lshl_b64 s[2:3], s[10:11], 3
	s_delay_alu instid0(SALU_CYCLE_1) | instskip(SKIP_2) | instid1(SALU_CYCLE_1)
	s_add_u32 s21, s8, s2
	s_addc_u32 s22, s9, s3
	s_or_b32 s2, s6, s7
	s_bitset0_b32 s2, 31
	s_delay_alu instid0(SALU_CYCLE_1)
	s_cmp_lg_u32 s2, 0
	s_mov_b32 s2, -1
	s_cbranch_scc1 .LBB114_11
; %bb.5:
	s_and_saveexec_b32 s2, vcc_lo
	s_cbranch_execz .LBB114_10
; %bb.6:
	v_lshl_or_b32 v2, s14, 8, v0
	v_mov_b32_e32 v3, 0
	s_ashr_i32 s9, s4, 31
	s_mov_b32 s8, s4
	s_delay_alu instid0(VALU_DEP_1) | instid1(SALU_CYCLE_1)
	v_cmp_gt_i64_e32 vcc_lo, s[8:9], v[2:3]
	s_and_b32 exec_lo, exec_lo, vcc_lo
	s_cbranch_execz .LBB114_10
; %bb.7:
	v_mad_u64_u32 v[4:5], null, s23, v2, 0
	s_ashr_i32 s9, s23, 31
	v_cmp_neq_f32_e64 s3, s12, 0
	v_cmp_neq_f32_e64 s8, s13, 0
	s_delay_alu instid0(VALU_DEP_3) | instskip(NEXT) | instid1(VALU_DEP_2)
	v_mad_u64_u32 v[6:7], null, s9, v2, v[5:6]
	s_or_b32 s3, s3, s8
	s_delay_alu instid0(SALU_CYCLE_1) | instskip(NEXT) | instid1(VALU_DEP_1)
	s_and_not1_b32 vcc_lo, exec_lo, s3
	v_dual_mov_b32 v5, v6 :: v_dual_mov_b32 v6, v3
	s_delay_alu instid0(VALU_DEP_1)
	v_lshlrev_b64 v[4:5], 3, v[4:5]
	s_cbranch_vccnz .LBB114_9
; %bb.8:
	s_delay_alu instid0(VALU_DEP_1) | instskip(NEXT) | instid1(VALU_DEP_2)
	v_add_co_u32 v2, vcc_lo, s21, v4
	v_add_co_ci_u32_e32 v3, vcc_lo, s22, v5, vcc_lo
	global_load_b64 v[2:3], v[2:3], off
	s_waitcnt vmcnt(0)
	v_mul_f32_e32 v6, s12, v3
	s_delay_alu instid0(VALU_DEP_1) | instskip(NEXT) | instid1(VALU_DEP_1)
	v_dual_mul_f32 v7, s13, v3 :: v_dual_fmac_f32 v6, s13, v2
	v_fma_f32 v3, s12, v2, -v7
.LBB114_9:
	s_delay_alu instid0(VALU_DEP_1) | instskip(NEXT) | instid1(VALU_DEP_2)
	v_add_co_u32 v7, vcc_lo, s21, v4
	v_add_co_ci_u32_e32 v8, vcc_lo, s22, v5, vcc_lo
	s_delay_alu instid0(VALU_DEP_3)
	v_mov_b32_e32 v5, v3
	global_store_b64 v[7:8], v[5:6], off
.LBB114_10:
	s_or_b32 exec_lo, exec_lo, s2
	s_mov_b32 s2, 0
.LBB114_11:
	s_delay_alu instid0(SALU_CYCLE_1)
	s_and_not1_b32 vcc_lo, exec_lo, s2
	s_cbranch_vccnz .LBB114_47
; %bb.12:
	s_clause 0x5
	s_load_b128 s[8:11], s[0:1], 0x30
	s_load_b64 s[2:3], s[0:1], 0x50
	s_load_b128 s[16:19], s[0:1], 0x18
	s_load_b32 s20, s[0:1], 0x48
	s_load_b32 s24, s[0:1], 0x28
	s_load_b64 s[0:1], s[0:1], 0x40
	v_dual_mov_b32 v2, 0 :: v_dual_lshlrev_b32 v55, 2, v53
	v_dual_mov_b32 v3, 0 :: v_dual_mov_b32 v4, 0
	v_dual_mov_b32 v5, 0 :: v_dual_mov_b32 v6, 0
	;; [unrolled: 1-line block ×3, first 2 shown]
	s_waitcnt lgkmcnt(0)
	s_mul_i32 s9, s15, s9
	s_mul_hi_u32 s25, s15, s8
	s_mul_i32 s8, s15, s8
	s_add_i32 s9, s25, s9
	s_mul_i32 s3, s15, s3
	s_lshl_b64 s[8:9], s[8:9], 3
	s_mul_hi_u32 s25, s15, s2
	s_add_u32 s8, s16, s8
	s_addc_u32 s26, s17, s9
	s_lshl_b64 s[16:17], s[18:19], 3
	s_mul_i32 s2, s15, s2
	s_add_u32 s9, s8, s16
	s_addc_u32 s15, s26, s17
	s_add_i32 s3, s25, s3
	s_mov_b32 s16, exec_lo
	s_lshl_b64 s[2:3], s[2:3], 3
	s_delay_alu instid0(SALU_CYCLE_1) | instskip(SKIP_2) | instid1(SALU_CYCLE_1)
	s_add_u32 s2, s10, s2
	s_addc_u32 s3, s11, s3
	s_lshl_b64 s[0:1], s[0:1], 3
	s_add_u32 s10, s2, s0
	s_addc_u32 s11, s3, s1
	s_ashr_i32 s0, s5, 31
	s_lshl_b32 s8, s14, 8
	s_lshr_b32 s0, s0, 26
	v_dual_mov_b32 v7, 0 :: v_dual_add_nc_u32 v54, s8, v1
	s_add_i32 s0, s5, s0
	s_delay_alu instid0(SALU_CYCLE_1) | instskip(NEXT) | instid1(SALU_CYCLE_1)
	s_and_b32 s14, s0, 0xffffffc0
	v_cmpx_gt_i32_e64 s14, v55
	s_cbranch_execz .LBB114_24
; %bb.13:
	v_mul_lo_u32 v3, s24, v55
	v_add_nc_u32_e32 v2, 64, v54
	v_cmp_gt_i32_e32 vcc_lo, s4, v54
	s_lshl_b32 s17, s24, 6
	s_lshl_b32 s19, s20, 6
	s_mov_b32 s18, 0
	s_mov_b32 s25, 0
	s_delay_alu instid0(VALU_DEP_3) | instskip(SKIP_1) | instid1(VALU_DEP_1)
	v_add3_u32 v56, v3, s24, v1
	v_mul_lo_u32 v3, v53, s24
	v_lshl_add_u32 v57, v3, 2, v1
	v_mov_b32_e32 v3, 0
	v_add_nc_u32_e32 v5, 0xc0, v54
	v_add_nc_u32_e32 v4, 0x80, v54
	v_cmp_gt_i32_e64 s0, s4, v2
	s_delay_alu instid0(VALU_DEP_4) | instskip(NEXT) | instid1(VALU_DEP_4)
	v_dual_mov_b32 v7, v3 :: v_dual_add_nc_u32 v2, 2, v55
	v_cmp_gt_i32_e64 s2, s4, v5
	v_mul_lo_u32 v5, v53, s20
	v_mov_b32_e32 v6, v3
	s_delay_alu instid0(VALU_DEP_4)
	v_mad_u64_u32 v[10:11], null, s24, v2, v[1:2]
	v_mov_b32_e32 v9, v3
	v_mul_lo_u32 v58, s20, v2
	v_mov_b32_e32 v8, v3
	v_dual_mov_b32 v5, v3 :: v_dual_lshlrev_b32 v60, 2, v5
	v_cmp_gt_i32_e64 s1, s4, v4
	v_add_nc_u32_e32 v4, 3, v55
	s_delay_alu instid0(VALU_DEP_1)
	v_mad_u64_u32 v[11:12], null, s24, v4, v[1:2]
	v_mad_u64_u32 v[12:13], null, s20, v55, s[20:21]
	v_mul_lo_u32 v59, s20, v4
	v_mov_b32_e32 v2, v3
	v_mov_b32_e32 v4, v3
	s_branch .LBB114_18
.LBB114_14:                             ;   in Loop: Header=BB114_18 Depth=1
	s_or_b32 exec_lo, exec_lo, s28
	s_waitcnt vmcnt(3)
	v_mul_f32_e32 v45, v26, v44
	v_mul_f32_e32 v44, v25, v44
	s_waitcnt vmcnt(1)
	v_dual_mul_f32 v46, v22, v42 :: v_dual_mul_f32 v47, v16, v40
	v_mul_f32_e32 v42, v21, v42
	v_fma_f32 v45, v25, v43, -v45
	v_fmac_f32_e32 v44, v26, v43
	s_waitcnt vmcnt(0)
	v_mul_f32_e32 v43, v14, v38
	v_mul_f32_e32 v38, v13, v38
	v_fma_f32 v46, v21, v41, -v46
	v_dual_add_f32 v4, v4, v45 :: v_dual_add_f32 v5, v5, v44
	s_delay_alu instid0(VALU_DEP_3) | instskip(SKIP_4) | instid1(VALU_DEP_3)
	v_fmac_f32_e32 v38, v14, v37
	v_fmac_f32_e32 v42, v22, v41
	v_mul_f32_e32 v40, v15, v40
	v_fma_f32 v41, v15, v39, -v47
	v_add_f32_e32 v4, v4, v46
	v_dual_add_f32 v5, v5, v42 :: v_dual_fmac_f32 v40, v16, v39
	v_fma_f32 v39, v13, v37, -v43
	s_delay_alu instid0(VALU_DEP_2) | instskip(NEXT) | instid1(VALU_DEP_1)
	v_dual_add_f32 v4, v4, v41 :: v_dual_add_f32 v5, v5, v40
	v_dual_add_f32 v4, v4, v39 :: v_dual_add_f32 v5, v5, v38
.LBB114_15:                             ;   in Loop: Header=BB114_18 Depth=1
	s_or_b32 exec_lo, exec_lo, s27
	s_waitcnt vmcnt(3)
	v_mul_f32_e32 v37, v26, v36
	v_mul_f32_e32 v36, v25, v36
	s_waitcnt vmcnt(1)
	v_dual_mul_f32 v38, v22, v34 :: v_dual_mul_f32 v39, v16, v32
	v_mul_f32_e32 v34, v21, v34
	v_mul_f32_e32 v32, v15, v32
	v_fma_f32 v37, v25, v35, -v37
	s_delay_alu instid0(VALU_DEP_4) | instskip(NEXT) | instid1(VALU_DEP_3)
	v_fma_f32 v38, v21, v33, -v38
	v_fmac_f32_e32 v32, v16, v31
	v_fmac_f32_e32 v34, v22, v33
	;; [unrolled: 1-line block ×3, first 2 shown]
	v_add_f32_e32 v6, v6, v37
	s_waitcnt vmcnt(0)
	v_mul_f32_e32 v35, v14, v30
	v_mul_f32_e32 v30, v13, v30
	v_fma_f32 v33, v15, v31, -v39
	v_dual_add_f32 v7, v7, v36 :: v_dual_add_f32 v6, v6, v38
	s_delay_alu instid0(VALU_DEP_4) | instskip(NEXT) | instid1(VALU_DEP_2)
	v_fma_f32 v31, v13, v29, -v35
	v_dual_fmac_f32 v30, v14, v29 :: v_dual_add_f32 v7, v7, v34
	s_delay_alu instid0(VALU_DEP_1) | instskip(NEXT) | instid1(VALU_DEP_1)
	v_dual_add_f32 v6, v6, v33 :: v_dual_add_f32 v7, v7, v32
	v_dual_add_f32 v6, v6, v31 :: v_dual_add_f32 v7, v7, v30
.LBB114_16:                             ;   in Loop: Header=BB114_18 Depth=1
	s_or_b32 exec_lo, exec_lo, s3
	s_waitcnt vmcnt(3)
	v_mul_f32_e32 v29, v26, v28
	v_mul_f32_e32 v28, v25, v28
	s_waitcnt vmcnt(1)
	v_mul_f32_e32 v31, v16, v20
	v_mul_f32_e32 v20, v15, v20
	v_fma_f32 v25, v25, v27, -v29
	v_fmac_f32_e32 v28, v26, v27
	s_waitcnt vmcnt(0)
	v_mul_f32_e32 v26, v14, v18
	v_mul_f32_e32 v18, v13, v18
	v_fma_f32 v15, v15, v19, -v31
	v_dual_add_f32 v8, v8, v25 :: v_dual_add_f32 v9, v9, v28
	v_fmac_f32_e32 v20, v16, v19
	s_delay_alu instid0(VALU_DEP_4) | instskip(SKIP_3) | instid1(VALU_DEP_2)
	v_fmac_f32_e32 v18, v14, v17
	v_mul_f32_e32 v30, v22, v24
	v_mul_f32_e32 v24, v21, v24
	v_fma_f32 v13, v13, v17, -v26
	v_fmac_f32_e32 v24, v22, v23
	s_delay_alu instid0(VALU_DEP_1) | instskip(NEXT) | instid1(VALU_DEP_1)
	v_add_f32_e32 v9, v9, v24
	v_add_f32_e32 v9, v9, v20
	s_delay_alu instid0(VALU_DEP_1) | instskip(SKIP_1) | instid1(VALU_DEP_1)
	v_add_f32_e32 v9, v9, v18
	v_fma_f32 v21, v21, v23, -v30
	v_add_f32_e32 v8, v8, v21
	s_delay_alu instid0(VALU_DEP_1) | instskip(NEXT) | instid1(VALU_DEP_1)
	v_add_f32_e32 v8, v8, v15
	v_add_f32_e32 v8, v8, v13
.LBB114_17:                             ;   in Loop: Header=BB114_18 Depth=1
	s_or_b32 exec_lo, exec_lo, s26
	v_add_nc_u32_e32 v55, 64, v55
	v_add_nc_u32_e32 v56, s17, v56
	;; [unrolled: 1-line block ×5, first 2 shown]
	v_cmp_le_i32_e64 s3, s14, v55
	s_add_i32 s25, s25, s19
	s_delay_alu instid0(VALU_DEP_1) | instskip(NEXT) | instid1(SALU_CYCLE_1)
	s_or_b32 s18, s3, s18
	s_and_not1_b32 exec_lo, exec_lo, s18
	s_cbranch_execz .LBB114_23
.LBB114_18:                             ; =>This Inner Loop Header: Depth=1
	s_and_saveexec_b32 s26, vcc_lo
	s_cbranch_execz .LBB114_17
; %bb.19:                               ;   in Loop: Header=BB114_18 Depth=1
	v_add_nc_u32_e32 v13, s25, v60
	v_add_nc_u32_e32 v15, s25, v12
	;; [unrolled: 1-line block ×5, first 2 shown]
	v_ashrrev_i32_e32 v14, 31, v13
	v_ashrrev_i32_e32 v16, 31, v15
	v_ashrrev_i32_e32 v18, 31, v17
	v_ashrrev_i32_e32 v20, 31, v19
	v_add_nc_u32_e32 v23, s8, v56
	v_lshlrev_b64 v[13:14], 3, v[13:14]
	v_lshlrev_b64 v[15:16], 3, v[15:16]
	v_lshlrev_b64 v[17:18], 3, v[17:18]
	v_ashrrev_i32_e32 v22, 31, v21
	v_lshlrev_b64 v[19:20], 3, v[19:20]
	v_ashrrev_i32_e32 v24, 31, v23
	v_add_co_u32 v13, s3, s10, v13
	s_delay_alu instid0(VALU_DEP_1)
	v_add_co_ci_u32_e64 v14, s3, s11, v14, s3
	v_add_co_u32 v15, s3, s10, v15
	v_add_nc_u32_e32 v25, s8, v10
	v_add_co_ci_u32_e64 v16, s3, s11, v16, s3
	v_add_co_u32 v17, s3, s10, v17
	v_lshlrev_b64 v[21:22], 3, v[21:22]
	v_add_nc_u32_e32 v27, s8, v11
	v_add_co_ci_u32_e64 v18, s3, s11, v18, s3
	v_add_co_u32 v19, s3, s10, v19
	v_lshlrev_b64 v[23:24], 3, v[23:24]
	v_ashrrev_i32_e32 v26, 31, v25
	v_add_co_ci_u32_e64 v20, s3, s11, v20, s3
	v_add_co_u32 v51, s3, s9, v21
	v_ashrrev_i32_e32 v28, 31, v27
	v_add_co_ci_u32_e64 v52, s3, s15, v22, s3
	v_lshlrev_b64 v[21:22], 3, v[25:26]
	v_add_co_u32 v49, s3, s9, v23
	s_delay_alu instid0(VALU_DEP_1) | instskip(SKIP_1) | instid1(VALU_DEP_4)
	v_add_co_ci_u32_e64 v50, s3, s15, v24, s3
	v_lshlrev_b64 v[23:24], 3, v[27:28]
	v_add_co_u32 v47, s3, s9, v21
	s_delay_alu instid0(VALU_DEP_1) | instskip(NEXT) | instid1(VALU_DEP_3)
	v_add_co_ci_u32_e64 v48, s3, s15, v22, s3
	v_add_co_u32 v45, s3, s9, v23
	s_delay_alu instid0(VALU_DEP_1)
	v_add_co_ci_u32_e64 v46, s3, s15, v24, s3
	s_clause 0x3
	global_load_b64 v[25:26], v[13:14], off
	global_load_b64 v[21:22], v[15:16], off
	;; [unrolled: 1-line block ×4, first 2 shown]
	s_clause 0x3
	global_load_b64 v[27:28], v[51:52], off
	global_load_b64 v[23:24], v[49:50], off
	;; [unrolled: 1-line block ×4, first 2 shown]
	s_and_saveexec_b32 s3, s0
	s_cbranch_execz .LBB114_16
; %bb.20:                               ;   in Loop: Header=BB114_18 Depth=1
	s_clause 0x3
	global_load_b64 v[35:36], v[51:52], off offset:512
	global_load_b64 v[33:34], v[49:50], off offset:512
	global_load_b64 v[31:32], v[47:48], off offset:512
	global_load_b64 v[29:30], v[45:46], off offset:512
	s_and_saveexec_b32 s27, s1
	s_cbranch_execz .LBB114_15
; %bb.21:                               ;   in Loop: Header=BB114_18 Depth=1
	s_clause 0x3
	global_load_b64 v[43:44], v[51:52], off offset:1024
	global_load_b64 v[41:42], v[49:50], off offset:1024
	global_load_b64 v[39:40], v[47:48], off offset:1024
	global_load_b64 v[37:38], v[45:46], off offset:1024
	s_and_saveexec_b32 s28, s2
	s_cbranch_execz .LBB114_14
; %bb.22:                               ;   in Loop: Header=BB114_18 Depth=1
	s_clause 0x3
	global_load_b64 v[51:52], v[51:52], off offset:1536
	global_load_b64 v[49:50], v[49:50], off offset:1536
	global_load_b64 v[47:48], v[47:48], off offset:1536
	global_load_b64 v[45:46], v[45:46], off offset:1536
	s_waitcnt vmcnt(3)
	v_mul_f32_e32 v61, v26, v52
	v_mul_f32_e32 v52, v25, v52
	s_waitcnt vmcnt(1)
	v_dual_mul_f32 v62, v22, v50 :: v_dual_mul_f32 v63, v16, v48
	v_mul_f32_e32 v50, v21, v50
	v_mul_f32_e32 v48, v15, v48
	v_fma_f32 v61, v25, v51, -v61
	s_delay_alu instid0(VALU_DEP_4) | instskip(NEXT) | instid1(VALU_DEP_4)
	v_fma_f32 v62, v21, v49, -v62
	v_fmac_f32_e32 v50, v22, v49
	v_fmac_f32_e32 v52, v26, v51
	s_waitcnt vmcnt(0)
	v_mul_f32_e32 v51, v14, v46
	v_mul_f32_e32 v46, v13, v46
	v_fma_f32 v49, v15, v47, -v63
	s_delay_alu instid0(VALU_DEP_2) | instskip(SKIP_2) | instid1(VALU_DEP_3)
	v_dual_add_f32 v3, v3, v52 :: v_dual_fmac_f32 v46, v14, v45
	v_fmac_f32_e32 v48, v16, v47
	v_fma_f32 v47, v13, v45, -v51
	v_dual_add_f32 v3, v3, v50 :: v_dual_add_f32 v2, v2, v61
	s_delay_alu instid0(VALU_DEP_1) | instskip(NEXT) | instid1(VALU_DEP_1)
	v_dual_add_f32 v3, v3, v48 :: v_dual_add_f32 v2, v2, v62
	v_dual_add_f32 v3, v3, v46 :: v_dual_add_f32 v2, v2, v49
	s_delay_alu instid0(VALU_DEP_1)
	v_add_f32_e32 v2, v2, v47
	s_branch .LBB114_14
.LBB114_23:
	s_or_b32 exec_lo, exec_lo, s18
.LBB114_24:
	s_delay_alu instid0(SALU_CYCLE_1) | instskip(SKIP_1) | instid1(SALU_CYCLE_1)
	s_or_b32 exec_lo, exec_lo, s16
	s_sub_i32 s0, s5, s14
	s_cmp_lt_i32 s0, 1
	s_cbranch_scc1 .LBB114_42
; %bb.25:
	v_cmp_gt_i32_e32 vcc_lo, s5, v55
	v_dual_mov_b32 v10, 0 :: v_dual_mov_b32 v11, 0
	v_or_b32_e32 v18, 1, v55
	v_dual_mov_b32 v12, 0 :: v_dual_mov_b32 v13, 0
	v_dual_mov_b32 v14, 0 :: v_dual_mov_b32 v15, 0
	;; [unrolled: 1-line block ×3, first 2 shown]
	s_and_saveexec_b32 s1, vcc_lo
	s_cbranch_execz .LBB114_33
; %bb.26:
	v_mul_lo_u32 v10, v55, s20
	v_dual_mov_b32 v17, 0 :: v_dual_mov_b32 v16, 0
	v_dual_mov_b32 v15, 0 :: v_dual_mov_b32 v14, 0
	;; [unrolled: 1-line block ×3, first 2 shown]
	s_mov_b32 s2, exec_lo
	s_delay_alu instid0(VALU_DEP_4) | instskip(NEXT) | instid1(VALU_DEP_1)
	v_ashrrev_i32_e32 v11, 31, v10
	v_lshlrev_b64 v[10:11], 3, v[10:11]
	s_delay_alu instid0(VALU_DEP_1) | instskip(NEXT) | instid1(VALU_DEP_1)
	v_add_co_u32 v10, s0, s10, v10
	v_add_co_ci_u32_e64 v11, s0, s11, v11, s0
	global_load_b64 v[10:11], v[10:11], off
	v_cmpx_gt_i32_e64 s5, v18
	s_cbranch_execz .LBB114_32
; %bb.27:
	v_mul_lo_u32 v12, v18, s20
	v_or_b32_e32 v19, 2, v55
	v_dual_mov_b32 v17, 0 :: v_dual_mov_b32 v16, 0
	v_dual_mov_b32 v15, 0 :: v_dual_mov_b32 v14, 0
	s_mov_b32 s3, exec_lo
	s_delay_alu instid0(VALU_DEP_4) | instskip(NEXT) | instid1(VALU_DEP_1)
	v_ashrrev_i32_e32 v13, 31, v12
	v_lshlrev_b64 v[12:13], 3, v[12:13]
	s_delay_alu instid0(VALU_DEP_1) | instskip(NEXT) | instid1(VALU_DEP_1)
	v_add_co_u32 v12, s0, s10, v12
	v_add_co_ci_u32_e64 v13, s0, s11, v13, s0
	global_load_b64 v[12:13], v[12:13], off
	v_cmpx_gt_i32_e64 s5, v19
	s_cbranch_execz .LBB114_31
; %bb.28:
	v_mul_lo_u32 v14, v19, s20
	v_or_b32_e32 v19, 3, v55
	v_dual_mov_b32 v17, 0 :: v_dual_mov_b32 v16, 0
	s_mov_b32 s14, exec_lo
	s_delay_alu instid0(VALU_DEP_3) | instskip(NEXT) | instid1(VALU_DEP_1)
	v_ashrrev_i32_e32 v15, 31, v14
	v_lshlrev_b64 v[14:15], 3, v[14:15]
	s_delay_alu instid0(VALU_DEP_1) | instskip(NEXT) | instid1(VALU_DEP_1)
	v_add_co_u32 v14, s0, s10, v14
	v_add_co_ci_u32_e64 v15, s0, s11, v15, s0
	global_load_b64 v[14:15], v[14:15], off
	v_cmpx_gt_i32_e64 s5, v19
	s_cbranch_execz .LBB114_30
; %bb.29:
	v_mul_lo_u32 v16, v19, s20
	s_delay_alu instid0(VALU_DEP_1) | instskip(NEXT) | instid1(VALU_DEP_1)
	v_ashrrev_i32_e32 v17, 31, v16
	v_lshlrev_b64 v[16:17], 3, v[16:17]
	s_delay_alu instid0(VALU_DEP_1) | instskip(NEXT) | instid1(VALU_DEP_1)
	v_add_co_u32 v16, s0, s10, v16
	v_add_co_ci_u32_e64 v17, s0, s11, v17, s0
	global_load_b64 v[16:17], v[16:17], off
.LBB114_30:
	s_or_b32 exec_lo, exec_lo, s14
.LBB114_31:
	s_delay_alu instid0(SALU_CYCLE_1)
	s_or_b32 exec_lo, exec_lo, s3
.LBB114_32:
	s_delay_alu instid0(SALU_CYCLE_1)
	s_or_b32 exec_lo, exec_lo, s2
.LBB114_33:
	s_delay_alu instid0(SALU_CYCLE_1) | instskip(NEXT) | instid1(SALU_CYCLE_1)
	s_or_b32 exec_lo, exec_lo, s1
	s_mov_b32 s1, exec_lo
	v_cmpx_gt_i32_e64 s4, v54
	s_cbranch_execz .LBB114_41
; %bb.34:
	v_mul_lo_u32 v19, v55, s24
	v_mul_lo_u32 v20, v18, s24
	v_or_b32_e32 v21, 2, v55
	v_or_b32_e32 v22, 3, v55
	s_mov_b32 s0, exec_lo
	s_delay_alu instid0(VALU_DEP_2)
	v_mul_lo_u32 v23, v21, s24
	v_cndmask_b32_e32 v19, 0, v19, vcc_lo
	v_cmp_gt_i32_e32 vcc_lo, s5, v18
	v_mul_lo_u32 v24, v22, s24
	v_cndmask_b32_e32 v20, 0, v20, vcc_lo
	v_cmp_gt_i32_e32 vcc_lo, s5, v21
	v_add_nc_u32_e32 v18, v19, v54
	s_delay_alu instid0(VALU_DEP_3) | instskip(NEXT) | instid1(VALU_DEP_2)
	v_dual_cndmask_b32 v23, 0, v23 :: v_dual_add_nc_u32 v20, v20, v54
	v_ashrrev_i32_e32 v19, 31, v18
	v_cmp_gt_i32_e32 vcc_lo, s5, v22
	s_delay_alu instid0(VALU_DEP_3) | instskip(NEXT) | instid1(VALU_DEP_3)
	v_ashrrev_i32_e32 v21, 31, v20
	v_lshlrev_b64 v[18:19], 3, v[18:19]
	v_cndmask_b32_e32 v24, 0, v24, vcc_lo
	s_delay_alu instid0(VALU_DEP_3) | instskip(NEXT) | instid1(VALU_DEP_2)
	v_lshlrev_b64 v[20:21], 3, v[20:21]
	v_add_nc_u32_e32 v26, v24, v54
	s_delay_alu instid0(VALU_DEP_4) | instskip(SKIP_1) | instid1(VALU_DEP_4)
	v_add_co_u32 v24, vcc_lo, s9, v18
	v_add_co_ci_u32_e32 v25, vcc_lo, s15, v19, vcc_lo
	v_add_co_u32 v20, vcc_lo, s9, v20
	v_add_co_ci_u32_e32 v21, vcc_lo, s15, v21, vcc_lo
	s_clause 0x1
	global_load_b64 v[28:29], v[24:25], off
	global_load_b64 v[30:31], v[20:21], off
	s_waitcnt vmcnt(0)
	v_dual_mul_f32 v35, v13, v31 :: v_dual_add_nc_u32 v22, v23, v54
	v_dual_mul_f32 v31, v12, v31 :: v_dual_mul_f32 v34, v11, v29
	v_mul_f32_e32 v29, v10, v29
	s_delay_alu instid0(VALU_DEP_3) | instskip(NEXT) | instid1(VALU_DEP_3)
	v_ashrrev_i32_e32 v23, 31, v22
	v_fmac_f32_e32 v31, v13, v30
	s_delay_alu instid0(VALU_DEP_4) | instskip(NEXT) | instid1(VALU_DEP_4)
	v_fma_f32 v34, v10, v28, -v34
	v_fmac_f32_e32 v29, v11, v28
	v_ashrrev_i32_e32 v27, 31, v26
	v_lshlrev_b64 v[18:19], 3, v[22:23]
	v_fma_f32 v28, v12, v30, -v35
	s_delay_alu instid0(VALU_DEP_4) | instskip(NEXT) | instid1(VALU_DEP_4)
	v_dual_add_f32 v8, v8, v34 :: v_dual_add_f32 v29, v9, v29
	v_lshlrev_b64 v[26:27], 3, v[26:27]
	s_delay_alu instid0(VALU_DEP_4) | instskip(SKIP_1) | instid1(VALU_DEP_3)
	v_add_co_u32 v22, vcc_lo, s9, v18
	v_add_co_ci_u32_e32 v23, vcc_lo, s15, v19, vcc_lo
	v_add_co_u32 v18, vcc_lo, s9, v26
	s_delay_alu instid0(VALU_DEP_4)
	v_add_co_ci_u32_e32 v19, vcc_lo, s15, v27, vcc_lo
	s_clause 0x1
	global_load_b64 v[26:27], v[22:23], off
	global_load_b64 v[32:33], v[18:19], off
	s_waitcnt vmcnt(0)
	v_dual_mul_f32 v30, v15, v27 :: v_dual_mul_f32 v35, v17, v33
	v_mul_f32_e32 v27, v14, v27
	v_mul_f32_e32 v9, v16, v33
	s_delay_alu instid0(VALU_DEP_3) | instskip(NEXT) | instid1(VALU_DEP_3)
	v_fma_f32 v30, v14, v26, -v30
	v_dual_fmac_f32 v27, v15, v26 :: v_dual_add_f32 v26, v8, v28
	v_dual_add_f32 v28, v29, v31 :: v_dual_add_nc_u32 v29, 64, v54
	v_fma_f32 v8, v16, v32, -v35
	s_delay_alu instid0(VALU_DEP_3) | instskip(NEXT) | instid1(VALU_DEP_3)
	v_dual_fmac_f32 v9, v17, v32 :: v_dual_add_f32 v26, v26, v30
	v_add_f32_e32 v27, v28, v27
	s_delay_alu instid0(VALU_DEP_4)
	v_cmpx_gt_i32_e64 s4, v29
	s_cbranch_execz .LBB114_40
; %bb.35:
	s_clause 0x3
	global_load_b64 v[28:29], v[24:25], off offset:512
	global_load_b64 v[30:31], v[20:21], off offset:512
	;; [unrolled: 1-line block ×4, first 2 shown]
	s_mov_b32 s2, exec_lo
	s_waitcnt vmcnt(2)
	v_dual_mul_f32 v36, v11, v29 :: v_dual_mul_f32 v37, v13, v31
	v_mul_f32_e32 v29, v10, v29
	s_waitcnt vmcnt(1)
	v_dual_mul_f32 v31, v12, v31 :: v_dual_mul_f32 v38, v15, v33
	s_delay_alu instid0(VALU_DEP_3) | instskip(SKIP_1) | instid1(VALU_DEP_3)
	v_fma_f32 v36, v10, v28, -v36
	v_fma_f32 v37, v12, v30, -v37
	v_fmac_f32_e32 v31, v13, v30
	s_delay_alu instid0(VALU_DEP_4) | instskip(NEXT) | instid1(VALU_DEP_4)
	v_fma_f32 v30, v14, v32, -v38
	v_add_f32_e32 v6, v6, v36
	v_mul_f32_e32 v33, v14, v33
	s_waitcnt vmcnt(0)
	v_dual_fmac_f32 v29, v11, v28 :: v_dual_mul_f32 v28, v17, v35
	s_delay_alu instid0(VALU_DEP_2) | instskip(NEXT) | instid1(VALU_DEP_2)
	v_dual_fmac_f32 v33, v15, v32 :: v_dual_add_f32 v32, v6, v37
	v_add_f32_e32 v29, v7, v29
	v_mul_f32_e32 v7, v16, v35
	s_delay_alu instid0(VALU_DEP_4) | instskip(NEXT) | instid1(VALU_DEP_3)
	v_fma_f32 v6, v16, v34, -v28
	v_dual_add_f32 v28, v32, v30 :: v_dual_add_f32 v29, v29, v31
	v_add_nc_u32_e32 v31, 0x80, v54
	s_delay_alu instid0(VALU_DEP_4) | instskip(NEXT) | instid1(VALU_DEP_3)
	v_fmac_f32_e32 v7, v17, v34
	v_add_f32_e32 v29, v29, v33
	s_delay_alu instid0(VALU_DEP_3)
	v_cmpx_gt_i32_e64 s4, v31
	s_cbranch_execz .LBB114_39
; %bb.36:
	s_clause 0x3
	global_load_b64 v[30:31], v[24:25], off offset:1024
	global_load_b64 v[32:33], v[20:21], off offset:1024
	;; [unrolled: 1-line block ×4, first 2 shown]
	s_mov_b32 s3, exec_lo
	s_waitcnt vmcnt(2)
	v_dual_mul_f32 v38, v11, v31 :: v_dual_mul_f32 v39, v13, v33
	v_mul_f32_e32 v31, v10, v31
	s_waitcnt vmcnt(1)
	v_dual_mul_f32 v33, v12, v33 :: v_dual_mul_f32 v40, v15, v35
	s_delay_alu instid0(VALU_DEP_3) | instskip(SKIP_2) | instid1(VALU_DEP_4)
	v_fma_f32 v38, v10, v30, -v38
	v_mul_f32_e32 v35, v14, v35
	v_fma_f32 v39, v12, v32, -v39
	v_fmac_f32_e32 v33, v13, v32
	v_fma_f32 v32, v14, v34, -v40
	v_add_f32_e32 v4, v4, v38
	s_waitcnt vmcnt(0)
	v_dual_fmac_f32 v31, v11, v30 :: v_dual_mul_f32 v30, v17, v37
	s_delay_alu instid0(VALU_DEP_2) | instskip(NEXT) | instid1(VALU_DEP_2)
	v_dual_fmac_f32 v35, v15, v34 :: v_dual_add_f32 v34, v4, v39
	v_add_f32_e32 v31, v5, v31
	v_mul_f32_e32 v5, v16, v37
	s_delay_alu instid0(VALU_DEP_4) | instskip(NEXT) | instid1(VALU_DEP_3)
	v_fma_f32 v4, v16, v36, -v30
	v_dual_add_f32 v30, v34, v32 :: v_dual_add_f32 v31, v31, v33
	v_add_nc_u32_e32 v33, 0xc0, v54
	s_delay_alu instid0(VALU_DEP_4) | instskip(NEXT) | instid1(VALU_DEP_3)
	v_fmac_f32_e32 v5, v17, v36
	v_add_f32_e32 v31, v31, v35
	s_delay_alu instid0(VALU_DEP_3)
	v_cmpx_gt_i32_e64 s4, v33
	s_cbranch_execz .LBB114_38
; %bb.37:
	s_clause 0x3
	global_load_b64 v[24:25], v[24:25], off offset:1536
	global_load_b64 v[20:21], v[20:21], off offset:1536
	global_load_b64 v[22:23], v[22:23], off offset:1536
	global_load_b64 v[18:19], v[18:19], off offset:1536
	s_waitcnt vmcnt(3)
	v_mul_f32_e32 v32, v11, v25
	s_waitcnt vmcnt(1)
	v_dual_mul_f32 v25, v10, v25 :: v_dual_mul_f32 v34, v15, v23
	v_mul_f32_e32 v23, v14, v23
	s_delay_alu instid0(VALU_DEP_3) | instskip(SKIP_1) | instid1(VALU_DEP_4)
	v_fma_f32 v10, v10, v24, -v32
	v_mul_f32_e32 v33, v13, v21
	v_fmac_f32_e32 v25, v11, v24
	s_delay_alu instid0(VALU_DEP_4) | instskip(NEXT) | instid1(VALU_DEP_4)
	v_fmac_f32_e32 v23, v15, v22
	v_add_f32_e32 v2, v2, v10
	s_waitcnt vmcnt(0)
	v_mul_f32_e32 v10, v16, v19
	v_mul_f32_e32 v21, v12, v21
	v_fma_f32 v12, v12, v20, -v33
	s_delay_alu instid0(VALU_DEP_3) | instskip(NEXT) | instid1(VALU_DEP_2)
	v_dual_add_f32 v3, v3, v25 :: v_dual_fmac_f32 v10, v17, v18
	v_add_f32_e32 v2, v2, v12
	s_delay_alu instid0(VALU_DEP_4) | instskip(SKIP_1) | instid1(VALU_DEP_1)
	v_fmac_f32_e32 v21, v13, v20
	v_fma_f32 v13, v14, v22, -v34
	v_dual_mul_f32 v11, v17, v19 :: v_dual_add_f32 v2, v2, v13
	s_delay_alu instid0(VALU_DEP_1) | instskip(NEXT) | instid1(VALU_DEP_1)
	v_fma_f32 v11, v16, v18, -v11
	v_dual_add_f32 v2, v2, v11 :: v_dual_add_f32 v3, v3, v21
	s_delay_alu instid0(VALU_DEP_1) | instskip(NEXT) | instid1(VALU_DEP_1)
	v_add_f32_e32 v3, v3, v23
	v_add_f32_e32 v3, v3, v10
.LBB114_38:
	s_or_b32 exec_lo, exec_lo, s3
	s_delay_alu instid0(VALU_DEP_2)
	v_dual_add_f32 v4, v30, v4 :: v_dual_add_f32 v5, v31, v5
.LBB114_39:
	s_or_b32 exec_lo, exec_lo, s2
	s_delay_alu instid0(VALU_DEP_2)
	v_dual_add_f32 v6, v28, v6 :: v_dual_add_f32 v7, v29, v7
.LBB114_40:
	s_or_b32 exec_lo, exec_lo, s0
	s_delay_alu instid0(VALU_DEP_2)
	v_dual_add_f32 v8, v26, v8 :: v_dual_add_f32 v9, v27, v9
.LBB114_41:
	s_or_b32 exec_lo, exec_lo, s1
.LBB114_42:
	s_waitcnt vmcnt(0)
	v_lshlrev_b32_e32 v10, 8, v53
	s_mov_b32 s0, exec_lo
	s_delay_alu instid0(VALU_DEP_1)
	v_add_lshl_u32 v1, v10, v1, 3
	ds_store_2addr_stride64_b64 v1, v[8:9], v[6:7] offset1:1
	ds_store_2addr_stride64_b64 v1, v[4:5], v[2:3] offset0:2 offset1:3
	s_waitcnt lgkmcnt(0)
	s_waitcnt_vscnt null, 0x0
	s_barrier
	buffer_gl0_inv
	v_cmpx_gt_u32_e32 0x100, v0
	s_cbranch_execz .LBB114_47
; %bb.43:
	v_lshlrev_b32_e32 v13, 3, v0
	v_or_b32_e32 v0, s8, v0
	ds_load_2addr_stride64_b64 v[1:4], v13 offset1:4
	ds_load_2addr_stride64_b64 v[5:8], v13 offset0:8 offset1:12
	ds_load_2addr_stride64_b64 v[9:12], v13 offset0:16 offset1:20
	v_cmp_gt_i32_e32 vcc_lo, s4, v0
	s_waitcnt lgkmcnt(2)
	v_add_f32_e32 v14, v1, v3
	s_waitcnt lgkmcnt(1)
	s_delay_alu instid0(VALU_DEP_1) | instskip(SKIP_4) | instid1(VALU_DEP_1)
	v_add_f32_e32 v5, v14, v5
	v_add_f32_e32 v15, v2, v4
	ds_load_2addr_stride64_b64 v[1:4], v13 offset0:24 offset1:28
	v_add_f32_e32 v14, v5, v7
	s_waitcnt lgkmcnt(1)
	v_dual_add_f32 v6, v15, v6 :: v_dual_add_f32 v9, v14, v9
	s_delay_alu instid0(VALU_DEP_1) | instskip(SKIP_3) | instid1(VALU_DEP_1)
	v_add_f32_e32 v15, v6, v8
	ds_load_2addr_stride64_b64 v[5:8], v13 offset0:32 offset1:36
	v_add_f32_e32 v14, v9, v11
	s_waitcnt lgkmcnt(1)
	v_dual_add_f32 v10, v15, v10 :: v_dual_add_f32 v1, v14, v1
	s_delay_alu instid0(VALU_DEP_1) | instskip(SKIP_3) | instid1(VALU_DEP_1)
	;; [unrolled: 6-line block ×3, first 2 shown]
	v_add_f32_e32 v15, v2, v4
	ds_load_2addr_stride64_b64 v[1:4], v13 offset0:48 offset1:52
	v_add_f32_e32 v14, v5, v7
	v_add_f32_e32 v6, v15, v6
	;; [unrolled: 1-line block ×3, first 2 shown]
	ds_load_2addr_stride64_b64 v[5:8], v13 offset0:56 offset1:60
	s_waitcnt lgkmcnt(2)
	v_dual_add_f32 v9, v14, v9 :: v_dual_add_f32 v10, v15, v10
	s_delay_alu instid0(VALU_DEP_1) | instskip(SKIP_1) | instid1(VALU_DEP_1)
	v_dual_add_f32 v9, v9, v11 :: v_dual_add_f32 v10, v10, v12
	s_waitcnt lgkmcnt(1)
	v_dual_add_f32 v1, v9, v1 :: v_dual_add_f32 v2, v10, v2
	s_delay_alu instid0(VALU_DEP_1) | instskip(SKIP_1) | instid1(VALU_DEP_1)
	v_dual_add_f32 v1, v1, v3 :: v_dual_add_f32 v2, v2, v4
	s_waitcnt lgkmcnt(0)
	v_add_f32_e32 v1, v1, v5
	s_delay_alu instid0(VALU_DEP_1) | instskip(NEXT) | instid1(VALU_DEP_1)
	v_dual_add_f32 v3, v2, v6 :: v_dual_add_f32 v2, v1, v7
	v_add_f32_e32 v3, v3, v8
	ds_store_b64 v13, v[2:3]
	s_and_b32 exec_lo, exec_lo, vcc_lo
	s_cbranch_execz .LBB114_47
; %bb.44:
	v_mul_lo_u32 v4, v0, s23
	v_mul_f32_e32 v1, s6, v3
	v_mul_f32_e32 v0, s7, v3
	v_cmp_neq_f32_e64 s0, s12, 0
	v_cmp_neq_f32_e64 s1, s13, 0
	s_delay_alu instid0(VALU_DEP_4) | instskip(NEXT) | instid1(VALU_DEP_4)
	v_fmac_f32_e32 v1, s7, v2
	v_fma_f32 v0, v2, s6, -v0
	v_ashrrev_i32_e32 v5, 31, v4
	s_delay_alu instid0(VALU_DEP_4) | instskip(NEXT) | instid1(SALU_CYCLE_1)
	s_or_b32 s0, s0, s1
	s_and_not1_b32 vcc_lo, exec_lo, s0
	s_delay_alu instid0(VALU_DEP_1)
	v_lshlrev_b64 v[3:4], 3, v[4:5]
	s_cbranch_vccnz .LBB114_46
; %bb.45:
	s_delay_alu instid0(VALU_DEP_1) | instskip(NEXT) | instid1(VALU_DEP_2)
	v_add_co_u32 v5, vcc_lo, s21, v3
	v_add_co_ci_u32_e32 v6, vcc_lo, s22, v4, vcc_lo
	global_load_b64 v[5:6], v[5:6], off
	s_waitcnt vmcnt(0)
	v_mul_f32_e32 v2, s13, v6
	v_mul_f32_e32 v6, s12, v6
	s_delay_alu instid0(VALU_DEP_2) | instskip(NEXT) | instid1(VALU_DEP_2)
	v_fma_f32 v2, s12, v5, -v2
	v_fmac_f32_e32 v6, s13, v5
	s_delay_alu instid0(VALU_DEP_2) | instskip(NEXT) | instid1(VALU_DEP_2)
	v_add_f32_e32 v0, v0, v2
	v_add_f32_e32 v1, v1, v6
.LBB114_46:
	s_delay_alu instid0(VALU_DEP_1) | instskip(NEXT) | instid1(VALU_DEP_2)
	v_add_co_u32 v2, vcc_lo, s21, v3
	v_add_co_ci_u32_e32 v3, vcc_lo, s22, v4, vcc_lo
	global_store_b64 v[2:3], v[0:1], off
.LBB114_47:
	s_nop 0
	s_sendmsg sendmsg(MSG_DEALLOC_VGPRS)
	s_endpgm
	.section	.rodata,"a",@progbits
	.p2align	6, 0x0
	.amdhsa_kernel _ZL20rocblas_gemvn_kernelILi64ELi16Ei19rocblas_complex_numIfES1_S1_EviiT3_lPKT2_lT1_lS5_lS6_lS2_lPT4_lS6_li
		.amdhsa_group_segment_fixed_size 32768
		.amdhsa_private_segment_fixed_size 0
		.amdhsa_kernarg_size 400
		.amdhsa_user_sgpr_count 14
		.amdhsa_user_sgpr_dispatch_ptr 0
		.amdhsa_user_sgpr_queue_ptr 0
		.amdhsa_user_sgpr_kernarg_segment_ptr 1
		.amdhsa_user_sgpr_dispatch_id 0
		.amdhsa_user_sgpr_private_segment_size 0
		.amdhsa_wavefront_size32 1
		.amdhsa_uses_dynamic_stack 0
		.amdhsa_enable_private_segment 0
		.amdhsa_system_sgpr_workgroup_id_x 1
		.amdhsa_system_sgpr_workgroup_id_y 0
		.amdhsa_system_sgpr_workgroup_id_z 1
		.amdhsa_system_sgpr_workgroup_info 0
		.amdhsa_system_vgpr_workitem_id 1
		.amdhsa_next_free_vgpr 64
		.amdhsa_next_free_sgpr 29
		.amdhsa_reserve_vcc 1
		.amdhsa_float_round_mode_32 0
		.amdhsa_float_round_mode_16_64 0
		.amdhsa_float_denorm_mode_32 3
		.amdhsa_float_denorm_mode_16_64 3
		.amdhsa_dx10_clamp 1
		.amdhsa_ieee_mode 1
		.amdhsa_fp16_overflow 0
		.amdhsa_workgroup_processor_mode 1
		.amdhsa_memory_ordered 1
		.amdhsa_forward_progress 0
		.amdhsa_shared_vgpr_count 0
		.amdhsa_exception_fp_ieee_invalid_op 0
		.amdhsa_exception_fp_denorm_src 0
		.amdhsa_exception_fp_ieee_div_zero 0
		.amdhsa_exception_fp_ieee_overflow 0
		.amdhsa_exception_fp_ieee_underflow 0
		.amdhsa_exception_fp_ieee_inexact 0
		.amdhsa_exception_int_div_zero 0
	.end_amdhsa_kernel
	.section	.text._ZL20rocblas_gemvn_kernelILi64ELi16Ei19rocblas_complex_numIfES1_S1_EviiT3_lPKT2_lT1_lS5_lS6_lS2_lPT4_lS6_li,"axG",@progbits,_ZL20rocblas_gemvn_kernelILi64ELi16Ei19rocblas_complex_numIfES1_S1_EviiT3_lPKT2_lT1_lS5_lS6_lS2_lPT4_lS6_li,comdat
.Lfunc_end114:
	.size	_ZL20rocblas_gemvn_kernelILi64ELi16Ei19rocblas_complex_numIfES1_S1_EviiT3_lPKT2_lT1_lS5_lS6_lS2_lPT4_lS6_li, .Lfunc_end114-_ZL20rocblas_gemvn_kernelILi64ELi16Ei19rocblas_complex_numIfES1_S1_EviiT3_lPKT2_lT1_lS5_lS6_lS2_lPT4_lS6_li
                                        ; -- End function
	.section	.AMDGPU.csdata,"",@progbits
; Kernel info:
; codeLenInByte = 4032
; NumSgprs: 31
; NumVgprs: 64
; ScratchSize: 0
; MemoryBound: 0
; FloatMode: 240
; IeeeMode: 1
; LDSByteSize: 32768 bytes/workgroup (compile time only)
; SGPRBlocks: 3
; VGPRBlocks: 7
; NumSGPRsForWavesPerEU: 31
; NumVGPRsForWavesPerEU: 64
; Occupancy: 16
; WaveLimiterHint : 1
; COMPUTE_PGM_RSRC2:SCRATCH_EN: 0
; COMPUTE_PGM_RSRC2:USER_SGPR: 14
; COMPUTE_PGM_RSRC2:TRAP_HANDLER: 0
; COMPUTE_PGM_RSRC2:TGID_X_EN: 1
; COMPUTE_PGM_RSRC2:TGID_Y_EN: 0
; COMPUTE_PGM_RSRC2:TGID_Z_EN: 1
; COMPUTE_PGM_RSRC2:TIDIG_COMP_CNT: 1
	.section	.text._ZL20rocblas_gemvn_kernelILi64ELi16El19rocblas_complex_numIfES1_S1_EviiT3_lPKT2_lT1_lS5_lS6_lS2_lPT4_lS6_li,"axG",@progbits,_ZL20rocblas_gemvn_kernelILi64ELi16El19rocblas_complex_numIfES1_S1_EviiT3_lPKT2_lT1_lS5_lS6_lS2_lPT4_lS6_li,comdat
	.globl	_ZL20rocblas_gemvn_kernelILi64ELi16El19rocblas_complex_numIfES1_S1_EviiT3_lPKT2_lT1_lS5_lS6_lS2_lPT4_lS6_li ; -- Begin function _ZL20rocblas_gemvn_kernelILi64ELi16El19rocblas_complex_numIfES1_S1_EviiT3_lPKT2_lT1_lS5_lS6_lS2_lPT4_lS6_li
	.p2align	8
	.type	_ZL20rocblas_gemvn_kernelILi64ELi16El19rocblas_complex_numIfES1_S1_EviiT3_lPKT2_lT1_lS5_lS6_lS2_lPT4_lS6_li,@function
_ZL20rocblas_gemvn_kernelILi64ELi16El19rocblas_complex_numIfES1_S1_EviiT3_lPKT2_lT1_lS5_lS6_lS2_lPT4_lS6_li: ; @_ZL20rocblas_gemvn_kernelILi64ELi16El19rocblas_complex_numIfES1_S1_EviiT3_lPKT2_lT1_lS5_lS6_lS2_lPT4_lS6_li
; %bb.0:
	s_load_b64 s[2:3], s[0:1], 0x9c
	s_waitcnt lgkmcnt(0)
	s_lshr_b32 s4, s2, 16
	s_and_b32 s2, s2, 0xffff
	s_and_b32 s3, s3, 0xffff
	s_mul_i32 s2, s4, s2
	s_delay_alu instid0(SALU_CYCLE_1) | instskip(NEXT) | instid1(SALU_CYCLE_1)
	s_mul_i32 s2, s2, s3
	s_cmpk_lg_i32 s2, 0x400
	s_cbranch_scc1 .LBB115_47
; %bb.1:
	s_clause 0x1
	s_load_b128 s[36:39], s[0:1], 0x0
	s_load_b64 s[12:13], s[0:1], 0x58
	s_waitcnt lgkmcnt(0)
	v_cmp_neq_f32_e64 s2, s38, 0
	v_cmp_neq_f32_e64 s3, s39, 0
	s_delay_alu instid0(VALU_DEP_1) | instskip(NEXT) | instid1(SALU_CYCLE_1)
	s_or_b32 s2, s2, s3
	s_and_b32 vcc_lo, exec_lo, s2
	s_mov_b32 s2, -1
	s_cbranch_vccnz .LBB115_3
; %bb.2:
	v_cmp_neq_f32_e64 s2, s12, 1.0
	v_cmp_neq_f32_e64 s3, s13, 0
	s_delay_alu instid0(VALU_DEP_1)
	s_or_b32 s2, s2, s3
.LBB115_3:
	s_delay_alu instid0(SALU_CYCLE_1)
	s_and_not1_b32 vcc_lo, exec_lo, s2
	s_cbranch_vccnz .LBB115_47
; %bb.4:
	s_load_b256 s[4:11], s[0:1], 0x68
	v_and_b32_e32 v55, 0x3ff, v0
	v_bfe_u32 v56, v0, 10, 10
	s_delay_alu instid0(VALU_DEP_1) | instskip(NEXT) | instid1(VALU_DEP_1)
	v_lshl_add_u32 v54, v56, 6, v55
	v_cmp_gt_u32_e32 vcc_lo, 0x100, v54
	s_waitcnt lgkmcnt(0)
	s_mul_i32 s3, s15, s11
	s_mul_hi_u32 s11, s15, s10
	s_mul_i32 s2, s15, s10
	s_add_i32 s3, s11, s3
	s_delay_alu instid0(SALU_CYCLE_1) | instskip(NEXT) | instid1(SALU_CYCLE_1)
	s_lshl_b64 s[2:3], s[2:3], 3
	s_add_u32 s4, s4, s2
	s_addc_u32 s10, s5, s3
	s_lshl_b64 s[2:3], s[6:7], 3
	s_delay_alu instid0(SALU_CYCLE_1) | instskip(SKIP_2) | instid1(SALU_CYCLE_1)
	s_add_u32 s5, s4, s2
	s_addc_u32 s33, s10, s3
	s_or_b32 s2, s38, s39
	s_bitset0_b32 s2, 31
	s_delay_alu instid0(SALU_CYCLE_1)
	s_cmp_lg_u32 s2, 0
	s_mov_b32 s2, -1
	s_cbranch_scc1 .LBB115_11
; %bb.5:
	s_and_saveexec_b32 s2, vcc_lo
	s_cbranch_execz .LBB115_10
; %bb.6:
	v_lshl_or_b32 v0, s14, 8, v54
	v_mov_b32_e32 v1, 0
	s_ashr_i32 s7, s36, 31
	s_mov_b32 s6, s36
	s_delay_alu instid0(VALU_DEP_1) | instid1(SALU_CYCLE_1)
	v_cmp_gt_i64_e32 vcc_lo, s[6:7], v[0:1]
	s_and_b32 exec_lo, exec_lo, vcc_lo
	s_cbranch_execz .LBB115_10
; %bb.7:
	v_mad_u64_u32 v[2:3], null, v0, s8, 0
	v_cmp_neq_f32_e64 s3, s12, 0
	v_cmp_neq_f32_e64 s4, s13, 0
	s_delay_alu instid0(VALU_DEP_1) | instskip(NEXT) | instid1(VALU_DEP_3)
	s_or_b32 s3, s3, s4
	v_mad_u64_u32 v[4:5], null, v0, s9, v[3:4]
	s_and_not1_b32 vcc_lo, exec_lo, s3
	s_delay_alu instid0(VALU_DEP_1) | instskip(NEXT) | instid1(VALU_DEP_1)
	v_dual_mov_b32 v3, v4 :: v_dual_mov_b32 v4, v1
	v_lshlrev_b64 v[2:3], 3, v[2:3]
	s_cbranch_vccnz .LBB115_9
; %bb.8:
	s_delay_alu instid0(VALU_DEP_1) | instskip(NEXT) | instid1(VALU_DEP_2)
	v_add_co_u32 v0, vcc_lo, s5, v2
	v_add_co_ci_u32_e32 v1, vcc_lo, s33, v3, vcc_lo
	global_load_b64 v[0:1], v[0:1], off
	s_waitcnt vmcnt(0)
	v_mul_f32_e32 v4, s12, v1
	s_delay_alu instid0(VALU_DEP_1) | instskip(NEXT) | instid1(VALU_DEP_1)
	v_dual_mul_f32 v5, s13, v1 :: v_dual_fmac_f32 v4, s13, v0
	v_fma_f32 v1, s12, v0, -v5
.LBB115_9:
	s_delay_alu instid0(VALU_DEP_1) | instskip(NEXT) | instid1(VALU_DEP_2)
	v_add_co_u32 v5, vcc_lo, s5, v2
	v_add_co_ci_u32_e32 v6, vcc_lo, s33, v3, vcc_lo
	s_delay_alu instid0(VALU_DEP_3)
	v_mov_b32_e32 v3, v1
	global_store_b64 v[5:6], v[3:4], off
.LBB115_10:
	s_or_b32 exec_lo, exec_lo, s2
	s_mov_b32 s2, 0
.LBB115_11:
	s_delay_alu instid0(SALU_CYCLE_1)
	s_and_not1_b32 vcc_lo, exec_lo, s2
	s_cbranch_vccnz .LBB115_47
; %bb.12:
	s_load_b512 s[16:31], s[0:1], 0x18
	s_ashr_i32 s0, s37, 31
	s_lshl_b32 s34, s14, 8
	s_lshr_b32 s0, s0, 26
	v_dual_mov_b32 v0, 0 :: v_dual_lshlrev_b32 v57, 2, v56
	v_dual_mov_b32 v1, 0 :: v_dual_mov_b32 v4, 0
	v_dual_mov_b32 v5, 0 :: v_dual_mov_b32 v6, 0
	;; [unrolled: 1-line block ×3, first 2 shown]
	v_dual_mov_b32 v9, 0 :: v_dual_add_nc_u32 v2, s34, v55
	s_add_i32 s35, s37, s0
	s_mov_b32 s40, exec_lo
	s_and_not1_b32 s35, s35, 63
	s_waitcnt lgkmcnt(0)
	s_mul_i32 s0, s15, s23
	s_mul_hi_u32 s1, s15, s22
	s_mul_i32 s2, s15, s31
	s_mul_hi_u32 s3, s15, s30
	s_mul_i32 s6, s15, s22
	s_add_i32 s7, s1, s0
	s_add_i32 s11, s3, s2
	s_mul_i32 s10, s15, s30
	v_cmpx_gt_i32_e64 s35, v57
	s_cbranch_execz .LBB115_24
; %bb.13:
	v_mad_u64_u32 v[0:1], null, s28, v56, 0
	s_lshl_b64 s[0:1], s[26:27], 3
	v_add_nc_u32_e32 v10, 0xc0, v2
	s_lshl_b64 s[2:3], s[10:11], 3
	s_add_u32 s0, s24, s0
	s_addc_u32 s4, s25, s1
	s_add_u32 s14, s0, s2
	s_delay_alu instid0(VALU_DEP_2)
	v_mad_u64_u32 v[4:5], null, s29, v56, v[1:2]
	v_lshlrev_b32_e32 v16, 2, v56
	v_cmp_gt_i32_e64 s2, s36, v10
	s_addc_u32 s4, s4, s3
	v_ashrrev_i32_e32 v3, 31, v2
	s_lshl_b64 s[22:23], s[18:19], 3
	s_lshl_b64 s[30:31], s[6:7], 3
	s_delay_alu instid0(VALU_DEP_4)
	v_mov_b32_e32 v1, v4
	v_or_b32_e32 v9, 3, v16
	v_or_b32_e32 v17, 2, v16
	v_lshlrev_b64 v[12:13], 3, v[2:3]
	v_cmp_gt_i32_e32 vcc_lo, s36, v2
	v_lshlrev_b64 v[0:1], 5, v[0:1]
	v_mad_u64_u32 v[5:6], null, s20, v9, 0
	v_add_nc_u32_e32 v7, 64, v2
	s_mov_b32 s41, 0
	s_delay_alu instid0(VALU_DEP_3) | instskip(NEXT) | instid1(VALU_DEP_1)
	v_add_co_u32 v10, s3, s14, v0
	v_add_co_ci_u32_e64 v11, s3, s4, v1, s3
	s_delay_alu instid0(VALU_DEP_4) | instskip(SKIP_3) | instid1(VALU_DEP_3)
	v_mov_b32_e32 v4, v6
	v_mad_u64_u32 v[0:1], null, s20, v56, 0
	v_cmp_gt_i32_e64 s0, s36, v7
	s_lshl_b64 s[14:15], s[28:29], 9
	v_mad_u64_u32 v[6:7], null, s21, v9, v[4:5]
	s_add_u32 s3, s16, s22
	s_addc_u32 s4, s17, s23
	s_delay_alu instid0(VALU_DEP_3) | instskip(SKIP_2) | instid1(VALU_DEP_3)
	v_mad_u64_u32 v[14:15], null, s21, v56, v[1:2]
	v_add_nc_u32_e32 v8, 0x80, v2
	s_add_u32 s22, s3, s30
	v_lshlrev_b64 v[3:4], 3, v[5:6]
	v_mad_u64_u32 v[5:6], null, s20, v16, s[20:21]
	s_delay_alu instid0(VALU_DEP_3) | instskip(SKIP_2) | instid1(VALU_DEP_4)
	v_cmp_gt_i32_e64 s1, s36, v8
	v_mad_u64_u32 v[7:8], null, s20, v17, 0
	s_addc_u32 s4, s4, s31
	v_add_co_u32 v3, s3, s22, v3
	s_delay_alu instid0(VALU_DEP_1) | instskip(SKIP_1) | instid1(VALU_DEP_3)
	v_add_co_ci_u32_e64 v58, s3, s4, v4, s3
	s_lshl_b64 s[30:31], s[28:29], 3
	v_mov_b32_e32 v1, v8
	s_delay_alu instid0(VALU_DEP_1) | instskip(SKIP_2) | instid1(VALU_DEP_2)
	v_mad_u64_u32 v[8:9], null, s21, v17, v[1:2]
	v_mov_b32_e32 v1, v14
	v_mad_u64_u32 v[14:15], null, s21, v16, v[6:7]
	v_lshlrev_b64 v[0:1], 5, v[0:1]
	s_delay_alu instid0(VALU_DEP_4) | instskip(NEXT) | instid1(VALU_DEP_3)
	v_lshlrev_b64 v[7:8], 3, v[7:8]
	v_mov_b32_e32 v6, v14
	s_delay_alu instid0(VALU_DEP_3) | instskip(NEXT) | instid1(VALU_DEP_1)
	v_add_co_u32 v59, s3, s22, v0
	v_add_co_ci_u32_e64 v60, s3, s4, v1, s3
	v_mov_b32_e32 v1, 0
	s_delay_alu instid0(VALU_DEP_4) | instskip(SKIP_1) | instid1(VALU_DEP_1)
	v_lshlrev_b64 v[4:5], 3, v[5:6]
	v_add_co_u32 v61, s3, s22, v7
	v_add_co_ci_u32_e64 v62, s3, s4, v8, s3
	s_delay_alu instid0(VALU_DEP_4) | instskip(NEXT) | instid1(VALU_DEP_4)
	v_mov_b32_e32 v0, v1
	v_add_co_u32 v63, s3, s22, v4
	s_delay_alu instid0(VALU_DEP_1)
	v_add_co_ci_u32_e64 v64, s3, s4, v5, s3
	v_mov_b32_e32 v5, v1
	v_mov_b32_e32 v4, v1
	;; [unrolled: 1-line block ×6, first 2 shown]
	s_lshl_b64 s[22:23], s[20:21], 9
	s_branch .LBB115_18
.LBB115_14:                             ;   in Loop: Header=BB115_18 Depth=1
	s_or_b32 exec_lo, exec_lo, s43
	s_waitcnt vmcnt(2)
	v_dual_mul_f32 v46, v27, v45 :: v_dual_mul_f32 v47, v17, v43
	v_mul_f32_e32 v45, v26, v45
	s_waitcnt vmcnt(1)
	v_dual_mul_f32 v43, v16, v43 :: v_dual_mul_f32 v48, v15, v41
	s_delay_alu instid0(VALU_DEP_3) | instskip(SKIP_2) | instid1(VALU_DEP_4)
	v_fma_f32 v46, v26, v44, -v46
	v_mul_f32_e32 v41, v14, v41
	v_fma_f32 v47, v16, v42, -v47
	v_fmac_f32_e32 v43, v17, v42
	v_fma_f32 v42, v14, v40, -v48
	v_dual_add_f32 v4, v4, v46 :: v_dual_fmac_f32 v45, v27, v44
	s_waitcnt vmcnt(0)
	v_mul_f32_e32 v44, v19, v39
	v_fmac_f32_e32 v41, v15, v40
	v_mul_f32_e32 v39, v18, v39
	v_dual_add_f32 v4, v4, v47 :: v_dual_add_f32 v5, v5, v45
	s_delay_alu instid0(VALU_DEP_4) | instskip(NEXT) | instid1(VALU_DEP_3)
	v_fma_f32 v40, v18, v38, -v44
	v_fmac_f32_e32 v39, v19, v38
	s_delay_alu instid0(VALU_DEP_3) | instskip(NEXT) | instid1(VALU_DEP_1)
	v_add_f32_e32 v4, v4, v42
	v_dual_add_f32 v4, v4, v40 :: v_dual_add_f32 v5, v5, v43
	s_delay_alu instid0(VALU_DEP_1) | instskip(NEXT) | instid1(VALU_DEP_1)
	v_add_f32_e32 v5, v5, v41
	v_add_f32_e32 v5, v5, v39
.LBB115_15:                             ;   in Loop: Header=BB115_18 Depth=1
	s_or_b32 exec_lo, exec_lo, s42
	s_waitcnt vmcnt(2)
	v_dual_mul_f32 v38, v27, v37 :: v_dual_mul_f32 v39, v17, v35
	v_mul_f32_e32 v37, v26, v37
	s_waitcnt vmcnt(1)
	v_dual_mul_f32 v35, v16, v35 :: v_dual_mul_f32 v40, v15, v33
	s_delay_alu instid0(VALU_DEP_3)
	v_fma_f32 v38, v26, v36, -v38
	v_fma_f32 v39, v16, v34, -v39
	v_fmac_f32_e32 v37, v27, v36
	s_waitcnt vmcnt(0)
	v_dual_mul_f32 v33, v14, v33 :: v_dual_mul_f32 v36, v19, v31
	v_add_f32_e32 v6, v6, v38
	v_fmac_f32_e32 v35, v17, v34
	v_fma_f32 v34, v14, v32, -v40
	v_mul_f32_e32 v31, v18, v31
	s_delay_alu instid0(VALU_DEP_4) | instskip(SKIP_2) | instid1(VALU_DEP_4)
	v_dual_fmac_f32 v33, v15, v32 :: v_dual_add_f32 v6, v6, v39
	v_add_f32_e32 v7, v7, v37
	v_fma_f32 v32, v18, v30, -v36
	v_fmac_f32_e32 v31, v19, v30
	s_delay_alu instid0(VALU_DEP_3) | instskip(NEXT) | instid1(VALU_DEP_1)
	v_dual_add_f32 v6, v6, v34 :: v_dual_add_f32 v7, v7, v35
	v_dual_add_f32 v6, v6, v32 :: v_dual_add_f32 v7, v7, v33
	s_delay_alu instid0(VALU_DEP_1)
	v_add_f32_e32 v7, v7, v31
.LBB115_16:                             ;   in Loop: Header=BB115_18 Depth=1
	s_or_b32 exec_lo, exec_lo, s3
	s_waitcnt vmcnt(3)
	v_mul_f32_e32 v30, v27, v29
	s_waitcnt vmcnt(1)
	v_dual_mul_f32 v29, v26, v29 :: v_dual_mul_f32 v32, v15, v23
	v_mul_f32_e32 v23, v14, v23
	s_delay_alu instid0(VALU_DEP_3)
	v_fma_f32 v26, v26, v28, -v30
	v_mul_f32_e32 v31, v17, v25
	v_mul_f32_e32 v25, v16, v25
	v_fma_f32 v14, v14, v22, -v32
	v_fmac_f32_e32 v23, v15, v22
	v_add_f32_e32 v8, v8, v26
	v_fma_f32 v16, v16, v24, -v31
	v_fmac_f32_e32 v25, v17, v24
	s_waitcnt vmcnt(0)
	s_delay_alu instid0(VALU_DEP_2) | instskip(SKIP_1) | instid1(VALU_DEP_2)
	v_dual_mul_f32 v17, v18, v21 :: v_dual_add_f32 v8, v8, v16
	v_fmac_f32_e32 v29, v27, v28
	v_dual_fmac_f32 v17, v19, v20 :: v_dual_add_f32 v8, v8, v14
	s_delay_alu instid0(VALU_DEP_2) | instskip(SKIP_1) | instid1(VALU_DEP_2)
	v_add_f32_e32 v9, v9, v29
	v_mul_f32_e32 v27, v19, v21
	v_add_f32_e32 v9, v9, v25
	s_delay_alu instid0(VALU_DEP_2) | instskip(NEXT) | instid1(VALU_DEP_2)
	v_fma_f32 v15, v18, v20, -v27
	v_add_f32_e32 v9, v9, v23
	s_delay_alu instid0(VALU_DEP_1)
	v_dual_add_f32 v8, v8, v15 :: v_dual_add_f32 v9, v9, v17
.LBB115_17:                             ;   in Loop: Header=BB115_18 Depth=1
	s_or_b32 exec_lo, exec_lo, s4
	v_add_co_u32 v10, s3, v10, s14
	s_delay_alu instid0(VALU_DEP_1) | instskip(SKIP_1) | instid1(VALU_DEP_1)
	v_add_co_ci_u32_e64 v11, s3, s15, v11, s3
	v_add_co_u32 v3, s3, v3, s22
	v_add_co_ci_u32_e64 v58, s3, s23, v58, s3
	v_add_co_u32 v59, s3, v59, s22
	v_add_nc_u32_e32 v57, 64, v57
	v_add_co_ci_u32_e64 v60, s3, s23, v60, s3
	v_add_co_u32 v61, s3, v61, s22
	s_delay_alu instid0(VALU_DEP_1) | instskip(NEXT) | instid1(VALU_DEP_4)
	v_add_co_ci_u32_e64 v62, s3, s23, v62, s3
	v_cmp_le_i32_e64 s3, s35, v57
	v_add_co_u32 v63, s4, v63, s22
	s_delay_alu instid0(VALU_DEP_1) | instskip(NEXT) | instid1(VALU_DEP_3)
	v_add_co_ci_u32_e64 v64, s4, s23, v64, s4
	s_or_b32 s41, s3, s41
	s_delay_alu instid0(SALU_CYCLE_1)
	s_and_not1_b32 exec_lo, exec_lo, s41
	s_cbranch_execz .LBB115_23
.LBB115_18:                             ; =>This Inner Loop Header: Depth=1
	s_and_saveexec_b32 s4, vcc_lo
	s_cbranch_execz .LBB115_17
; %bb.19:                               ;   in Loop: Header=BB115_18 Depth=1
	v_add_co_u32 v14, s3, v10, s30
	s_delay_alu instid0(VALU_DEP_1) | instskip(NEXT) | instid1(VALU_DEP_2)
	v_add_co_ci_u32_e64 v15, s3, s31, v11, s3
	v_add_co_u32 v18, s3, v14, s30
	s_delay_alu instid0(VALU_DEP_1) | instskip(SKIP_4) | instid1(VALU_DEP_1)
	v_add_co_ci_u32_e64 v19, s3, s31, v15, s3
	s_clause 0x1
	global_load_b64 v[16:17], v[14:15], off
	global_load_b64 v[14:15], v[18:19], off
	v_add_co_u32 v18, s3, v18, s30
	v_add_co_ci_u32_e64 v19, s3, s31, v19, s3
	v_add_co_u32 v52, s3, v59, v12
	s_delay_alu instid0(VALU_DEP_1) | instskip(SKIP_1) | instid1(VALU_DEP_1)
	v_add_co_ci_u32_e64 v53, s3, v60, v13, s3
	v_add_co_u32 v50, s3, v63, v12
	v_add_co_ci_u32_e64 v51, s3, v64, v13, s3
	v_add_co_u32 v48, s3, v61, v12
	s_delay_alu instid0(VALU_DEP_1) | instskip(SKIP_1) | instid1(VALU_DEP_1)
	v_add_co_ci_u32_e64 v49, s3, v62, v13, s3
	v_add_co_u32 v46, s3, v3, v12
	v_add_co_ci_u32_e64 v47, s3, v58, v13, s3
	s_clause 0x1
	global_load_b64 v[26:27], v[10:11], off
	global_load_b64 v[18:19], v[18:19], off
	;; [unrolled: 1-line block ×6, first 2 shown]
	s_and_saveexec_b32 s3, s0
	s_cbranch_execz .LBB115_16
; %bb.20:                               ;   in Loop: Header=BB115_18 Depth=1
	global_load_b64 v[36:37], v[52:53], off offset:512
	global_load_b64 v[34:35], v[50:51], off offset:512
	global_load_b64 v[32:33], v[48:49], off offset:512
	global_load_b64 v[30:31], v[46:47], off offset:512
	s_and_saveexec_b32 s42, s1
	s_cbranch_execz .LBB115_15
; %bb.21:                               ;   in Loop: Header=BB115_18 Depth=1
	global_load_b64 v[44:45], v[52:53], off offset:1024
	global_load_b64 v[42:43], v[50:51], off offset:1024
	global_load_b64 v[40:41], v[48:49], off offset:1024
	global_load_b64 v[38:39], v[46:47], off offset:1024
	;; [unrolled: 7-line block ×3, first 2 shown]
	s_waitcnt vmcnt(2)
	v_dual_mul_f32 v65, v27, v53 :: v_dual_mul_f32 v66, v17, v51
	v_mul_f32_e32 v53, v26, v53
	v_mul_f32_e32 v51, v16, v51
	s_delay_alu instid0(VALU_DEP_3) | instskip(NEXT) | instid1(VALU_DEP_4)
	v_fma_f32 v65, v26, v52, -v65
	v_fma_f32 v66, v16, v50, -v66
	s_delay_alu instid0(VALU_DEP_4)
	v_fmac_f32_e32 v53, v27, v52
	s_waitcnt vmcnt(0)
	v_dual_mul_f32 v52, v19, v47 :: v_dual_fmac_f32 v51, v17, v50
	v_add_f32_e32 v0, v0, v65
	v_mul_f32_e32 v67, v15, v49
	v_add_f32_e32 v1, v1, v53
	s_delay_alu instid0(VALU_DEP_3) | instskip(NEXT) | instid1(VALU_DEP_3)
	v_dual_mul_f32 v47, v18, v47 :: v_dual_add_f32 v0, v0, v66
	v_fma_f32 v50, v14, v48, -v67
	v_mul_f32_e32 v49, v14, v49
	s_delay_alu instid0(VALU_DEP_3) | instskip(NEXT) | instid1(VALU_DEP_2)
	v_fmac_f32_e32 v47, v19, v46
	v_dual_add_f32 v0, v0, v50 :: v_dual_fmac_f32 v49, v15, v48
	v_fma_f32 v48, v18, v46, -v52
	s_delay_alu instid0(VALU_DEP_1) | instskip(NEXT) | instid1(VALU_DEP_1)
	v_dual_add_f32 v0, v0, v48 :: v_dual_add_f32 v1, v1, v51
	v_add_f32_e32 v1, v1, v49
	s_delay_alu instid0(VALU_DEP_1)
	v_add_f32_e32 v1, v1, v47
	s_branch .LBB115_14
.LBB115_23:
	s_or_b32 exec_lo, exec_lo, s41
.LBB115_24:
	s_delay_alu instid0(SALU_CYCLE_1) | instskip(SKIP_1) | instid1(SALU_CYCLE_1)
	s_or_b32 exec_lo, exec_lo, s40
	s_sub_i32 s0, s37, s35
	s_cmp_lt_i32 s0, 1
	s_cbranch_scc1 .LBB115_42
; %bb.25:
	v_cmp_gt_i32_e32 vcc_lo, s37, v57
	v_dual_mov_b32 v10, 0 :: v_dual_mov_b32 v11, 0
	v_or_b32_e32 v18, 1, v57
	v_dual_mov_b32 v12, 0 :: v_dual_mov_b32 v13, 0
	v_dual_mov_b32 v14, 0 :: v_dual_mov_b32 v15, 0
	;; [unrolled: 1-line block ×3, first 2 shown]
	s_and_saveexec_b32 s1, vcc_lo
	s_cbranch_execz .LBB115_33
; %bb.26:
	v_mad_u64_u32 v[10:11], null, v57, s28, 0
	s_lshl_b64 s[2:3], s[10:11], 3
	v_dual_mov_b32 v17, 0 :: v_dual_mov_b32 v14, 0
	s_add_u32 s0, s24, s2
	s_addc_u32 s2, s25, s3
	s_lshl_b64 s[10:11], s[26:27], 3
	s_delay_alu instid0(VALU_DEP_2) | instskip(SKIP_3) | instid1(VALU_DEP_2)
	v_dual_mov_b32 v3, v11 :: v_dual_mov_b32 v16, 0
	s_add_u32 s3, s0, s10
	s_addc_u32 s4, s2, s11
	v_mov_b32_e32 v15, 0
	v_mad_u64_u32 v[11:12], null, v57, s29, v[3:4]
	v_dual_mov_b32 v12, 0 :: v_dual_mov_b32 v13, 0
	s_mov_b32 s2, exec_lo
	s_delay_alu instid0(VALU_DEP_2) | instskip(NEXT) | instid1(VALU_DEP_1)
	v_lshlrev_b64 v[10:11], 3, v[10:11]
	v_add_co_u32 v10, s0, s3, v10
	s_delay_alu instid0(VALU_DEP_1)
	v_add_co_ci_u32_e64 v11, s0, s4, v11, s0
	global_load_b64 v[10:11], v[10:11], off
	v_cmpx_gt_i32_e64 s37, v18
	s_cbranch_execz .LBB115_32
; %bb.27:
	v_mad_u64_u32 v[12:13], null, v18, s28, 0
	v_mov_b32_e32 v17, 0
	v_mov_b32_e32 v15, 0
	s_mov_b32 s10, exec_lo
	s_delay_alu instid0(VALU_DEP_3) | instskip(NEXT) | instid1(VALU_DEP_1)
	v_dual_mov_b32 v16, 0 :: v_dual_mov_b32 v3, v13
	v_mad_u64_u32 v[13:14], null, v18, s29, v[3:4]
	v_or_b32_e32 v3, 2, v57
	v_mov_b32_e32 v14, 0
	s_delay_alu instid0(VALU_DEP_3) | instskip(NEXT) | instid1(VALU_DEP_1)
	v_lshlrev_b64 v[12:13], 3, v[12:13]
	v_add_co_u32 v12, s0, s3, v12
	s_delay_alu instid0(VALU_DEP_1)
	v_add_co_ci_u32_e64 v13, s0, s4, v13, s0
	global_load_b64 v[12:13], v[12:13], off
	v_cmpx_gt_i32_e64 s37, v3
	s_cbranch_execz .LBB115_31
; %bb.28:
	v_mad_u64_u32 v[14:15], null, v3, s28, 0
	s_mov_b32 s11, exec_lo
	s_delay_alu instid0(VALU_DEP_1) | instskip(SKIP_2) | instid1(VALU_DEP_3)
	v_mad_u64_u32 v[16:17], null, v3, s29, v[15:16]
	v_or_b32_e32 v3, 3, v57
	v_mov_b32_e32 v17, 0
	v_dual_mov_b32 v15, v16 :: v_dual_mov_b32 v16, 0
	s_delay_alu instid0(VALU_DEP_1) | instskip(NEXT) | instid1(VALU_DEP_1)
	v_lshlrev_b64 v[14:15], 3, v[14:15]
	v_add_co_u32 v14, s0, s3, v14
	s_delay_alu instid0(VALU_DEP_1)
	v_add_co_ci_u32_e64 v15, s0, s4, v15, s0
	global_load_b64 v[14:15], v[14:15], off
	v_cmpx_gt_i32_e64 s37, v3
	s_cbranch_execz .LBB115_30
; %bb.29:
	v_mad_u64_u32 v[16:17], null, v3, s28, 0
	s_delay_alu instid0(VALU_DEP_1) | instskip(NEXT) | instid1(VALU_DEP_1)
	v_mad_u64_u32 v[19:20], null, v3, s29, v[17:18]
	v_mov_b32_e32 v17, v19
	s_delay_alu instid0(VALU_DEP_1) | instskip(NEXT) | instid1(VALU_DEP_1)
	v_lshlrev_b64 v[16:17], 3, v[16:17]
	v_add_co_u32 v16, s0, s3, v16
	s_delay_alu instid0(VALU_DEP_1)
	v_add_co_ci_u32_e64 v17, s0, s4, v17, s0
	global_load_b64 v[16:17], v[16:17], off
.LBB115_30:
	s_or_b32 exec_lo, exec_lo, s11
.LBB115_31:
	s_delay_alu instid0(SALU_CYCLE_1)
	s_or_b32 exec_lo, exec_lo, s10
.LBB115_32:
	s_delay_alu instid0(SALU_CYCLE_1)
	s_or_b32 exec_lo, exec_lo, s2
.LBB115_33:
	s_delay_alu instid0(SALU_CYCLE_1) | instskip(NEXT) | instid1(SALU_CYCLE_1)
	s_or_b32 exec_lo, exec_lo, s1
	s_mov_b32 s1, exec_lo
	v_cmpx_gt_i32_e64 s36, v2
	s_cbranch_execz .LBB115_41
; %bb.34:
	v_mad_u64_u32 v[19:20], null, v57, s20, 0
	v_mad_u64_u32 v[21:22], null, v18, s20, 0
	v_ashrrev_i32_e32 v3, 31, v2
	v_or_b32_e32 v31, 2, v57
	v_or_b32_e32 v32, 3, v57
	s_lshl_b64 s[2:3], s[6:7], 3
	s_delay_alu instid0(VALU_DEP_3)
	v_lshlrev_b64 v[26:27], 3, v[2:3]
	v_mad_u64_u32 v[23:24], null, v57, s21, v[20:21]
	v_mad_u64_u32 v[24:25], null, v31, s20, 0
	s_add_u32 s0, s16, s2
	s_addc_u32 s4, s17, s3
	v_mov_b32_e32 v3, v22
	s_lshl_b64 s[2:3], s[18:19], 3
	s_delay_alu instid0(VALU_DEP_3) | instskip(SKIP_1) | instid1(VALU_DEP_3)
	v_cndmask_b32_e32 v20, 0, v23, vcc_lo
	v_mad_u64_u32 v[22:23], null, v32, s20, 0
	v_mad_u64_u32 v[28:29], null, v18, s21, v[3:4]
	v_cndmask_b32_e32 v19, 0, v19, vcc_lo
	v_cmp_gt_i32_e32 vcc_lo, s37, v18
	s_add_u32 s2, s0, s2
	s_addc_u32 s3, s4, s3
	v_mov_b32_e32 v3, v25
	s_delay_alu instid0(VALU_DEP_4) | instskip(SKIP_1) | instid1(VALU_DEP_1)
	v_dual_cndmask_b32 v29, 0, v21 :: v_dual_cndmask_b32 v30, 0, v28
	v_lshlrev_b64 v[19:20], 3, v[19:20]
	v_add_co_u32 v18, s0, s2, v19
	s_delay_alu instid0(VALU_DEP_1) | instskip(NEXT) | instid1(VALU_DEP_4)
	v_add_co_ci_u32_e64 v19, s0, s3, v20, s0
	v_lshlrev_b64 v[20:21], 3, v[29:30]
	s_delay_alu instid0(VALU_DEP_3)
	v_add_co_u32 v18, vcc_lo, v18, v26
	v_mad_u64_u32 v[28:29], null, v31, s21, v[3:4]
	v_mov_b32_e32 v3, v23
	v_add_co_ci_u32_e32 v19, vcc_lo, v19, v27, vcc_lo
	v_cmp_gt_i32_e32 vcc_lo, s37, v31
	v_add_co_u32 v20, s0, s2, v20
	s_delay_alu instid0(VALU_DEP_4)
	v_mad_u64_u32 v[29:30], null, v32, s21, v[3:4]
	v_add_co_ci_u32_e64 v21, s0, s3, v21, s0
	v_cndmask_b32_e32 v23, 0, v24, vcc_lo
	v_cndmask_b32_e32 v24, 0, v28, vcc_lo
	v_cmp_gt_i32_e32 vcc_lo, s37, v32
	v_add_co_u32 v20, s0, v20, v26
	s_delay_alu instid0(VALU_DEP_1)
	v_add_co_ci_u32_e64 v21, s0, v21, v27, s0
	v_dual_cndmask_b32 v28, 0, v22 :: v_dual_cndmask_b32 v29, 0, v29
	v_lshlrev_b64 v[22:23], 3, v[23:24]
	s_clause 0x1
	global_load_b64 v[30:31], v[18:19], off
	global_load_b64 v[32:33], v[20:21], off
	s_mov_b32 s0, exec_lo
	v_lshlrev_b64 v[24:25], 3, v[28:29]
	v_add_co_u32 v3, vcc_lo, s2, v22
	v_add_co_ci_u32_e32 v22, vcc_lo, s3, v23, vcc_lo
	s_delay_alu instid0(VALU_DEP_3) | instskip(NEXT) | instid1(VALU_DEP_4)
	v_add_co_u32 v23, vcc_lo, s2, v24
	v_add_co_ci_u32_e32 v28, vcc_lo, s3, v25, vcc_lo
	s_delay_alu instid0(VALU_DEP_4) | instskip(NEXT) | instid1(VALU_DEP_4)
	v_add_co_u32 v24, vcc_lo, v3, v26
	v_add_co_ci_u32_e32 v25, vcc_lo, v22, v27, vcc_lo
	s_delay_alu instid0(VALU_DEP_4) | instskip(NEXT) | instid1(VALU_DEP_4)
	v_add_co_u32 v22, vcc_lo, v23, v26
	v_add_co_ci_u32_e32 v23, vcc_lo, v28, v27, vcc_lo
	s_clause 0x1
	global_load_b64 v[26:27], v[24:25], off
	global_load_b64 v[28:29], v[22:23], off
	s_waitcnt vmcnt(2)
	v_dual_mul_f32 v3, v11, v31 :: v_dual_mul_f32 v34, v13, v33
	v_mul_f32_e32 v33, v12, v33
	s_delay_alu instid0(VALU_DEP_2) | instskip(NEXT) | instid1(VALU_DEP_1)
	v_fma_f32 v3, v10, v30, -v3
	v_dual_fmac_f32 v33, v13, v32 :: v_dual_add_f32 v8, v8, v3
	v_mul_f32_e32 v31, v10, v31
	s_delay_alu instid0(VALU_DEP_1) | instskip(SKIP_1) | instid1(VALU_DEP_2)
	v_fmac_f32_e32 v31, v11, v30
	v_fma_f32 v30, v12, v32, -v34
	v_add_f32_e32 v9, v9, v31
	s_waitcnt vmcnt(1)
	v_dual_mul_f32 v32, v15, v27 :: v_dual_add_nc_u32 v31, 64, v2
	s_waitcnt vmcnt(0)
	v_dual_mul_f32 v27, v14, v27 :: v_dual_mul_f32 v34, v17, v29
	v_mul_f32_e32 v3, v16, v29
	s_delay_alu instid0(VALU_DEP_3) | instskip(NEXT) | instid1(VALU_DEP_3)
	v_fma_f32 v29, v14, v26, -v32
	v_fmac_f32_e32 v27, v15, v26
	v_add_f32_e32 v26, v8, v30
	v_add_f32_e32 v30, v9, v33
	v_fma_f32 v8, v16, v28, -v34
	v_fmac_f32_e32 v3, v17, v28
	s_delay_alu instid0(VALU_DEP_4) | instskip(NEXT) | instid1(VALU_DEP_4)
	v_add_f32_e32 v9, v26, v29
	v_add_f32_e32 v26, v30, v27
	v_cmpx_gt_i32_e64 s36, v31
	s_cbranch_execz .LBB115_40
; %bb.35:
	s_clause 0x3
	global_load_b64 v[27:28], v[18:19], off offset:512
	global_load_b64 v[29:30], v[20:21], off offset:512
	;; [unrolled: 1-line block ×4, first 2 shown]
	s_mov_b32 s2, exec_lo
	s_waitcnt vmcnt(2)
	v_dual_mul_f32 v35, v11, v28 :: v_dual_mul_f32 v36, v13, v30
	v_mul_f32_e32 v28, v10, v28
	s_waitcnt vmcnt(1)
	v_dual_mul_f32 v30, v12, v30 :: v_dual_mul_f32 v37, v15, v32
	s_delay_alu instid0(VALU_DEP_3) | instskip(SKIP_2) | instid1(VALU_DEP_4)
	v_fma_f32 v35, v10, v27, -v35
	v_fma_f32 v36, v12, v29, -v36
	v_mul_f32_e32 v32, v14, v32
	v_fmac_f32_e32 v30, v13, v29
	v_fma_f32 v29, v14, v31, -v37
	v_add_f32_e32 v6, v6, v35
	s_waitcnt vmcnt(0)
	v_dual_fmac_f32 v28, v11, v27 :: v_dual_mul_f32 v27, v17, v34
	s_delay_alu instid0(VALU_DEP_1) | instskip(NEXT) | instid1(VALU_DEP_1)
	v_dual_add_f32 v28, v7, v28 :: v_dual_mul_f32 v7, v16, v34
	v_dual_fmac_f32 v32, v15, v31 :: v_dual_fmac_f32 v7, v17, v33
	s_delay_alu instid0(VALU_DEP_2) | instskip(SKIP_2) | instid1(VALU_DEP_3)
	v_dual_add_f32 v31, v6, v36 :: v_dual_add_f32 v28, v28, v30
	v_add_nc_u32_e32 v30, 0x80, v2
	v_fma_f32 v6, v16, v33, -v27
	v_dual_add_f32 v27, v31, v29 :: v_dual_add_f32 v28, v28, v32
	s_delay_alu instid0(VALU_DEP_3)
	v_cmpx_gt_i32_e64 s36, v30
	s_cbranch_execz .LBB115_39
; %bb.36:
	s_clause 0x3
	global_load_b64 v[29:30], v[18:19], off offset:1024
	global_load_b64 v[31:32], v[20:21], off offset:1024
	;; [unrolled: 1-line block ×4, first 2 shown]
	s_mov_b32 s3, exec_lo
	s_waitcnt vmcnt(2)
	v_dual_mul_f32 v37, v11, v30 :: v_dual_mul_f32 v38, v13, v32
	v_mul_f32_e32 v30, v10, v30
	s_waitcnt vmcnt(1)
	v_dual_mul_f32 v32, v12, v32 :: v_dual_mul_f32 v39, v15, v34
	v_mul_f32_e32 v34, v14, v34
	v_fma_f32 v37, v10, v29, -v37
	v_fmac_f32_e32 v30, v11, v29
	v_fma_f32 v38, v12, v31, -v38
	s_waitcnt vmcnt(0)
	s_delay_alu instid0(VALU_DEP_3) | instskip(NEXT) | instid1(VALU_DEP_3)
	v_dual_mul_f32 v29, v17, v36 :: v_dual_add_f32 v4, v4, v37
	v_dual_add_f32 v30, v5, v30 :: v_dual_mul_f32 v5, v16, v36
	v_fmac_f32_e32 v34, v15, v33
	v_fmac_f32_e32 v32, v13, v31
	v_fma_f32 v31, v14, v33, -v39
	s_delay_alu instid0(VALU_DEP_4) | instskip(NEXT) | instid1(VALU_DEP_3)
	v_dual_add_f32 v4, v4, v38 :: v_dual_fmac_f32 v5, v17, v35
	v_add_f32_e32 v30, v30, v32
	v_add_nc_u32_e32 v32, 0xc0, v2
	v_fma_f32 v2, v16, v35, -v29
	s_delay_alu instid0(VALU_DEP_3) | instskip(NEXT) | instid1(VALU_DEP_3)
	v_dual_add_f32 v4, v4, v31 :: v_dual_add_f32 v29, v30, v34
	v_cmpx_gt_i32_e64 s36, v32
	s_cbranch_execz .LBB115_38
; %bb.37:
	s_clause 0x3
	global_load_b64 v[18:19], v[18:19], off offset:1536
	global_load_b64 v[20:21], v[20:21], off offset:1536
	global_load_b64 v[24:25], v[24:25], off offset:1536
	global_load_b64 v[22:23], v[22:23], off offset:1536
	s_waitcnt vmcnt(2)
	v_dual_mul_f32 v30, v11, v19 :: v_dual_mul_f32 v31, v13, v21
	s_waitcnt vmcnt(1)
	v_dual_mul_f32 v19, v10, v19 :: v_dual_mul_f32 v32, v15, v25
	s_delay_alu instid0(VALU_DEP_2) | instskip(SKIP_1) | instid1(VALU_DEP_3)
	v_fma_f32 v10, v10, v18, -v30
	v_mul_f32_e32 v25, v14, v25
	v_fmac_f32_e32 v19, v11, v18
	s_delay_alu instid0(VALU_DEP_3)
	v_add_f32_e32 v0, v0, v10
	s_waitcnt vmcnt(0)
	v_mul_f32_e32 v10, v16, v23
	v_mul_f32_e32 v21, v12, v21
	v_fma_f32 v12, v12, v20, -v31
	v_mul_f32_e32 v11, v17, v23
	v_add_f32_e32 v1, v1, v19
	v_fmac_f32_e32 v10, v17, v22
	s_delay_alu instid0(VALU_DEP_4) | instskip(SKIP_3) | instid1(VALU_DEP_2)
	v_add_f32_e32 v0, v0, v12
	v_fmac_f32_e32 v21, v13, v20
	v_fma_f32 v13, v14, v24, -v32
	v_fma_f32 v11, v16, v22, -v11
	v_dual_add_f32 v0, v0, v13 :: v_dual_fmac_f32 v25, v15, v24
	s_delay_alu instid0(VALU_DEP_1) | instskip(NEXT) | instid1(VALU_DEP_1)
	v_dual_add_f32 v1, v1, v21 :: v_dual_add_f32 v0, v0, v11
	v_add_f32_e32 v1, v1, v25
	s_delay_alu instid0(VALU_DEP_1)
	v_add_f32_e32 v1, v1, v10
.LBB115_38:
	s_or_b32 exec_lo, exec_lo, s3
	s_delay_alu instid0(VALU_DEP_2)
	v_dual_add_f32 v4, v4, v2 :: v_dual_add_f32 v5, v29, v5
.LBB115_39:
	s_or_b32 exec_lo, exec_lo, s2
	s_delay_alu instid0(VALU_DEP_2)
	v_dual_add_f32 v6, v27, v6 :: v_dual_add_f32 v7, v28, v7
.LBB115_40:
	s_or_b32 exec_lo, exec_lo, s0
	s_delay_alu instid0(VALU_DEP_2)
	v_dual_add_f32 v8, v9, v8 :: v_dual_add_f32 v9, v26, v3
.LBB115_41:
	s_or_b32 exec_lo, exec_lo, s1
.LBB115_42:
	v_lshlrev_b32_e32 v2, 8, v56
	s_mov_b32 s0, exec_lo
	s_delay_alu instid0(VALU_DEP_1)
	v_add_lshl_u32 v2, v2, v55, 3
	ds_store_2addr_stride64_b64 v2, v[8:9], v[6:7] offset1:1
	ds_store_2addr_stride64_b64 v2, v[4:5], v[0:1] offset0:2 offset1:3
	s_waitcnt vmcnt(0) lgkmcnt(0)
	s_waitcnt_vscnt null, 0x0
	s_barrier
	buffer_gl0_inv
	v_cmpx_gt_u32_e32 0x100, v54
	s_cbranch_execz .LBB115_47
; %bb.43:
	v_lshlrev_b32_e32 v12, 3, v54
	ds_load_2addr_stride64_b64 v[0:3], v12 offset1:4
	ds_load_2addr_stride64_b64 v[4:7], v12 offset0:8 offset1:12
	ds_load_2addr_stride64_b64 v[8:11], v12 offset0:16 offset1:20
	s_waitcnt lgkmcnt(2)
	v_dual_add_f32 v13, v0, v2 :: v_dual_add_f32 v14, v1, v3
	s_waitcnt lgkmcnt(1)
	s_delay_alu instid0(VALU_DEP_1) | instskip(SKIP_3) | instid1(VALU_DEP_1)
	v_add_f32_e32 v5, v14, v5
	ds_load_2addr_stride64_b64 v[0:3], v12 offset0:24 offset1:28
	v_add_f32_e32 v14, v5, v7
	s_waitcnt lgkmcnt(1)
	v_dual_add_f32 v4, v13, v4 :: v_dual_add_f32 v9, v14, v9
	s_delay_alu instid0(VALU_DEP_1) | instskip(SKIP_3) | instid1(VALU_DEP_1)
	v_add_f32_e32 v13, v4, v6
	ds_load_2addr_stride64_b64 v[4:7], v12 offset0:32 offset1:36
	v_add_f32_e32 v14, v9, v11
	s_waitcnt lgkmcnt(1)
	v_dual_add_f32 v8, v13, v8 :: v_dual_add_f32 v1, v14, v1
	;; [unrolled: 6-line block ×4, first 2 shown]
	s_delay_alu instid0(VALU_DEP_1) | instskip(SKIP_4) | instid1(VALU_DEP_1)
	v_add_f32_e32 v13, v4, v6
	ds_load_2addr_stride64_b64 v[4:7], v12 offset0:56 offset1:60
	v_add_f32_e32 v9, v9, v11
	v_add_f32_e32 v8, v13, v8
	s_waitcnt lgkmcnt(1)
	v_dual_add_f32 v8, v8, v10 :: v_dual_add_f32 v1, v9, v1
	s_delay_alu instid0(VALU_DEP_1) | instskip(SKIP_1) | instid1(VALU_DEP_1)
	v_dual_add_f32 v0, v8, v0 :: v_dual_add_f32 v1, v1, v3
	s_waitcnt lgkmcnt(0)
	v_dual_add_f32 v0, v0, v2 :: v_dual_add_f32 v1, v1, v5
	s_delay_alu instid0(VALU_DEP_1) | instskip(SKIP_1) | instid1(VALU_DEP_2)
	v_add_f32_e32 v2, v0, v4
	v_or_b32_e32 v0, s34, v54
	v_dual_add_f32 v3, v1, v7 :: v_dual_add_f32 v2, v2, v6
	s_delay_alu instid0(VALU_DEP_2)
	v_cmp_gt_i32_e32 vcc_lo, s36, v0
	ds_store_b64 v12, v[2:3]
	s_and_b32 exec_lo, exec_lo, vcc_lo
	s_cbranch_execz .LBB115_47
; %bb.44:
	v_ashrrev_i32_e32 v1, 31, v0
	v_mul_lo_u32 v6, v0, s9
	v_mad_u64_u32 v[4:5], null, v0, s8, 0
	v_cmp_neq_f32_e64 s0, s12, 0
	s_delay_alu instid0(VALU_DEP_4) | instskip(SKIP_1) | instid1(VALU_DEP_1)
	v_mul_lo_u32 v1, v1, s8
	v_cmp_neq_f32_e64 s1, s13, 0
	s_or_b32 s0, s0, s1
	s_delay_alu instid0(SALU_CYCLE_1) | instskip(NEXT) | instid1(VALU_DEP_2)
	s_and_not1_b32 vcc_lo, exec_lo, s0
	v_add3_u32 v5, v5, v6, v1
	v_mul_f32_e32 v1, s38, v3
	v_mul_f32_e32 v0, s39, v3
	s_delay_alu instid0(VALU_DEP_3) | instskip(NEXT) | instid1(VALU_DEP_3)
	v_lshlrev_b64 v[3:4], 3, v[4:5]
	v_fmac_f32_e32 v1, s39, v2
	s_delay_alu instid0(VALU_DEP_3)
	v_fma_f32 v0, v2, s38, -v0
	s_cbranch_vccnz .LBB115_46
; %bb.45:
	s_delay_alu instid0(VALU_DEP_3) | instskip(NEXT) | instid1(VALU_DEP_4)
	v_add_co_u32 v5, vcc_lo, s5, v3
	v_add_co_ci_u32_e32 v6, vcc_lo, s33, v4, vcc_lo
	global_load_b64 v[5:6], v[5:6], off
	s_waitcnt vmcnt(0)
	v_mul_f32_e32 v2, s13, v6
	v_mul_f32_e32 v6, s12, v6
	s_delay_alu instid0(VALU_DEP_2) | instskip(NEXT) | instid1(VALU_DEP_2)
	v_fma_f32 v2, s12, v5, -v2
	v_fmac_f32_e32 v6, s13, v5
	s_delay_alu instid0(VALU_DEP_2) | instskip(NEXT) | instid1(VALU_DEP_2)
	v_add_f32_e32 v0, v0, v2
	v_add_f32_e32 v1, v1, v6
.LBB115_46:
	s_delay_alu instid0(VALU_DEP_3) | instskip(NEXT) | instid1(VALU_DEP_4)
	v_add_co_u32 v2, vcc_lo, s5, v3
	v_add_co_ci_u32_e32 v3, vcc_lo, s33, v4, vcc_lo
	global_store_b64 v[2:3], v[0:1], off
.LBB115_47:
	s_nop 0
	s_sendmsg sendmsg(MSG_DEALLOC_VGPRS)
	s_endpgm
	.section	.rodata,"a",@progbits
	.p2align	6, 0x0
	.amdhsa_kernel _ZL20rocblas_gemvn_kernelILi64ELi16El19rocblas_complex_numIfES1_S1_EviiT3_lPKT2_lT1_lS5_lS6_lS2_lPT4_lS6_li
		.amdhsa_group_segment_fixed_size 32768
		.amdhsa_private_segment_fixed_size 0
		.amdhsa_kernarg_size 400
		.amdhsa_user_sgpr_count 14
		.amdhsa_user_sgpr_dispatch_ptr 0
		.amdhsa_user_sgpr_queue_ptr 0
		.amdhsa_user_sgpr_kernarg_segment_ptr 1
		.amdhsa_user_sgpr_dispatch_id 0
		.amdhsa_user_sgpr_private_segment_size 0
		.amdhsa_wavefront_size32 1
		.amdhsa_uses_dynamic_stack 0
		.amdhsa_enable_private_segment 0
		.amdhsa_system_sgpr_workgroup_id_x 1
		.amdhsa_system_sgpr_workgroup_id_y 0
		.amdhsa_system_sgpr_workgroup_id_z 1
		.amdhsa_system_sgpr_workgroup_info 0
		.amdhsa_system_vgpr_workitem_id 1
		.amdhsa_next_free_vgpr 68
		.amdhsa_next_free_sgpr 44
		.amdhsa_reserve_vcc 1
		.amdhsa_float_round_mode_32 0
		.amdhsa_float_round_mode_16_64 0
		.amdhsa_float_denorm_mode_32 3
		.amdhsa_float_denorm_mode_16_64 3
		.amdhsa_dx10_clamp 1
		.amdhsa_ieee_mode 1
		.amdhsa_fp16_overflow 0
		.amdhsa_workgroup_processor_mode 1
		.amdhsa_memory_ordered 1
		.amdhsa_forward_progress 0
		.amdhsa_shared_vgpr_count 0
		.amdhsa_exception_fp_ieee_invalid_op 0
		.amdhsa_exception_fp_denorm_src 0
		.amdhsa_exception_fp_ieee_div_zero 0
		.amdhsa_exception_fp_ieee_overflow 0
		.amdhsa_exception_fp_ieee_underflow 0
		.amdhsa_exception_fp_ieee_inexact 0
		.amdhsa_exception_int_div_zero 0
	.end_amdhsa_kernel
	.section	.text._ZL20rocblas_gemvn_kernelILi64ELi16El19rocblas_complex_numIfES1_S1_EviiT3_lPKT2_lT1_lS5_lS6_lS2_lPT4_lS6_li,"axG",@progbits,_ZL20rocblas_gemvn_kernelILi64ELi16El19rocblas_complex_numIfES1_S1_EviiT3_lPKT2_lT1_lS5_lS6_lS2_lPT4_lS6_li,comdat
.Lfunc_end115:
	.size	_ZL20rocblas_gemvn_kernelILi64ELi16El19rocblas_complex_numIfES1_S1_EviiT3_lPKT2_lT1_lS5_lS6_lS2_lPT4_lS6_li, .Lfunc_end115-_ZL20rocblas_gemvn_kernelILi64ELi16El19rocblas_complex_numIfES1_S1_EviiT3_lPKT2_lT1_lS5_lS6_lS2_lPT4_lS6_li
                                        ; -- End function
	.section	.AMDGPU.csdata,"",@progbits
; Kernel info:
; codeLenInByte = 4284
; NumSgprs: 46
; NumVgprs: 68
; ScratchSize: 0
; MemoryBound: 0
; FloatMode: 240
; IeeeMode: 1
; LDSByteSize: 32768 bytes/workgroup (compile time only)
; SGPRBlocks: 5
; VGPRBlocks: 8
; NumSGPRsForWavesPerEU: 46
; NumVGPRsForWavesPerEU: 68
; Occupancy: 16
; WaveLimiterHint : 1
; COMPUTE_PGM_RSRC2:SCRATCH_EN: 0
; COMPUTE_PGM_RSRC2:USER_SGPR: 14
; COMPUTE_PGM_RSRC2:TRAP_HANDLER: 0
; COMPUTE_PGM_RSRC2:TGID_X_EN: 1
; COMPUTE_PGM_RSRC2:TGID_Y_EN: 0
; COMPUTE_PGM_RSRC2:TGID_Z_EN: 1
; COMPUTE_PGM_RSRC2:TIDIG_COMP_CNT: 1
	.section	.text._ZL22rocblas_gemvtsm_kernelILb0ELi256E19rocblas_complex_numIfEPKS1_S1_EviiT2_lPKT1_lilS7_lilS4_lPT3_lil,"axG",@progbits,_ZL22rocblas_gemvtsm_kernelILb0ELi256E19rocblas_complex_numIfEPKS1_S1_EviiT2_lPKT1_lilS7_lilS4_lPT3_lil,comdat
	.globl	_ZL22rocblas_gemvtsm_kernelILb0ELi256E19rocblas_complex_numIfEPKS1_S1_EviiT2_lPKT1_lilS7_lilS4_lPT3_lil ; -- Begin function _ZL22rocblas_gemvtsm_kernelILb0ELi256E19rocblas_complex_numIfEPKS1_S1_EviiT2_lPKT1_lilS7_lilS4_lPT3_lil
	.p2align	8
	.type	_ZL22rocblas_gemvtsm_kernelILb0ELi256E19rocblas_complex_numIfEPKS1_S1_EviiT2_lPKT1_lilS7_lilS4_lPT3_lil,@function
_ZL22rocblas_gemvtsm_kernelILb0ELi256E19rocblas_complex_numIfEPKS1_S1_EviiT2_lPKT1_lilS7_lilS4_lPT3_lil: ; @_ZL22rocblas_gemvtsm_kernelILb0ELi256E19rocblas_complex_numIfEPKS1_S1_EviiT2_lPKT1_lilS7_lilS4_lPT3_lil
; %bb.0:
	s_clause 0x1
	s_load_b256 s[4:11], s[0:1], 0x8
	s_load_b256 s[16:23], s[0:1], 0x50
	s_waitcnt lgkmcnt(0)
	s_mul_i32 s3, s15, s7
	s_mul_hi_u32 s7, s15, s6
	s_mul_i32 s2, s15, s6
	s_add_i32 s3, s7, s3
	s_delay_alu instid0(SALU_CYCLE_1) | instskip(NEXT) | instid1(SALU_CYCLE_1)
	s_lshl_b64 s[2:3], s[2:3], 3
	s_add_u32 s2, s4, s2
	s_addc_u32 s3, s5, s3
	s_mul_hi_u32 s4, s15, s20
	s_load_b64 s[24:25], s[2:3], 0x0
	s_mul_i32 s3, s15, s21
	s_mul_i32 s2, s15, s20
	s_add_i32 s3, s4, s3
	s_delay_alu instid0(SALU_CYCLE_1) | instskip(NEXT) | instid1(SALU_CYCLE_1)
	s_lshl_b64 s[2:3], s[2:3], 3
	s_add_u32 s2, s18, s2
	s_addc_u32 s3, s19, s3
	s_load_b64 s[2:3], s[2:3], 0x0
	s_waitcnt lgkmcnt(0)
	v_cmp_neq_f32_e64 s4, s24, 0
	v_cmp_neq_f32_e64 s5, s25, 0
	s_delay_alu instid0(VALU_DEP_1) | instskip(NEXT) | instid1(SALU_CYCLE_1)
	s_or_b32 s4, s4, s5
	s_and_b32 vcc_lo, exec_lo, s4
	s_mov_b32 s4, -1
	s_cbranch_vccnz .LBB116_2
; %bb.1:
	v_cmp_neq_f32_e64 s4, s2, 1.0
	v_cmp_neq_f32_e64 s5, s3, 0
	s_delay_alu instid0(VALU_DEP_1)
	s_or_b32 s4, s4, s5
.LBB116_2:
	s_delay_alu instid0(SALU_CYCLE_1)
	s_and_not1_b32 vcc_lo, exec_lo, s4
	s_cbranch_vccnz .LBB116_36
; %bb.3:
	s_clause 0x3
	s_load_b64 s[4:5], s[0:1], 0x80
	s_load_b32 s12, s[0:1], 0x78
	s_load_b64 s[20:21], s[0:1], 0x70
	s_load_b64 s[18:19], s[0:1], 0x0
	s_or_b32 s6, s24, s25
	s_delay_alu instid0(SALU_CYCLE_1)
	s_bitset0_b32 s6, 31
	s_waitcnt lgkmcnt(0)
	s_mul_i32 s5, s15, s5
	s_mul_hi_u32 s7, s15, s4
	s_mul_i32 s26, s15, s4
	s_add_i32 s27, s7, s5
	s_cmp_lg_u32 s6, 0
	s_mov_b32 s4, -1
	s_cbranch_scc1 .LBB116_18
; %bb.4:
	v_cmp_neq_f32_e64 s4, s2, 0
	v_cmp_neq_f32_e64 s5, s3, 0
	s_delay_alu instid0(VALU_DEP_1)
	s_or_b32 s4, s4, s5
	s_cmp_gt_i32 s19, 0
	s_cselect_b32 s6, -1, 0
	s_and_b32 vcc_lo, exec_lo, s4
	s_mov_b32 s4, -1
	s_cbranch_vccnz .LBB116_11
; %bb.5:
	s_and_not1_b32 vcc_lo, exec_lo, s6
	s_cbranch_vccnz .LBB116_10
; %bb.6:
	v_mad_i64_i32 v[1:2], null, s12, v0, 0
	s_lshl_b64 s[28:29], s[20:21], 3
	s_ashr_i32 s13, s12, 31
	s_lshl_b64 s[4:5], s[26:27], 3
	s_add_u32 s7, s22, s28
	s_addc_u32 s14, s23, s29
	s_add_u32 s4, s7, s4
	s_delay_alu instid0(VALU_DEP_1) | instskip(SKIP_3) | instid1(VALU_DEP_2)
	v_lshlrev_b64 v[1:2], 3, v[1:2]
	s_addc_u32 s5, s14, s5
	v_mov_b32_e32 v3, 0
	s_mov_b32 s7, 0
	v_add_co_u32 v1, vcc_lo, s4, v1
	s_delay_alu instid0(VALU_DEP_3) | instskip(SKIP_1) | instid1(VALU_DEP_2)
	v_add_co_ci_u32_e32 v2, vcc_lo, s5, v2, vcc_lo
	s_lshl_b64 s[4:5], s[12:13], 11
	v_add_co_u32 v1, vcc_lo, v1, 4
	s_delay_alu instid0(VALU_DEP_2)
	v_add_co_ci_u32_e32 v2, vcc_lo, 0, v2, vcc_lo
	s_branch .LBB116_8
.LBB116_7:                              ;   in Loop: Header=BB116_8 Depth=1
	s_or_b32 exec_lo, exec_lo, s13
	v_add_co_u32 v1, vcc_lo, v1, s4
	v_add_co_ci_u32_e32 v2, vcc_lo, s5, v2, vcc_lo
	s_addk_i32 s7, 0x100
	s_delay_alu instid0(SALU_CYCLE_1)
	s_cmp_ge_i32 s7, s19
	s_cbranch_scc1 .LBB116_10
.LBB116_8:                              ; =>This Inner Loop Header: Depth=1
	v_add_nc_u32_e32 v4, s7, v0
	s_mov_b32 s13, exec_lo
	s_delay_alu instid0(VALU_DEP_1)
	v_cmpx_gt_i32_e64 s19, v4
	s_cbranch_execz .LBB116_7
; %bb.9:                                ;   in Loop: Header=BB116_8 Depth=1
	v_mov_b32_e32 v4, v3
	global_store_b64 v[1:2], v[3:4], off offset:-4
	s_branch .LBB116_7
.LBB116_10:
	s_mov_b32 s4, 0
.LBB116_11:
	s_delay_alu instid0(SALU_CYCLE_1)
	s_and_not1_b32 vcc_lo, exec_lo, s4
	s_cbranch_vccnz .LBB116_17
; %bb.12:
	s_and_not1_b32 vcc_lo, exec_lo, s6
	s_cbranch_vccnz .LBB116_17
; %bb.13:
	v_mad_i64_i32 v[1:2], null, s12, v0, 0
	s_lshl_b64 s[6:7], s[20:21], 3
	s_ashr_i32 s13, s12, 31
	s_lshl_b64 s[4:5], s[26:27], 3
	s_add_u32 s6, s22, s6
	s_addc_u32 s7, s23, s7
	s_add_u32 s4, s6, s4
	s_delay_alu instid0(VALU_DEP_1) | instskip(SKIP_2) | instid1(VALU_DEP_1)
	v_lshlrev_b64 v[1:2], 3, v[1:2]
	s_addc_u32 s5, s7, s5
	s_mov_b32 s6, 0
	v_add_co_u32 v1, vcc_lo, s4, v1
	s_delay_alu instid0(VALU_DEP_2) | instskip(SKIP_1) | instid1(VALU_DEP_2)
	v_add_co_ci_u32_e32 v2, vcc_lo, s5, v2, vcc_lo
	s_lshl_b64 s[4:5], s[12:13], 11
	v_add_co_u32 v1, vcc_lo, v1, 4
	s_delay_alu instid0(VALU_DEP_2)
	v_add_co_ci_u32_e32 v2, vcc_lo, 0, v2, vcc_lo
	s_branch .LBB116_15
	.p2align	6
.LBB116_14:                             ;   in Loop: Header=BB116_15 Depth=1
	s_or_b32 exec_lo, exec_lo, s7
	v_add_co_u32 v1, vcc_lo, v1, s4
	v_add_co_ci_u32_e32 v2, vcc_lo, s5, v2, vcc_lo
	s_addk_i32 s6, 0x100
	s_delay_alu instid0(SALU_CYCLE_1)
	s_cmp_ge_i32 s6, s19
	s_cbranch_scc1 .LBB116_17
.LBB116_15:                             ; =>This Inner Loop Header: Depth=1
	v_add_nc_u32_e32 v3, s6, v0
	s_mov_b32 s7, exec_lo
	s_delay_alu instid0(VALU_DEP_1)
	v_cmpx_gt_i32_e64 s19, v3
	s_cbranch_execz .LBB116_14
; %bb.16:                               ;   in Loop: Header=BB116_15 Depth=1
	global_load_b64 v[3:4], v[1:2], off offset:-4
	s_waitcnt vmcnt(0)
	v_mul_f32_e32 v5, s2, v4
	s_delay_alu instid0(VALU_DEP_1) | instskip(NEXT) | instid1(VALU_DEP_1)
	v_dual_mul_f32 v6, s3, v4 :: v_dual_fmac_f32 v5, s3, v3
	v_fma_f32 v4, s2, v3, -v6
	global_store_b64 v[1:2], v[4:5], off offset:-4
	s_branch .LBB116_14
.LBB116_17:
	s_mov_b32 s4, 0
.LBB116_18:
	s_delay_alu instid0(SALU_CYCLE_1)
	s_and_not1_b32 vcc_lo, exec_lo, s4
	s_cbranch_vccnz .LBB116_36
; %bb.19:
	s_clause 0x1
	s_load_b128 s[4:7], s[0:1], 0x30
	s_load_b64 s[28:29], s[0:1], 0x40
	s_mov_b32 s13, exec_lo
	v_cmpx_gt_i32_e64 s18, v0
	s_cbranch_execz .LBB116_21
; %bb.20:
	s_load_b32 s14, s[0:1], 0x48
	s_mul_i32 s17, s15, s17
	s_mul_hi_u32 s30, s15, s16
	s_mul_i32 s16, s15, s16
	s_add_i32 s17, s30, s17
	s_delay_alu instid0(SALU_CYCLE_1)
	s_lshl_b64 s[16:17], s[16:17], 3
	s_waitcnt lgkmcnt(0)
	v_mad_i64_i32 v[1:2], null, s14, v0, 0
	s_add_u32 s14, s6, s16
	s_addc_u32 s16, s7, s17
	s_lshl_b64 s[6:7], s[28:29], 3
	s_delay_alu instid0(SALU_CYCLE_1) | instskip(SKIP_1) | instid1(VALU_DEP_1)
	s_add_u32 s6, s14, s6
	s_addc_u32 s7, s16, s7
	v_lshlrev_b64 v[1:2], 3, v[1:2]
	s_delay_alu instid0(VALU_DEP_1) | instskip(NEXT) | instid1(VALU_DEP_2)
	v_add_co_u32 v1, vcc_lo, s6, v1
	v_add_co_ci_u32_e32 v2, vcc_lo, s7, v2, vcc_lo
	global_load_b64 v[1:2], v[1:2], off
	s_waitcnt vmcnt(0)
	v_mul_f32_e32 v3, s24, v2
	s_delay_alu instid0(VALU_DEP_1) | instskip(NEXT) | instid1(VALU_DEP_1)
	v_dual_mul_f32 v4, s25, v2 :: v_dual_fmac_f32 v3, s25, v1
	v_fma_f32 v2, v1, s24, -v4
	v_lshlrev_b32_e32 v1, 3, v0
	ds_store_b64 v1, v[2:3]
.LBB116_21:
	s_or_b32 exec_lo, exec_lo, s13
	s_cmp_lt_i32 s19, 1
	s_waitcnt lgkmcnt(0)
	s_waitcnt_vscnt null, 0x0
	s_barrier
	buffer_gl0_inv
	s_cbranch_scc1 .LBB116_36
; %bb.22:
	s_load_b32 s24, s[0:1], 0x28
	s_lshl_b64 s[0:1], s[26:27], 3
	v_cmp_neq_f32_e64 s14, s2, 0
	v_cmp_neq_f32_e64 s16, s3, 0
	s_add_u32 s6, s22, s0
	s_addc_u32 s7, s23, s1
	s_lshl_b64 s[0:1], s[20:21], 3
	s_mul_i32 s5, s5, s15
	s_add_u32 s6, s6, s0
	s_addc_u32 s7, s7, s1
	s_ashr_i32 s13, s12, 31
	s_or_b32 s14, s14, s16
	s_mul_hi_u32 s26, s4, s15
	s_mul_i32 s4, s4, s15
	s_waitcnt lgkmcnt(0)
	s_ashr_i32 s25, s24, 31
	s_cmp_gt_i32 s18, 0
	v_mad_i64_i32 v[1:2], null, s24, v0, 0
	s_cselect_b32 s15, -1, 0
	s_and_b32 s16, s18, 7
	s_cmp_gt_u32 s18, 7
	s_cselect_b32 s17, -1, 0
	s_and_b32 s18, s18, 0x7ffffff8
	s_cmp_lg_u32 s16, 0
	s_delay_alu instid0(VALU_DEP_1)
	v_lshlrev_b64 v[1:2], 3, v[1:2]
	s_cselect_b32 s20, -1, 0
	s_add_i32 s5, s26, s5
	s_lshl_b64 s[0:1], s[10:11], 3
	s_lshl_b64 s[4:5], s[4:5], 3
	s_add_u32 s0, s8, s0
	s_addc_u32 s1, s9, s1
	s_add_u32 s0, s0, s4
	s_addc_u32 s1, s1, s5
	v_add_co_u32 v9, vcc_lo, s0, v1
	v_add_co_ci_u32_e32 v10, vcc_lo, s1, v2, vcc_lo
	s_mov_b32 s1, 0
	s_delay_alu instid0(VALU_DEP_2) | instskip(NEXT) | instid1(VALU_DEP_2)
	v_add_co_u32 v1, vcc_lo, v9, 60
	v_add_co_ci_u32_e32 v2, vcc_lo, 0, v10, vcc_lo
	s_lshl_b64 s[4:5], s[24:25], 11
	s_mov_b32 s8, 0
	s_branch .LBB116_25
.LBB116_23:                             ;   in Loop: Header=BB116_25 Depth=1
	s_delay_alu instid0(VALU_DEP_2)
	v_add_co_u32 v3, vcc_lo, s6, v3
	v_add_co_ci_u32_e32 v4, vcc_lo, s7, v4, vcc_lo
	global_store_b64 v[3:4], v[5:6], off
.LBB116_24:                             ;   in Loop: Header=BB116_25 Depth=1
	s_or_b32 exec_lo, exec_lo, s9
	v_add_co_u32 v1, vcc_lo, v1, s4
	v_add_co_ci_u32_e32 v2, vcc_lo, s5, v2, vcc_lo
	v_add_co_u32 v9, vcc_lo, v9, s4
	v_add_co_ci_u32_e32 v10, vcc_lo, s5, v10, vcc_lo
	s_addk_i32 s8, 0x100
	s_delay_alu instid0(SALU_CYCLE_1)
	s_cmp_ge_i32 s8, s19
	s_cbranch_scc1 .LBB116_36
.LBB116_25:                             ; =>This Loop Header: Depth=1
                                        ;     Child Loop BB116_31 Depth 2
                                        ;     Child Loop BB116_35 Depth 2
	v_add_nc_u32_e32 v3, s8, v0
	s_mov_b32 s9, exec_lo
	s_delay_alu instid0(VALU_DEP_1)
	v_cmpx_gt_i32_e64 s19, v3
	s_cbranch_execz .LBB116_24
; %bb.26:                               ;   in Loop: Header=BB116_25 Depth=1
	v_mad_u64_u32 v[6:7], null, v3, s12, 0
	s_and_not1_b32 vcc_lo, exec_lo, s14
	s_delay_alu instid0(VALU_DEP_1) | instskip(NEXT) | instid1(VALU_DEP_1)
	v_mov_b32_e32 v4, v7
	v_mad_u64_u32 v[7:8], null, v3, s13, v[4:5]
	v_mov_b32_e32 v5, 0
	s_delay_alu instid0(VALU_DEP_2)
	v_lshlrev_b64 v[3:4], 3, v[6:7]
	v_mov_b32_e32 v6, 0
	s_cbranch_vccnz .LBB116_28
; %bb.27:                               ;   in Loop: Header=BB116_25 Depth=1
	s_delay_alu instid0(VALU_DEP_2) | instskip(NEXT) | instid1(VALU_DEP_3)
	v_add_co_u32 v5, vcc_lo, s6, v3
	v_add_co_ci_u32_e32 v6, vcc_lo, s7, v4, vcc_lo
	global_load_b64 v[7:8], v[5:6], off
	s_waitcnt vmcnt(0)
	v_mul_f32_e32 v6, s2, v8
	s_delay_alu instid0(VALU_DEP_1) | instskip(NEXT) | instid1(VALU_DEP_1)
	v_dual_mul_f32 v5, s3, v8 :: v_dual_fmac_f32 v6, s3, v7
	v_fma_f32 v5, s2, v7, -v5
.LBB116_28:                             ;   in Loop: Header=BB116_25 Depth=1
	s_and_not1_b32 vcc_lo, exec_lo, s15
	s_cbranch_vccnz .LBB116_23
; %bb.29:                               ;   in Loop: Header=BB116_25 Depth=1
	s_and_not1_b32 vcc_lo, exec_lo, s17
	s_cbranch_vccnz .LBB116_33
; %bb.30:                               ;   in Loop: Header=BB116_25 Depth=1
	v_dual_mov_b32 v8, v2 :: v_dual_mov_b32 v7, v1
	s_mov_b32 s0, 0
	s_mov_b32 s10, 0
.LBB116_31:                             ;   Parent Loop BB116_25 Depth=1
                                        ; =>  This Inner Loop Header: Depth=2
	s_clause 0x3
	global_load_b128 v[11:14], v[7:8], off offset:-60
	global_load_b128 v[15:18], v[7:8], off offset:-44
	;; [unrolled: 1-line block ×4, first 2 shown]
	v_mov_b32_e32 v39, s0
	v_add_co_u32 v7, vcc_lo, v7, 64
	v_add_co_ci_u32_e32 v8, vcc_lo, 0, v8, vcc_lo
	ds_load_b128 v[27:30], v39
	ds_load_b128 v[31:34], v39 offset:16
	ds_load_b128 v[35:38], v39 offset:32
	;; [unrolled: 1-line block ×3, first 2 shown]
	s_add_i32 s10, s10, 8
	s_add_i32 s0, s0, 64
	s_cmp_eq_u32 s18, s10
	s_waitcnt vmcnt(3) lgkmcnt(3)
	v_dual_mul_f32 v43, v12, v28 :: v_dual_mul_f32 v44, v14, v30
	v_mul_f32_e32 v28, v11, v28
	s_waitcnt vmcnt(2) lgkmcnt(2)
	v_dual_mul_f32 v30, v13, v30 :: v_dual_mul_f32 v45, v16, v32
	s_delay_alu instid0(VALU_DEP_3)
	v_fma_f32 v11, v11, v27, -v43
	v_mul_f32_e32 v32, v15, v32
	v_fmac_f32_e32 v28, v12, v27
	v_fma_f32 v12, v13, v29, -v44
	s_waitcnt vmcnt(1) lgkmcnt(1)
	v_dual_mul_f32 v46, v18, v34 :: v_dual_mul_f32 v47, v20, v36
	v_dual_add_f32 v5, v5, v11 :: v_dual_mul_f32 v48, v22, v38
	v_fma_f32 v11, v15, v31, -v45
	s_waitcnt vmcnt(0) lgkmcnt(0)
	v_dual_mul_f32 v34, v17, v34 :: v_dual_mul_f32 v49, v24, v40
	s_delay_alu instid0(VALU_DEP_3) | instskip(SKIP_2) | instid1(VALU_DEP_4)
	v_add_f32_e32 v5, v5, v12
	v_mul_f32_e32 v36, v19, v36
	v_fma_f32 v12, v17, v33, -v46
	v_fmac_f32_e32 v34, v18, v33
	v_mul_f32_e32 v38, v21, v38
	v_dual_add_f32 v5, v5, v11 :: v_dual_mul_f32 v50, v26, v42
	v_fma_f32 v11, v19, v35, -v47
	v_fmac_f32_e32 v36, v20, v35
	s_delay_alu instid0(VALU_DEP_3) | instskip(SKIP_3) | instid1(VALU_DEP_4)
	v_dual_fmac_f32 v38, v22, v37 :: v_dual_add_f32 v5, v5, v12
	v_mul_f32_e32 v40, v23, v40
	v_fma_f32 v12, v21, v37, -v48
	v_mul_f32_e32 v42, v25, v42
	v_add_f32_e32 v5, v5, v11
	v_fma_f32 v11, v23, v39, -v49
	v_fmac_f32_e32 v40, v24, v39
	s_delay_alu instid0(VALU_DEP_3) | instskip(SKIP_3) | instid1(VALU_DEP_4)
	v_dual_fmac_f32 v42, v26, v41 :: v_dual_add_f32 v5, v5, v12
	v_fmac_f32_e32 v30, v14, v29
	v_add_f32_e32 v6, v6, v28
	v_fma_f32 v12, v25, v41, -v50
	v_add_f32_e32 v5, v5, v11
	v_fmac_f32_e32 v32, v16, v31
	s_delay_alu instid0(VALU_DEP_2) | instskip(NEXT) | instid1(VALU_DEP_1)
	v_dual_add_f32 v6, v6, v30 :: v_dual_add_f32 v5, v5, v12
	v_add_f32_e32 v6, v6, v32
	s_delay_alu instid0(VALU_DEP_1) | instskip(NEXT) | instid1(VALU_DEP_1)
	v_add_f32_e32 v6, v6, v34
	v_add_f32_e32 v6, v6, v36
	s_delay_alu instid0(VALU_DEP_1) | instskip(NEXT) | instid1(VALU_DEP_1)
	v_add_f32_e32 v6, v6, v38
	v_add_f32_e32 v6, v6, v40
	s_delay_alu instid0(VALU_DEP_1)
	v_add_f32_e32 v6, v6, v42
	s_cbranch_scc0 .LBB116_31
; %bb.32:                               ;   in Loop: Header=BB116_25 Depth=1
	s_mov_b32 s0, s18
	s_and_not1_b32 vcc_lo, exec_lo, s20
	s_cbranch_vccz .LBB116_34
	s_branch .LBB116_23
.LBB116_33:                             ;   in Loop: Header=BB116_25 Depth=1
	s_mov_b32 s0, 0
	s_and_not1_b32 vcc_lo, exec_lo, s20
	s_cbranch_vccnz .LBB116_23
.LBB116_34:                             ;   in Loop: Header=BB116_25 Depth=1
	s_lshl_b64 s[10:11], s[0:1], 3
	s_lshl_b32 s0, s0, 3
	v_add_co_u32 v7, vcc_lo, v9, s10
	v_add_co_ci_u32_e32 v8, vcc_lo, s11, v10, vcc_lo
	s_mov_b32 s10, s16
	.p2align	6
.LBB116_35:                             ;   Parent Loop BB116_25 Depth=1
                                        ; =>  This Inner Loop Header: Depth=2
	global_load_b64 v[11:12], v[7:8], off
	v_mov_b32_e32 v13, s0
	v_add_co_u32 v7, vcc_lo, v7, 8
	v_add_co_ci_u32_e32 v8, vcc_lo, 0, v8, vcc_lo
	ds_load_b64 v[13:14], v13
	s_add_i32 s10, s10, -1
	s_add_i32 s0, s0, 8
	s_cmp_lg_u32 s10, 0
	s_waitcnt vmcnt(0) lgkmcnt(0)
	v_mul_f32_e32 v15, v12, v14
	v_mul_f32_e32 v14, v11, v14
	s_delay_alu instid0(VALU_DEP_2) | instskip(NEXT) | instid1(VALU_DEP_1)
	v_fma_f32 v11, v11, v13, -v15
	v_dual_fmac_f32 v14, v12, v13 :: v_dual_add_f32 v5, v5, v11
	s_delay_alu instid0(VALU_DEP_1)
	v_add_f32_e32 v6, v6, v14
	s_cbranch_scc1 .LBB116_35
	s_branch .LBB116_23
.LBB116_36:
	s_nop 0
	s_sendmsg sendmsg(MSG_DEALLOC_VGPRS)
	s_endpgm
	.section	.rodata,"a",@progbits
	.p2align	6, 0x0
	.amdhsa_kernel _ZL22rocblas_gemvtsm_kernelILb0ELi256E19rocblas_complex_numIfEPKS1_S1_EviiT2_lPKT1_lilS7_lilS4_lPT3_lil
		.amdhsa_group_segment_fixed_size 512
		.amdhsa_private_segment_fixed_size 0
		.amdhsa_kernarg_size 136
		.amdhsa_user_sgpr_count 15
		.amdhsa_user_sgpr_dispatch_ptr 0
		.amdhsa_user_sgpr_queue_ptr 0
		.amdhsa_user_sgpr_kernarg_segment_ptr 1
		.amdhsa_user_sgpr_dispatch_id 0
		.amdhsa_user_sgpr_private_segment_size 0
		.amdhsa_wavefront_size32 1
		.amdhsa_uses_dynamic_stack 0
		.amdhsa_enable_private_segment 0
		.amdhsa_system_sgpr_workgroup_id_x 1
		.amdhsa_system_sgpr_workgroup_id_y 0
		.amdhsa_system_sgpr_workgroup_id_z 0
		.amdhsa_system_sgpr_workgroup_info 0
		.amdhsa_system_vgpr_workitem_id 0
		.amdhsa_next_free_vgpr 51
		.amdhsa_next_free_sgpr 31
		.amdhsa_reserve_vcc 1
		.amdhsa_float_round_mode_32 0
		.amdhsa_float_round_mode_16_64 0
		.amdhsa_float_denorm_mode_32 3
		.amdhsa_float_denorm_mode_16_64 3
		.amdhsa_dx10_clamp 1
		.amdhsa_ieee_mode 1
		.amdhsa_fp16_overflow 0
		.amdhsa_workgroup_processor_mode 1
		.amdhsa_memory_ordered 1
		.amdhsa_forward_progress 0
		.amdhsa_shared_vgpr_count 0
		.amdhsa_exception_fp_ieee_invalid_op 0
		.amdhsa_exception_fp_denorm_src 0
		.amdhsa_exception_fp_ieee_div_zero 0
		.amdhsa_exception_fp_ieee_overflow 0
		.amdhsa_exception_fp_ieee_underflow 0
		.amdhsa_exception_fp_ieee_inexact 0
		.amdhsa_exception_int_div_zero 0
	.end_amdhsa_kernel
	.section	.text._ZL22rocblas_gemvtsm_kernelILb0ELi256E19rocblas_complex_numIfEPKS1_S1_EviiT2_lPKT1_lilS7_lilS4_lPT3_lil,"axG",@progbits,_ZL22rocblas_gemvtsm_kernelILb0ELi256E19rocblas_complex_numIfEPKS1_S1_EviiT2_lPKT1_lilS7_lilS4_lPT3_lil,comdat
.Lfunc_end116:
	.size	_ZL22rocblas_gemvtsm_kernelILb0ELi256E19rocblas_complex_numIfEPKS1_S1_EviiT2_lPKT1_lilS7_lilS4_lPT3_lil, .Lfunc_end116-_ZL22rocblas_gemvtsm_kernelILb0ELi256E19rocblas_complex_numIfEPKS1_S1_EviiT2_lPKT1_lilS7_lilS4_lPT3_lil
                                        ; -- End function
	.section	.AMDGPU.csdata,"",@progbits
; Kernel info:
; codeLenInByte = 1884
; NumSgprs: 33
; NumVgprs: 51
; ScratchSize: 0
; MemoryBound: 0
; FloatMode: 240
; IeeeMode: 1
; LDSByteSize: 512 bytes/workgroup (compile time only)
; SGPRBlocks: 4
; VGPRBlocks: 6
; NumSGPRsForWavesPerEU: 33
; NumVGPRsForWavesPerEU: 51
; Occupancy: 16
; WaveLimiterHint : 1
; COMPUTE_PGM_RSRC2:SCRATCH_EN: 0
; COMPUTE_PGM_RSRC2:USER_SGPR: 15
; COMPUTE_PGM_RSRC2:TRAP_HANDLER: 0
; COMPUTE_PGM_RSRC2:TGID_X_EN: 1
; COMPUTE_PGM_RSRC2:TGID_Y_EN: 0
; COMPUTE_PGM_RSRC2:TGID_Z_EN: 0
; COMPUTE_PGM_RSRC2:TIDIG_COMP_CNT: 0
	.section	.text._ZL22rocblas_gemvtsm_kernelILb0ELi256E19rocblas_complex_numIfES1_S1_EviiT2_lPKT1_lilS5_lilS2_lPT3_lil,"axG",@progbits,_ZL22rocblas_gemvtsm_kernelILb0ELi256E19rocblas_complex_numIfES1_S1_EviiT2_lPKT1_lilS5_lilS2_lPT3_lil,comdat
	.globl	_ZL22rocblas_gemvtsm_kernelILb0ELi256E19rocblas_complex_numIfES1_S1_EviiT2_lPKT1_lilS5_lilS2_lPT3_lil ; -- Begin function _ZL22rocblas_gemvtsm_kernelILb0ELi256E19rocblas_complex_numIfES1_S1_EviiT2_lPKT1_lilS5_lilS2_lPT3_lil
	.p2align	8
	.type	_ZL22rocblas_gemvtsm_kernelILb0ELi256E19rocblas_complex_numIfES1_S1_EviiT2_lPKT1_lilS5_lilS2_lPT3_lil,@function
_ZL22rocblas_gemvtsm_kernelILb0ELi256E19rocblas_complex_numIfES1_S1_EviiT2_lPKT1_lilS5_lilS2_lPT3_lil: ; @_ZL22rocblas_gemvtsm_kernelILb0ELi256E19rocblas_complex_numIfES1_S1_EviiT2_lPKT1_lilS5_lilS2_lPT3_lil
; %bb.0:
	s_clause 0x1
	s_load_b128 s[4:7], s[0:1], 0x0
	s_load_b64 s[12:13], s[0:1], 0x58
	s_waitcnt lgkmcnt(0)
	v_cmp_neq_f32_e64 s2, s6, 0
	v_cmp_neq_f32_e64 s3, s7, 0
	s_delay_alu instid0(VALU_DEP_1) | instskip(NEXT) | instid1(SALU_CYCLE_1)
	s_or_b32 s2, s2, s3
	s_and_b32 vcc_lo, exec_lo, s2
	s_mov_b32 s2, -1
	s_cbranch_vccnz .LBB117_2
; %bb.1:
	v_cmp_neq_f32_e64 s2, s12, 1.0
	v_cmp_neq_f32_e64 s3, s13, 0
	s_delay_alu instid0(VALU_DEP_1)
	s_or_b32 s2, s2, s3
.LBB117_2:
	s_delay_alu instid0(SALU_CYCLE_1)
	s_and_not1_b32 vcc_lo, exec_lo, s2
	s_cbranch_vccnz .LBB117_36
; %bb.3:
	s_clause 0x2
	s_load_b64 s[2:3], s[0:1], 0x80
	s_load_b128 s[8:11], s[0:1], 0x68
	s_load_b32 s20, s[0:1], 0x78
	s_or_b32 s14, s6, s7
	s_delay_alu instid0(SALU_CYCLE_1)
	s_bitset0_b32 s14, 31
	s_waitcnt lgkmcnt(0)
	s_mul_i32 s3, s15, s3
	s_mul_hi_u32 s16, s15, s2
	s_mul_i32 s22, s15, s2
	s_add_i32 s23, s16, s3
	s_cmp_lg_u32 s14, 0
	s_mov_b32 s2, -1
	s_cbranch_scc1 .LBB117_18
; %bb.4:
	v_cmp_neq_f32_e64 s2, s12, 0
	v_cmp_neq_f32_e64 s3, s13, 0
	s_delay_alu instid0(VALU_DEP_1)
	s_or_b32 s2, s2, s3
	s_cmp_gt_i32 s5, 0
	s_cselect_b32 s14, -1, 0
	s_and_b32 vcc_lo, exec_lo, s2
	s_mov_b32 s2, -1
	s_cbranch_vccnz .LBB117_11
; %bb.5:
	s_and_not1_b32 vcc_lo, exec_lo, s14
	s_cbranch_vccnz .LBB117_10
; %bb.6:
	v_mad_i64_i32 v[1:2], null, s20, v0, 0
	s_lshl_b64 s[16:17], s[10:11], 3
	s_ashr_i32 s21, s20, 31
	s_lshl_b64 s[2:3], s[22:23], 3
	s_add_u32 s16, s8, s16
	s_addc_u32 s17, s9, s17
	s_add_u32 s2, s16, s2
	s_delay_alu instid0(VALU_DEP_1) | instskip(SKIP_3) | instid1(VALU_DEP_2)
	v_lshlrev_b64 v[1:2], 3, v[1:2]
	s_addc_u32 s3, s17, s3
	v_mov_b32_e32 v3, 0
	s_mov_b32 s16, 0
	v_add_co_u32 v1, vcc_lo, s2, v1
	s_delay_alu instid0(VALU_DEP_3) | instskip(SKIP_1) | instid1(VALU_DEP_2)
	v_add_co_ci_u32_e32 v2, vcc_lo, s3, v2, vcc_lo
	s_lshl_b64 s[2:3], s[20:21], 11
	v_add_co_u32 v1, vcc_lo, v1, 4
	s_delay_alu instid0(VALU_DEP_2)
	v_add_co_ci_u32_e32 v2, vcc_lo, 0, v2, vcc_lo
	s_branch .LBB117_8
.LBB117_7:                              ;   in Loop: Header=BB117_8 Depth=1
	s_or_b32 exec_lo, exec_lo, s17
	v_add_co_u32 v1, vcc_lo, v1, s2
	v_add_co_ci_u32_e32 v2, vcc_lo, s3, v2, vcc_lo
	s_addk_i32 s16, 0x100
	s_delay_alu instid0(SALU_CYCLE_1)
	s_cmp_ge_i32 s16, s5
	s_cbranch_scc1 .LBB117_10
.LBB117_8:                              ; =>This Inner Loop Header: Depth=1
	v_add_nc_u32_e32 v4, s16, v0
	s_mov_b32 s17, exec_lo
	s_delay_alu instid0(VALU_DEP_1)
	v_cmpx_gt_i32_e64 s5, v4
	s_cbranch_execz .LBB117_7
; %bb.9:                                ;   in Loop: Header=BB117_8 Depth=1
	v_mov_b32_e32 v4, v3
	global_store_b64 v[1:2], v[3:4], off offset:-4
	s_branch .LBB117_7
.LBB117_10:
	s_mov_b32 s2, 0
.LBB117_11:
	s_delay_alu instid0(SALU_CYCLE_1)
	s_and_not1_b32 vcc_lo, exec_lo, s2
	s_cbranch_vccnz .LBB117_17
; %bb.12:
	s_and_not1_b32 vcc_lo, exec_lo, s14
	s_cbranch_vccnz .LBB117_17
; %bb.13:
	v_mad_i64_i32 v[1:2], null, s20, v0, 0
	s_lshl_b64 s[16:17], s[10:11], 3
	s_ashr_i32 s21, s20, 31
	s_lshl_b64 s[2:3], s[22:23], 3
	s_add_u32 s14, s8, s16
	s_addc_u32 s16, s9, s17
	s_add_u32 s2, s14, s2
	s_delay_alu instid0(VALU_DEP_1) | instskip(SKIP_2) | instid1(VALU_DEP_1)
	v_lshlrev_b64 v[1:2], 3, v[1:2]
	s_addc_u32 s3, s16, s3
	s_mov_b32 s14, 0
	v_add_co_u32 v1, vcc_lo, s2, v1
	s_delay_alu instid0(VALU_DEP_2) | instskip(SKIP_1) | instid1(VALU_DEP_2)
	v_add_co_ci_u32_e32 v2, vcc_lo, s3, v2, vcc_lo
	s_lshl_b64 s[2:3], s[20:21], 11
	v_add_co_u32 v1, vcc_lo, v1, 4
	s_delay_alu instid0(VALU_DEP_2)
	v_add_co_ci_u32_e32 v2, vcc_lo, 0, v2, vcc_lo
	s_branch .LBB117_15
	.p2align	6
.LBB117_14:                             ;   in Loop: Header=BB117_15 Depth=1
	s_or_b32 exec_lo, exec_lo, s16
	v_add_co_u32 v1, vcc_lo, v1, s2
	v_add_co_ci_u32_e32 v2, vcc_lo, s3, v2, vcc_lo
	s_addk_i32 s14, 0x100
	s_delay_alu instid0(SALU_CYCLE_1)
	s_cmp_ge_i32 s14, s5
	s_cbranch_scc1 .LBB117_17
.LBB117_15:                             ; =>This Inner Loop Header: Depth=1
	v_add_nc_u32_e32 v3, s14, v0
	s_mov_b32 s16, exec_lo
	s_delay_alu instid0(VALU_DEP_1)
	v_cmpx_gt_i32_e64 s5, v3
	s_cbranch_execz .LBB117_14
; %bb.16:                               ;   in Loop: Header=BB117_15 Depth=1
	global_load_b64 v[3:4], v[1:2], off offset:-4
	s_waitcnt vmcnt(0)
	v_mul_f32_e32 v5, s12, v4
	s_delay_alu instid0(VALU_DEP_1) | instskip(NEXT) | instid1(VALU_DEP_1)
	v_dual_mul_f32 v6, s13, v4 :: v_dual_fmac_f32 v5, s13, v3
	v_fma_f32 v4, s12, v3, -v6
	global_store_b64 v[1:2], v[4:5], off offset:-4
	s_branch .LBB117_14
.LBB117_17:
	s_mov_b32 s2, 0
.LBB117_18:
	s_delay_alu instid0(SALU_CYCLE_1)
	s_and_not1_b32 vcc_lo, exec_lo, s2
	s_cbranch_vccnz .LBB117_36
; %bb.19:
	s_clause 0x1
	s_load_b128 s[16:19], s[0:1], 0x30
	s_load_b64 s[2:3], s[0:1], 0x40
	s_mov_b32 s14, exec_lo
	v_cmpx_gt_i32_e64 s4, v0
	s_cbranch_execz .LBB117_21
; %bb.20:
	s_clause 0x1
	s_load_b64 s[24:25], s[0:1], 0x50
	s_load_b32 s21, s[0:1], 0x48
	s_waitcnt lgkmcnt(0)
	s_mul_i32 s25, s15, s25
	v_mad_i64_i32 v[1:2], null, s21, v0, 0
	s_mul_hi_u32 s26, s15, s24
	s_mul_i32 s24, s15, s24
	s_add_i32 s25, s26, s25
	s_delay_alu instid0(SALU_CYCLE_1) | instskip(NEXT) | instid1(SALU_CYCLE_1)
	s_lshl_b64 s[24:25], s[24:25], 3
	s_add_u32 s18, s18, s24
	s_delay_alu instid0(VALU_DEP_1) | instskip(SKIP_2) | instid1(SALU_CYCLE_1)
	v_lshlrev_b64 v[1:2], 3, v[1:2]
	s_addc_u32 s19, s19, s25
	s_lshl_b64 s[2:3], s[2:3], 3
	s_add_u32 s2, s18, s2
	s_addc_u32 s3, s19, s3
	s_delay_alu instid0(VALU_DEP_1) | instskip(SKIP_4) | instid1(VALU_DEP_1)
	v_add_co_u32 v1, vcc_lo, s2, v1
	v_add_co_ci_u32_e32 v2, vcc_lo, s3, v2, vcc_lo
	global_load_b64 v[1:2], v[1:2], off
	s_waitcnt vmcnt(0)
	v_mul_f32_e32 v3, s6, v2
	v_dual_mul_f32 v4, s7, v2 :: v_dual_fmac_f32 v3, s7, v1
	s_delay_alu instid0(VALU_DEP_1)
	v_fma_f32 v2, v1, s6, -v4
	v_lshlrev_b32_e32 v1, 3, v0
	ds_store_b64 v1, v[2:3]
.LBB117_21:
	s_or_b32 exec_lo, exec_lo, s14
	s_cmp_lt_i32 s5, 1
	s_waitcnt lgkmcnt(0)
	s_waitcnt_vscnt null, 0x0
	s_barrier
	buffer_gl0_inv
	s_cbranch_scc1 .LBB117_36
; %bb.22:
	s_clause 0x1
	s_load_b32 s18, s[0:1], 0x28
	s_load_b128 s[0:3], s[0:1], 0x18
	s_lshl_b64 s[6:7], s[22:23], 3
	v_cmp_neq_f32_e64 s14, s12, 0
	v_cmp_neq_f32_e64 s19, s13, 0
	s_add_u32 s8, s8, s6
	s_addc_u32 s9, s9, s7
	s_lshl_b64 s[6:7], s[10:11], 3
	s_mul_i32 s17, s17, s15
	s_add_u32 s6, s8, s6
	s_addc_u32 s7, s9, s7
	s_ashr_i32 s8, s20, 31
	s_or_b32 s9, s14, s19
	s_mul_hi_u32 s21, s16, s15
	s_mul_i32 s16, s16, s15
	s_waitcnt lgkmcnt(0)
	s_ashr_i32 s19, s18, 31
	s_cmp_gt_i32 s4, 0
	v_mad_i64_i32 v[1:2], null, s18, v0, 0
	s_cselect_b32 s10, -1, 0
	s_and_b32 s11, s4, 7
	s_cmp_gt_u32 s4, 7
	s_cselect_b32 s14, -1, 0
	s_and_b32 s4, s4, 0x7ffffff8
	s_cmp_lg_u32 s11, 0
	s_delay_alu instid0(VALU_DEP_1)
	v_lshlrev_b64 v[1:2], 3, v[1:2]
	s_cselect_b32 s15, -1, 0
	s_add_i32 s17, s21, s17
	s_lshl_b64 s[2:3], s[2:3], 3
	s_lshl_b64 s[16:17], s[16:17], 3
	s_add_u32 s0, s0, s2
	s_addc_u32 s1, s1, s3
	s_add_u32 s0, s0, s16
	s_addc_u32 s1, s1, s17
	v_add_co_u32 v9, vcc_lo, s0, v1
	v_add_co_ci_u32_e32 v10, vcc_lo, s1, v2, vcc_lo
	s_mov_b32 s1, 0
	s_delay_alu instid0(VALU_DEP_2) | instskip(NEXT) | instid1(VALU_DEP_2)
	v_add_co_u32 v1, vcc_lo, v9, 60
	v_add_co_ci_u32_e32 v2, vcc_lo, 0, v10, vcc_lo
	s_lshl_b64 s[2:3], s[18:19], 11
	s_mov_b32 s16, 0
	s_branch .LBB117_25
.LBB117_23:                             ;   in Loop: Header=BB117_25 Depth=1
	s_delay_alu instid0(VALU_DEP_2)
	v_add_co_u32 v3, vcc_lo, s6, v3
	v_add_co_ci_u32_e32 v4, vcc_lo, s7, v4, vcc_lo
	global_store_b64 v[3:4], v[5:6], off
.LBB117_24:                             ;   in Loop: Header=BB117_25 Depth=1
	s_or_b32 exec_lo, exec_lo, s17
	v_add_co_u32 v1, vcc_lo, v1, s2
	v_add_co_ci_u32_e32 v2, vcc_lo, s3, v2, vcc_lo
	v_add_co_u32 v9, vcc_lo, v9, s2
	v_add_co_ci_u32_e32 v10, vcc_lo, s3, v10, vcc_lo
	s_addk_i32 s16, 0x100
	s_delay_alu instid0(SALU_CYCLE_1)
	s_cmp_ge_i32 s16, s5
	s_cbranch_scc1 .LBB117_36
.LBB117_25:                             ; =>This Loop Header: Depth=1
                                        ;     Child Loop BB117_31 Depth 2
                                        ;     Child Loop BB117_35 Depth 2
	v_add_nc_u32_e32 v3, s16, v0
	s_mov_b32 s17, exec_lo
	s_delay_alu instid0(VALU_DEP_1)
	v_cmpx_gt_i32_e64 s5, v3
	s_cbranch_execz .LBB117_24
; %bb.26:                               ;   in Loop: Header=BB117_25 Depth=1
	v_mad_u64_u32 v[6:7], null, v3, s20, 0
	s_and_not1_b32 vcc_lo, exec_lo, s9
	s_delay_alu instid0(VALU_DEP_1) | instskip(NEXT) | instid1(VALU_DEP_1)
	v_mov_b32_e32 v4, v7
	v_mad_u64_u32 v[7:8], null, v3, s8, v[4:5]
	v_mov_b32_e32 v5, 0
	s_delay_alu instid0(VALU_DEP_2)
	v_lshlrev_b64 v[3:4], 3, v[6:7]
	v_mov_b32_e32 v6, 0
	s_cbranch_vccnz .LBB117_28
; %bb.27:                               ;   in Loop: Header=BB117_25 Depth=1
	s_delay_alu instid0(VALU_DEP_2) | instskip(NEXT) | instid1(VALU_DEP_3)
	v_add_co_u32 v5, vcc_lo, s6, v3
	v_add_co_ci_u32_e32 v6, vcc_lo, s7, v4, vcc_lo
	global_load_b64 v[7:8], v[5:6], off
	s_waitcnt vmcnt(0)
	v_mul_f32_e32 v6, s12, v8
	s_delay_alu instid0(VALU_DEP_1) | instskip(NEXT) | instid1(VALU_DEP_1)
	v_dual_mul_f32 v5, s13, v8 :: v_dual_fmac_f32 v6, s13, v7
	v_fma_f32 v5, s12, v7, -v5
.LBB117_28:                             ;   in Loop: Header=BB117_25 Depth=1
	s_and_not1_b32 vcc_lo, exec_lo, s10
	s_cbranch_vccnz .LBB117_23
; %bb.29:                               ;   in Loop: Header=BB117_25 Depth=1
	s_and_not1_b32 vcc_lo, exec_lo, s14
	s_cbranch_vccnz .LBB117_33
; %bb.30:                               ;   in Loop: Header=BB117_25 Depth=1
	v_dual_mov_b32 v8, v2 :: v_dual_mov_b32 v7, v1
	s_mov_b32 s0, 0
	s_mov_b32 s18, 0
.LBB117_31:                             ;   Parent Loop BB117_25 Depth=1
                                        ; =>  This Inner Loop Header: Depth=2
	s_clause 0x3
	global_load_b128 v[11:14], v[7:8], off offset:-60
	global_load_b128 v[15:18], v[7:8], off offset:-44
	global_load_b128 v[19:22], v[7:8], off offset:-28
	global_load_b128 v[23:26], v[7:8], off offset:-12
	v_mov_b32_e32 v39, s0
	v_add_co_u32 v7, vcc_lo, v7, 64
	v_add_co_ci_u32_e32 v8, vcc_lo, 0, v8, vcc_lo
	ds_load_b128 v[27:30], v39
	ds_load_b128 v[31:34], v39 offset:16
	ds_load_b128 v[35:38], v39 offset:32
	;; [unrolled: 1-line block ×3, first 2 shown]
	s_add_i32 s18, s18, 8
	s_add_i32 s0, s0, 64
	s_cmp_eq_u32 s4, s18
	s_waitcnt vmcnt(3) lgkmcnt(3)
	v_dual_mul_f32 v43, v12, v28 :: v_dual_mul_f32 v44, v14, v30
	v_mul_f32_e32 v28, v11, v28
	s_waitcnt vmcnt(2) lgkmcnt(2)
	v_dual_mul_f32 v30, v13, v30 :: v_dual_mul_f32 v45, v16, v32
	s_delay_alu instid0(VALU_DEP_3)
	v_fma_f32 v11, v11, v27, -v43
	v_mul_f32_e32 v32, v15, v32
	v_fmac_f32_e32 v28, v12, v27
	v_fma_f32 v12, v13, v29, -v44
	s_waitcnt vmcnt(1) lgkmcnt(1)
	v_dual_mul_f32 v46, v18, v34 :: v_dual_mul_f32 v47, v20, v36
	v_dual_add_f32 v5, v5, v11 :: v_dual_mul_f32 v48, v22, v38
	v_fma_f32 v11, v15, v31, -v45
	s_waitcnt vmcnt(0) lgkmcnt(0)
	v_dual_mul_f32 v34, v17, v34 :: v_dual_mul_f32 v49, v24, v40
	s_delay_alu instid0(VALU_DEP_3) | instskip(SKIP_2) | instid1(VALU_DEP_4)
	v_add_f32_e32 v5, v5, v12
	v_mul_f32_e32 v36, v19, v36
	v_fma_f32 v12, v17, v33, -v46
	v_fmac_f32_e32 v34, v18, v33
	v_mul_f32_e32 v38, v21, v38
	v_dual_add_f32 v5, v5, v11 :: v_dual_mul_f32 v50, v26, v42
	v_fma_f32 v11, v19, v35, -v47
	v_fmac_f32_e32 v36, v20, v35
	s_delay_alu instid0(VALU_DEP_3) | instskip(SKIP_3) | instid1(VALU_DEP_4)
	v_dual_fmac_f32 v38, v22, v37 :: v_dual_add_f32 v5, v5, v12
	v_mul_f32_e32 v40, v23, v40
	v_fma_f32 v12, v21, v37, -v48
	v_mul_f32_e32 v42, v25, v42
	v_add_f32_e32 v5, v5, v11
	v_fma_f32 v11, v23, v39, -v49
	v_fmac_f32_e32 v40, v24, v39
	s_delay_alu instid0(VALU_DEP_3) | instskip(SKIP_3) | instid1(VALU_DEP_4)
	v_dual_fmac_f32 v42, v26, v41 :: v_dual_add_f32 v5, v5, v12
	v_fmac_f32_e32 v30, v14, v29
	v_add_f32_e32 v6, v6, v28
	v_fma_f32 v12, v25, v41, -v50
	v_add_f32_e32 v5, v5, v11
	v_fmac_f32_e32 v32, v16, v31
	s_delay_alu instid0(VALU_DEP_2) | instskip(NEXT) | instid1(VALU_DEP_1)
	v_dual_add_f32 v6, v6, v30 :: v_dual_add_f32 v5, v5, v12
	v_add_f32_e32 v6, v6, v32
	s_delay_alu instid0(VALU_DEP_1) | instskip(NEXT) | instid1(VALU_DEP_1)
	v_add_f32_e32 v6, v6, v34
	v_add_f32_e32 v6, v6, v36
	s_delay_alu instid0(VALU_DEP_1) | instskip(NEXT) | instid1(VALU_DEP_1)
	v_add_f32_e32 v6, v6, v38
	v_add_f32_e32 v6, v6, v40
	s_delay_alu instid0(VALU_DEP_1)
	v_add_f32_e32 v6, v6, v42
	s_cbranch_scc0 .LBB117_31
; %bb.32:                               ;   in Loop: Header=BB117_25 Depth=1
	s_mov_b32 s0, s4
	s_and_not1_b32 vcc_lo, exec_lo, s15
	s_cbranch_vccz .LBB117_34
	s_branch .LBB117_23
.LBB117_33:                             ;   in Loop: Header=BB117_25 Depth=1
	s_mov_b32 s0, 0
	s_and_not1_b32 vcc_lo, exec_lo, s15
	s_cbranch_vccnz .LBB117_23
.LBB117_34:                             ;   in Loop: Header=BB117_25 Depth=1
	s_lshl_b64 s[18:19], s[0:1], 3
	s_lshl_b32 s0, s0, 3
	v_add_co_u32 v7, vcc_lo, v9, s18
	v_add_co_ci_u32_e32 v8, vcc_lo, s19, v10, vcc_lo
	s_mov_b32 s18, s11
	.p2align	6
.LBB117_35:                             ;   Parent Loop BB117_25 Depth=1
                                        ; =>  This Inner Loop Header: Depth=2
	global_load_b64 v[11:12], v[7:8], off
	v_mov_b32_e32 v13, s0
	v_add_co_u32 v7, vcc_lo, v7, 8
	v_add_co_ci_u32_e32 v8, vcc_lo, 0, v8, vcc_lo
	ds_load_b64 v[13:14], v13
	s_add_i32 s18, s18, -1
	s_add_i32 s0, s0, 8
	s_cmp_lg_u32 s18, 0
	s_waitcnt vmcnt(0) lgkmcnt(0)
	v_mul_f32_e32 v15, v12, v14
	v_mul_f32_e32 v14, v11, v14
	s_delay_alu instid0(VALU_DEP_2) | instskip(NEXT) | instid1(VALU_DEP_1)
	v_fma_f32 v11, v11, v13, -v15
	v_dual_fmac_f32 v14, v12, v13 :: v_dual_add_f32 v5, v5, v11
	s_delay_alu instid0(VALU_DEP_1)
	v_add_f32_e32 v6, v6, v14
	s_cbranch_scc1 .LBB117_35
	s_branch .LBB117_23
.LBB117_36:
	s_nop 0
	s_sendmsg sendmsg(MSG_DEALLOC_VGPRS)
	s_endpgm
	.section	.rodata,"a",@progbits
	.p2align	6, 0x0
	.amdhsa_kernel _ZL22rocblas_gemvtsm_kernelILb0ELi256E19rocblas_complex_numIfES1_S1_EviiT2_lPKT1_lilS5_lilS2_lPT3_lil
		.amdhsa_group_segment_fixed_size 512
		.amdhsa_private_segment_fixed_size 0
		.amdhsa_kernarg_size 136
		.amdhsa_user_sgpr_count 15
		.amdhsa_user_sgpr_dispatch_ptr 0
		.amdhsa_user_sgpr_queue_ptr 0
		.amdhsa_user_sgpr_kernarg_segment_ptr 1
		.amdhsa_user_sgpr_dispatch_id 0
		.amdhsa_user_sgpr_private_segment_size 0
		.amdhsa_wavefront_size32 1
		.amdhsa_uses_dynamic_stack 0
		.amdhsa_enable_private_segment 0
		.amdhsa_system_sgpr_workgroup_id_x 1
		.amdhsa_system_sgpr_workgroup_id_y 0
		.amdhsa_system_sgpr_workgroup_id_z 0
		.amdhsa_system_sgpr_workgroup_info 0
		.amdhsa_system_vgpr_workitem_id 0
		.amdhsa_next_free_vgpr 51
		.amdhsa_next_free_sgpr 27
		.amdhsa_reserve_vcc 1
		.amdhsa_float_round_mode_32 0
		.amdhsa_float_round_mode_16_64 0
		.amdhsa_float_denorm_mode_32 3
		.amdhsa_float_denorm_mode_16_64 3
		.amdhsa_dx10_clamp 1
		.amdhsa_ieee_mode 1
		.amdhsa_fp16_overflow 0
		.amdhsa_workgroup_processor_mode 1
		.amdhsa_memory_ordered 1
		.amdhsa_forward_progress 0
		.amdhsa_shared_vgpr_count 0
		.amdhsa_exception_fp_ieee_invalid_op 0
		.amdhsa_exception_fp_denorm_src 0
		.amdhsa_exception_fp_ieee_div_zero 0
		.amdhsa_exception_fp_ieee_overflow 0
		.amdhsa_exception_fp_ieee_underflow 0
		.amdhsa_exception_fp_ieee_inexact 0
		.amdhsa_exception_int_div_zero 0
	.end_amdhsa_kernel
	.section	.text._ZL22rocblas_gemvtsm_kernelILb0ELi256E19rocblas_complex_numIfES1_S1_EviiT2_lPKT1_lilS5_lilS2_lPT3_lil,"axG",@progbits,_ZL22rocblas_gemvtsm_kernelILb0ELi256E19rocblas_complex_numIfES1_S1_EviiT2_lPKT1_lilS5_lilS2_lPT3_lil,comdat
.Lfunc_end117:
	.size	_ZL22rocblas_gemvtsm_kernelILb0ELi256E19rocblas_complex_numIfES1_S1_EviiT2_lPKT1_lilS5_lilS2_lPT3_lil, .Lfunc_end117-_ZL22rocblas_gemvtsm_kernelILb0ELi256E19rocblas_complex_numIfES1_S1_EviiT2_lPKT1_lilS5_lilS2_lPT3_lil
                                        ; -- End function
	.section	.AMDGPU.csdata,"",@progbits
; Kernel info:
; codeLenInByte = 1816
; NumSgprs: 29
; NumVgprs: 51
; ScratchSize: 0
; MemoryBound: 0
; FloatMode: 240
; IeeeMode: 1
; LDSByteSize: 512 bytes/workgroup (compile time only)
; SGPRBlocks: 3
; VGPRBlocks: 6
; NumSGPRsForWavesPerEU: 29
; NumVGPRsForWavesPerEU: 51
; Occupancy: 16
; WaveLimiterHint : 1
; COMPUTE_PGM_RSRC2:SCRATCH_EN: 0
; COMPUTE_PGM_RSRC2:USER_SGPR: 15
; COMPUTE_PGM_RSRC2:TRAP_HANDLER: 0
; COMPUTE_PGM_RSRC2:TGID_X_EN: 1
; COMPUTE_PGM_RSRC2:TGID_Y_EN: 0
; COMPUTE_PGM_RSRC2:TGID_Z_EN: 0
; COMPUTE_PGM_RSRC2:TIDIG_COMP_CNT: 0
	.section	.text._ZL23rocblas_gemvt_sn_kernelILb0ELi256ELi4Ei19rocblas_complex_numIfEPKS1_S1_EviiT4_lPKT3_lilS7_lilPT5_i,"axG",@progbits,_ZL23rocblas_gemvt_sn_kernelILb0ELi256ELi4Ei19rocblas_complex_numIfEPKS1_S1_EviiT4_lPKT3_lilS7_lilPT5_i,comdat
	.globl	_ZL23rocblas_gemvt_sn_kernelILb0ELi256ELi4Ei19rocblas_complex_numIfEPKS1_S1_EviiT4_lPKT3_lilS7_lilPT5_i ; -- Begin function _ZL23rocblas_gemvt_sn_kernelILb0ELi256ELi4Ei19rocblas_complex_numIfEPKS1_S1_EviiT4_lPKT3_lilS7_lilPT5_i
	.p2align	8
	.type	_ZL23rocblas_gemvt_sn_kernelILb0ELi256ELi4Ei19rocblas_complex_numIfEPKS1_S1_EviiT4_lPKT3_lilS7_lilPT5_i,@function
_ZL23rocblas_gemvt_sn_kernelILb0ELi256ELi4Ei19rocblas_complex_numIfEPKS1_S1_EviiT4_lPKT3_lilS7_lilPT5_i: ; @_ZL23rocblas_gemvt_sn_kernelILb0ELi256ELi4Ei19rocblas_complex_numIfEPKS1_S1_EviiT4_lPKT3_lilS7_lilPT5_i
; %bb.0:
	s_clause 0x2
	s_load_b256 s[4:11], s[0:1], 0x8
	s_load_b64 s[12:13], s[0:1], 0x0
	s_load_b32 s16, s[0:1], 0x68
	v_cmp_eq_u32_e32 vcc_lo, 0, v0
	s_mov_b32 s17, 0
	s_waitcnt lgkmcnt(0)
	s_mul_i32 s3, s15, s7
	s_mul_hi_u32 s7, s15, s6
	s_mul_i32 s2, s15, s6
	s_add_i32 s3, s7, s3
	s_mul_i32 s20, s13, s15
	s_lshl_b64 s[2:3], s[2:3], 3
	s_delay_alu instid0(SALU_CYCLE_1)
	s_add_u32 s2, s4, s2
	s_addc_u32 s3, s5, s3
	s_load_b64 s[18:19], s[2:3], 0x0
	s_load_b128 s[4:7], s[0:1], 0x50
	s_ashr_i32 s24, s13, 31
	s_mul_hi_u32 s2, s13, s15
	s_mul_i32 s3, s24, s15
	s_delay_alu instid0(SALU_CYCLE_1) | instskip(SKIP_2) | instid1(SALU_CYCLE_1)
	s_add_i32 s2, s2, s3
	s_mul_hi_u32 s3, s20, s16
	s_mul_i32 s2, s2, s16
	s_add_i32 s3, s3, s2
	s_mul_i32 s2, s20, s16
	s_mov_b32 s20, -1
	s_waitcnt lgkmcnt(0)
	s_or_b32 s21, s18, s19
	s_delay_alu instid0(SALU_CYCLE_1) | instskip(NEXT) | instid1(SALU_CYCLE_1)
	s_bitset0_b32 s21, 31
	s_cmp_lg_u32 s21, 0
	s_cbranch_scc1 .LBB118_5
; %bb.1:
	s_cmp_gt_i32 s13, 0
	s_cselect_b32 s20, -1, 0
	s_delay_alu instid0(SALU_CYCLE_1) | instskip(NEXT) | instid1(SALU_CYCLE_1)
	s_and_b32 s20, vcc_lo, s20
	s_and_saveexec_b32 s25, s20
	s_cbranch_execz .LBB118_4
; %bb.2:
	s_mov_b32 s20, s15
	s_mov_b32 s15, 0
	v_mov_b32_e32 v1, 0
	s_lshl_b64 s[22:23], s[2:3], 3
	s_lshl_b64 s[26:27], s[14:15], 3
	s_mov_b32 s15, s20
	s_add_u32 s20, s22, s26
	s_addc_u32 s21, s23, s27
	s_add_u32 s20, s20, s6
	v_mov_b32_e32 v2, v1
	s_addc_u32 s21, s21, s7
	s_add_u32 s20, s20, 4
	s_addc_u32 s21, s21, 0
	s_lshl_b64 s[22:23], s[16:17], 3
	s_mov_b32 s17, s13
.LBB118_3:                              ; =>This Inner Loop Header: Depth=1
	s_delay_alu instid0(SALU_CYCLE_1)
	s_add_i32 s17, s17, -1
	global_store_b64 v1, v[1:2], s[20:21] offset:-4
	s_add_u32 s20, s20, s22
	s_addc_u32 s21, s21, s23
	s_cmp_eq_u32 s17, 0
	s_cbranch_scc0 .LBB118_3
.LBB118_4:
	s_or_b32 exec_lo, exec_lo, s25
	s_mov_b32 s20, 0
.LBB118_5:
	s_delay_alu instid0(SALU_CYCLE_1)
	s_and_not1_b32 vcc_lo, exec_lo, s20
	s_cbranch_vccnz .LBB118_76
; %bb.6:
	s_clause 0x1
	s_load_b128 s[20:23], s[0:1], 0x30
	s_load_b64 s[26:27], s[0:1], 0x40
	s_mul_i32 s5, s15, s5
	s_mul_hi_u32 s17, s15, s4
	s_mul_i32 s4, s15, s4
	s_add_i32 s5, s17, s5
	s_clause 0x1
	s_load_b32 s17, s[0:1], 0x28
	s_load_b32 s30, s[0:1], 0x48
	s_lshl_b64 s[4:5], s[4:5], 3
	v_and_b32_e32 v27, 31, v0
	v_mbcnt_lo_u32_b32 v28, -1, 0
	v_lshrrev_b32_e32 v29, 2, v0
	v_or_b32_e64 v26, 0, 4
	s_waitcnt lgkmcnt(0)
	s_add_u32 s4, s22, s4
	s_addc_u32 s5, s23, s5
	s_lshl_b64 s[0:1], s[26:27], 3
	s_mul_i32 s21, s15, s21
	s_add_u32 s31, s4, s0
	s_addc_u32 s33, s5, s1
	s_lshl_b64 s[0:1], s[2:3], 3
	s_mul_hi_u32 s22, s15, s20
	s_add_u32 s37, s6, s0
	s_mul_i32 s2, s15, s20
	s_addc_u32 s36, s7, s1
	s_add_i32 s3, s22, s21
	v_cmp_gt_u32_e64 s0, 32, v0
	s_lshl_b64 s[6:7], s[2:3], 3
	s_delay_alu instid0(SALU_CYCLE_1) | instskip(SKIP_2) | instid1(SALU_CYCLE_1)
	s_add_u32 s1, s8, s6
	s_addc_u32 s2, s9, s7
	s_lshl_b64 s[10:11], s[10:11], 3
	s_add_u32 s3, s1, s10
	s_addc_u32 s2, s2, s11
	s_lshl_b32 s4, s14, 10
	s_lshr_b32 s5, s24, 30
	v_lshl_or_b32 v2, v0, 2, s4
	s_ashr_i32 s4, s12, 31
	s_add_i32 s5, s13, s5
	s_lshr_b32 s4, s4, 30
	v_cmp_gt_u32_e64 s1, 8, v0
	v_ashrrev_i32_e32 v3, 31, v2
	s_add_i32 s4, s12, s4
	v_mul_lo_u32 v1, v2, s30
	s_and_b32 s4, s4, -4
	v_add_nc_u32_e32 v30, 4, v2
	v_lshlrev_b64 v[3:4], 3, v[2:3]
	s_sub_i32 s34, s12, s4
	s_and_b32 s15, s5, -4
	v_add_nc_u32_e32 v31, s34, v2
	s_cmp_lt_i32 s15, 1
	s_delay_alu instid0(VALU_DEP_2)
	v_add_co_u32 v24, vcc_lo, s3, v3
	v_add_co_ci_u32_e32 v25, vcc_lo, s2, v4, vcc_lo
	s_cbranch_scc1 .LBB118_53
; %bb.7:
	v_cmp_gt_u32_e32 vcc_lo, 16, v28
	s_cmp_gt_i32 s34, 0
	v_cmp_ge_i32_e64 s2, s12, v30
	s_cselect_b32 s38, -1, 0
	s_lshl_b32 s39, s17, 2
	v_cndmask_b32_e64 v5, 0, 1, vcc_lo
	v_cmp_gt_u32_e32 vcc_lo, 24, v28
	s_lshl_b32 s40, s17, 1
	s_add_u32 s20, s6, s10
	s_addc_u32 s22, s7, s11
	v_lshlrev_b32_e32 v5, 4, v5
	v_cndmask_b32_e64 v6, 0, 1, vcc_lo
	v_cmp_gt_u32_e32 vcc_lo, 28, v28
	s_add_u32 s20, s8, s20
	s_addc_u32 s22, s9, s22
	v_add_lshl_u32 v32, v5, v28, 2
	v_mul_lo_u32 v5, v2, s30
	v_cndmask_b32_e64 v7, 0, 1, vcc_lo
	v_cmp_gt_u32_e32 vcc_lo, 30, v28
	v_lshlrev_b32_e32 v6, 3, v6
	v_cmp_ge_i32_e64 s3, s12, v31
	v_cmp_eq_u32_e64 s4, 0, v27
	v_lshlrev_b32_e32 v7, 2, v7
	v_cndmask_b32_e64 v8, 0, 1, vcc_lo
	v_cmp_ne_u32_e32 vcc_lo, 31, v28
	v_add_lshl_u32 v2, v6, v28, 2
	v_ashrrev_i32_e32 v6, 31, v5
	v_add_lshl_u32 v33, v7, v28, 2
	v_add_nc_u32_e32 v7, s30, v5
	v_add_co_ci_u32_e32 v9, vcc_lo, 0, v28, vcc_lo
	v_lshlrev_b32_e32 v8, 1, v8
	v_lshlrev_b64 v[11:12], 3, v[5:6]
	v_lshlrev_b32_e32 v36, 3, v27
	s_delay_alu instid0(VALU_DEP_4) | instskip(SKIP_4) | instid1(VALU_DEP_4)
	v_lshlrev_b32_e32 v35, 2, v9
	v_add_nc_u32_e32 v9, s30, v7
	v_add_lshl_u32 v34, v8, v28, 2
	v_ashrrev_i32_e32 v8, 31, v7
	v_add_co_u32 v6, vcc_lo, s31, v11
	v_add_nc_u32_e32 v15, s30, v9
	v_ashrrev_i32_e32 v10, 31, v9
	s_delay_alu instid0(VALU_DEP_4) | instskip(SKIP_1) | instid1(VALU_DEP_4)
	v_lshlrev_b64 v[13:14], 3, v[7:8]
	v_add_co_ci_u32_e32 v7, vcc_lo, s33, v12, vcc_lo
	v_ashrrev_i32_e32 v16, 31, v15
	s_delay_alu instid0(VALU_DEP_4) | instskip(SKIP_2) | instid1(VALU_DEP_4)
	v_lshlrev_b64 v[10:11], 3, v[9:10]
	v_and_b32_e32 v37, 56, v29
	v_add_co_u32 v8, vcc_lo, s31, v13
	v_lshlrev_b64 v[12:13], 3, v[15:16]
	v_add_co_ci_u32_e32 v9, vcc_lo, s33, v14, vcc_lo
	v_mov_b32_e32 v14, 0
	v_add_co_u32 v10, vcc_lo, s31, v10
	v_add_co_ci_u32_e32 v11, vcc_lo, s33, v11, vcc_lo
	v_add_co_u32 v12, vcc_lo, s31, v12
	v_add_co_ci_u32_e32 v13, vcc_lo, s33, v13, vcc_lo
	v_add_co_u32 v38, vcc_lo, s20, v3
	v_cmp_eq_u32_e64 s5, 0, v0
	v_add_co_ci_u32_e32 v39, vcc_lo, s22, v4, vcc_lo
	v_or_b32_e64 v40, 0, 4
	s_mov_b32 s21, 0
	s_mul_i32 s41, s17, 3
	s_mov_b32 s22, s21
	s_mov_b32 s42, s17
	s_mov_b32 s35, 0
	s_branch .LBB118_9
.LBB118_8:                              ;   in Loop: Header=BB118_9 Depth=1
	s_or_b32 exec_lo, exec_lo, s23
	s_add_i32 s35, s35, 4
	s_add_i32 s42, s42, s39
	;; [unrolled: 1-line block ×5, first 2 shown]
	s_cmp_ge_i32 s35, s15
	s_cbranch_scc1 .LBB118_54
.LBB118_9:                              ; =>This Loop Header: Depth=1
                                        ;     Child Loop BB118_40 Depth 2
                                        ;     Child Loop BB118_42 Depth 2
                                        ; implicit-def: $vgpr17
                                        ; implicit-def: $vgpr41
                                        ; implicit-def: $vgpr18
                                        ; implicit-def: $vgpr19
                                        ; implicit-def: $vgpr20
                                        ; implicit-def: $vgpr21
                                        ; implicit-def: $vgpr23
                                        ; implicit-def: $vgpr22
	s_and_saveexec_b32 s20, s2
	s_delay_alu instid0(SALU_CYCLE_1)
	s_xor_b32 s20, exec_lo, s20
	s_cbranch_execnz .LBB118_36
; %bb.10:                               ;   in Loop: Header=BB118_9 Depth=1
	s_and_not1_saveexec_b32 s20, s20
	s_cbranch_execnz .LBB118_37
.LBB118_11:                             ;   in Loop: Header=BB118_9 Depth=1
	s_or_b32 exec_lo, exec_lo, s20
	s_and_saveexec_b32 s20, s0
	s_cbranch_execz .LBB118_13
.LBB118_12:                             ;   in Loop: Header=BB118_9 Depth=1
	v_mov_b32_e32 v15, v14
	ds_store_b64 v36, v[14:15]
.LBB118_13:                             ;   in Loop: Header=BB118_9 Depth=1
	s_or_b32 exec_lo, exec_lo, s20
	ds_bpermute_b32 v16, v32, v41
	ds_bpermute_b32 v15, v32, v17
	s_waitcnt lgkmcnt(0)
	s_waitcnt_vscnt null, 0x0
	s_barrier
	buffer_gl0_inv
	v_add_f32_e32 v16, v41, v16
	ds_bpermute_b32 v41, v2, v16
	s_waitcnt lgkmcnt(0)
	v_dual_add_f32 v15, v17, v15 :: v_dual_add_f32 v16, v16, v41
	ds_bpermute_b32 v17, v2, v15
	ds_bpermute_b32 v41, v33, v16
	s_waitcnt lgkmcnt(1)
	v_add_f32_e32 v15, v15, v17
	s_waitcnt lgkmcnt(0)
	v_add_f32_e32 v16, v16, v41
	ds_bpermute_b32 v17, v33, v15
	ds_bpermute_b32 v41, v34, v16
	s_waitcnt lgkmcnt(1)
	v_add_f32_e32 v15, v15, v17
	s_waitcnt lgkmcnt(0)
	v_add_f32_e32 v16, v16, v41
	ds_bpermute_b32 v17, v34, v15
	ds_bpermute_b32 v41, v35, v16
	s_waitcnt lgkmcnt(1)
	v_add_f32_e32 v15, v15, v17
	ds_bpermute_b32 v17, v35, v15
	s_and_saveexec_b32 s20, s4
	s_cbranch_execz .LBB118_15
; %bb.14:                               ;   in Loop: Header=BB118_9 Depth=1
	s_waitcnt lgkmcnt(1)
	v_add_f32_e32 v16, v16, v41
	s_waitcnt lgkmcnt(0)
	v_add_f32_e32 v15, v15, v17
	ds_store_b64 v37, v[15:16]
.LBB118_15:                             ;   in Loop: Header=BB118_9 Depth=1
	s_or_b32 exec_lo, exec_lo, s20
	s_waitcnt lgkmcnt(0)
	v_dual_mov_b32 v17, 0 :: v_dual_mov_b32 v16, 0
	s_barrier
	buffer_gl0_inv
	s_and_saveexec_b32 s20, s1
	s_cbranch_execnz .LBB118_44
; %bb.16:                               ;   in Loop: Header=BB118_9 Depth=1
	s_or_b32 exec_lo, exec_lo, s20
	s_and_saveexec_b32 s20, s0
	s_cbranch_execnz .LBB118_45
.LBB118_17:                             ;   in Loop: Header=BB118_9 Depth=1
	s_or_b32 exec_lo, exec_lo, s20
	s_and_saveexec_b32 s20, s0
	s_cbranch_execz .LBB118_19
.LBB118_18:                             ;   in Loop: Header=BB118_9 Depth=1
	v_mov_b32_e32 v15, v14
	ds_store_b64 v36, v[14:15]
.LBB118_19:                             ;   in Loop: Header=BB118_9 Depth=1
	s_or_b32 exec_lo, exec_lo, s20
	ds_bpermute_b32 v15, v32, v18
	ds_bpermute_b32 v41, v32, v19
	s_waitcnt lgkmcnt(0)
	s_barrier
	buffer_gl0_inv
	v_dual_add_f32 v15, v18, v15 :: v_dual_add_f32 v18, v19, v41
	ds_bpermute_b32 v19, v2, v15
	ds_bpermute_b32 v41, v2, v18
	s_waitcnt lgkmcnt(0)
	v_dual_add_f32 v15, v15, v19 :: v_dual_add_f32 v18, v18, v41
	ds_bpermute_b32 v19, v33, v15
	ds_bpermute_b32 v41, v33, v18
	s_waitcnt lgkmcnt(0)
	v_dual_add_f32 v15, v15, v19 :: v_dual_add_f32 v18, v18, v41
	ds_bpermute_b32 v19, v34, v15
	ds_bpermute_b32 v41, v34, v18
	s_waitcnt lgkmcnt(0)
	v_dual_add_f32 v15, v15, v19 :: v_dual_add_f32 v18, v18, v41
	ds_bpermute_b32 v19, v35, v15
	ds_bpermute_b32 v41, v35, v18
	s_and_saveexec_b32 s20, s4
	s_cbranch_execz .LBB118_21
; %bb.20:                               ;   in Loop: Header=BB118_9 Depth=1
	s_waitcnt lgkmcnt(0)
	v_dual_add_f32 v42, v18, v41 :: v_dual_add_f32 v41, v15, v19
	ds_store_b64 v37, v[41:42]
.LBB118_21:                             ;   in Loop: Header=BB118_9 Depth=1
	s_or_b32 exec_lo, exec_lo, s20
	s_waitcnt lgkmcnt(1)
	v_dual_mov_b32 v19, 0 :: v_dual_mov_b32 v18, 0
	s_waitcnt lgkmcnt(0)
	s_barrier
	buffer_gl0_inv
	s_and_saveexec_b32 s20, s1
	s_cbranch_execnz .LBB118_46
; %bb.22:                               ;   in Loop: Header=BB118_9 Depth=1
	s_or_b32 exec_lo, exec_lo, s20
	s_and_saveexec_b32 s20, s0
	s_cbranch_execnz .LBB118_47
.LBB118_23:                             ;   in Loop: Header=BB118_9 Depth=1
	s_or_b32 exec_lo, exec_lo, s20
	s_and_saveexec_b32 s20, s0
	s_cbranch_execz .LBB118_25
.LBB118_24:                             ;   in Loop: Header=BB118_9 Depth=1
	v_mov_b32_e32 v15, v14
	ds_store_b64 v36, v[14:15]
.LBB118_25:                             ;   in Loop: Header=BB118_9 Depth=1
	s_or_b32 exec_lo, exec_lo, s20
	ds_bpermute_b32 v15, v32, v20
	ds_bpermute_b32 v41, v32, v21
	s_waitcnt lgkmcnt(0)
	s_barrier
	buffer_gl0_inv
	v_dual_add_f32 v15, v20, v15 :: v_dual_add_f32 v20, v21, v41
	ds_bpermute_b32 v21, v2, v15
	ds_bpermute_b32 v41, v2, v20
	s_waitcnt lgkmcnt(1)
	v_add_f32_e32 v15, v15, v21
	s_waitcnt lgkmcnt(0)
	v_add_f32_e32 v20, v20, v41
	ds_bpermute_b32 v21, v33, v15
	ds_bpermute_b32 v41, v33, v20
	s_waitcnt lgkmcnt(1)
	v_add_f32_e32 v15, v15, v21
	s_waitcnt lgkmcnt(0)
	v_add_f32_e32 v20, v20, v41
	;; [unrolled: 6-line block ×3, first 2 shown]
	ds_bpermute_b32 v21, v35, v15
	ds_bpermute_b32 v41, v35, v20
	s_and_saveexec_b32 s20, s4
	s_cbranch_execz .LBB118_27
; %bb.26:                               ;   in Loop: Header=BB118_9 Depth=1
	s_waitcnt lgkmcnt(0)
	v_add_f32_e32 v42, v20, v41
	v_add_f32_e32 v41, v15, v21
	ds_store_b64 v37, v[41:42]
.LBB118_27:                             ;   in Loop: Header=BB118_9 Depth=1
	s_or_b32 exec_lo, exec_lo, s20
	s_waitcnt lgkmcnt(1)
	v_dual_mov_b32 v21, 0 :: v_dual_mov_b32 v20, 0
	s_waitcnt lgkmcnt(0)
	s_barrier
	buffer_gl0_inv
	s_and_saveexec_b32 s20, s1
	s_cbranch_execnz .LBB118_48
; %bb.28:                               ;   in Loop: Header=BB118_9 Depth=1
	s_or_b32 exec_lo, exec_lo, s20
	s_and_saveexec_b32 s20, s0
	s_cbranch_execnz .LBB118_49
.LBB118_29:                             ;   in Loop: Header=BB118_9 Depth=1
	s_or_b32 exec_lo, exec_lo, s20
	s_and_saveexec_b32 s20, s0
	s_cbranch_execz .LBB118_31
.LBB118_30:                             ;   in Loop: Header=BB118_9 Depth=1
	v_mov_b32_e32 v15, v14
	ds_store_b64 v36, v[14:15]
.LBB118_31:                             ;   in Loop: Header=BB118_9 Depth=1
	s_or_b32 exec_lo, exec_lo, s20
	ds_bpermute_b32 v15, v32, v23
	ds_bpermute_b32 v41, v32, v22
	s_waitcnt lgkmcnt(0)
	s_barrier
	buffer_gl0_inv
	v_dual_add_f32 v15, v23, v15 :: v_dual_add_f32 v22, v22, v41
	ds_bpermute_b32 v23, v2, v15
	ds_bpermute_b32 v41, v2, v22
	s_waitcnt lgkmcnt(0)
	v_dual_add_f32 v15, v15, v23 :: v_dual_add_f32 v22, v22, v41
	ds_bpermute_b32 v23, v33, v15
	ds_bpermute_b32 v41, v33, v22
	s_waitcnt lgkmcnt(0)
	v_dual_add_f32 v15, v15, v23 :: v_dual_add_f32 v22, v22, v41
	ds_bpermute_b32 v23, v34, v15
	ds_bpermute_b32 v41, v34, v22
	s_waitcnt lgkmcnt(0)
	v_dual_add_f32 v15, v15, v23 :: v_dual_add_f32 v22, v22, v41
	ds_bpermute_b32 v23, v35, v15
	ds_bpermute_b32 v41, v35, v22
	s_and_saveexec_b32 s20, s4
	s_cbranch_execz .LBB118_33
; %bb.32:                               ;   in Loop: Header=BB118_9 Depth=1
	s_waitcnt lgkmcnt(0)
	v_dual_add_f32 v42, v22, v41 :: v_dual_add_f32 v41, v15, v23
	ds_store_b64 v37, v[41:42]
.LBB118_33:                             ;   in Loop: Header=BB118_9 Depth=1
	s_or_b32 exec_lo, exec_lo, s20
	s_waitcnt lgkmcnt(1)
	v_dual_mov_b32 v23, 0 :: v_dual_mov_b32 v22, 0
	s_waitcnt lgkmcnt(0)
	s_barrier
	buffer_gl0_inv
	s_and_saveexec_b32 s20, s1
	s_cbranch_execnz .LBB118_50
; %bb.34:                               ;   in Loop: Header=BB118_9 Depth=1
	s_or_b32 exec_lo, exec_lo, s20
	s_and_saveexec_b32 s20, s0
	s_cbranch_execnz .LBB118_51
.LBB118_35:                             ;   in Loop: Header=BB118_9 Depth=1
	s_or_b32 exec_lo, exec_lo, s20
	s_and_saveexec_b32 s23, s5
	s_cbranch_execz .LBB118_8
	s_branch .LBB118_52
.LBB118_36:                             ;   in Loop: Header=BB118_9 Depth=1
	s_mul_i32 s24, s35, s17
	s_delay_alu instid0(SALU_CYCLE_1)
	s_ashr_i32 s25, s24, 31
	s_add_i32 s26, s24, s17
	s_lshl_b64 s[24:25], s[24:25], 3
	s_ashr_i32 s27, s26, 31
	v_add_co_u32 v19, vcc_lo, v24, s24
	v_add_co_ci_u32_e32 v20, vcc_lo, s25, v25, vcc_lo
	s_lshl_b64 s[24:25], s[26:27], 3
	global_load_b128 v[15:18], v[19:20], off offset:16
	s_waitcnt lgkmcnt(0)
	global_load_b128 v[19:22], v[19:20], off
	v_add_co_u32 v54, vcc_lo, v24, s24
	s_add_i32 s24, s26, s17
	v_add_co_ci_u32_e32 v55, vcc_lo, s25, v25, vcc_lo
	s_ashr_i32 s25, s24, 31
	global_load_b64 v[42:43], v[6:7], off
	s_lshl_b64 s[26:27], s[24:25], 3
	s_add_i32 s24, s24, s17
	v_add_co_u32 v62, vcc_lo, v24, s26
	s_ashr_i32 s25, s24, 31
	v_add_co_ci_u32_e32 v63, vcc_lo, s27, v25, vcc_lo
	s_lshl_b64 s[24:25], s[24:25], 3
	s_clause 0x2
	global_load_b64 v[44:45], v[8:9], off
	global_load_b64 v[46:47], v[10:11], off
	;; [unrolled: 1-line block ×3, first 2 shown]
	v_add_co_u32 v70, vcc_lo, v24, s24
	s_clause 0x2
	global_load_b128 v[50:53], v[54:55], off
	global_load_b128 v[54:57], v[54:55], off offset:16
	global_load_b128 v[58:61], v[62:63], off
	v_add_co_ci_u32_e32 v71, vcc_lo, s25, v25, vcc_lo
	s_clause 0x2
	global_load_b128 v[62:65], v[62:63], off offset:16
	global_load_b128 v[66:69], v[70:71], off
	global_load_b128 v[70:73], v[70:71], off offset:16
	s_waitcnt vmcnt(8)
	scratch_store_b128 off, v[42:45], off
	s_waitcnt vmcnt(6)
	scratch_store_b128 off, v[46:49], off offset:16
	v_mul_f32_e32 v23, v43, v20
	v_dual_mul_f32 v20, v42, v20 :: v_dual_mul_f32 v41, v45, v22
	v_mul_f32_e32 v22, v44, v22
	v_dual_mul_f32 v74, v47, v16 :: v_dual_mul_f32 v75, v49, v18
	s_waitcnt vmcnt(5)
	v_dual_mul_f32 v16, v46, v16 :: v_dual_mul_f32 v77, v45, v53
	v_mul_f32_e32 v18, v48, v18
	v_dual_mul_f32 v76, v43, v51 :: v_dual_mul_f32 v53, v44, v53
	v_mul_f32_e32 v51, v42, v51
	s_waitcnt vmcnt(4)
	v_dual_mul_f32 v78, v47, v55 :: v_dual_mul_f32 v79, v49, v57
	v_dual_mul_f32 v55, v46, v55 :: v_dual_fmac_f32 v22, v45, v21
	s_waitcnt vmcnt(3)
	v_dual_mul_f32 v57, v48, v57 :: v_dual_mul_f32 v80, v43, v59
	s_waitcnt vmcnt(2)
	v_dual_mul_f32 v81, v45, v61 :: v_dual_mul_f32 v82, v47, v63
	v_dual_mul_f32 v61, v44, v61 :: v_dual_fmac_f32 v20, v43, v19
	v_dual_mul_f32 v83, v49, v65 :: v_dual_fmac_f32 v16, v47, v15
	v_fma_f32 v23, v42, v19, -v23
	v_fma_f32 v19, v44, v21, -v41
	;; [unrolled: 1-line block ×3, first 2 shown]
	v_fmac_f32_e32 v51, v43, v50
	v_fma_f32 v50, v44, v52, -v77
	v_fmac_f32_e32 v53, v45, v52
	v_fma_f32 v52, v46, v54, -v78
	;; [unrolled: 2-line block ×4, first 2 shown]
	s_waitcnt vmcnt(1)
	v_mul_f32_e32 v41, v42, v67
	v_dual_mul_f32 v59, v42, v59 :: v_dual_fmac_f32 v18, v49, v17
	v_dual_mul_f32 v63, v46, v63 :: v_dual_add_f32 v20, 0, v20
	v_mul_f32_e32 v65, v48, v65
	v_fma_f32 v21, v46, v15, -v74
	s_waitcnt vmcnt(0)
	v_mul_f32_e32 v74, v47, v71
	v_fma_f32 v15, v48, v17, -v75
	v_mul_f32_e32 v17, v43, v67
	v_dual_mul_f32 v67, v45, v69 :: v_dual_add_f32 v20, v20, v22
	v_dual_add_f32 v56, 0, v56 :: v_dual_fmac_f32 v41, v43, v66
	v_mul_f32_e32 v71, v46, v71
	v_fmac_f32_e32 v61, v45, v60
	v_fmac_f32_e32 v63, v47, v62
	;; [unrolled: 1-line block ×3, first 2 shown]
	v_dual_add_f32 v23, 0, v23 :: v_dual_add_f32 v22, 0, v41
	v_fmac_f32_e32 v71, v47, v70
	v_fmac_f32_e32 v59, v43, v58
	v_fma_f32 v58, v44, v60, -v81
	v_fma_f32 v60, v46, v62, -v82
	;; [unrolled: 1-line block ×4, first 2 shown]
	v_mul_f32_e32 v69, v44, v69
	v_dual_add_f32 v19, v23, v19 :: v_dual_add_f32 v16, v20, v16
	v_add_f32_e32 v51, 0, v51
	v_mul_f32_e32 v75, v49, v73
	s_delay_alu instid0(VALU_DEP_4)
	v_fmac_f32_e32 v69, v45, v68
	v_add_f32_e32 v68, 0, v76
	v_fma_f32 v17, v42, v66, -v17
	v_add_f32_e32 v41, v51, v53
	v_add_f32_e32 v19, v19, v21
	;; [unrolled: 1-line block ×5, first 2 shown]
	v_mul_f32_e32 v73, v48, v73
	v_add_f32_e32 v17, 0, v17
	v_fma_f32 v66, v46, v70, -v74
	v_add_f32_e32 v22, v23, v52
	v_add_f32_e32 v50, v50, v60
	v_fmac_f32_e32 v73, v49, v72
	v_add_f32_e32 v23, v41, v55
	v_dual_add_f32 v41, v16, v18 :: v_dual_add_f32 v16, v21, v71
	v_dual_add_f32 v59, 0, v59 :: v_dual_add_f32 v20, v17, v64
	v_add_f32_e32 v18, v22, v54
	v_fma_f32 v67, v48, v72, -v75
	s_delay_alu instid0(VALU_DEP_4) | instskip(NEXT) | instid1(VALU_DEP_4)
	v_add_f32_e32 v22, v16, v73
	v_add_f32_e32 v51, v59, v61
	;; [unrolled: 1-line block ×4, first 2 shown]
	v_dual_add_f32 v20, v50, v62 :: v_dual_add_f32 v19, v23, v57
	s_delay_alu instid0(VALU_DEP_4) | instskip(NEXT) | instid1(VALU_DEP_3)
	v_add_f32_e32 v51, v51, v63
	v_add_f32_e32 v23, v15, v67
	s_delay_alu instid0(VALU_DEP_2)
	v_add_f32_e32 v21, v51, v65
	s_and_not1_saveexec_b32 s20, s20
	s_cbranch_execz .LBB118_11
.LBB118_37:                             ;   in Loop: Header=BB118_9 Depth=1
	v_dual_mov_b32 v17, 0 :: v_dual_mov_b32 v18, 0
	v_dual_mov_b32 v41, 0 :: v_dual_mov_b32 v20, 0
	s_waitcnt lgkmcnt(0)
	v_dual_mov_b32 v19, 0 :: v_dual_mov_b32 v22, 0
	v_mov_b32_e32 v21, 0
	v_mov_b32_e32 v23, 0
	s_and_saveexec_b32 s43, s3
	s_cbranch_execz .LBB118_43
; %bb.38:                               ;   in Loop: Header=BB118_9 Depth=1
	v_dual_mov_b32 v17, 0 :: v_dual_mov_b32 v18, 0
	v_dual_mov_b32 v41, 0 :: v_dual_mov_b32 v20, 0
	;; [unrolled: 1-line block ×3, first 2 shown]
	v_mov_b32_e32 v21, 0
	v_mov_b32_e32 v23, 0
	s_and_not1_b32 vcc_lo, exec_lo, s38
	s_cbranch_vccnz .LBB118_43
; %bb.39:                               ;   in Loop: Header=BB118_9 Depth=1
	v_mov_b32_e32 v17, 0
	v_mov_b32_e32 v15, v5
	s_mov_b32 s23, s34
.LBB118_40:                             ;   Parent Loop BB118_9 Depth=1
                                        ; =>  This Inner Loop Header: Depth=2
	s_delay_alu instid0(VALU_DEP_1) | instskip(SKIP_1) | instid1(SALU_CYCLE_1)
	v_ashrrev_i32_e32 v16, 31, v15
	s_add_i32 s23, s23, -1
	s_cmp_eq_u32 s23, 0
	s_delay_alu instid0(VALU_DEP_1) | instskip(SKIP_1) | instid1(VALU_DEP_2)
	v_lshlrev_b64 v[18:19], 3, v[15:16]
	v_add_nc_u32_e32 v15, s30, v15
	v_add_co_u32 v18, vcc_lo, s31, v18
	s_delay_alu instid0(VALU_DEP_3)
	v_add_co_ci_u32_e32 v19, vcc_lo, s33, v19, vcc_lo
	global_load_b64 v[18:19], v[18:19], off
	s_waitcnt vmcnt(0)
	scratch_store_b64 v17, v[18:19], off
	v_add_nc_u32_e32 v17, 8, v17
	s_cbranch_scc0 .LBB118_40
; %bb.41:                               ;   in Loop: Header=BB118_9 Depth=1
	s_ashr_i32 s23, s22, 31
	v_dual_mov_b32 v22, 0 :: v_dual_mov_b32 v23, 0
	s_lshl_b64 s[24:25], s[22:23], 3
	v_dual_mov_b32 v42, v40 :: v_dual_mov_b32 v21, 0
	v_add_co_u32 v15, vcc_lo, v38, s24
	v_add_co_ci_u32_e32 v16, vcc_lo, s25, v39, vcc_lo
	v_dual_mov_b32 v20, 0 :: v_dual_mov_b32 v19, 0
	v_dual_mov_b32 v18, 0 :: v_dual_mov_b32 v41, 0
	v_mov_b32_e32 v17, 0
	s_mov_b32 s24, s41
	s_mov_b32 s26, s40
	;; [unrolled: 1-line block ×4, first 2 shown]
.LBB118_42:                             ;   Parent Loop BB118_9 Depth=1
                                        ; =>  This Inner Loop Header: Depth=2
	s_ashr_i32 s29, s28, 31
	s_ashr_i32 s27, s26, 31
	s_lshl_b64 s[44:45], s[28:29], 3
	s_lshl_b64 s[46:47], s[26:27], 3
	v_add_co_u32 v47, vcc_lo, v24, s44
	s_ashr_i32 s25, s24, 31
	v_add_co_ci_u32_e32 v48, vcc_lo, s45, v25, vcc_lo
	v_add_co_u32 v49, vcc_lo, v24, s46
	s_lshl_b64 s[48:49], s[24:25], 3
	v_add_co_ci_u32_e32 v50, vcc_lo, s47, v25, vcc_lo
	scratch_load_b64 v[43:44], v42, off offset:-4
	global_load_b64 v[45:46], v[15:16], off
	v_add_co_u32 v51, vcc_lo, v24, s48
	v_add_co_ci_u32_e32 v52, vcc_lo, s49, v25, vcc_lo
	s_clause 0x2
	global_load_b64 v[47:48], v[47:48], off
	global_load_b64 v[49:50], v[49:50], off
	;; [unrolled: 1-line block ×3, first 2 shown]
	v_add_nc_u32_e32 v42, 8, v42
	v_add_co_u32 v15, vcc_lo, v15, 8
	v_add_co_ci_u32_e32 v16, vcc_lo, 0, v16, vcc_lo
	s_add_i32 s23, s23, -1
	s_add_i32 s28, s28, 1
	s_add_i32 s26, s26, 1
	;; [unrolled: 1-line block ×3, first 2 shown]
	s_cmp_lg_u32 s23, 0
	s_waitcnt vmcnt(3)
	v_mul_f32_e32 v53, v44, v46
	v_mul_f32_e32 v46, v43, v46
	s_delay_alu instid0(VALU_DEP_2) | instskip(SKIP_2) | instid1(VALU_DEP_3)
	v_fma_f32 v53, v43, v45, -v53
	s_waitcnt vmcnt(0)
	v_mul_f32_e32 v55, v44, v52
	v_fmac_f32_e32 v46, v44, v45
	v_mul_f32_e32 v45, v44, v48
	v_mul_f32_e32 v48, v43, v48
	v_dual_mul_f32 v54, v44, v50 :: v_dual_add_f32 v17, v17, v53
	v_mul_f32_e32 v50, v43, v50
	s_delay_alu instid0(VALU_DEP_4) | instskip(NEXT) | instid1(VALU_DEP_2)
	v_fma_f32 v45, v43, v47, -v45
	v_fmac_f32_e32 v50, v44, v49
	v_fmac_f32_e32 v48, v44, v47
	s_delay_alu instid0(VALU_DEP_2) | instskip(NEXT) | instid1(VALU_DEP_2)
	v_dual_add_f32 v18, v18, v45 :: v_dual_add_f32 v21, v21, v50
	v_add_f32_e32 v19, v19, v48
	v_dual_mul_f32 v52, v43, v52 :: v_dual_add_f32 v41, v41, v46
	v_fma_f32 v46, v43, v49, -v54
	v_fma_f32 v43, v43, v51, -v55
	s_delay_alu instid0(VALU_DEP_3) | instskip(NEXT) | instid1(VALU_DEP_2)
	v_fmac_f32_e32 v52, v44, v51
	v_dual_add_f32 v20, v20, v46 :: v_dual_add_f32 v23, v23, v43
	s_delay_alu instid0(VALU_DEP_2)
	v_add_f32_e32 v22, v22, v52
	s_cbranch_scc1 .LBB118_42
.LBB118_43:                             ;   in Loop: Header=BB118_9 Depth=1
	s_or_b32 exec_lo, exec_lo, s43
	s_delay_alu instid0(SALU_CYCLE_1)
	s_or_b32 exec_lo, exec_lo, s20
	s_and_saveexec_b32 s20, s0
	s_cbranch_execnz .LBB118_12
	s_branch .LBB118_13
.LBB118_44:                             ;   in Loop: Header=BB118_9 Depth=1
	ds_load_b64 v[16:17], v36
	s_or_b32 exec_lo, exec_lo, s20
	s_and_saveexec_b32 s20, s0
	s_cbranch_execz .LBB118_17
.LBB118_45:                             ;   in Loop: Header=BB118_9 Depth=1
	s_waitcnt lgkmcnt(0)
	ds_bpermute_b32 v15, v33, v16
	ds_bpermute_b32 v41, v33, v17
	s_waitcnt lgkmcnt(0)
	v_dual_add_f32 v15, v16, v15 :: v_dual_add_f32 v16, v17, v41
	ds_bpermute_b32 v17, v34, v15
	ds_bpermute_b32 v41, v34, v16
	s_waitcnt lgkmcnt(1)
	v_add_f32_e32 v15, v15, v17
	s_waitcnt lgkmcnt(0)
	v_add_f32_e32 v17, v16, v41
	ds_bpermute_b32 v16, v35, v15
	s_waitcnt lgkmcnt(0)
	v_add_f32_e32 v16, v15, v16
	ds_bpermute_b32 v41, v35, v17
	s_waitcnt lgkmcnt(0)
	v_add_f32_e32 v17, v17, v41
	s_or_b32 exec_lo, exec_lo, s20
	s_and_saveexec_b32 s20, s0
	s_cbranch_execnz .LBB118_18
	s_branch .LBB118_19
.LBB118_46:                             ;   in Loop: Header=BB118_9 Depth=1
	ds_load_b64 v[18:19], v36
	s_or_b32 exec_lo, exec_lo, s20
	s_and_saveexec_b32 s20, s0
	s_cbranch_execz .LBB118_23
.LBB118_47:                             ;   in Loop: Header=BB118_9 Depth=1
	s_waitcnt lgkmcnt(0)
	ds_bpermute_b32 v15, v33, v18
	ds_bpermute_b32 v41, v33, v19
	s_waitcnt lgkmcnt(0)
	v_dual_add_f32 v15, v18, v15 :: v_dual_add_f32 v18, v19, v41
	ds_bpermute_b32 v19, v34, v15
	ds_bpermute_b32 v41, v34, v18
	s_waitcnt lgkmcnt(1)
	v_add_f32_e32 v15, v15, v19
	s_waitcnt lgkmcnt(0)
	v_add_f32_e32 v19, v18, v41
	ds_bpermute_b32 v18, v35, v15
	s_waitcnt lgkmcnt(0)
	v_add_f32_e32 v18, v15, v18
	ds_bpermute_b32 v41, v35, v19
	s_waitcnt lgkmcnt(0)
	v_add_f32_e32 v19, v19, v41
	s_or_b32 exec_lo, exec_lo, s20
	s_and_saveexec_b32 s20, s0
	s_cbranch_execnz .LBB118_24
	s_branch .LBB118_25
.LBB118_48:                             ;   in Loop: Header=BB118_9 Depth=1
	ds_load_b64 v[20:21], v36
	s_or_b32 exec_lo, exec_lo, s20
	s_and_saveexec_b32 s20, s0
	s_cbranch_execz .LBB118_29
.LBB118_49:                             ;   in Loop: Header=BB118_9 Depth=1
	s_waitcnt lgkmcnt(0)
	ds_bpermute_b32 v15, v33, v20
	ds_bpermute_b32 v41, v33, v21
	s_waitcnt lgkmcnt(0)
	v_dual_add_f32 v15, v20, v15 :: v_dual_add_f32 v20, v21, v41
	ds_bpermute_b32 v21, v34, v15
	ds_bpermute_b32 v41, v34, v20
	s_waitcnt lgkmcnt(1)
	v_add_f32_e32 v15, v15, v21
	s_waitcnt lgkmcnt(0)
	v_add_f32_e32 v21, v20, v41
	ds_bpermute_b32 v20, v35, v15
	s_waitcnt lgkmcnt(0)
	v_add_f32_e32 v20, v15, v20
	ds_bpermute_b32 v41, v35, v21
	s_waitcnt lgkmcnt(0)
	v_add_f32_e32 v21, v21, v41
	s_or_b32 exec_lo, exec_lo, s20
	s_and_saveexec_b32 s20, s0
	s_cbranch_execnz .LBB118_30
	s_branch .LBB118_31
.LBB118_50:                             ;   in Loop: Header=BB118_9 Depth=1
	ds_load_b64 v[22:23], v36
	s_or_b32 exec_lo, exec_lo, s20
	s_and_saveexec_b32 s20, s0
	s_cbranch_execz .LBB118_35
.LBB118_51:                             ;   in Loop: Header=BB118_9 Depth=1
	s_waitcnt lgkmcnt(0)
	ds_bpermute_b32 v15, v33, v22
	ds_bpermute_b32 v41, v33, v23
	s_waitcnt lgkmcnt(0)
	v_dual_add_f32 v15, v22, v15 :: v_dual_add_f32 v22, v23, v41
	ds_bpermute_b32 v23, v34, v15
	ds_bpermute_b32 v41, v34, v22
	s_waitcnt lgkmcnt(1)
	v_add_f32_e32 v15, v15, v23
	s_waitcnt lgkmcnt(0)
	v_add_f32_e32 v23, v22, v41
	ds_bpermute_b32 v22, v35, v15
	s_waitcnt lgkmcnt(0)
	v_add_f32_e32 v22, v15, v22
	ds_bpermute_b32 v41, v35, v23
	s_waitcnt lgkmcnt(0)
	v_add_f32_e32 v23, v23, v41
	s_or_b32 exec_lo, exec_lo, s20
	s_and_saveexec_b32 s23, s5
	s_cbranch_execz .LBB118_8
.LBB118_52:                             ;   in Loop: Header=BB118_9 Depth=1
	v_mul_f32_e32 v42, s18, v17
	v_mul_f32_e32 v15, s19, v17
	s_mul_i32 s20, s35, s16
	v_mul_f32_e32 v17, s19, v21
	s_add_i32 s20, s20, s14
	v_fmac_f32_e32 v42, s19, v16
	s_lshl_b64 s[24:25], s[20:21], 3
	v_fma_f32 v41, v16, s18, -v15
	s_add_u32 s24, s37, s24
	s_addc_u32 s25, s36, s25
	s_add_i32 s20, s20, s16
	v_mul_f32_e32 v15, s19, v19
	global_store_b64 v14, v[41:42], s[24:25]
	v_mul_f32_e32 v16, s18, v19
	s_lshl_b64 s[24:25], s[20:21], 3
	v_mul_f32_e32 v19, s18, v21
	s_add_u32 s24, s37, s24
	s_addc_u32 s25, s36, s25
	v_fmac_f32_e32 v16, s19, v18
	s_add_i32 s20, s20, s16
	v_fma_f32 v15, v18, s18, -v15
	v_fma_f32 v18, v20, s18, -v17
	s_waitcnt lgkmcnt(0)
	v_mul_f32_e32 v17, s19, v23
	s_lshl_b64 s[26:27], s[20:21], 3
	v_mul_f32_e32 v21, s18, v23
	s_add_u32 s26, s37, s26
	s_addc_u32 s27, s36, s27
	s_add_i32 s20, s20, s16
	v_fmac_f32_e32 v19, s19, v20
	v_fma_f32 v20, v22, s18, -v17
	v_fmac_f32_e32 v21, s19, v22
	s_lshl_b64 s[28:29], s[20:21], 3
	global_store_b64 v14, v[15:16], s[24:25]
	s_add_u32 s24, s37, s28
	s_addc_u32 s25, s36, s29
	s_clause 0x1
	global_store_b64 v14, v[18:19], s[26:27]
	global_store_b64 v14, v[20:21], s[24:25]
	s_branch .LBB118_8
.LBB118_53:
	s_mov_b32 s35, 0
.LBB118_54:
	s_delay_alu instid0(SALU_CYCLE_1)
	s_cmp_ge_i32 s35, s13
	s_cbranch_scc1 .LBB118_76
; %bb.55:
	v_cmp_gt_u32_e64 s1, 16, v28
	v_cmp_ge_i32_e64 s4, s12, v31
	s_cmp_gt_i32 s34, 0
	s_mov_b32 s15, 0
	s_cselect_b32 s20, -1, 0
	v_cndmask_b32_e64 v2, 0, 1, s1
	v_cmp_gt_u32_e64 s1, 24, v28
	s_lshl_b64 s[14:15], s[14:15], 3
	v_cmp_ge_i32_e32 vcc_lo, s12, v30
	s_add_u32 s12, s37, s14
	v_lshlrev_b32_e32 v2, 4, v2
	v_cndmask_b32_e64 v5, 0, 1, s1
	v_cmp_gt_u32_e64 s1, 28, v28
	s_addc_u32 s14, s36, s15
	v_cmp_gt_u32_e64 s0, 32, v0
	v_add_lshl_u32 v14, v2, v28, 2
	v_lshlrev_b32_e32 v5, 3, v5
	v_cndmask_b32_e64 v6, 0, 1, s1
	v_cmp_gt_u32_e64 s1, 30, v28
	v_ashrrev_i32_e32 v2, 31, v1
	v_cmp_gt_u32_e64 s2, 8, v0
	v_add_lshl_u32 v15, v5, v28, 2
	v_add_nc_u32_e32 v5, s30, v1
	v_cndmask_b32_e64 v7, 0, 1, s1
	v_lshlrev_b32_e32 v6, 2, v6
	v_cmp_ne_u32_e64 s1, 31, v28
	v_lshlrev_b64 v[9:10], 3, v[1:2]
	v_cmp_eq_u32_e64 s3, 0, v0
	v_lshlrev_b32_e32 v7, 1, v7
	v_add_lshl_u32 v16, v6, v28, 2
	v_add_co_ci_u32_e64 v8, s1, 0, v28, s1
	v_ashrrev_i32_e32 v6, 31, v5
	s_delay_alu instid0(VALU_DEP_4) | instskip(SKIP_1) | instid1(VALU_DEP_4)
	v_add_lshl_u32 v17, v7, v28, 2
	v_add_nc_u32_e32 v7, s30, v5
	v_lshlrev_b32_e32 v18, 2, v8
	v_dual_mov_b32 v2, 0 :: v_dual_lshlrev_b32 v13, 3, v27
	v_lshlrev_b64 v[11:12], 3, v[5:6]
	s_delay_alu instid0(VALU_DEP_4) | instskip(SKIP_2) | instid1(VALU_DEP_1)
	v_add_nc_u32_e32 v20, s30, v7
	v_ashrrev_i32_e32 v8, 31, v7
	v_add_co_u32 v5, s5, s31, v9
	v_add_co_ci_u32_e64 v6, s5, s33, v10, s5
	s_delay_alu instid0(VALU_DEP_4) | instskip(NEXT) | instid1(VALU_DEP_4)
	v_ashrrev_i32_e32 v21, 31, v20
	v_lshlrev_b64 v[9:10], 3, v[7:8]
	v_add_co_u32 v7, s5, s31, v11
	s_delay_alu instid0(VALU_DEP_1) | instskip(NEXT) | instid1(VALU_DEP_4)
	v_add_co_ci_u32_e64 v8, s5, s33, v12, s5
	v_lshlrev_b64 v[11:12], 3, v[20:21]
	s_delay_alu instid0(VALU_DEP_4) | instskip(NEXT) | instid1(VALU_DEP_1)
	v_add_co_u32 v9, s5, s31, v9
	v_add_co_ci_u32_e64 v10, s5, s33, v10, s5
	v_cmp_eq_u32_e64 s1, 0, v27
	s_delay_alu instid0(VALU_DEP_4) | instskip(NEXT) | instid1(VALU_DEP_1)
	v_add_co_u32 v11, s5, s31, v11
	v_add_co_ci_u32_e64 v12, s5, s33, v12, s5
	s_and_b32 s5, s20, s4
	s_add_u32 s4, s6, s10
	s_addc_u32 s6, s7, s11
	s_add_u32 s4, s8, s4
	s_addc_u32 s6, s9, s6
	v_add_co_u32 v0, s4, s4, v3
	v_and_b32_e32 v19, 56, v29
	v_add_co_ci_u32_e64 v20, s4, s6, v4, s4
	s_mul_i32 s6, s35, s17
	s_branch .LBB118_57
.LBB118_56:                             ;   in Loop: Header=BB118_57 Depth=1
	s_or_b32 exec_lo, exec_lo, s4
	s_add_i32 s35, s35, 1
	s_add_i32 s6, s6, s17
	s_cmp_lt_i32 s35, s13
	s_cbranch_scc0 .LBB118_76
.LBB118_57:                             ; =>This Loop Header: Depth=1
                                        ;     Child Loop BB118_69 Depth 2
                                        ;     Child Loop BB118_71 Depth 2
                                        ; implicit-def: $vgpr21
                                        ; implicit-def: $vgpr22
	s_and_saveexec_b32 s4, vcc_lo
	s_delay_alu instid0(SALU_CYCLE_1)
	s_xor_b32 s7, exec_lo, s4
	s_cbranch_execnz .LBB118_66
; %bb.58:                               ;   in Loop: Header=BB118_57 Depth=1
	s_and_not1_saveexec_b32 s8, s7
	s_cbranch_execnz .LBB118_67
.LBB118_59:                             ;   in Loop: Header=BB118_57 Depth=1
	s_or_b32 exec_lo, exec_lo, s8
	s_and_saveexec_b32 s4, s0
	s_cbranch_execz .LBB118_61
.LBB118_60:                             ;   in Loop: Header=BB118_57 Depth=1
	s_waitcnt lgkmcnt(0)
	v_mov_b32_e32 v3, v2
	ds_store_b64 v13, v[2:3]
.LBB118_61:                             ;   in Loop: Header=BB118_57 Depth=1
	s_or_b32 exec_lo, exec_lo, s4
	s_waitcnt lgkmcnt(0)
	ds_bpermute_b32 v3, v14, v21
	s_waitcnt lgkmcnt(1)
	ds_bpermute_b32 v4, v14, v22
	s_waitcnt lgkmcnt(0)
	s_waitcnt_vscnt null, 0x0
	s_barrier
	buffer_gl0_inv
	v_dual_add_f32 v3, v21, v3 :: v_dual_add_f32 v4, v22, v4
	ds_bpermute_b32 v21, v15, v3
	ds_bpermute_b32 v22, v15, v4
	s_waitcnt lgkmcnt(0)
	v_dual_add_f32 v3, v3, v21 :: v_dual_add_f32 v4, v4, v22
	ds_bpermute_b32 v21, v16, v3
	ds_bpermute_b32 v22, v16, v4
	s_waitcnt lgkmcnt(0)
	;; [unrolled: 4-line block ×3, first 2 shown]
	v_dual_add_f32 v3, v3, v21 :: v_dual_add_f32 v4, v4, v22
	ds_bpermute_b32 v21, v18, v3
	ds_bpermute_b32 v22, v18, v4
	s_and_saveexec_b32 s4, s1
	s_cbranch_execz .LBB118_63
; %bb.62:                               ;   in Loop: Header=BB118_57 Depth=1
	s_waitcnt lgkmcnt(0)
	v_dual_add_f32 v4, v4, v22 :: v_dual_add_f32 v3, v3, v21
	ds_store_b64 v19, v[3:4]
.LBB118_63:                             ;   in Loop: Header=BB118_57 Depth=1
	s_or_b32 exec_lo, exec_lo, s4
	v_dual_mov_b32 v4, 0 :: v_dual_mov_b32 v3, 0
	s_waitcnt lgkmcnt(0)
	s_barrier
	buffer_gl0_inv
	s_and_saveexec_b32 s4, s2
	s_cbranch_execnz .LBB118_73
; %bb.64:                               ;   in Loop: Header=BB118_57 Depth=1
	s_or_b32 exec_lo, exec_lo, s4
	s_and_saveexec_b32 s4, s0
	s_cbranch_execnz .LBB118_74
.LBB118_65:                             ;   in Loop: Header=BB118_57 Depth=1
	s_or_b32 exec_lo, exec_lo, s4
	s_and_saveexec_b32 s4, s3
	s_cbranch_execz .LBB118_56
	s_branch .LBB118_75
.LBB118_66:                             ;   in Loop: Header=BB118_57 Depth=1
	s_mul_i32 s8, s35, s17
	s_delay_alu instid0(SALU_CYCLE_1) | instskip(NEXT) | instid1(SALU_CYCLE_1)
	s_ashr_i32 s9, s8, 31
	s_lshl_b64 s[8:9], s[8:9], 3
	s_waitcnt lgkmcnt(0)
	v_add_co_u32 v3, s4, v24, s8
	s_delay_alu instid0(VALU_DEP_1)
	v_add_co_ci_u32_e64 v4, s4, s9, v25, s4
	global_load_b128 v[27:30], v[3:4], off
	s_clause 0x1
	global_load_b64 v[31:32], v[5:6], off
	global_load_b64 v[33:34], v[7:8], off
	global_load_b128 v[35:38], v[3:4], off offset:16
	s_clause 0x1
	global_load_b64 v[39:40], v[9:10], off
	global_load_b64 v[41:42], v[11:12], off
	s_waitcnt vmcnt(3)
	scratch_store_b128 off, v[31:34], off
	s_waitcnt vmcnt(0)
	scratch_store_b128 off, v[39:42], off offset:16
	s_waitcnt lgkmcnt(0)
	v_dual_mul_f32 v3, v32, v28 :: v_dual_mul_f32 v22, v33, v30
	v_dual_mul_f32 v4, v31, v28 :: v_dual_mul_f32 v21, v34, v30
	v_mul_f32_e32 v23, v40, v36
	s_delay_alu instid0(VALU_DEP_3) | instskip(NEXT) | instid1(VALU_DEP_4)
	v_fma_f32 v3, v31, v27, -v3
	v_fmac_f32_e32 v22, v34, v29
	s_delay_alu instid0(VALU_DEP_4) | instskip(SKIP_3) | instid1(VALU_DEP_4)
	v_fmac_f32_e32 v4, v32, v27
	v_dual_mul_f32 v28, v39, v36 :: v_dual_mul_f32 v27, v42, v38
	v_fma_f32 v21, v33, v29, -v21
	v_mul_f32_e32 v29, v41, v38
	v_dual_add_f32 v3, 0, v3 :: v_dual_add_f32 v4, 0, v4
	v_fma_f32 v23, v39, v35, -v23
	s_delay_alu instid0(VALU_DEP_3) | instskip(NEXT) | instid1(VALU_DEP_3)
	v_dual_fmac_f32 v28, v40, v35 :: v_dual_fmac_f32 v29, v42, v37
	v_dual_add_f32 v3, v3, v21 :: v_dual_add_f32 v4, v4, v22
	v_fma_f32 v21, v41, v37, -v27
	s_delay_alu instid0(VALU_DEP_2) | instskip(NEXT) | instid1(VALU_DEP_1)
	v_dual_add_f32 v3, v3, v23 :: v_dual_add_f32 v4, v4, v28
	v_add_f32_e32 v21, v3, v21
	s_delay_alu instid0(VALU_DEP_2)
	v_add_f32_e32 v22, v4, v29
	s_and_not1_saveexec_b32 s8, s7
	s_cbranch_execz .LBB118_59
.LBB118_67:                             ;   in Loop: Header=BB118_57 Depth=1
	s_waitcnt lgkmcnt(0)
	v_dual_mov_b32 v21, 0 :: v_dual_mov_b32 v22, 0
	s_and_saveexec_b32 s9, s5
	s_cbranch_execz .LBB118_72
; %bb.68:                               ;   in Loop: Header=BB118_57 Depth=1
	v_mov_b32_e32 v21, 0
	v_mov_b32_e32 v3, v1
	s_mov_b32 s7, s34
.LBB118_69:                             ;   Parent Loop BB118_57 Depth=1
                                        ; =>  This Inner Loop Header: Depth=2
	s_delay_alu instid0(VALU_DEP_1) | instskip(SKIP_1) | instid1(SALU_CYCLE_1)
	v_ashrrev_i32_e32 v4, 31, v3
	s_add_i32 s7, s7, -1
	s_cmp_eq_u32 s7, 0
	s_delay_alu instid0(VALU_DEP_1) | instskip(SKIP_1) | instid1(VALU_DEP_2)
	v_lshlrev_b64 v[22:23], 3, v[3:4]
	v_add_nc_u32_e32 v3, s30, v3
	v_add_co_u32 v22, s4, s31, v22
	s_delay_alu instid0(VALU_DEP_1)
	v_add_co_ci_u32_e64 v23, s4, s33, v23, s4
	global_load_b64 v[22:23], v[22:23], off
	s_waitcnt vmcnt(0)
	scratch_store_b64 v21, v[22:23], off
	v_add_nc_u32_e32 v21, 8, v21
	s_cbranch_scc0 .LBB118_69
; %bb.70:                               ;   in Loop: Header=BB118_57 Depth=1
	s_ashr_i32 s7, s6, 31
	v_dual_mov_b32 v21, 0 :: v_dual_mov_b32 v22, 0
	s_lshl_b64 s[10:11], s[6:7], 3
	v_mov_b32_e32 v23, v26
	v_add_co_u32 v3, s4, v0, s10
	s_delay_alu instid0(VALU_DEP_1)
	v_add_co_ci_u32_e64 v4, s4, s11, v20, s4
	s_mov_b32 s7, s34
	.p2align	6
.LBB118_71:                             ;   Parent Loop BB118_57 Depth=1
                                        ; =>  This Inner Loop Header: Depth=2
	global_load_b64 v[27:28], v[3:4], off
	scratch_load_b64 v[29:30], v23, off offset:-4
	v_add_co_u32 v3, s4, v3, 8
	s_delay_alu instid0(VALU_DEP_1)
	v_add_co_ci_u32_e64 v4, s4, 0, v4, s4
	s_add_i32 s7, s7, -1
	v_add_nc_u32_e32 v23, 8, v23
	s_cmp_lg_u32 s7, 0
	s_waitcnt vmcnt(0)
	v_mul_f32_e32 v31, v30, v28
	v_mul_f32_e32 v28, v29, v28
	s_delay_alu instid0(VALU_DEP_2) | instskip(NEXT) | instid1(VALU_DEP_1)
	v_fma_f32 v29, v29, v27, -v31
	v_dual_fmac_f32 v28, v30, v27 :: v_dual_add_f32 v21, v21, v29
	s_delay_alu instid0(VALU_DEP_1)
	v_add_f32_e32 v22, v22, v28
	s_cbranch_scc1 .LBB118_71
.LBB118_72:                             ;   in Loop: Header=BB118_57 Depth=1
	s_or_b32 exec_lo, exec_lo, s9
	s_delay_alu instid0(SALU_CYCLE_1)
	s_or_b32 exec_lo, exec_lo, s8
	s_and_saveexec_b32 s4, s0
	s_cbranch_execnz .LBB118_60
	s_branch .LBB118_61
.LBB118_73:                             ;   in Loop: Header=BB118_57 Depth=1
	ds_load_b64 v[3:4], v13
	s_or_b32 exec_lo, exec_lo, s4
	s_and_saveexec_b32 s4, s0
	s_cbranch_execz .LBB118_65
.LBB118_74:                             ;   in Loop: Header=BB118_57 Depth=1
	s_waitcnt lgkmcnt(0)
	ds_bpermute_b32 v21, v16, v3
	ds_bpermute_b32 v22, v16, v4
	s_waitcnt lgkmcnt(0)
	v_dual_add_f32 v3, v3, v21 :: v_dual_add_f32 v4, v4, v22
	ds_bpermute_b32 v21, v17, v3
	ds_bpermute_b32 v22, v17, v4
	s_waitcnt lgkmcnt(0)
	v_dual_add_f32 v3, v3, v21 :: v_dual_add_f32 v4, v4, v22
	;; [unrolled: 4-line block ×3, first 2 shown]
	s_or_b32 exec_lo, exec_lo, s4
	s_and_saveexec_b32 s4, s3
	s_cbranch_execz .LBB118_56
.LBB118_75:                             ;   in Loop: Header=BB118_57 Depth=1
	s_waitcnt lgkmcnt(0)
	v_mul_f32_e32 v22, s18, v4
	v_mul_f32_e32 v21, s19, v4
	s_mul_hi_u32 s9, s35, s16
	s_mul_i32 s8, s35, s16
	s_delay_alu instid0(VALU_DEP_2) | instskip(NEXT) | instid1(VALU_DEP_2)
	v_fmac_f32_e32 v22, s19, v3
	v_fma_f32 v21, v3, s18, -v21
	s_lshl_b64 s[8:9], s[8:9], 3
	s_delay_alu instid0(SALU_CYCLE_1)
	s_add_u32 s8, s12, s8
	s_addc_u32 s9, s14, s9
	global_store_b64 v2, v[21:22], s[8:9]
	s_branch .LBB118_56
.LBB118_76:
	s_nop 0
	s_sendmsg sendmsg(MSG_DEALLOC_VGPRS)
	s_endpgm
	.section	.rodata,"a",@progbits
	.p2align	6, 0x0
	.amdhsa_kernel _ZL23rocblas_gemvt_sn_kernelILb0ELi256ELi4Ei19rocblas_complex_numIfEPKS1_S1_EviiT4_lPKT3_lilS7_lilPT5_i
		.amdhsa_group_segment_fixed_size 256
		.amdhsa_private_segment_fixed_size 48
		.amdhsa_kernarg_size 360
		.amdhsa_user_sgpr_count 14
		.amdhsa_user_sgpr_dispatch_ptr 0
		.amdhsa_user_sgpr_queue_ptr 0
		.amdhsa_user_sgpr_kernarg_segment_ptr 1
		.amdhsa_user_sgpr_dispatch_id 0
		.amdhsa_user_sgpr_private_segment_size 0
		.amdhsa_wavefront_size32 1
		.amdhsa_uses_dynamic_stack 0
		.amdhsa_enable_private_segment 1
		.amdhsa_system_sgpr_workgroup_id_x 1
		.amdhsa_system_sgpr_workgroup_id_y 0
		.amdhsa_system_sgpr_workgroup_id_z 1
		.amdhsa_system_sgpr_workgroup_info 0
		.amdhsa_system_vgpr_workitem_id 0
		.amdhsa_next_free_vgpr 84
		.amdhsa_next_free_sgpr 50
		.amdhsa_reserve_vcc 1
		.amdhsa_float_round_mode_32 0
		.amdhsa_float_round_mode_16_64 0
		.amdhsa_float_denorm_mode_32 3
		.amdhsa_float_denorm_mode_16_64 3
		.amdhsa_dx10_clamp 1
		.amdhsa_ieee_mode 1
		.amdhsa_fp16_overflow 0
		.amdhsa_workgroup_processor_mode 1
		.amdhsa_memory_ordered 1
		.amdhsa_forward_progress 0
		.amdhsa_shared_vgpr_count 0
		.amdhsa_exception_fp_ieee_invalid_op 0
		.amdhsa_exception_fp_denorm_src 0
		.amdhsa_exception_fp_ieee_div_zero 0
		.amdhsa_exception_fp_ieee_overflow 0
		.amdhsa_exception_fp_ieee_underflow 0
		.amdhsa_exception_fp_ieee_inexact 0
		.amdhsa_exception_int_div_zero 0
	.end_amdhsa_kernel
	.section	.text._ZL23rocblas_gemvt_sn_kernelILb0ELi256ELi4Ei19rocblas_complex_numIfEPKS1_S1_EviiT4_lPKT3_lilS7_lilPT5_i,"axG",@progbits,_ZL23rocblas_gemvt_sn_kernelILb0ELi256ELi4Ei19rocblas_complex_numIfEPKS1_S1_EviiT4_lPKT3_lilS7_lilPT5_i,comdat
.Lfunc_end118:
	.size	_ZL23rocblas_gemvt_sn_kernelILb0ELi256ELi4Ei19rocblas_complex_numIfEPKS1_S1_EviiT4_lPKT3_lilS7_lilPT5_i, .Lfunc_end118-_ZL23rocblas_gemvt_sn_kernelILb0ELi256ELi4Ei19rocblas_complex_numIfEPKS1_S1_EviiT4_lPKT3_lilS7_lilPT5_i
                                        ; -- End function
	.section	.AMDGPU.csdata,"",@progbits
; Kernel info:
; codeLenInByte = 5488
; NumSgprs: 52
; NumVgprs: 84
; ScratchSize: 48
; MemoryBound: 0
; FloatMode: 240
; IeeeMode: 1
; LDSByteSize: 256 bytes/workgroup (compile time only)
; SGPRBlocks: 6
; VGPRBlocks: 10
; NumSGPRsForWavesPerEU: 52
; NumVGPRsForWavesPerEU: 84
; Occupancy: 16
; WaveLimiterHint : 1
; COMPUTE_PGM_RSRC2:SCRATCH_EN: 1
; COMPUTE_PGM_RSRC2:USER_SGPR: 14
; COMPUTE_PGM_RSRC2:TRAP_HANDLER: 0
; COMPUTE_PGM_RSRC2:TGID_X_EN: 1
; COMPUTE_PGM_RSRC2:TGID_Y_EN: 0
; COMPUTE_PGM_RSRC2:TGID_Z_EN: 1
; COMPUTE_PGM_RSRC2:TIDIG_COMP_CNT: 0
	.section	.text._ZL23rocblas_gemvt_sn_kernelILb0ELi256ELi4El19rocblas_complex_numIfEPKS1_S1_EviiT4_lPKT3_lilS7_lilPT5_i,"axG",@progbits,_ZL23rocblas_gemvt_sn_kernelILb0ELi256ELi4El19rocblas_complex_numIfEPKS1_S1_EviiT4_lPKT3_lilS7_lilPT5_i,comdat
	.globl	_ZL23rocblas_gemvt_sn_kernelILb0ELi256ELi4El19rocblas_complex_numIfEPKS1_S1_EviiT4_lPKT3_lilS7_lilPT5_i ; -- Begin function _ZL23rocblas_gemvt_sn_kernelILb0ELi256ELi4El19rocblas_complex_numIfEPKS1_S1_EviiT4_lPKT3_lilS7_lilPT5_i
	.p2align	8
	.type	_ZL23rocblas_gemvt_sn_kernelILb0ELi256ELi4El19rocblas_complex_numIfEPKS1_S1_EviiT4_lPKT3_lilS7_lilPT5_i,@function
_ZL23rocblas_gemvt_sn_kernelILb0ELi256ELi4El19rocblas_complex_numIfEPKS1_S1_EviiT4_lPKT3_lilS7_lilPT5_i: ; @_ZL23rocblas_gemvt_sn_kernelILb0ELi256ELi4El19rocblas_complex_numIfEPKS1_S1_EviiT4_lPKT3_lilS7_lilPT5_i
; %bb.0:
	s_clause 0x2
	s_load_b256 s[4:11], s[0:1], 0x8
	s_load_b64 s[12:13], s[0:1], 0x0
	s_load_b32 s20, s[0:1], 0x68
	v_cmp_eq_u32_e32 vcc_lo, 0, v0
	s_mov_b32 s21, 0
	s_waitcnt lgkmcnt(0)
	s_mul_i32 s3, s15, s7
	s_mul_hi_u32 s7, s15, s6
	s_mul_i32 s2, s15, s6
	s_add_i32 s3, s7, s3
	s_delay_alu instid0(SALU_CYCLE_1) | instskip(NEXT) | instid1(SALU_CYCLE_1)
	s_lshl_b64 s[2:3], s[2:3], 3
	s_add_u32 s2, s4, s2
	s_addc_u32 s3, s5, s3
	s_load_b64 s[22:23], s[2:3], 0x0
	s_load_b128 s[16:19], s[0:1], 0x50
	s_ashr_i32 s30, s13, 31
	s_mul_hi_u32 s2, s13, s15
	s_mul_i32 s3, s30, s15
	s_mul_i32 s4, s13, s15
	s_add_i32 s2, s2, s3
	s_mul_hi_u32 s3, s4, s20
	s_mul_i32 s2, s2, s20
	s_delay_alu instid0(SALU_CYCLE_1) | instskip(SKIP_4) | instid1(SALU_CYCLE_1)
	s_add_i32 s3, s3, s2
	s_mul_i32 s2, s4, s20
	s_mov_b32 s4, -1
	s_waitcnt lgkmcnt(0)
	s_or_b32 s5, s22, s23
	s_bitset0_b32 s5, 31
	s_delay_alu instid0(SALU_CYCLE_1)
	s_cmp_lg_u32 s5, 0
	s_cbranch_scc1 .LBB119_5
; %bb.1:
	s_cmp_gt_i32 s13, 0
	s_cselect_b32 s4, -1, 0
	s_delay_alu instid0(SALU_CYCLE_1) | instskip(NEXT) | instid1(SALU_CYCLE_1)
	s_and_b32 s4, vcc_lo, s4
	s_and_saveexec_b32 s24, s4
	s_cbranch_execz .LBB119_4
; %bb.2:
	s_mov_b32 s4, s15
	s_mov_b32 s15, 0
	v_mov_b32_e32 v1, 0
	s_lshl_b64 s[6:7], s[2:3], 3
	s_lshl_b64 s[26:27], s[14:15], 3
	s_mov_b32 s15, s4
	s_add_u32 s4, s6, s26
	s_addc_u32 s5, s7, s27
	s_add_u32 s4, s4, s18
	v_mov_b32_e32 v2, v1
	s_addc_u32 s5, s5, s19
	s_add_u32 s4, s4, 4
	s_addc_u32 s5, s5, 0
	s_lshl_b64 s[6:7], s[20:21], 3
	s_mov_b32 s21, s13
.LBB119_3:                              ; =>This Inner Loop Header: Depth=1
	s_delay_alu instid0(SALU_CYCLE_1)
	s_add_i32 s21, s21, -1
	global_store_b64 v1, v[1:2], s[4:5] offset:-4
	s_add_u32 s4, s4, s6
	s_addc_u32 s5, s5, s7
	s_cmp_eq_u32 s21, 0
	s_cbranch_scc0 .LBB119_3
.LBB119_4:
	s_or_b32 exec_lo, exec_lo, s24
	s_mov_b32 s4, 0
.LBB119_5:
	s_delay_alu instid0(SALU_CYCLE_1)
	s_and_not1_b32 vcc_lo, exec_lo, s4
	s_cbranch_vccnz .LBB119_76
; %bb.6:
	s_clause 0x3
	s_load_b32 s24, s[0:1], 0x28
	s_load_b32 s26, s[0:1], 0x48
	s_load_b128 s[4:7], s[0:1], 0x30
	s_load_b64 s[28:29], s[0:1], 0x40
	s_mul_i32 s0, s15, s17
	s_mul_hi_u32 s1, s15, s16
	s_mul_i32 s16, s15, s16
	s_add_i32 s17, s1, s0
	v_and_b32_e32 v29, 31, v0
	s_lshl_b64 s[16:17], s[16:17], 3
	v_cmp_gt_u32_e64 s0, 32, v0
	v_mbcnt_lo_u32_b32 v32, -1, 0
	v_lshrrev_b32_e32 v34, 2, v0
	v_or_b32_e64 v28, 0, 4
	s_waitcnt lgkmcnt(0)
	s_ashr_i32 s25, s24, 31
	s_ashr_i32 s27, s26, 31
	s_mul_i32 s1, s15, s5
	s_add_u32 s5, s6, s16
	s_addc_u32 s21, s7, s17
	s_lshl_b64 s[28:29], s[28:29], 3
	s_mul_hi_u32 s31, s15, s4
	s_add_u32 s33, s5, s28
	s_addc_u32 s40, s21, s29
	s_lshl_b64 s[2:3], s[2:3], 3
	s_mul_i32 s4, s15, s4
	s_add_u32 s41, s18, s2
	s_addc_u32 s42, s19, s3
	s_add_i32 s5, s31, s1
	v_cmp_gt_u32_e64 s1, 8, v0
	s_lshl_b64 s[18:19], s[4:5], 3
	s_delay_alu instid0(SALU_CYCLE_1) | instskip(SKIP_2) | instid1(SALU_CYCLE_1)
	s_add_u32 s2, s8, s18
	s_addc_u32 s3, s9, s19
	s_lshl_b64 s[10:11], s[10:11], 3
	s_add_u32 s2, s2, s10
	s_addc_u32 s3, s3, s11
	s_lshl_b32 s4, s14, 10
	s_ashr_i32 s5, s12, 31
	v_lshl_or_b32 v5, v0, 2, s4
	s_lshr_b32 s4, s30, 30
	s_lshr_b32 s5, s5, 30
	s_add_i32 s4, s13, s4
	s_add_i32 s5, s12, s5
	v_ashrrev_i32_e32 v6, 31, v5
	s_and_b32 s43, s4, -4
	s_and_b32 s4, s5, -4
	v_add_nc_u32_e32 v35, 4, v5
	s_sub_i32 s21, s12, s4
	v_lshlrev_b64 v[3:4], 3, v[5:6]
	v_or_b32_e32 v33, 1, v5
	v_or_b32_e32 v31, 2, v5
	;; [unrolled: 1-line block ×3, first 2 shown]
	v_add_nc_u32_e32 v36, s21, v5
	s_cmp_lt_i32 s43, 1
	v_add_co_u32 v1, vcc_lo, s2, v3
	v_add_co_ci_u32_e32 v2, vcc_lo, s3, v4, vcc_lo
	s_cbranch_scc1 .LBB119_53
; %bb.7:
	v_cmp_gt_u32_e32 vcc_lo, 16, v32
	v_mad_i64_i32 v[12:13], null, s26, v30, 0
	s_mov_b32 s15, 0
	s_cmp_gt_i32 s21, 0
	v_cndmask_b32_e64 v6, 0, 1, vcc_lo
	v_cmp_gt_u32_e32 vcc_lo, 24, v32
	s_cselect_b32 s44, -1, 0
	s_lshl_b64 s[30:31], s[14:15], 3
	s_delay_alu instid0(VALU_DEP_3) | instskip(SKIP_4) | instid1(VALU_DEP_3)
	v_lshlrev_b64 v[12:13], 3, v[12:13]
	v_dual_mov_b32 v19, v2 :: v_dual_lshlrev_b32 v6, 4, v6
	v_cndmask_b32_e64 v7, 0, 1, vcc_lo
	v_cmp_gt_u32_e32 vcc_lo, 28, v32
	s_add_u32 s45, s41, s30
	v_add_lshl_u32 v37, v6, v32, 2
	s_delay_alu instid0(VALU_DEP_3)
	v_dual_mov_b32 v16, 0 :: v_dual_lshlrev_b32 v7, 3, v7
	v_cndmask_b32_e64 v8, 0, 1, vcc_lo
	v_cmp_gt_u32_e32 vcc_lo, 30, v32
	s_addc_u32 s46, s42, s31
	s_add_u32 s30, s6, s28
	v_add_lshl_u32 v38, v7, v32, 2
	v_lshlrev_b32_e32 v8, 2, v8
	v_cndmask_b32_e64 v9, 0, 1, vcc_lo
	v_cmp_ne_u32_e32 vcc_lo, 31, v32
	v_mad_i64_i32 v[6:7], null, s26, v5, 0
	s_delay_alu instid0(VALU_DEP_4) | instskip(NEXT) | instid1(VALU_DEP_4)
	v_add_lshl_u32 v39, v8, v32, 2
	v_dual_mov_b32 v18, v1 :: v_dual_lshlrev_b32 v9, 1, v9
	v_add_co_ci_u32_e32 v10, vcc_lo, 0, v32, vcc_lo
	s_addc_u32 s31, s7, s29
	s_delay_alu instid0(VALU_DEP_2) | instskip(SKIP_1) | instid1(VALU_DEP_3)
	v_add_lshl_u32 v40, v9, v32, 2
	v_mad_i64_i32 v[8:9], null, s26, v33, 0
	v_lshlrev_b32_e32 v41, 2, v10
	v_mad_i64_i32 v[10:11], null, s26, v31, 0
	v_lshlrev_b64 v[14:15], 3, v[6:7]
	s_add_u32 s30, s30, s16
	s_addc_u32 s31, s31, s17
	s_delay_alu instid0(VALU_DEP_4)
	v_lshlrev_b64 v[8:9], 3, v[8:9]
	v_cmp_ge_i32_e64 s2, s12, v35
	v_cmp_ge_i32_e64 s3, s12, v36
	v_add_co_u32 v6, vcc_lo, s33, v14
	v_lshlrev_b64 v[10:11], 3, v[10:11]
	v_add_co_ci_u32_e32 v7, vcc_lo, s40, v15, vcc_lo
	v_add_co_u32 v8, vcc_lo, s33, v8
	v_add_co_ci_u32_e32 v9, vcc_lo, s40, v9, vcc_lo
	s_delay_alu instid0(VALU_DEP_4)
	v_add_co_u32 v10, vcc_lo, s33, v10
	v_add_co_ci_u32_e32 v11, vcc_lo, s40, v11, vcc_lo
	v_add_co_u32 v12, vcc_lo, s33, v12
	v_add_co_ci_u32_e32 v13, vcc_lo, s40, v13, vcc_lo
	v_add_co_u32 v14, vcc_lo, s30, v14
	v_cmp_eq_u32_e64 s4, 0, v29
	v_lshlrev_b32_e32 v42, 3, v29
	v_and_b32_e32 v43, 56, v34
	v_cmp_eq_u32_e64 s5, 0, v0
	v_add_co_ci_u32_e32 v15, vcc_lo, s31, v15, vcc_lo
	v_or_b32_e64 v44, 0, 4
	s_lshl_b64 s[30:31], s[26:27], 3
	s_mul_hi_i32 s47, s24, 24
	s_mul_i32 s48, s24, 24
	s_lshl_b64 s[34:35], s[24:25], 5
	s_lshl_b64 s[36:37], s[24:25], 3
	;; [unrolled: 1-line block ×3, first 2 shown]
	s_branch .LBB119_9
.LBB119_8:                              ;   in Loop: Header=BB119_9 Depth=1
	s_or_b32 exec_lo, exec_lo, s49
	v_add_co_u32 v18, vcc_lo, v18, s34
	v_add_co_ci_u32_e32 v19, vcc_lo, s35, v19, vcc_lo
	s_add_i32 s15, s15, 4
	s_delay_alu instid0(SALU_CYCLE_1)
	s_cmp_ge_i32 s15, s43
	s_cbranch_scc1 .LBB119_54
.LBB119_9:                              ; =>This Loop Header: Depth=1
                                        ;     Child Loop BB119_40 Depth 2
                                        ;     Child Loop BB119_42 Depth 2
                                        ; implicit-def: $vgpr45
                                        ; implicit-def: $vgpr46
                                        ; implicit-def: $vgpr22
                                        ; implicit-def: $vgpr23
                                        ; implicit-def: $vgpr24
                                        ; implicit-def: $vgpr25
                                        ; implicit-def: $vgpr27
                                        ; implicit-def: $vgpr26
	s_and_saveexec_b32 s49, s2
	s_delay_alu instid0(SALU_CYCLE_1)
	s_xor_b32 s49, exec_lo, s49
	s_cbranch_execnz .LBB119_36
; %bb.10:                               ;   in Loop: Header=BB119_9 Depth=1
	s_and_not1_saveexec_b32 s49, s49
	s_cbranch_execnz .LBB119_37
.LBB119_11:                             ;   in Loop: Header=BB119_9 Depth=1
	s_or_b32 exec_lo, exec_lo, s49
	s_and_saveexec_b32 s49, s0
	s_cbranch_execz .LBB119_13
.LBB119_12:                             ;   in Loop: Header=BB119_9 Depth=1
	v_mov_b32_e32 v17, v16
	ds_store_b64 v42, v[16:17]
.LBB119_13:                             ;   in Loop: Header=BB119_9 Depth=1
	s_or_b32 exec_lo, exec_lo, s49
	ds_bpermute_b32 v17, v37, v45
	ds_bpermute_b32 v20, v37, v46
	s_waitcnt lgkmcnt(0)
	s_waitcnt_vscnt null, 0x0
	s_barrier
	buffer_gl0_inv
	v_dual_add_f32 v17, v45, v17 :: v_dual_add_f32 v20, v46, v20
	ds_bpermute_b32 v21, v38, v17
	ds_bpermute_b32 v45, v38, v20
	s_waitcnt lgkmcnt(1)
	v_add_f32_e32 v17, v17, v21
	s_waitcnt lgkmcnt(0)
	v_add_f32_e32 v20, v20, v45
	ds_bpermute_b32 v21, v39, v17
	ds_bpermute_b32 v45, v39, v20
	s_waitcnt lgkmcnt(1)
	v_add_f32_e32 v17, v17, v21
	s_waitcnt lgkmcnt(0)
	v_add_f32_e32 v20, v20, v45
	;; [unrolled: 6-line block ×3, first 2 shown]
	ds_bpermute_b32 v21, v41, v17
	ds_bpermute_b32 v45, v41, v20
	s_and_saveexec_b32 s49, s4
	s_cbranch_execz .LBB119_15
; %bb.14:                               ;   in Loop: Header=BB119_9 Depth=1
	s_waitcnt lgkmcnt(0)
	v_add_f32_e32 v46, v20, v45
	v_add_f32_e32 v45, v17, v21
	ds_store_b64 v43, v[45:46]
.LBB119_15:                             ;   in Loop: Header=BB119_9 Depth=1
	s_or_b32 exec_lo, exec_lo, s49
	s_waitcnt lgkmcnt(1)
	v_dual_mov_b32 v21, 0 :: v_dual_mov_b32 v20, 0
	s_waitcnt lgkmcnt(0)
	s_barrier
	buffer_gl0_inv
	s_and_saveexec_b32 s49, s1
	s_cbranch_execnz .LBB119_44
; %bb.16:                               ;   in Loop: Header=BB119_9 Depth=1
	s_or_b32 exec_lo, exec_lo, s49
	s_and_saveexec_b32 s49, s0
	s_cbranch_execnz .LBB119_45
.LBB119_17:                             ;   in Loop: Header=BB119_9 Depth=1
	s_or_b32 exec_lo, exec_lo, s49
	s_and_saveexec_b32 s49, s0
	s_cbranch_execz .LBB119_19
.LBB119_18:                             ;   in Loop: Header=BB119_9 Depth=1
	v_mov_b32_e32 v17, v16
	ds_store_b64 v42, v[16:17]
.LBB119_19:                             ;   in Loop: Header=BB119_9 Depth=1
	s_or_b32 exec_lo, exec_lo, s49
	ds_bpermute_b32 v17, v37, v22
	ds_bpermute_b32 v45, v37, v23
	s_waitcnt lgkmcnt(0)
	s_barrier
	buffer_gl0_inv
	v_add_f32_e32 v17, v22, v17
	v_add_f32_e32 v22, v23, v45
	ds_bpermute_b32 v23, v38, v17
	s_waitcnt lgkmcnt(0)
	v_add_f32_e32 v17, v17, v23
	ds_bpermute_b32 v45, v38, v22
	ds_bpermute_b32 v23, v39, v17
	s_waitcnt lgkmcnt(0)
	v_dual_add_f32 v22, v22, v45 :: v_dual_add_f32 v17, v17, v23
	ds_bpermute_b32 v45, v39, v22
	ds_bpermute_b32 v23, v40, v17
	s_waitcnt lgkmcnt(0)
	v_dual_add_f32 v22, v22, v45 :: v_dual_add_f32 v17, v17, v23
	ds_bpermute_b32 v45, v40, v22
	ds_bpermute_b32 v23, v41, v17
	s_waitcnt lgkmcnt(1)
	v_add_f32_e32 v22, v22, v45
	ds_bpermute_b32 v45, v41, v22
	s_and_saveexec_b32 s49, s4
	s_cbranch_execz .LBB119_21
; %bb.20:                               ;   in Loop: Header=BB119_9 Depth=1
	s_waitcnt lgkmcnt(0)
	v_dual_add_f32 v46, v22, v45 :: v_dual_add_f32 v45, v17, v23
	ds_store_b64 v43, v[45:46]
.LBB119_21:                             ;   in Loop: Header=BB119_9 Depth=1
	s_or_b32 exec_lo, exec_lo, s49
	s_waitcnt lgkmcnt(1)
	v_dual_mov_b32 v23, 0 :: v_dual_mov_b32 v22, 0
	s_waitcnt lgkmcnt(0)
	s_barrier
	buffer_gl0_inv
	s_and_saveexec_b32 s49, s1
	s_cbranch_execnz .LBB119_46
; %bb.22:                               ;   in Loop: Header=BB119_9 Depth=1
	s_or_b32 exec_lo, exec_lo, s49
	s_and_saveexec_b32 s49, s0
	s_cbranch_execnz .LBB119_47
.LBB119_23:                             ;   in Loop: Header=BB119_9 Depth=1
	s_or_b32 exec_lo, exec_lo, s49
	s_and_saveexec_b32 s49, s0
	s_cbranch_execz .LBB119_25
.LBB119_24:                             ;   in Loop: Header=BB119_9 Depth=1
	v_mov_b32_e32 v17, v16
	ds_store_b64 v42, v[16:17]
.LBB119_25:                             ;   in Loop: Header=BB119_9 Depth=1
	s_or_b32 exec_lo, exec_lo, s49
	ds_bpermute_b32 v17, v37, v24
	ds_bpermute_b32 v45, v37, v25
	s_waitcnt lgkmcnt(0)
	s_barrier
	buffer_gl0_inv
	v_add_f32_e32 v17, v24, v17
	v_add_f32_e32 v24, v25, v45
	ds_bpermute_b32 v25, v38, v17
	ds_bpermute_b32 v45, v38, v24
	s_waitcnt lgkmcnt(1)
	v_add_f32_e32 v17, v17, v25
	s_waitcnt lgkmcnt(0)
	v_add_f32_e32 v24, v24, v45
	ds_bpermute_b32 v25, v39, v17
	ds_bpermute_b32 v45, v39, v24
	s_waitcnt lgkmcnt(1)
	v_add_f32_e32 v17, v17, v25
	s_waitcnt lgkmcnt(0)
	;; [unrolled: 6-line block ×3, first 2 shown]
	v_add_f32_e32 v24, v24, v45
	ds_bpermute_b32 v25, v41, v17
	ds_bpermute_b32 v45, v41, v24
	s_and_saveexec_b32 s49, s4
	s_cbranch_execz .LBB119_27
; %bb.26:                               ;   in Loop: Header=BB119_9 Depth=1
	s_waitcnt lgkmcnt(0)
	v_add_f32_e32 v46, v24, v45
	v_add_f32_e32 v45, v17, v25
	ds_store_b64 v43, v[45:46]
.LBB119_27:                             ;   in Loop: Header=BB119_9 Depth=1
	s_or_b32 exec_lo, exec_lo, s49
	s_waitcnt lgkmcnt(1)
	v_dual_mov_b32 v25, 0 :: v_dual_mov_b32 v24, 0
	s_waitcnt lgkmcnt(0)
	s_barrier
	buffer_gl0_inv
	s_and_saveexec_b32 s49, s1
	s_cbranch_execnz .LBB119_48
; %bb.28:                               ;   in Loop: Header=BB119_9 Depth=1
	s_or_b32 exec_lo, exec_lo, s49
	s_and_saveexec_b32 s49, s0
	s_cbranch_execnz .LBB119_49
.LBB119_29:                             ;   in Loop: Header=BB119_9 Depth=1
	s_or_b32 exec_lo, exec_lo, s49
	s_and_saveexec_b32 s49, s0
	s_cbranch_execz .LBB119_31
.LBB119_30:                             ;   in Loop: Header=BB119_9 Depth=1
	v_mov_b32_e32 v17, v16
	ds_store_b64 v42, v[16:17]
.LBB119_31:                             ;   in Loop: Header=BB119_9 Depth=1
	s_or_b32 exec_lo, exec_lo, s49
	ds_bpermute_b32 v17, v37, v27
	ds_bpermute_b32 v45, v37, v26
	s_waitcnt lgkmcnt(0)
	s_barrier
	buffer_gl0_inv
	v_add_f32_e32 v17, v27, v17
	ds_bpermute_b32 v27, v38, v17
	s_waitcnt lgkmcnt(0)
	v_dual_add_f32 v26, v26, v45 :: v_dual_add_f32 v17, v17, v27
	ds_bpermute_b32 v45, v38, v26
	ds_bpermute_b32 v27, v39, v17
	s_waitcnt lgkmcnt(0)
	v_dual_add_f32 v26, v26, v45 :: v_dual_add_f32 v17, v17, v27
	ds_bpermute_b32 v45, v39, v26
	;; [unrolled: 4-line block ×3, first 2 shown]
	ds_bpermute_b32 v27, v41, v17
	s_waitcnt lgkmcnt(1)
	v_add_f32_e32 v26, v26, v45
	ds_bpermute_b32 v45, v41, v26
	s_and_saveexec_b32 s49, s4
	s_cbranch_execz .LBB119_33
; %bb.32:                               ;   in Loop: Header=BB119_9 Depth=1
	s_waitcnt lgkmcnt(0)
	v_dual_add_f32 v46, v26, v45 :: v_dual_add_f32 v45, v17, v27
	ds_store_b64 v43, v[45:46]
.LBB119_33:                             ;   in Loop: Header=BB119_9 Depth=1
	s_or_b32 exec_lo, exec_lo, s49
	s_waitcnt lgkmcnt(1)
	v_dual_mov_b32 v27, 0 :: v_dual_mov_b32 v26, 0
	s_waitcnt lgkmcnt(0)
	s_barrier
	buffer_gl0_inv
	s_and_saveexec_b32 s49, s1
	s_cbranch_execnz .LBB119_50
; %bb.34:                               ;   in Loop: Header=BB119_9 Depth=1
	s_or_b32 exec_lo, exec_lo, s49
	s_and_saveexec_b32 s49, s0
	s_cbranch_execnz .LBB119_51
.LBB119_35:                             ;   in Loop: Header=BB119_9 Depth=1
	s_or_b32 exec_lo, exec_lo, s49
	s_and_saveexec_b32 s49, s5
	s_cbranch_execz .LBB119_8
	s_branch .LBB119_52
.LBB119_36:                             ;   in Loop: Header=BB119_9 Depth=1
	s_mul_i32 s51, s15, s25
	s_mul_hi_u32 s52, s15, s24
	s_mul_i32 s50, s15, s24
	s_add_i32 s51, s52, s51
	s_clause 0x3
	global_load_b64 v[47:48], v[6:7], off
	global_load_b64 v[49:50], v[8:9], off
	;; [unrolled: 1-line block ×4, first 2 shown]
	s_lshl_b64 s[50:51], s[50:51], 3
	s_delay_alu instid0(SALU_CYCLE_1)
	v_add_co_u32 v24, vcc_lo, v1, s50
	s_or_b32 s50, s15, 1
	v_add_co_ci_u32_e32 v25, vcc_lo, s51, v2, vcc_lo
	s_mul_i32 s51, s50, s25
	s_mul_hi_u32 s52, s50, s24
	s_mul_i32 s50, s50, s24
	s_add_i32 s51, s52, s51
	s_or_b32 s52, s15, 2
	s_lshl_b64 s[50:51], s[50:51], 3
	s_mul_i32 s53, s52, s25
	s_mul_hi_u32 s54, s52, s24
	v_add_co_u32 v45, vcc_lo, v1, s50
	v_add_co_ci_u32_e32 v46, vcc_lo, s51, v2, vcc_lo
	s_add_i32 s51, s54, s53
	s_or_b32 s54, s15, 3
	s_mul_i32 s50, s52, s24
	s_mul_i32 s52, s54, s25
	s_mul_hi_u32 s53, s54, s24
	s_lshl_b64 s[50:51], s[50:51], 3
	global_load_b128 v[20:23], v[24:25], off offset:16
	s_waitcnt lgkmcnt(0)
	global_load_b128 v[24:27], v[24:25], off
	s_add_i32 s53, s53, s52
	s_mul_i32 s52, s54, s24
	v_add_co_u32 v71, vcc_lo, v1, s50
	v_add_co_ci_u32_e32 v72, vcc_lo, s51, v2, vcc_lo
	s_lshl_b64 s[50:51], s[52:53], 3
	s_delay_alu instid0(SALU_CYCLE_1)
	v_add_co_u32 v75, vcc_lo, v1, s50
	v_add_co_ci_u32_e32 v76, vcc_lo, s51, v2, vcc_lo
	s_clause 0x5
	global_load_b128 v[55:58], v[45:46], off
	global_load_b128 v[59:62], v[71:72], off
	;; [unrolled: 1-line block ×3, first 2 shown]
	global_load_b128 v[67:70], v[45:46], off offset:16
	global_load_b128 v[71:74], v[71:72], off offset:16
	;; [unrolled: 1-line block ×3, first 2 shown]
	s_waitcnt vmcnt(10)
	scratch_store_b128 off, v[47:50], off
	s_waitcnt vmcnt(8)
	scratch_store_b128 off, v[51:54], off offset:16
	s_waitcnt vmcnt(7)
	v_mul_f32_e32 v79, v54, v23
	s_waitcnt vmcnt(6)
	v_mul_f32_e32 v17, v48, v25
	v_mul_f32_e32 v25, v47, v25
	v_dual_mul_f32 v45, v50, v27 :: v_dual_mul_f32 v46, v52, v21
	v_mul_f32_e32 v27, v49, v27
	v_mul_f32_e32 v23, v53, v23
	s_waitcnt vmcnt(5)
	v_dual_mul_f32 v21, v51, v21 :: v_dual_mul_f32 v80, v48, v56
	v_mul_f32_e32 v56, v47, v56
	s_waitcnt vmcnt(3)
	v_mul_f32_e32 v82, v48, v64
	v_mul_f32_e32 v81, v48, v60
	;; [unrolled: 1-line block ×3, first 2 shown]
	v_fma_f32 v17, v47, v24, -v17
	v_dual_mul_f32 v64, v47, v64 :: v_dual_mul_f32 v83, v50, v58
	s_waitcnt vmcnt(2)
	v_mul_f32_e32 v86, v52, v68
	v_mul_f32_e32 v58, v49, v58
	;; [unrolled: 1-line block ×3, first 2 shown]
	s_waitcnt vmcnt(1)
	v_dual_mul_f32 v62, v49, v62 :: v_dual_mul_f32 v87, v52, v72
	v_dual_mul_f32 v85, v50, v66 :: v_dual_mul_f32 v68, v51, v68
	v_dual_mul_f32 v66, v49, v66 :: v_dual_fmac_f32 v25, v48, v24
	v_dual_mul_f32 v90, v54, v74 :: v_dual_add_f32 v17, 0, v17
	v_fma_f32 v24, v49, v26, -v45
	v_dual_fmac_f32 v23, v54, v22 :: v_dual_fmac_f32 v56, v48, v55
	v_fma_f32 v45, v47, v59, -v81
	s_delay_alu instid0(VALU_DEP_3)
	v_dual_fmac_f32 v60, v48, v59 :: v_dual_add_f32 v17, v17, v24
	v_dual_mul_f32 v72, v51, v72 :: v_dual_mul_f32 v89, v54, v70
	s_waitcnt vmcnt(0)
	v_dual_mul_f32 v88, v52, v76 :: v_dual_mul_f32 v91, v54, v78
	v_dual_mul_f32 v76, v51, v76 :: v_dual_fmac_f32 v27, v50, v26
	v_dual_mul_f32 v70, v53, v70 :: v_dual_fmac_f32 v21, v52, v20
	v_dual_mul_f32 v74, v53, v74 :: v_dual_add_f32 v25, 0, v25
	v_dual_mul_f32 v78, v53, v78 :: v_dual_add_f32 v45, 0, v45
	v_fma_f32 v26, v51, v20, -v46
	v_fma_f32 v20, v53, v22, -v79
	;; [unrolled: 1-line block ×5, first 2 shown]
	v_add_f32_e32 v56, 0, v56
	v_fmac_f32_e32 v62, v50, v61
	v_add_f32_e32 v60, 0, v60
	v_fmac_f32_e32 v58, v50, v57
	v_fma_f32 v57, v49, v61, -v84
	v_fmac_f32_e32 v64, v48, v63
	v_fma_f32 v59, v49, v65, -v85
	v_dual_fmac_f32 v66, v50, v65 :: v_dual_add_f32 v17, v17, v26
	v_add_f32_e32 v46, 0, v46
	v_add_f32_e32 v24, v25, v27
	v_dual_add_f32 v22, 0, v22 :: v_dual_add_f32 v27, v45, v57
	v_add_f32_e32 v64, 0, v64
	v_fma_f32 v61, v51, v67, -v86
	s_delay_alu instid0(VALU_DEP_4)
	v_add_f32_e32 v21, v24, v21
	v_fma_f32 v63, v51, v71, -v87
	v_fma_f32 v65, v51, v75, -v88
	v_fmac_f32_e32 v76, v52, v75
	v_fmac_f32_e32 v70, v54, v69
	v_dual_add_f32 v22, v22, v55 :: v_dual_add_f32 v55, v64, v66
	v_fmac_f32_e32 v72, v52, v71
	v_add_f32_e32 v45, v60, v62
	v_dual_add_f32 v25, v56, v58 :: v_dual_add_f32 v46, v46, v59
	s_delay_alu instid0(VALU_DEP_4)
	v_dual_add_f32 v55, v55, v76 :: v_dual_fmac_f32 v68, v52, v67
	v_fma_f32 v67, v53, v69, -v89
	v_fma_f32 v69, v53, v73, -v90
	v_fmac_f32_e32 v74, v54, v73
	v_fma_f32 v71, v53, v77, -v91
	v_add_f32_e32 v22, v22, v61
	v_dual_add_f32 v24, v25, v68 :: v_dual_add_f32 v25, v27, v63
	v_fmac_f32_e32 v78, v54, v77
	v_dual_add_f32 v26, v45, v72 :: v_dual_add_f32 v27, v46, v65
	v_add_f32_e32 v45, v17, v20
	s_delay_alu instid0(VALU_DEP_4) | instskip(SKIP_1) | instid1(VALU_DEP_4)
	v_dual_add_f32 v46, v21, v23 :: v_dual_add_f32 v23, v24, v70
	v_add_f32_e32 v22, v22, v67
	v_dual_add_f32 v24, v25, v69 :: v_dual_add_f32 v25, v26, v74
	v_add_f32_e32 v27, v27, v71
	v_add_f32_e32 v26, v55, v78
	s_and_not1_saveexec_b32 s49, s49
	s_cbranch_execz .LBB119_11
.LBB119_37:                             ;   in Loop: Header=BB119_9 Depth=1
	v_dual_mov_b32 v45, 0 :: v_dual_mov_b32 v46, 0
	v_dual_mov_b32 v22, 0 :: v_dual_mov_b32 v23, 0
	;; [unrolled: 1-line block ×3, first 2 shown]
	s_waitcnt lgkmcnt(0)
	v_dual_mov_b32 v27, 0 :: v_dual_mov_b32 v26, 0
	s_and_saveexec_b32 s50, s3
	s_cbranch_execz .LBB119_43
; %bb.38:                               ;   in Loop: Header=BB119_9 Depth=1
	v_dual_mov_b32 v45, 0 :: v_dual_mov_b32 v46, 0
	v_dual_mov_b32 v22, 0 :: v_dual_mov_b32 v23, 0
	;; [unrolled: 1-line block ×4, first 2 shown]
	s_and_not1_b32 vcc_lo, exec_lo, s44
	s_cbranch_vccnz .LBB119_43
; %bb.39:                               ;   in Loop: Header=BB119_9 Depth=1
	v_mov_b32_e32 v21, v15
	v_dual_mov_b32 v17, 0 :: v_dual_mov_b32 v20, v14
	s_mov_b32 s51, s21
.LBB119_40:                             ;   Parent Loop BB119_9 Depth=1
                                        ; =>  This Inner Loop Header: Depth=2
	global_load_b64 v[22:23], v[20:21], off
	v_add_co_u32 v20, vcc_lo, v20, s30
	v_add_co_ci_u32_e32 v21, vcc_lo, s31, v21, vcc_lo
	s_add_i32 s51, s51, -1
	s_delay_alu instid0(SALU_CYCLE_1)
	s_cmp_eq_u32 s51, 0
	s_waitcnt vmcnt(0)
	scratch_store_b64 v17, v[22:23], off
	v_add_nc_u32_e32 v17, 8, v17
	s_cbranch_scc0 .LBB119_40
; %bb.41:                               ;   in Loop: Header=BB119_9 Depth=1
	v_dual_mov_b32 v26, 0 :: v_dual_mov_b32 v21, v19
	v_dual_mov_b32 v20, v18 :: v_dual_mov_b32 v17, v44
	;; [unrolled: 1-line block ×5, first 2 shown]
	v_mov_b32_e32 v45, 0
	s_mov_b32 s51, s21
.LBB119_42:                             ;   Parent Loop BB119_9 Depth=1
                                        ; =>  This Inner Loop Header: Depth=2
	v_add_co_u32 v51, vcc_lo, v20, s36
	v_add_co_ci_u32_e32 v52, vcc_lo, s37, v21, vcc_lo
	v_add_co_u32 v53, vcc_lo, v20, s38
	scratch_load_b64 v[47:48], v17, off offset:-4
	global_load_b64 v[49:50], v[20:21], off
	v_add_co_ci_u32_e32 v54, vcc_lo, s39, v21, vcc_lo
	v_add_co_u32 v55, vcc_lo, v20, s48
	v_add_co_ci_u32_e32 v56, vcc_lo, s47, v21, vcc_lo
	s_clause 0x2
	global_load_b64 v[51:52], v[51:52], off
	global_load_b64 v[53:54], v[53:54], off
	;; [unrolled: 1-line block ×3, first 2 shown]
	v_add_nc_u32_e32 v17, 8, v17
	v_add_co_u32 v20, vcc_lo, v20, 8
	v_add_co_ci_u32_e32 v21, vcc_lo, 0, v21, vcc_lo
	s_add_i32 s51, s51, -1
	s_delay_alu instid0(SALU_CYCLE_1) | instskip(SKIP_3) | instid1(VALU_DEP_2)
	s_cmp_lg_u32 s51, 0
	s_waitcnt vmcnt(3)
	v_mul_f32_e32 v57, v48, v50
	v_mul_f32_e32 v50, v47, v50
	v_fma_f32 v57, v47, v49, -v57
	s_delay_alu instid0(VALU_DEP_2)
	v_fmac_f32_e32 v50, v48, v49
	s_waitcnt vmcnt(2)
	v_mul_f32_e32 v49, v48, v52
	v_mul_f32_e32 v52, v47, v52
	s_waitcnt vmcnt(1)
	v_dual_mul_f32 v58, v48, v54 :: v_dual_add_f32 v45, v45, v57
	v_mul_f32_e32 v54, v47, v54
	v_fma_f32 v49, v47, v51, -v49
	v_fmac_f32_e32 v52, v48, v51
	s_delay_alu instid0(VALU_DEP_3) | instskip(NEXT) | instid1(VALU_DEP_2)
	v_fmac_f32_e32 v54, v48, v53
	v_dual_add_f32 v22, v22, v49 :: v_dual_add_f32 v23, v23, v52
	s_waitcnt vmcnt(0)
	v_dual_mul_f32 v59, v48, v56 :: v_dual_add_f32 v46, v46, v50
	v_mul_f32_e32 v56, v47, v56
	v_fma_f32 v50, v47, v53, -v58
	s_delay_alu instid0(VALU_DEP_3) | instskip(NEXT) | instid1(VALU_DEP_1)
	v_fma_f32 v47, v47, v55, -v59
	v_dual_add_f32 v24, v24, v50 :: v_dual_add_f32 v27, v27, v47
	s_delay_alu instid0(VALU_DEP_4) | instskip(NEXT) | instid1(VALU_DEP_1)
	v_dual_add_f32 v25, v25, v54 :: v_dual_fmac_f32 v56, v48, v55
	v_add_f32_e32 v26, v26, v56
	s_cbranch_scc1 .LBB119_42
.LBB119_43:                             ;   in Loop: Header=BB119_9 Depth=1
	s_or_b32 exec_lo, exec_lo, s50
	s_delay_alu instid0(SALU_CYCLE_1)
	s_or_b32 exec_lo, exec_lo, s49
	s_and_saveexec_b32 s49, s0
	s_cbranch_execnz .LBB119_12
	s_branch .LBB119_13
.LBB119_44:                             ;   in Loop: Header=BB119_9 Depth=1
	ds_load_b64 v[20:21], v42
	s_or_b32 exec_lo, exec_lo, s49
	s_and_saveexec_b32 s49, s0
	s_cbranch_execz .LBB119_17
.LBB119_45:                             ;   in Loop: Header=BB119_9 Depth=1
	s_waitcnt lgkmcnt(0)
	ds_bpermute_b32 v17, v39, v20
	ds_bpermute_b32 v45, v39, v21
	s_waitcnt lgkmcnt(1)
	v_add_f32_e32 v17, v20, v17
	s_waitcnt lgkmcnt(0)
	v_add_f32_e32 v20, v21, v45
	ds_bpermute_b32 v21, v40, v17
	ds_bpermute_b32 v45, v40, v20
	s_waitcnt lgkmcnt(1)
	v_add_f32_e32 v17, v17, v21
	s_waitcnt lgkmcnt(0)
	v_add_f32_e32 v21, v20, v45
	ds_bpermute_b32 v20, v41, v17
	s_waitcnt lgkmcnt(0)
	v_add_f32_e32 v20, v17, v20
	ds_bpermute_b32 v45, v41, v21
	s_waitcnt lgkmcnt(0)
	v_add_f32_e32 v21, v21, v45
	s_or_b32 exec_lo, exec_lo, s49
	s_and_saveexec_b32 s49, s0
	s_cbranch_execnz .LBB119_18
	s_branch .LBB119_19
.LBB119_46:                             ;   in Loop: Header=BB119_9 Depth=1
	ds_load_b64 v[22:23], v42
	s_or_b32 exec_lo, exec_lo, s49
	s_and_saveexec_b32 s49, s0
	s_cbranch_execz .LBB119_23
.LBB119_47:                             ;   in Loop: Header=BB119_9 Depth=1
	s_waitcnt lgkmcnt(0)
	ds_bpermute_b32 v17, v39, v22
	ds_bpermute_b32 v45, v39, v23
	s_waitcnt lgkmcnt(1)
	v_add_f32_e32 v17, v22, v17
	s_waitcnt lgkmcnt(0)
	v_add_f32_e32 v22, v23, v45
	ds_bpermute_b32 v23, v40, v17
	s_waitcnt lgkmcnt(0)
	v_add_f32_e32 v17, v17, v23
	ds_bpermute_b32 v45, v40, v22
	;; [unrolled: 3-line block ×4, first 2 shown]
	s_waitcnt lgkmcnt(0)
	v_add_f32_e32 v23, v23, v45
	s_or_b32 exec_lo, exec_lo, s49
	s_and_saveexec_b32 s49, s0
	s_cbranch_execnz .LBB119_24
	s_branch .LBB119_25
.LBB119_48:                             ;   in Loop: Header=BB119_9 Depth=1
	ds_load_b64 v[24:25], v42
	s_or_b32 exec_lo, exec_lo, s49
	s_and_saveexec_b32 s49, s0
	s_cbranch_execz .LBB119_29
.LBB119_49:                             ;   in Loop: Header=BB119_9 Depth=1
	s_waitcnt lgkmcnt(0)
	ds_bpermute_b32 v17, v39, v24
	ds_bpermute_b32 v45, v39, v25
	s_waitcnt lgkmcnt(1)
	v_add_f32_e32 v17, v24, v17
	s_waitcnt lgkmcnt(0)
	v_add_f32_e32 v24, v25, v45
	ds_bpermute_b32 v25, v40, v17
	ds_bpermute_b32 v45, v40, v24
	s_waitcnt lgkmcnt(1)
	v_add_f32_e32 v17, v17, v25
	s_waitcnt lgkmcnt(0)
	v_add_f32_e32 v25, v24, v45
	ds_bpermute_b32 v24, v41, v17
	s_waitcnt lgkmcnt(0)
	v_add_f32_e32 v24, v17, v24
	ds_bpermute_b32 v45, v41, v25
	s_waitcnt lgkmcnt(0)
	v_add_f32_e32 v25, v25, v45
	s_or_b32 exec_lo, exec_lo, s49
	s_and_saveexec_b32 s49, s0
	s_cbranch_execnz .LBB119_30
	s_branch .LBB119_31
.LBB119_50:                             ;   in Loop: Header=BB119_9 Depth=1
	ds_load_b64 v[26:27], v42
	s_or_b32 exec_lo, exec_lo, s49
	s_and_saveexec_b32 s49, s0
	s_cbranch_execz .LBB119_35
.LBB119_51:                             ;   in Loop: Header=BB119_9 Depth=1
	s_waitcnt lgkmcnt(0)
	ds_bpermute_b32 v17, v39, v26
	ds_bpermute_b32 v45, v39, v27
	s_waitcnt lgkmcnt(1)
	v_add_f32_e32 v17, v26, v17
	s_waitcnt lgkmcnt(0)
	v_add_f32_e32 v26, v27, v45
	ds_bpermute_b32 v27, v40, v17
	s_waitcnt lgkmcnt(0)
	v_add_f32_e32 v17, v17, v27
	ds_bpermute_b32 v45, v40, v26
	;; [unrolled: 3-line block ×4, first 2 shown]
	s_waitcnt lgkmcnt(0)
	v_add_f32_e32 v27, v27, v45
	s_or_b32 exec_lo, exec_lo, s49
	s_and_saveexec_b32 s49, s5
	s_cbranch_execz .LBB119_8
.LBB119_52:                             ;   in Loop: Header=BB119_9 Depth=1
	v_mul_f32_e32 v46, s22, v21
	v_mul_f32_e32 v17, s23, v21
	s_mul_hi_u32 s51, s15, s20
	s_mul_i32 s50, s15, s20
	s_delay_alu instid0(VALU_DEP_2)
	v_dual_mul_f32 v21, s22, v23 :: v_dual_fmac_f32 v46, s23, v20
	s_lshl_b64 s[50:51], s[50:51], 3
	v_fma_f32 v45, v20, s22, -v17
	s_add_u32 s50, s45, s50
	s_addc_u32 s51, s46, s51
	v_mul_f32_e32 v17, s23, v23
	v_mul_f32_e32 v23, s22, v25
	global_store_b64 v16, v[45:46], s[50:51]
	s_or_b32 s50, s15, 1
	v_fmac_f32_e32 v21, s23, v22
	s_mul_hi_u32 s51, s50, s20
	s_mul_i32 s50, s50, s20
	v_fma_f32 v20, v22, s22, -v17
	s_lshl_b64 s[50:51], s[50:51], 3
	v_mul_f32_e32 v17, s23, v25
	s_add_u32 s50, s45, s50
	s_addc_u32 s51, s46, s51
	s_or_b32 s52, s15, 2
	s_waitcnt lgkmcnt(0)
	v_mul_f32_e32 v25, s22, v27
	s_mul_hi_u32 s53, s52, s20
	s_mul_i32 s52, s52, s20
	v_fma_f32 v22, v24, s22, -v17
	s_lshl_b64 s[52:53], s[52:53], 3
	v_mul_f32_e32 v17, s23, v27
	s_add_u32 s52, s45, s52
	s_addc_u32 s53, s46, s53
	s_or_b32 s54, s15, 3
	v_fmac_f32_e32 v23, s23, v24
	s_mul_hi_u32 s55, s54, s20
	s_mul_i32 s54, s54, s20
	v_fma_f32 v24, v26, s22, -v17
	v_fmac_f32_e32 v25, s23, v26
	s_lshl_b64 s[54:55], s[54:55], 3
	global_store_b64 v16, v[20:21], s[50:51]
	s_add_u32 s50, s45, s54
	s_addc_u32 s51, s46, s55
	s_clause 0x1
	global_store_b64 v16, v[22:23], s[52:53]
	global_store_b64 v16, v[24:25], s[50:51]
	s_branch .LBB119_8
.LBB119_53:
	s_mov_b32 s15, 0
.LBB119_54:
	s_delay_alu instid0(SALU_CYCLE_1)
	s_cmp_ge_i32 s15, s13
	s_cbranch_scc1 .LBB119_76
; %bb.55:
	v_cmp_gt_u32_e64 s1, 16, v32
	v_mad_i64_i32 v[15:16], null, s26, v30, 0
	v_cmp_ge_i32_e64 s4, s12, v36
	s_cmp_gt_i32 s21, 0
	s_delay_alu instid0(VALU_DEP_3)
	v_cndmask_b32_e64 v6, 0, 1, s1
	v_cmp_gt_u32_e64 s1, 24, v32
	s_mov_b32 s31, 0
	s_mov_b32 s30, s14
	s_cselect_b32 s34, -1, 0
	v_lshlrev_b32_e32 v6, 4, v6
	v_cndmask_b32_e64 v7, 0, 1, s1
	v_cmp_gt_u32_e64 s1, 28, v32
	s_lshl_b64 s[30:31], s[30:31], 3
	v_cmp_ge_i32_e32 vcc_lo, s12, v35
	v_add_lshl_u32 v19, v6, v32, 2
	v_lshlrev_b32_e32 v7, 3, v7
	v_cndmask_b32_e64 v8, 0, 1, s1
	v_cmp_gt_u32_e64 s1, 30, v32
	s_add_u32 s12, s41, s30
	s_addc_u32 s14, s42, s31
	v_add_lshl_u32 v20, v7, v32, 2
	v_lshlrev_b32_e32 v8, 2, v8
	v_cndmask_b32_e64 v9, 0, 1, s1
	v_cmp_ne_u32_e64 s1, 31, v32
	v_mad_i64_i32 v[6:7], null, s26, v5, 0
	s_delay_alu instid0(VALU_DEP_4) | instskip(NEXT) | instid1(VALU_DEP_4)
	v_add_lshl_u32 v21, v8, v32, 2
	v_lshlrev_b32_e32 v9, 1, v9
	s_delay_alu instid0(VALU_DEP_4) | instskip(SKIP_2) | instid1(VALU_DEP_4)
	v_add_co_ci_u32_e64 v10, s1, 0, v32, s1
	v_cmp_gt_u32_e64 s0, 32, v0
	v_lshlrev_b32_e32 v18, 3, v29
	v_add_lshl_u32 v22, v9, v32, 2
	v_mad_i64_i32 v[8:9], null, s26, v33, 0
	v_lshlrev_b32_e32 v23, 2, v10
	v_mad_i64_i32 v[10:11], null, s26, v31, 0
	v_lshlrev_b64 v[13:14], 3, v[6:7]
	v_cmp_eq_u32_e64 s1, 0, v29
	v_and_b32_e32 v24, 56, v34
	v_lshlrev_b64 v[7:8], 3, v[8:9]
	v_cmp_gt_u32_e64 s2, 8, v0
	v_cmp_eq_u32_e64 s3, 0, v0
	v_add_co_u32 v5, s5, s33, v13
	v_lshlrev_b64 v[9:10], 3, v[10:11]
	v_add_co_ci_u32_e64 v6, s5, s40, v14, s5
	v_add_co_u32 v7, s5, s33, v7
	v_lshlrev_b64 v[11:12], 3, v[15:16]
	v_mov_b32_e32 v15, 0
	v_add_co_ci_u32_e64 v8, s5, s40, v8, s5
	v_add_co_u32 v9, s5, s33, v9
	s_delay_alu instid0(VALU_DEP_1) | instskip(SKIP_1) | instid1(VALU_DEP_1)
	v_add_co_ci_u32_e64 v10, s5, s40, v10, s5
	v_add_co_u32 v11, s5, s33, v11
	v_add_co_ci_u32_e64 v12, s5, s40, v12, s5
	s_and_b32 s5, s34, s4
	s_add_u32 s4, s6, s28
	s_addc_u32 s6, s7, s29
	s_add_u32 s4, s4, s16
	s_mul_i32 s7, s25, s15
	s_mul_hi_u32 s16, s24, s15
	s_addc_u32 s17, s6, s17
	s_add_i32 s7, s16, s7
	s_mul_i32 s6, s24, s15
	v_add_co_u32 v13, s4, s4, v13
	s_delay_alu instid0(VALU_DEP_1)
	v_add_co_ci_u32_e64 v14, s4, s17, v14, s4
	s_lshl_b64 s[16:17], s[6:7], 3
	s_lshl_b64 s[6:7], s[26:27], 3
	s_add_u32 s4, s18, s16
	s_addc_u32 s16, s19, s17
	s_add_u32 s4, s4, s10
	s_addc_u32 s10, s16, s11
	;; [unrolled: 2-line block ×3, first 2 shown]
	v_add_co_u32 v3, s4, s4, v3
	s_delay_alu instid0(VALU_DEP_1)
	v_add_co_ci_u32_e64 v4, s4, s8, v4, s4
	s_lshl_b64 s[8:9], s[24:25], 3
	s_branch .LBB119_57
.LBB119_56:                             ;   in Loop: Header=BB119_57 Depth=1
	s_or_b32 exec_lo, exec_lo, s4
	v_add_co_u32 v3, s4, v3, s8
	s_delay_alu instid0(VALU_DEP_1) | instskip(SKIP_1) | instid1(SALU_CYCLE_1)
	v_add_co_ci_u32_e64 v4, s4, s9, v4, s4
	s_add_i32 s15, s15, 1
	s_cmp_lt_i32 s15, s13
	s_cbranch_scc0 .LBB119_76
.LBB119_57:                             ; =>This Loop Header: Depth=1
                                        ;     Child Loop BB119_69 Depth 2
                                        ;     Child Loop BB119_71 Depth 2
                                        ; implicit-def: $vgpr0
                                        ; implicit-def: $vgpr25
	s_and_saveexec_b32 s4, vcc_lo
	s_delay_alu instid0(SALU_CYCLE_1)
	s_xor_b32 s10, exec_lo, s4
	s_cbranch_execnz .LBB119_66
; %bb.58:                               ;   in Loop: Header=BB119_57 Depth=1
	s_and_not1_saveexec_b32 s10, s10
	s_cbranch_execnz .LBB119_67
.LBB119_59:                             ;   in Loop: Header=BB119_57 Depth=1
	s_or_b32 exec_lo, exec_lo, s10
	s_and_saveexec_b32 s4, s0
	s_cbranch_execz .LBB119_61
.LBB119_60:                             ;   in Loop: Header=BB119_57 Depth=1
	s_waitcnt lgkmcnt(0)
	v_mov_b32_e32 v16, v15
	ds_store_b64 v18, v[15:16]
.LBB119_61:                             ;   in Loop: Header=BB119_57 Depth=1
	s_or_b32 exec_lo, exec_lo, s4
	s_waitcnt lgkmcnt(0)
	ds_bpermute_b32 v16, v19, v0
	ds_bpermute_b32 v17, v19, v25
	s_waitcnt lgkmcnt(0)
	s_waitcnt_vscnt null, 0x0
	s_barrier
	buffer_gl0_inv
	v_add_f32_e32 v0, v0, v16
	v_add_f32_e32 v16, v25, v17
	ds_bpermute_b32 v17, v20, v0
	ds_bpermute_b32 v25, v20, v16
	s_waitcnt lgkmcnt(1)
	v_add_f32_e32 v0, v0, v17
	s_waitcnt lgkmcnt(0)
	v_add_f32_e32 v16, v16, v25
	ds_bpermute_b32 v17, v21, v0
	ds_bpermute_b32 v25, v21, v16
	s_waitcnt lgkmcnt(1)
	v_add_f32_e32 v0, v0, v17
	s_waitcnt lgkmcnt(0)
	;; [unrolled: 6-line block ×3, first 2 shown]
	v_add_f32_e32 v16, v16, v25
	ds_bpermute_b32 v17, v23, v0
	ds_bpermute_b32 v25, v23, v16
	s_and_saveexec_b32 s4, s1
	s_cbranch_execz .LBB119_63
; %bb.62:                               ;   in Loop: Header=BB119_57 Depth=1
	s_waitcnt lgkmcnt(0)
	v_add_f32_e32 v26, v16, v25
	v_add_f32_e32 v25, v0, v17
	ds_store_b64 v24, v[25:26]
.LBB119_63:                             ;   in Loop: Header=BB119_57 Depth=1
	s_or_b32 exec_lo, exec_lo, s4
	s_waitcnt lgkmcnt(1)
	v_dual_mov_b32 v17, 0 :: v_dual_mov_b32 v16, 0
	s_waitcnt lgkmcnt(0)
	s_barrier
	buffer_gl0_inv
	s_and_saveexec_b32 s4, s2
	s_cbranch_execnz .LBB119_73
; %bb.64:                               ;   in Loop: Header=BB119_57 Depth=1
	s_or_b32 exec_lo, exec_lo, s4
	s_and_saveexec_b32 s4, s0
	s_cbranch_execnz .LBB119_74
.LBB119_65:                             ;   in Loop: Header=BB119_57 Depth=1
	s_or_b32 exec_lo, exec_lo, s4
	s_and_saveexec_b32 s4, s3
	s_cbranch_execz .LBB119_56
	s_branch .LBB119_75
.LBB119_66:                             ;   in Loop: Header=BB119_57 Depth=1
	s_mul_i32 s4, s15, s25
	s_mul_hi_u32 s11, s15, s24
	s_mul_i32 s16, s15, s24
	s_add_i32 s17, s11, s4
	s_delay_alu instid0(SALU_CYCLE_1) | instskip(SKIP_2) | instid1(VALU_DEP_1)
	s_lshl_b64 s[16:17], s[16:17], 3
	s_waitcnt lgkmcnt(0)
	v_add_co_u32 v16, s4, v1, s16
	v_add_co_ci_u32_e64 v17, s4, s17, v2, s4
	global_load_b128 v[29:32], v[16:17], off
	s_clause 0x1
	global_load_b64 v[33:34], v[5:6], off
	global_load_b64 v[35:36], v[7:8], off
	global_load_b128 v[37:40], v[16:17], off offset:16
	s_clause 0x1
	global_load_b64 v[41:42], v[9:10], off
	global_load_b64 v[43:44], v[11:12], off
	s_waitcnt vmcnt(3)
	scratch_store_b128 off, v[33:36], off
	s_waitcnt vmcnt(0)
	scratch_store_b128 off, v[41:44], off offset:16
	v_dual_mul_f32 v0, v34, v30 :: v_dual_mul_f32 v17, v36, v32
	v_dual_mul_f32 v16, v33, v30 :: v_dual_mul_f32 v25, v35, v32
	s_waitcnt lgkmcnt(0)
	v_mul_f32_e32 v27, v41, v38
	s_delay_alu instid0(VALU_DEP_3) | instskip(SKIP_3) | instid1(VALU_DEP_4)
	v_fma_f32 v0, v33, v29, -v0
	v_mul_f32_e32 v26, v42, v38
	v_dual_fmac_f32 v16, v34, v29 :: v_dual_mul_f32 v29, v44, v40
	v_fma_f32 v17, v35, v31, -v17
	v_dual_fmac_f32 v25, v36, v31 :: v_dual_add_f32 v0, 0, v0
	s_delay_alu instid0(VALU_DEP_3) | instskip(SKIP_2) | instid1(VALU_DEP_4)
	v_dual_add_f32 v16, 0, v16 :: v_dual_fmac_f32 v27, v42, v37
	v_mul_f32_e32 v30, v43, v40
	v_fma_f32 v26, v41, v37, -v26
	v_add_f32_e32 v0, v0, v17
	s_delay_alu instid0(VALU_DEP_4) | instskip(SKIP_2) | instid1(VALU_DEP_4)
	v_add_f32_e32 v16, v16, v25
	v_fma_f32 v17, v43, v39, -v29
	v_fmac_f32_e32 v30, v44, v39
	v_add_f32_e32 v0, v0, v26
	s_delay_alu instid0(VALU_DEP_4) | instskip(NEXT) | instid1(VALU_DEP_2)
	v_add_f32_e32 v16, v16, v27
	v_add_f32_e32 v0, v0, v17
	s_delay_alu instid0(VALU_DEP_2)
	v_add_f32_e32 v25, v16, v30
	s_and_not1_saveexec_b32 s10, s10
	s_cbranch_execz .LBB119_59
.LBB119_67:                             ;   in Loop: Header=BB119_57 Depth=1
	v_dual_mov_b32 v0, 0 :: v_dual_mov_b32 v25, 0
	s_and_saveexec_b32 s11, s5
	s_cbranch_execz .LBB119_72
; %bb.68:                               ;   in Loop: Header=BB119_57 Depth=1
	s_waitcnt lgkmcnt(0)
	v_dual_mov_b32 v0, 0 :: v_dual_mov_b32 v17, v14
	v_mov_b32_e32 v16, v13
	s_mov_b32 s16, s21
.LBB119_69:                             ;   Parent Loop BB119_57 Depth=1
                                        ; =>  This Inner Loop Header: Depth=2
	s_waitcnt lgkmcnt(0)
	global_load_b64 v[25:26], v[16:17], off
	v_add_co_u32 v16, s4, v16, s6
	s_delay_alu instid0(VALU_DEP_1) | instskip(SKIP_1) | instid1(SALU_CYCLE_1)
	v_add_co_ci_u32_e64 v17, s4, s7, v17, s4
	s_add_i32 s16, s16, -1
	s_cmp_eq_u32 s16, 0
	s_waitcnt vmcnt(0)
	scratch_store_b64 v0, v[25:26], off
	v_add_nc_u32_e32 v0, 8, v0
	s_cbranch_scc0 .LBB119_69
; %bb.70:                               ;   in Loop: Header=BB119_57 Depth=1
	v_dual_mov_b32 v0, 0 :: v_dual_mov_b32 v17, v4
	v_dual_mov_b32 v16, v3 :: v_dual_mov_b32 v25, 0
	v_mov_b32_e32 v26, v28
	s_mov_b32 s16, s21
	.p2align	6
.LBB119_71:                             ;   Parent Loop BB119_57 Depth=1
                                        ; =>  This Inner Loop Header: Depth=2
	global_load_b64 v[29:30], v[16:17], off
	scratch_load_b64 v[31:32], v26, off offset:-4
	v_add_co_u32 v16, s4, v16, 8
	v_add_nc_u32_e32 v26, 8, v26
	v_add_co_ci_u32_e64 v17, s4, 0, v17, s4
	s_add_i32 s16, s16, -1
	s_delay_alu instid0(SALU_CYCLE_1) | instskip(SKIP_3) | instid1(VALU_DEP_2)
	s_cmp_lg_u32 s16, 0
	s_waitcnt vmcnt(0)
	v_mul_f32_e32 v27, v32, v30
	v_mul_f32_e32 v30, v31, v30
	v_fma_f32 v27, v31, v29, -v27
	s_delay_alu instid0(VALU_DEP_2) | instskip(NEXT) | instid1(VALU_DEP_1)
	v_fmac_f32_e32 v30, v32, v29
	v_dual_add_f32 v0, v0, v27 :: v_dual_add_f32 v25, v25, v30
	s_cbranch_scc1 .LBB119_71
.LBB119_72:                             ;   in Loop: Header=BB119_57 Depth=1
	s_or_b32 exec_lo, exec_lo, s11
	s_delay_alu instid0(SALU_CYCLE_1)
	s_or_b32 exec_lo, exec_lo, s10
	s_and_saveexec_b32 s4, s0
	s_cbranch_execnz .LBB119_60
	s_branch .LBB119_61
.LBB119_73:                             ;   in Loop: Header=BB119_57 Depth=1
	ds_load_b64 v[16:17], v18
	s_or_b32 exec_lo, exec_lo, s4
	s_and_saveexec_b32 s4, s0
	s_cbranch_execz .LBB119_65
.LBB119_74:                             ;   in Loop: Header=BB119_57 Depth=1
	s_waitcnt lgkmcnt(0)
	ds_bpermute_b32 v0, v21, v16
	ds_bpermute_b32 v25, v21, v17
	s_waitcnt lgkmcnt(1)
	v_add_f32_e32 v0, v16, v0
	s_waitcnt lgkmcnt(0)
	v_add_f32_e32 v16, v17, v25
	ds_bpermute_b32 v17, v22, v0
	ds_bpermute_b32 v25, v22, v16
	s_waitcnt lgkmcnt(1)
	v_add_f32_e32 v0, v0, v17
	s_waitcnt lgkmcnt(0)
	v_add_f32_e32 v17, v16, v25
	ds_bpermute_b32 v16, v23, v0
	ds_bpermute_b32 v25, v23, v17
	s_waitcnt lgkmcnt(0)
	v_dual_add_f32 v16, v0, v16 :: v_dual_add_f32 v17, v17, v25
	s_or_b32 exec_lo, exec_lo, s4
	s_and_saveexec_b32 s4, s3
	s_cbranch_execz .LBB119_56
.LBB119_75:                             ;   in Loop: Header=BB119_57 Depth=1
	s_waitcnt lgkmcnt(0)
	v_mul_f32_e32 v0, s23, v17
	v_mul_f32_e32 v26, s22, v17
	s_mul_hi_u32 s11, s15, s20
	s_mul_i32 s10, s15, s20
	s_delay_alu instid0(SALU_CYCLE_1)
	s_lshl_b64 s[10:11], s[10:11], 3
	v_fma_f32 v25, v16, s22, -v0
	v_fmac_f32_e32 v26, s23, v16
	s_add_u32 s10, s12, s10
	s_addc_u32 s11, s14, s11
	global_store_b64 v15, v[25:26], s[10:11]
	s_branch .LBB119_56
.LBB119_76:
	s_nop 0
	s_sendmsg sendmsg(MSG_DEALLOC_VGPRS)
	s_endpgm
	.section	.rodata,"a",@progbits
	.p2align	6, 0x0
	.amdhsa_kernel _ZL23rocblas_gemvt_sn_kernelILb0ELi256ELi4El19rocblas_complex_numIfEPKS1_S1_EviiT4_lPKT3_lilS7_lilPT5_i
		.amdhsa_group_segment_fixed_size 256
		.amdhsa_private_segment_fixed_size 48
		.amdhsa_kernarg_size 360
		.amdhsa_user_sgpr_count 14
		.amdhsa_user_sgpr_dispatch_ptr 0
		.amdhsa_user_sgpr_queue_ptr 0
		.amdhsa_user_sgpr_kernarg_segment_ptr 1
		.amdhsa_user_sgpr_dispatch_id 0
		.amdhsa_user_sgpr_private_segment_size 0
		.amdhsa_wavefront_size32 1
		.amdhsa_uses_dynamic_stack 0
		.amdhsa_enable_private_segment 1
		.amdhsa_system_sgpr_workgroup_id_x 1
		.amdhsa_system_sgpr_workgroup_id_y 0
		.amdhsa_system_sgpr_workgroup_id_z 1
		.amdhsa_system_sgpr_workgroup_info 0
		.amdhsa_system_vgpr_workitem_id 0
		.amdhsa_next_free_vgpr 92
		.amdhsa_next_free_sgpr 56
		.amdhsa_reserve_vcc 1
		.amdhsa_float_round_mode_32 0
		.amdhsa_float_round_mode_16_64 0
		.amdhsa_float_denorm_mode_32 3
		.amdhsa_float_denorm_mode_16_64 3
		.amdhsa_dx10_clamp 1
		.amdhsa_ieee_mode 1
		.amdhsa_fp16_overflow 0
		.amdhsa_workgroup_processor_mode 1
		.amdhsa_memory_ordered 1
		.amdhsa_forward_progress 0
		.amdhsa_shared_vgpr_count 0
		.amdhsa_exception_fp_ieee_invalid_op 0
		.amdhsa_exception_fp_denorm_src 0
		.amdhsa_exception_fp_ieee_div_zero 0
		.amdhsa_exception_fp_ieee_overflow 0
		.amdhsa_exception_fp_ieee_underflow 0
		.amdhsa_exception_fp_ieee_inexact 0
		.amdhsa_exception_int_div_zero 0
	.end_amdhsa_kernel
	.section	.text._ZL23rocblas_gemvt_sn_kernelILb0ELi256ELi4El19rocblas_complex_numIfEPKS1_S1_EviiT4_lPKT3_lilS7_lilPT5_i,"axG",@progbits,_ZL23rocblas_gemvt_sn_kernelILb0ELi256ELi4El19rocblas_complex_numIfEPKS1_S1_EviiT4_lPKT3_lilS7_lilPT5_i,comdat
.Lfunc_end119:
	.size	_ZL23rocblas_gemvt_sn_kernelILb0ELi256ELi4El19rocblas_complex_numIfEPKS1_S1_EviiT4_lPKT3_lilS7_lilPT5_i, .Lfunc_end119-_ZL23rocblas_gemvt_sn_kernelILb0ELi256ELi4El19rocblas_complex_numIfEPKS1_S1_EviiT4_lPKT3_lilS7_lilPT5_i
                                        ; -- End function
	.section	.AMDGPU.csdata,"",@progbits
; Kernel info:
; codeLenInByte = 5616
; NumSgprs: 58
; NumVgprs: 92
; ScratchSize: 48
; MemoryBound: 0
; FloatMode: 240
; IeeeMode: 1
; LDSByteSize: 256 bytes/workgroup (compile time only)
; SGPRBlocks: 7
; VGPRBlocks: 11
; NumSGPRsForWavesPerEU: 58
; NumVGPRsForWavesPerEU: 92
; Occupancy: 16
; WaveLimiterHint : 1
; COMPUTE_PGM_RSRC2:SCRATCH_EN: 1
; COMPUTE_PGM_RSRC2:USER_SGPR: 14
; COMPUTE_PGM_RSRC2:TRAP_HANDLER: 0
; COMPUTE_PGM_RSRC2:TGID_X_EN: 1
; COMPUTE_PGM_RSRC2:TGID_Y_EN: 0
; COMPUTE_PGM_RSRC2:TGID_Z_EN: 1
; COMPUTE_PGM_RSRC2:TIDIG_COMP_CNT: 0
	.section	.text._ZL23rocblas_gemvt_sn_reduceILi256ELi8E19rocblas_complex_numIfEPKS1_S1_EviT2_lPT3_lilPT1_i,"axG",@progbits,_ZL23rocblas_gemvt_sn_reduceILi256ELi8E19rocblas_complex_numIfEPKS1_S1_EviT2_lPT3_lilPT1_i,comdat
	.globl	_ZL23rocblas_gemvt_sn_reduceILi256ELi8E19rocblas_complex_numIfEPKS1_S1_EviT2_lPT3_lilPT1_i ; -- Begin function _ZL23rocblas_gemvt_sn_reduceILi256ELi8E19rocblas_complex_numIfEPKS1_S1_EviT2_lPT3_lilPT1_i
	.p2align	8
	.type	_ZL23rocblas_gemvt_sn_reduceILi256ELi8E19rocblas_complex_numIfEPKS1_S1_EviT2_lPT3_lilPT1_i,@function
_ZL23rocblas_gemvt_sn_reduceILi256ELi8E19rocblas_complex_numIfEPKS1_S1_EviT2_lPT3_lilPT1_i: ; @_ZL23rocblas_gemvt_sn_reduceILi256ELi8E19rocblas_complex_numIfEPKS1_S1_EviT2_lPT3_lilPT1_i
; %bb.0:
	s_clause 0x2
	s_load_b256 s[4:11], s[0:1], 0x8
	s_load_b32 s16, s[0:1], 0x0
	s_load_b32 s12, s[0:1], 0x4c
	v_dual_mov_b32 v4, 0 :: v_dual_lshlrev_b32 v5, 3, v0
	v_mov_b32_e32 v3, 0
	s_mov_b32 s19, 0
	s_waitcnt lgkmcnt(0)
	s_mul_i32 s2, s15, s7
	s_mul_hi_u32 s3, s15, s6
	s_ashr_i32 s13, s16, 31
	s_add_i32 s3, s3, s2
	s_mul_i32 s2, s15, s6
	s_mul_i32 s12, s12, s15
	s_lshl_b64 s[2:3], s[2:3], 3
	s_delay_alu instid0(SALU_CYCLE_1)
	s_add_u32 s2, s4, s2
	s_addc_u32 s3, s5, s3
	s_load_b64 s[6:7], s[0:1], 0x38
	s_load_b64 s[4:5], s[2:3], 0x0
	s_add_u32 s2, s0, 0x48
	s_addc_u32 s3, s1, 0
	s_add_i32 s12, s12, s14
	s_lshr_b32 s17, s13, 29
	s_mul_i32 s13, s12, s13
	s_add_i32 s17, s16, s17
	s_mul_hi_u32 s18, s12, s16
	s_and_b32 s17, s17, -8
	s_add_i32 s13, s18, s13
	s_mul_i32 s12, s12, s16
	s_mov_b32 s18, exec_lo
	v_cmpx_gt_i32_e64 s17, v5
	s_cbranch_execz .LBB120_4
; %bb.1:
	s_load_b32 s2, s[2:3], 0xc
	v_dual_mov_b32 v4, 0 :: v_dual_lshlrev_b32 v1, 6, v0
	s_lshl_b64 s[20:21], s[12:13], 3
	v_mov_b32_e32 v3, 0
	s_waitcnt lgkmcnt(0)
	s_and_b32 s2, s2, 0xffff
	s_delay_alu instid0(SALU_CYCLE_1) | instskip(SKIP_3) | instid1(VALU_DEP_1)
	s_lshl_b32 s3, s2, 3
	s_add_u32 s20, s6, s20
	s_addc_u32 s21, s7, s21
	v_add_co_u32 v1, s20, s20, v1
	v_add_co_ci_u32_e64 v2, null, s21, 0, s20
	s_lshl_b32 s20, s2, 6
	s_delay_alu instid0(VALU_DEP_2) | instskip(NEXT) | instid1(VALU_DEP_2)
	v_add_co_u32 v1, vcc_lo, v1, 60
	v_add_co_ci_u32_e32 v2, vcc_lo, 0, v2, vcc_lo
	s_set_inst_prefetch_distance 0x1
	.p2align	6
.LBB120_2:                              ; =>This Inner Loop Header: Depth=1
	s_clause 0x3
	global_load_b128 v[6:9], v[1:2], off offset:-60
	global_load_b128 v[10:13], v[1:2], off offset:-44
	;; [unrolled: 1-line block ×4, first 2 shown]
	v_add_co_u32 v1, vcc_lo, v1, s20
	v_add_co_ci_u32_e32 v2, vcc_lo, 0, v2, vcc_lo
	s_waitcnt vmcnt(3)
	v_dual_add_f32 v4, v4, v6 :: v_dual_add_f32 v3, v3, v7
	s_delay_alu instid0(VALU_DEP_1) | instskip(SKIP_1) | instid1(VALU_DEP_1)
	v_dual_add_f32 v4, v4, v8 :: v_dual_add_f32 v3, v3, v9
	s_waitcnt vmcnt(2)
	v_dual_add_f32 v4, v4, v10 :: v_dual_add_f32 v3, v3, v11
	s_delay_alu instid0(VALU_DEP_1) | instskip(SKIP_1) | instid1(VALU_DEP_1)
	v_dual_add_f32 v4, v4, v12 :: v_dual_add_f32 v3, v3, v13
	s_waitcnt vmcnt(1)
	v_dual_add_f32 v4, v4, v14 :: v_dual_add_f32 v3, v3, v15
	s_delay_alu instid0(VALU_DEP_1) | instskip(SKIP_1) | instid1(VALU_DEP_1)
	v_dual_add_f32 v4, v4, v16 :: v_dual_add_f32 v3, v3, v17
	s_waitcnt vmcnt(0)
	v_dual_add_f32 v4, v4, v18 :: v_dual_add_nc_u32 v5, s3, v5
	s_delay_alu instid0(VALU_DEP_2) | instskip(NEXT) | instid1(VALU_DEP_2)
	v_add_f32_e32 v3, v3, v19
	v_cmp_le_i32_e64 s2, s17, v5
	s_delay_alu instid0(VALU_DEP_2) | instskip(NEXT) | instid1(VALU_DEP_2)
	v_dual_add_f32 v4, v4, v20 :: v_dual_add_f32 v3, v3, v21
	s_or_b32 s19, s2, s19
	s_delay_alu instid0(SALU_CYCLE_1)
	s_and_not1_b32 exec_lo, exec_lo, s19
	s_cbranch_execnz .LBB120_2
; %bb.3:
	s_set_inst_prefetch_distance 0x2
	s_or_b32 exec_lo, exec_lo, s19
.LBB120_4:
	s_delay_alu instid0(SALU_CYCLE_1) | instskip(SKIP_1) | instid1(SALU_CYCLE_1)
	s_or_b32 exec_lo, exec_lo, s18
	s_sub_i32 s2, s16, s17
	v_cmp_gt_u32_e32 vcc_lo, s2, v0
	s_and_saveexec_b32 s2, vcc_lo
	s_cbranch_execz .LBB120_6
; %bb.5:
	v_xad_u32 v1, v0, -1, s16
	v_mov_b32_e32 v2, 0
	s_lshl_b64 s[12:13], s[12:13], 3
	s_waitcnt lgkmcnt(0)
	s_add_u32 s3, s6, s12
	s_addc_u32 s6, s7, s13
	v_lshlrev_b64 v[1:2], 3, v[1:2]
	s_delay_alu instid0(VALU_DEP_1) | instskip(NEXT) | instid1(VALU_DEP_2)
	v_add_co_u32 v1, vcc_lo, s3, v1
	v_add_co_ci_u32_e32 v2, vcc_lo, s6, v2, vcc_lo
	global_load_b64 v[1:2], v[1:2], off
	s_waitcnt vmcnt(0)
	v_dual_add_f32 v4, v4, v1 :: v_dual_add_f32 v3, v3, v2
.LBB120_6:
	s_or_b32 exec_lo, exec_lo, s2
	v_and_b32_e32 v1, 31, v0
	v_cmp_gt_u32_e32 vcc_lo, 32, v0
	s_delay_alu instid0(VALU_DEP_2)
	v_lshlrev_b32_e32 v5, 3, v1
	s_and_saveexec_b32 s2, vcc_lo
	s_cbranch_execz .LBB120_8
; %bb.7:
	v_mov_b32_e32 v6, 0
	s_delay_alu instid0(VALU_DEP_1)
	v_mov_b32_e32 v7, v6
	ds_store_b64 v5, v[6:7]
.LBB120_8:
	s_or_b32 exec_lo, exec_lo, s2
	v_mbcnt_lo_u32_b32 v2, -1, 0
	s_mov_b32 s3, exec_lo
	s_waitcnt lgkmcnt(0)
	s_barrier
	buffer_gl0_inv
	v_cmp_gt_u32_e64 s2, 16, v2
	s_delay_alu instid0(VALU_DEP_1) | instskip(SKIP_1) | instid1(VALU_DEP_2)
	v_cndmask_b32_e64 v6, 0, 1, s2
	v_cmp_gt_u32_e64 s2, 24, v2
	v_lshlrev_b32_e32 v6, 4, v6
	s_delay_alu instid0(VALU_DEP_2) | instskip(SKIP_1) | instid1(VALU_DEP_3)
	v_cndmask_b32_e64 v8, 0, 1, s2
	v_cmp_gt_u32_e64 s2, 28, v2
	v_add_lshl_u32 v6, v6, v2, 2
	s_delay_alu instid0(VALU_DEP_3)
	v_lshlrev_b32_e32 v8, 3, v8
	ds_bpermute_b32 v7, v6, v4
	ds_bpermute_b32 v6, v6, v3
	v_add_lshl_u32 v8, v8, v2, 2
	s_waitcnt lgkmcnt(1)
	v_add_f32_e32 v4, v4, v7
	s_waitcnt lgkmcnt(0)
	v_add_f32_e32 v6, v3, v6
	v_cndmask_b32_e64 v3, 0, 1, s2
	v_cmp_gt_u32_e64 s2, 30, v2
	ds_bpermute_b32 v7, v8, v4
	v_lshlrev_b32_e32 v3, 2, v3
	ds_bpermute_b32 v8, v8, v6
	v_add_lshl_u32 v3, v3, v2, 2
	s_waitcnt lgkmcnt(1)
	v_add_f32_e32 v7, v4, v7
	v_cndmask_b32_e64 v4, 0, 1, s2
	v_cmp_ne_u32_e64 s2, 31, v2
	s_waitcnt lgkmcnt(0)
	v_add_f32_e32 v6, v6, v8
	ds_bpermute_b32 v8, v3, v7
	v_lshlrev_b32_e32 v4, 1, v4
	ds_bpermute_b32 v9, v3, v6
	v_add_lshl_u32 v4, v4, v2, 2
	v_add_co_ci_u32_e64 v2, s2, 0, v2, s2
	s_waitcnt lgkmcnt(0)
	v_dual_add_f32 v7, v7, v8 :: v_dual_add_f32 v8, v6, v9
	s_delay_alu instid0(VALU_DEP_2)
	v_lshlrev_b32_e32 v6, 2, v2
	ds_bpermute_b32 v9, v4, v7
	ds_bpermute_b32 v10, v4, v8
	s_waitcnt lgkmcnt(1)
	v_add_f32_e32 v2, v7, v9
	s_waitcnt lgkmcnt(0)
	v_add_f32_e32 v8, v8, v10
	ds_bpermute_b32 v7, v6, v2
	ds_bpermute_b32 v9, v6, v8
	v_cmpx_eq_u32_e32 0, v1
	s_cbranch_execz .LBB120_10
; %bb.9:
	v_lshrrev_b32_e32 v1, 2, v0
	s_waitcnt lgkmcnt(0)
	v_dual_add_f32 v8, v8, v9 :: v_dual_add_f32 v7, v2, v7
	s_delay_alu instid0(VALU_DEP_2)
	v_and_b32_e32 v1, 56, v1
	ds_store_b64 v1, v[7:8]
.LBB120_10:
	s_or_b32 exec_lo, exec_lo, s3
	v_dual_mov_b32 v2, 0 :: v_dual_mov_b32 v1, 0
	s_mov_b32 s3, exec_lo
	s_waitcnt lgkmcnt(0)
	s_barrier
	buffer_gl0_inv
	v_cmpx_gt_u32_e32 8, v0
	s_cbranch_execz .LBB120_12
; %bb.11:
	ds_load_b64 v[1:2], v5
.LBB120_12:
	s_or_b32 exec_lo, exec_lo, s3
	s_and_saveexec_b32 s2, vcc_lo
	s_cbranch_execz .LBB120_14
; %bb.13:
	s_waitcnt lgkmcnt(0)
	ds_bpermute_b32 v5, v3, v1
	ds_bpermute_b32 v3, v3, v2
	s_waitcnt lgkmcnt(0)
	v_dual_add_f32 v1, v1, v5 :: v_dual_add_f32 v2, v2, v3
	ds_bpermute_b32 v3, v4, v1
	ds_bpermute_b32 v4, v4, v2
	s_waitcnt lgkmcnt(0)
	v_dual_add_f32 v1, v1, v3 :: v_dual_add_f32 v2, v2, v4
	;; [unrolled: 4-line block ×3, first 2 shown]
.LBB120_14:
	s_or_b32 exec_lo, exec_lo, s2
	s_delay_alu instid0(SALU_CYCLE_1)
	s_mov_b32 s2, exec_lo
	v_cmpx_eq_u32_e32 0, v0
	s_cbranch_execz .LBB120_18
; %bb.15:
	s_clause 0x1
	s_load_b64 s[2:3], s[0:1], 0x30
	s_load_b32 s6, s[0:1], 0x28
	v_cmp_neq_f32_e64 s7, s4, 0
	v_cmp_neq_f32_e64 s12, s5, 0
	s_waitcnt lgkmcnt(0)
	s_mul_i32 s1, s15, s3
	s_mul_hi_u32 s3, s15, s2
	s_mul_i32 s0, s15, s2
	s_add_i32 s1, s3, s1
	s_ashr_i32 s13, s6, 31
	s_lshl_b64 s[0:1], s[0:1], 3
	s_mul_i32 s13, s13, s14
	s_add_u32 s2, s8, s0
	s_addc_u32 s3, s9, s1
	s_lshl_b64 s[0:1], s[10:11], 3
	s_delay_alu instid0(SALU_CYCLE_1)
	s_add_u32 s2, s2, s0
	s_addc_u32 s3, s3, s1
	s_or_b32 s0, s7, s12
	s_mul_hi_u32 s1, s6, s14
	s_and_not1_b32 vcc_lo, exec_lo, s0
	s_add_i32 s1, s1, s13
	s_mul_i32 s0, s6, s14
	s_cbranch_vccnz .LBB120_17
; %bb.16:
	s_lshl_b64 s[6:7], s[0:1], 3
	s_delay_alu instid0(SALU_CYCLE_1)
	s_add_u32 s6, s2, s6
	s_addc_u32 s7, s3, s7
	s_load_b64 s[6:7], s[6:7], 0x0
	s_waitcnt lgkmcnt(0)
	v_mul_f32_e64 v0, s5, s7
	v_mul_f32_e64 v3, s4, s7
	s_delay_alu instid0(VALU_DEP_2) | instskip(NEXT) | instid1(VALU_DEP_2)
	v_fma_f32 v0, s4, s6, -v0
	v_fmac_f32_e64 v3, s5, s6
	s_delay_alu instid0(VALU_DEP_1)
	v_dual_add_f32 v1, v0, v1 :: v_dual_add_f32 v2, v3, v2
.LBB120_17:
	s_lshl_b64 s[0:1], s[0:1], 3
	v_mov_b32_e32 v0, 0
	s_add_u32 s0, s2, s0
	s_addc_u32 s1, s3, s1
	global_store_b64 v0, v[1:2], s[0:1]
.LBB120_18:
	s_nop 0
	s_sendmsg sendmsg(MSG_DEALLOC_VGPRS)
	s_endpgm
	.section	.rodata,"a",@progbits
	.p2align	6, 0x0
	.amdhsa_kernel _ZL23rocblas_gemvt_sn_reduceILi256ELi8E19rocblas_complex_numIfEPKS1_S1_EviT2_lPT3_lilPT1_i
		.amdhsa_group_segment_fixed_size 256
		.amdhsa_private_segment_fixed_size 0
		.amdhsa_kernarg_size 328
		.amdhsa_user_sgpr_count 13
		.amdhsa_user_sgpr_dispatch_ptr 0
		.amdhsa_user_sgpr_queue_ptr 0
		.amdhsa_user_sgpr_kernarg_segment_ptr 1
		.amdhsa_user_sgpr_dispatch_id 0
		.amdhsa_user_sgpr_private_segment_size 0
		.amdhsa_wavefront_size32 1
		.amdhsa_uses_dynamic_stack 0
		.amdhsa_enable_private_segment 0
		.amdhsa_system_sgpr_workgroup_id_x 1
		.amdhsa_system_sgpr_workgroup_id_y 1
		.amdhsa_system_sgpr_workgroup_id_z 1
		.amdhsa_system_sgpr_workgroup_info 0
		.amdhsa_system_vgpr_workitem_id 0
		.amdhsa_next_free_vgpr 22
		.amdhsa_next_free_sgpr 22
		.amdhsa_reserve_vcc 1
		.amdhsa_float_round_mode_32 0
		.amdhsa_float_round_mode_16_64 0
		.amdhsa_float_denorm_mode_32 3
		.amdhsa_float_denorm_mode_16_64 3
		.amdhsa_dx10_clamp 1
		.amdhsa_ieee_mode 1
		.amdhsa_fp16_overflow 0
		.amdhsa_workgroup_processor_mode 1
		.amdhsa_memory_ordered 1
		.amdhsa_forward_progress 0
		.amdhsa_shared_vgpr_count 0
		.amdhsa_exception_fp_ieee_invalid_op 0
		.amdhsa_exception_fp_denorm_src 0
		.amdhsa_exception_fp_ieee_div_zero 0
		.amdhsa_exception_fp_ieee_overflow 0
		.amdhsa_exception_fp_ieee_underflow 0
		.amdhsa_exception_fp_ieee_inexact 0
		.amdhsa_exception_int_div_zero 0
	.end_amdhsa_kernel
	.section	.text._ZL23rocblas_gemvt_sn_reduceILi256ELi8E19rocblas_complex_numIfEPKS1_S1_EviT2_lPT3_lilPT1_i,"axG",@progbits,_ZL23rocblas_gemvt_sn_reduceILi256ELi8E19rocblas_complex_numIfEPKS1_S1_EviT2_lPT3_lilPT1_i,comdat
.Lfunc_end120:
	.size	_ZL23rocblas_gemvt_sn_reduceILi256ELi8E19rocblas_complex_numIfEPKS1_S1_EviT2_lPT3_lilPT1_i, .Lfunc_end120-_ZL23rocblas_gemvt_sn_reduceILi256ELi8E19rocblas_complex_numIfEPKS1_S1_EviT2_lPT3_lilPT1_i
                                        ; -- End function
	.section	.AMDGPU.csdata,"",@progbits
; Kernel info:
; codeLenInByte = 1340
; NumSgprs: 24
; NumVgprs: 22
; ScratchSize: 0
; MemoryBound: 0
; FloatMode: 240
; IeeeMode: 1
; LDSByteSize: 256 bytes/workgroup (compile time only)
; SGPRBlocks: 2
; VGPRBlocks: 2
; NumSGPRsForWavesPerEU: 24
; NumVGPRsForWavesPerEU: 22
; Occupancy: 16
; WaveLimiterHint : 0
; COMPUTE_PGM_RSRC2:SCRATCH_EN: 0
; COMPUTE_PGM_RSRC2:USER_SGPR: 13
; COMPUTE_PGM_RSRC2:TRAP_HANDLER: 0
; COMPUTE_PGM_RSRC2:TGID_X_EN: 1
; COMPUTE_PGM_RSRC2:TGID_Y_EN: 1
; COMPUTE_PGM_RSRC2:TGID_Z_EN: 1
; COMPUTE_PGM_RSRC2:TIDIG_COMP_CNT: 0
	.section	.text._ZL23rocblas_gemvt_sn_kernelILb0ELi256ELi4Ei19rocblas_complex_numIfES1_S1_EviiT4_lPKT3_lilS5_lilPT5_i,"axG",@progbits,_ZL23rocblas_gemvt_sn_kernelILb0ELi256ELi4Ei19rocblas_complex_numIfES1_S1_EviiT4_lPKT3_lilS5_lilPT5_i,comdat
	.globl	_ZL23rocblas_gemvt_sn_kernelILb0ELi256ELi4Ei19rocblas_complex_numIfES1_S1_EviiT4_lPKT3_lilS5_lilPT5_i ; -- Begin function _ZL23rocblas_gemvt_sn_kernelILb0ELi256ELi4Ei19rocblas_complex_numIfES1_S1_EviiT4_lPKT3_lilS5_lilPT5_i
	.p2align	8
	.type	_ZL23rocblas_gemvt_sn_kernelILb0ELi256ELi4Ei19rocblas_complex_numIfES1_S1_EviiT4_lPKT3_lilS5_lilPT5_i,@function
_ZL23rocblas_gemvt_sn_kernelILb0ELi256ELi4Ei19rocblas_complex_numIfES1_S1_EviiT4_lPKT3_lilS5_lilPT5_i: ; @_ZL23rocblas_gemvt_sn_kernelILb0ELi256ELi4Ei19rocblas_complex_numIfES1_S1_EviiT4_lPKT3_lilS5_lilPT5_i
; %bb.0:
	s_clause 0x2
	s_load_b128 s[8:11], s[0:1], 0x0
	s_load_b32 s12, s[0:1], 0x68
	s_load_b128 s[4:7], s[0:1], 0x50
	v_cmp_eq_u32_e32 vcc_lo, 0, v0
	s_mov_b32 s13, 0
	s_waitcnt lgkmcnt(0)
	s_ashr_i32 s20, s9, 31
	s_mul_hi_u32 s2, s9, s15
	s_mul_i32 s3, s20, s15
	s_mul_i32 s16, s9, s15
	s_add_i32 s2, s2, s3
	s_or_b32 s17, s10, s11
	s_mul_hi_u32 s3, s16, s12
	s_mul_i32 s2, s2, s12
	s_bitset0_b32 s17, 31
	s_add_i32 s3, s3, s2
	s_mul_i32 s2, s16, s12
	s_cmp_lg_u32 s17, 0
	s_mov_b32 s16, -1
	s_cbranch_scc1 .LBB121_5
; %bb.1:
	s_cmp_gt_i32 s9, 0
	s_cselect_b32 s16, -1, 0
	s_delay_alu instid0(SALU_CYCLE_1) | instskip(NEXT) | instid1(SALU_CYCLE_1)
	s_and_b32 s16, vcc_lo, s16
	s_and_saveexec_b32 s21, s16
	s_cbranch_execz .LBB121_4
; %bb.2:
	s_mov_b32 s16, s15
	s_mov_b32 s15, 0
	v_mov_b32_e32 v1, 0
	s_lshl_b64 s[18:19], s[2:3], 3
	s_lshl_b64 s[22:23], s[14:15], 3
	s_mov_b32 s15, s16
	s_add_u32 s16, s18, s22
	s_addc_u32 s17, s19, s23
	s_add_u32 s16, s16, s6
	v_mov_b32_e32 v2, v1
	s_addc_u32 s17, s17, s7
	s_add_u32 s16, s16, 4
	s_addc_u32 s17, s17, 0
	s_lshl_b64 s[18:19], s[12:13], 3
	s_mov_b32 s13, s9
.LBB121_3:                              ; =>This Inner Loop Header: Depth=1
	s_delay_alu instid0(SALU_CYCLE_1)
	s_add_i32 s13, s13, -1
	global_store_b64 v1, v[1:2], s[16:17] offset:-4
	s_add_u32 s16, s16, s18
	s_addc_u32 s17, s17, s19
	s_cmp_eq_u32 s13, 0
	s_cbranch_scc0 .LBB121_3
.LBB121_4:
	s_or_b32 exec_lo, exec_lo, s21
	s_mov_b32 s16, 0
.LBB121_5:
	s_delay_alu instid0(SALU_CYCLE_1)
	s_and_not1_b32 vcc_lo, exec_lo, s16
	s_cbranch_vccnz .LBB121_76
; %bb.6:
	s_clause 0x2
	s_load_b128 s[24:27], s[0:1], 0x30
	s_load_b64 s[22:23], s[0:1], 0x40
	s_load_b128 s[16:19], s[0:1], 0x18
	s_mul_i32 s5, s15, s5
	s_mul_hi_u32 s13, s15, s4
	s_mul_i32 s4, s15, s4
	s_add_i32 s5, s13, s5
	s_clause 0x1
	s_load_b32 s13, s[0:1], 0x28
	s_load_b32 s30, s[0:1], 0x48
	s_lshl_b64 s[4:5], s[4:5], 3
	v_and_b32_e32 v27, 31, v0
	v_mbcnt_lo_u32_b32 v28, -1, 0
	v_lshrrev_b32_e32 v29, 2, v0
	v_or_b32_e64 v26, 0, 4
	s_waitcnt lgkmcnt(0)
	s_add_u32 s4, s26, s4
	s_addc_u32 s5, s27, s5
	s_lshl_b64 s[0:1], s[22:23], 3
	s_mul_i32 s21, s15, s25
	s_add_u32 s31, s4, s0
	s_addc_u32 s33, s5, s1
	s_lshl_b64 s[0:1], s[2:3], 3
	s_mul_hi_u32 s22, s15, s24
	s_add_u32 s37, s6, s0
	s_mul_i32 s2, s15, s24
	s_addc_u32 s36, s7, s1
	s_add_i32 s3, s22, s21
	v_cmp_gt_u32_e64 s0, 32, v0
	s_lshl_b64 s[6:7], s[2:3], 3
	s_delay_alu instid0(SALU_CYCLE_1) | instskip(SKIP_2) | instid1(SALU_CYCLE_1)
	s_add_u32 s1, s16, s6
	s_addc_u32 s2, s17, s7
	s_lshl_b64 s[18:19], s[18:19], 3
	s_add_u32 s3, s1, s18
	s_addc_u32 s2, s2, s19
	s_lshl_b32 s4, s14, 10
	s_lshr_b32 s5, s20, 30
	v_lshl_or_b32 v2, v0, 2, s4
	s_ashr_i32 s4, s8, 31
	s_add_i32 s5, s9, s5
	s_lshr_b32 s4, s4, 30
	v_cmp_gt_u32_e64 s1, 8, v0
	v_ashrrev_i32_e32 v3, 31, v2
	s_add_i32 s4, s8, s4
	v_mul_lo_u32 v1, v2, s30
	s_and_b32 s4, s4, -4
	v_add_nc_u32_e32 v30, 4, v2
	v_lshlrev_b64 v[3:4], 3, v[2:3]
	s_sub_i32 s34, s8, s4
	s_and_b32 s15, s5, -4
	v_add_nc_u32_e32 v31, s34, v2
	s_cmp_lt_i32 s15, 1
	s_delay_alu instid0(VALU_DEP_2)
	v_add_co_u32 v24, vcc_lo, s3, v3
	v_add_co_ci_u32_e32 v25, vcc_lo, s2, v4, vcc_lo
	s_cbranch_scc1 .LBB121_53
; %bb.7:
	v_cmp_gt_u32_e32 vcc_lo, 16, v28
	s_cmp_gt_i32 s34, 0
	v_cmp_ge_i32_e64 s2, s8, v30
	s_cselect_b32 s38, -1, 0
	s_lshl_b32 s39, s13, 2
	v_cndmask_b32_e64 v5, 0, 1, vcc_lo
	v_cmp_gt_u32_e32 vcc_lo, 24, v28
	s_lshl_b32 s40, s13, 1
	s_add_u32 s20, s6, s18
	s_addc_u32 s22, s7, s19
	v_lshlrev_b32_e32 v5, 4, v5
	v_cndmask_b32_e64 v6, 0, 1, vcc_lo
	v_cmp_gt_u32_e32 vcc_lo, 28, v28
	s_add_u32 s20, s16, s20
	s_addc_u32 s22, s17, s22
	v_add_lshl_u32 v32, v5, v28, 2
	v_mul_lo_u32 v5, v2, s30
	v_cndmask_b32_e64 v7, 0, 1, vcc_lo
	v_cmp_gt_u32_e32 vcc_lo, 30, v28
	v_lshlrev_b32_e32 v6, 3, v6
	v_cmp_ge_i32_e64 s3, s8, v31
	v_cmp_eq_u32_e64 s4, 0, v27
	v_lshlrev_b32_e32 v7, 2, v7
	v_cndmask_b32_e64 v8, 0, 1, vcc_lo
	v_cmp_ne_u32_e32 vcc_lo, 31, v28
	v_add_lshl_u32 v2, v6, v28, 2
	v_ashrrev_i32_e32 v6, 31, v5
	v_add_lshl_u32 v33, v7, v28, 2
	v_add_nc_u32_e32 v7, s30, v5
	v_add_co_ci_u32_e32 v9, vcc_lo, 0, v28, vcc_lo
	v_lshlrev_b32_e32 v8, 1, v8
	v_lshlrev_b64 v[11:12], 3, v[5:6]
	v_lshlrev_b32_e32 v36, 3, v27
	s_delay_alu instid0(VALU_DEP_4) | instskip(SKIP_4) | instid1(VALU_DEP_4)
	v_lshlrev_b32_e32 v35, 2, v9
	v_add_nc_u32_e32 v9, s30, v7
	v_add_lshl_u32 v34, v8, v28, 2
	v_ashrrev_i32_e32 v8, 31, v7
	v_add_co_u32 v6, vcc_lo, s31, v11
	v_add_nc_u32_e32 v15, s30, v9
	v_ashrrev_i32_e32 v10, 31, v9
	s_delay_alu instid0(VALU_DEP_4) | instskip(SKIP_1) | instid1(VALU_DEP_4)
	v_lshlrev_b64 v[13:14], 3, v[7:8]
	v_add_co_ci_u32_e32 v7, vcc_lo, s33, v12, vcc_lo
	v_ashrrev_i32_e32 v16, 31, v15
	s_delay_alu instid0(VALU_DEP_4) | instskip(SKIP_2) | instid1(VALU_DEP_4)
	v_lshlrev_b64 v[10:11], 3, v[9:10]
	v_and_b32_e32 v37, 56, v29
	v_add_co_u32 v8, vcc_lo, s31, v13
	v_lshlrev_b64 v[12:13], 3, v[15:16]
	v_add_co_ci_u32_e32 v9, vcc_lo, s33, v14, vcc_lo
	v_mov_b32_e32 v14, 0
	v_add_co_u32 v10, vcc_lo, s31, v10
	v_add_co_ci_u32_e32 v11, vcc_lo, s33, v11, vcc_lo
	v_add_co_u32 v12, vcc_lo, s31, v12
	v_add_co_ci_u32_e32 v13, vcc_lo, s33, v13, vcc_lo
	v_add_co_u32 v38, vcc_lo, s20, v3
	v_cmp_eq_u32_e64 s5, 0, v0
	v_add_co_ci_u32_e32 v39, vcc_lo, s22, v4, vcc_lo
	v_or_b32_e64 v40, 0, 4
	s_mov_b32 s21, 0
	s_mul_i32 s41, s13, 3
	s_mov_b32 s22, s21
	s_mov_b32 s42, s13
	;; [unrolled: 1-line block ×3, first 2 shown]
	s_branch .LBB121_9
.LBB121_8:                              ;   in Loop: Header=BB121_9 Depth=1
	s_or_b32 exec_lo, exec_lo, s23
	s_add_i32 s35, s35, 4
	s_add_i32 s42, s42, s39
	;; [unrolled: 1-line block ×5, first 2 shown]
	s_cmp_ge_i32 s35, s15
	s_cbranch_scc1 .LBB121_54
.LBB121_9:                              ; =>This Loop Header: Depth=1
                                        ;     Child Loop BB121_40 Depth 2
                                        ;     Child Loop BB121_42 Depth 2
                                        ; implicit-def: $vgpr17
                                        ; implicit-def: $vgpr41
                                        ; implicit-def: $vgpr18
                                        ; implicit-def: $vgpr19
                                        ; implicit-def: $vgpr20
                                        ; implicit-def: $vgpr21
                                        ; implicit-def: $vgpr23
                                        ; implicit-def: $vgpr22
	s_and_saveexec_b32 s20, s2
	s_delay_alu instid0(SALU_CYCLE_1)
	s_xor_b32 s20, exec_lo, s20
	s_cbranch_execnz .LBB121_36
; %bb.10:                               ;   in Loop: Header=BB121_9 Depth=1
	s_and_not1_saveexec_b32 s20, s20
	s_cbranch_execnz .LBB121_37
.LBB121_11:                             ;   in Loop: Header=BB121_9 Depth=1
	s_or_b32 exec_lo, exec_lo, s20
	s_and_saveexec_b32 s20, s0
	s_cbranch_execz .LBB121_13
.LBB121_12:                             ;   in Loop: Header=BB121_9 Depth=1
	v_mov_b32_e32 v15, v14
	ds_store_b64 v36, v[14:15]
.LBB121_13:                             ;   in Loop: Header=BB121_9 Depth=1
	s_or_b32 exec_lo, exec_lo, s20
	ds_bpermute_b32 v16, v32, v41
	ds_bpermute_b32 v15, v32, v17
	s_waitcnt lgkmcnt(0)
	s_waitcnt_vscnt null, 0x0
	s_barrier
	buffer_gl0_inv
	v_add_f32_e32 v16, v41, v16
	ds_bpermute_b32 v41, v2, v16
	s_waitcnt lgkmcnt(0)
	v_dual_add_f32 v15, v17, v15 :: v_dual_add_f32 v16, v16, v41
	ds_bpermute_b32 v17, v2, v15
	ds_bpermute_b32 v41, v33, v16
	s_waitcnt lgkmcnt(1)
	v_add_f32_e32 v15, v15, v17
	s_waitcnt lgkmcnt(0)
	v_add_f32_e32 v16, v16, v41
	ds_bpermute_b32 v17, v33, v15
	ds_bpermute_b32 v41, v34, v16
	s_waitcnt lgkmcnt(1)
	v_add_f32_e32 v15, v15, v17
	s_waitcnt lgkmcnt(0)
	v_add_f32_e32 v16, v16, v41
	ds_bpermute_b32 v17, v34, v15
	ds_bpermute_b32 v41, v35, v16
	s_waitcnt lgkmcnt(1)
	v_add_f32_e32 v15, v15, v17
	ds_bpermute_b32 v17, v35, v15
	s_and_saveexec_b32 s20, s4
	s_cbranch_execz .LBB121_15
; %bb.14:                               ;   in Loop: Header=BB121_9 Depth=1
	s_waitcnt lgkmcnt(1)
	v_add_f32_e32 v16, v16, v41
	s_waitcnt lgkmcnt(0)
	v_add_f32_e32 v15, v15, v17
	ds_store_b64 v37, v[15:16]
.LBB121_15:                             ;   in Loop: Header=BB121_9 Depth=1
	s_or_b32 exec_lo, exec_lo, s20
	s_waitcnt lgkmcnt(0)
	v_dual_mov_b32 v17, 0 :: v_dual_mov_b32 v16, 0
	s_barrier
	buffer_gl0_inv
	s_and_saveexec_b32 s20, s1
	s_cbranch_execnz .LBB121_44
; %bb.16:                               ;   in Loop: Header=BB121_9 Depth=1
	s_or_b32 exec_lo, exec_lo, s20
	s_and_saveexec_b32 s20, s0
	s_cbranch_execnz .LBB121_45
.LBB121_17:                             ;   in Loop: Header=BB121_9 Depth=1
	s_or_b32 exec_lo, exec_lo, s20
	s_and_saveexec_b32 s20, s0
	s_cbranch_execz .LBB121_19
.LBB121_18:                             ;   in Loop: Header=BB121_9 Depth=1
	v_mov_b32_e32 v15, v14
	ds_store_b64 v36, v[14:15]
.LBB121_19:                             ;   in Loop: Header=BB121_9 Depth=1
	s_or_b32 exec_lo, exec_lo, s20
	ds_bpermute_b32 v15, v32, v18
	ds_bpermute_b32 v41, v32, v19
	s_waitcnt lgkmcnt(0)
	s_barrier
	buffer_gl0_inv
	v_dual_add_f32 v15, v18, v15 :: v_dual_add_f32 v18, v19, v41
	ds_bpermute_b32 v19, v2, v15
	ds_bpermute_b32 v41, v2, v18
	s_waitcnt lgkmcnt(0)
	v_dual_add_f32 v15, v15, v19 :: v_dual_add_f32 v18, v18, v41
	ds_bpermute_b32 v19, v33, v15
	ds_bpermute_b32 v41, v33, v18
	s_waitcnt lgkmcnt(0)
	v_dual_add_f32 v15, v15, v19 :: v_dual_add_f32 v18, v18, v41
	ds_bpermute_b32 v19, v34, v15
	ds_bpermute_b32 v41, v34, v18
	s_waitcnt lgkmcnt(0)
	v_dual_add_f32 v15, v15, v19 :: v_dual_add_f32 v18, v18, v41
	ds_bpermute_b32 v19, v35, v15
	ds_bpermute_b32 v41, v35, v18
	s_and_saveexec_b32 s20, s4
	s_cbranch_execz .LBB121_21
; %bb.20:                               ;   in Loop: Header=BB121_9 Depth=1
	s_waitcnt lgkmcnt(0)
	v_dual_add_f32 v42, v18, v41 :: v_dual_add_f32 v41, v15, v19
	ds_store_b64 v37, v[41:42]
.LBB121_21:                             ;   in Loop: Header=BB121_9 Depth=1
	s_or_b32 exec_lo, exec_lo, s20
	s_waitcnt lgkmcnt(1)
	v_dual_mov_b32 v19, 0 :: v_dual_mov_b32 v18, 0
	s_waitcnt lgkmcnt(0)
	s_barrier
	buffer_gl0_inv
	s_and_saveexec_b32 s20, s1
	s_cbranch_execnz .LBB121_46
; %bb.22:                               ;   in Loop: Header=BB121_9 Depth=1
	s_or_b32 exec_lo, exec_lo, s20
	s_and_saveexec_b32 s20, s0
	s_cbranch_execnz .LBB121_47
.LBB121_23:                             ;   in Loop: Header=BB121_9 Depth=1
	s_or_b32 exec_lo, exec_lo, s20
	s_and_saveexec_b32 s20, s0
	s_cbranch_execz .LBB121_25
.LBB121_24:                             ;   in Loop: Header=BB121_9 Depth=1
	v_mov_b32_e32 v15, v14
	ds_store_b64 v36, v[14:15]
.LBB121_25:                             ;   in Loop: Header=BB121_9 Depth=1
	s_or_b32 exec_lo, exec_lo, s20
	ds_bpermute_b32 v15, v32, v20
	ds_bpermute_b32 v41, v32, v21
	s_waitcnt lgkmcnt(0)
	s_barrier
	buffer_gl0_inv
	v_dual_add_f32 v15, v20, v15 :: v_dual_add_f32 v20, v21, v41
	ds_bpermute_b32 v21, v2, v15
	ds_bpermute_b32 v41, v2, v20
	s_waitcnt lgkmcnt(1)
	v_add_f32_e32 v15, v15, v21
	s_waitcnt lgkmcnt(0)
	v_add_f32_e32 v20, v20, v41
	ds_bpermute_b32 v21, v33, v15
	ds_bpermute_b32 v41, v33, v20
	s_waitcnt lgkmcnt(1)
	v_add_f32_e32 v15, v15, v21
	s_waitcnt lgkmcnt(0)
	v_add_f32_e32 v20, v20, v41
	;; [unrolled: 6-line block ×3, first 2 shown]
	ds_bpermute_b32 v21, v35, v15
	ds_bpermute_b32 v41, v35, v20
	s_and_saveexec_b32 s20, s4
	s_cbranch_execz .LBB121_27
; %bb.26:                               ;   in Loop: Header=BB121_9 Depth=1
	s_waitcnt lgkmcnt(0)
	v_add_f32_e32 v42, v20, v41
	v_add_f32_e32 v41, v15, v21
	ds_store_b64 v37, v[41:42]
.LBB121_27:                             ;   in Loop: Header=BB121_9 Depth=1
	s_or_b32 exec_lo, exec_lo, s20
	s_waitcnt lgkmcnt(1)
	v_dual_mov_b32 v21, 0 :: v_dual_mov_b32 v20, 0
	s_waitcnt lgkmcnt(0)
	s_barrier
	buffer_gl0_inv
	s_and_saveexec_b32 s20, s1
	s_cbranch_execnz .LBB121_48
; %bb.28:                               ;   in Loop: Header=BB121_9 Depth=1
	s_or_b32 exec_lo, exec_lo, s20
	s_and_saveexec_b32 s20, s0
	s_cbranch_execnz .LBB121_49
.LBB121_29:                             ;   in Loop: Header=BB121_9 Depth=1
	s_or_b32 exec_lo, exec_lo, s20
	s_and_saveexec_b32 s20, s0
	s_cbranch_execz .LBB121_31
.LBB121_30:                             ;   in Loop: Header=BB121_9 Depth=1
	v_mov_b32_e32 v15, v14
	ds_store_b64 v36, v[14:15]
.LBB121_31:                             ;   in Loop: Header=BB121_9 Depth=1
	s_or_b32 exec_lo, exec_lo, s20
	ds_bpermute_b32 v15, v32, v23
	ds_bpermute_b32 v41, v32, v22
	s_waitcnt lgkmcnt(0)
	s_barrier
	buffer_gl0_inv
	v_dual_add_f32 v15, v23, v15 :: v_dual_add_f32 v22, v22, v41
	ds_bpermute_b32 v23, v2, v15
	ds_bpermute_b32 v41, v2, v22
	s_waitcnt lgkmcnt(0)
	v_dual_add_f32 v15, v15, v23 :: v_dual_add_f32 v22, v22, v41
	ds_bpermute_b32 v23, v33, v15
	ds_bpermute_b32 v41, v33, v22
	s_waitcnt lgkmcnt(0)
	;; [unrolled: 4-line block ×3, first 2 shown]
	v_dual_add_f32 v15, v15, v23 :: v_dual_add_f32 v22, v22, v41
	ds_bpermute_b32 v23, v35, v15
	ds_bpermute_b32 v41, v35, v22
	s_and_saveexec_b32 s20, s4
	s_cbranch_execz .LBB121_33
; %bb.32:                               ;   in Loop: Header=BB121_9 Depth=1
	s_waitcnt lgkmcnt(0)
	v_dual_add_f32 v42, v22, v41 :: v_dual_add_f32 v41, v15, v23
	ds_store_b64 v37, v[41:42]
.LBB121_33:                             ;   in Loop: Header=BB121_9 Depth=1
	s_or_b32 exec_lo, exec_lo, s20
	s_waitcnt lgkmcnt(1)
	v_dual_mov_b32 v23, 0 :: v_dual_mov_b32 v22, 0
	s_waitcnt lgkmcnt(0)
	s_barrier
	buffer_gl0_inv
	s_and_saveexec_b32 s20, s1
	s_cbranch_execnz .LBB121_50
; %bb.34:                               ;   in Loop: Header=BB121_9 Depth=1
	s_or_b32 exec_lo, exec_lo, s20
	s_and_saveexec_b32 s20, s0
	s_cbranch_execnz .LBB121_51
.LBB121_35:                             ;   in Loop: Header=BB121_9 Depth=1
	s_or_b32 exec_lo, exec_lo, s20
	s_and_saveexec_b32 s23, s5
	s_cbranch_execz .LBB121_8
	s_branch .LBB121_52
.LBB121_36:                             ;   in Loop: Header=BB121_9 Depth=1
	s_mul_i32 s24, s35, s13
	s_delay_alu instid0(SALU_CYCLE_1)
	s_ashr_i32 s25, s24, 31
	s_add_i32 s26, s24, s13
	s_lshl_b64 s[24:25], s[24:25], 3
	s_ashr_i32 s27, s26, 31
	v_add_co_u32 v19, vcc_lo, v24, s24
	v_add_co_ci_u32_e32 v20, vcc_lo, s25, v25, vcc_lo
	s_lshl_b64 s[24:25], s[26:27], 3
	global_load_b128 v[15:18], v[19:20], off offset:16
	s_waitcnt lgkmcnt(0)
	global_load_b128 v[19:22], v[19:20], off
	v_add_co_u32 v54, vcc_lo, v24, s24
	s_add_i32 s24, s26, s13
	v_add_co_ci_u32_e32 v55, vcc_lo, s25, v25, vcc_lo
	s_ashr_i32 s25, s24, 31
	global_load_b64 v[42:43], v[6:7], off
	s_lshl_b64 s[26:27], s[24:25], 3
	s_add_i32 s24, s24, s13
	v_add_co_u32 v62, vcc_lo, v24, s26
	s_ashr_i32 s25, s24, 31
	v_add_co_ci_u32_e32 v63, vcc_lo, s27, v25, vcc_lo
	s_lshl_b64 s[24:25], s[24:25], 3
	s_clause 0x2
	global_load_b64 v[44:45], v[8:9], off
	global_load_b64 v[46:47], v[10:11], off
	;; [unrolled: 1-line block ×3, first 2 shown]
	v_add_co_u32 v70, vcc_lo, v24, s24
	s_clause 0x2
	global_load_b128 v[50:53], v[54:55], off
	global_load_b128 v[54:57], v[54:55], off offset:16
	global_load_b128 v[58:61], v[62:63], off
	v_add_co_ci_u32_e32 v71, vcc_lo, s25, v25, vcc_lo
	s_clause 0x2
	global_load_b128 v[62:65], v[62:63], off offset:16
	global_load_b128 v[66:69], v[70:71], off
	global_load_b128 v[70:73], v[70:71], off offset:16
	s_waitcnt vmcnt(8)
	scratch_store_b128 off, v[42:45], off
	s_waitcnt vmcnt(6)
	scratch_store_b128 off, v[46:49], off offset:16
	v_mul_f32_e32 v23, v43, v20
	v_dual_mul_f32 v20, v42, v20 :: v_dual_mul_f32 v41, v45, v22
	v_mul_f32_e32 v22, v44, v22
	v_dual_mul_f32 v74, v47, v16 :: v_dual_mul_f32 v75, v49, v18
	s_waitcnt vmcnt(5)
	v_dual_mul_f32 v16, v46, v16 :: v_dual_mul_f32 v77, v45, v53
	v_mul_f32_e32 v18, v48, v18
	v_dual_mul_f32 v76, v43, v51 :: v_dual_mul_f32 v53, v44, v53
	v_mul_f32_e32 v51, v42, v51
	s_waitcnt vmcnt(4)
	v_dual_mul_f32 v78, v47, v55 :: v_dual_mul_f32 v79, v49, v57
	v_dual_mul_f32 v55, v46, v55 :: v_dual_fmac_f32 v22, v45, v21
	s_waitcnt vmcnt(3)
	v_dual_mul_f32 v57, v48, v57 :: v_dual_mul_f32 v80, v43, v59
	s_waitcnt vmcnt(2)
	v_dual_mul_f32 v81, v45, v61 :: v_dual_mul_f32 v82, v47, v63
	v_dual_mul_f32 v61, v44, v61 :: v_dual_fmac_f32 v20, v43, v19
	v_dual_mul_f32 v83, v49, v65 :: v_dual_fmac_f32 v16, v47, v15
	v_fma_f32 v23, v42, v19, -v23
	v_fma_f32 v19, v44, v21, -v41
	;; [unrolled: 1-line block ×3, first 2 shown]
	v_fmac_f32_e32 v51, v43, v50
	v_fma_f32 v50, v44, v52, -v77
	v_fmac_f32_e32 v53, v45, v52
	v_fma_f32 v52, v46, v54, -v78
	;; [unrolled: 2-line block ×4, first 2 shown]
	s_waitcnt vmcnt(1)
	v_mul_f32_e32 v41, v42, v67
	v_dual_mul_f32 v59, v42, v59 :: v_dual_fmac_f32 v18, v49, v17
	v_dual_mul_f32 v63, v46, v63 :: v_dual_add_f32 v20, 0, v20
	v_mul_f32_e32 v65, v48, v65
	v_fma_f32 v21, v46, v15, -v74
	s_waitcnt vmcnt(0)
	v_mul_f32_e32 v74, v47, v71
	v_fma_f32 v15, v48, v17, -v75
	v_mul_f32_e32 v17, v43, v67
	v_dual_mul_f32 v67, v45, v69 :: v_dual_add_f32 v20, v20, v22
	v_dual_add_f32 v56, 0, v56 :: v_dual_fmac_f32 v41, v43, v66
	v_mul_f32_e32 v71, v46, v71
	v_fmac_f32_e32 v61, v45, v60
	v_fmac_f32_e32 v63, v47, v62
	;; [unrolled: 1-line block ×3, first 2 shown]
	v_dual_add_f32 v23, 0, v23 :: v_dual_add_f32 v22, 0, v41
	v_fmac_f32_e32 v71, v47, v70
	v_fmac_f32_e32 v59, v43, v58
	v_fma_f32 v58, v44, v60, -v81
	v_fma_f32 v60, v46, v62, -v82
	;; [unrolled: 1-line block ×4, first 2 shown]
	v_mul_f32_e32 v69, v44, v69
	v_dual_add_f32 v19, v23, v19 :: v_dual_add_f32 v16, v20, v16
	v_add_f32_e32 v51, 0, v51
	v_mul_f32_e32 v75, v49, v73
	s_delay_alu instid0(VALU_DEP_4)
	v_fmac_f32_e32 v69, v45, v68
	v_add_f32_e32 v68, 0, v76
	v_fma_f32 v17, v42, v66, -v17
	v_add_f32_e32 v41, v51, v53
	v_add_f32_e32 v19, v19, v21
	;; [unrolled: 1-line block ×5, first 2 shown]
	v_mul_f32_e32 v73, v48, v73
	v_add_f32_e32 v17, 0, v17
	v_fma_f32 v66, v46, v70, -v74
	v_add_f32_e32 v22, v23, v52
	v_add_f32_e32 v50, v50, v60
	v_fmac_f32_e32 v73, v49, v72
	v_add_f32_e32 v23, v41, v55
	v_dual_add_f32 v41, v16, v18 :: v_dual_add_f32 v16, v21, v71
	v_dual_add_f32 v59, 0, v59 :: v_dual_add_f32 v20, v17, v64
	v_add_f32_e32 v18, v22, v54
	v_fma_f32 v67, v48, v72, -v75
	s_delay_alu instid0(VALU_DEP_4) | instskip(NEXT) | instid1(VALU_DEP_4)
	v_add_f32_e32 v22, v16, v73
	v_add_f32_e32 v51, v59, v61
	;; [unrolled: 1-line block ×4, first 2 shown]
	v_dual_add_f32 v20, v50, v62 :: v_dual_add_f32 v19, v23, v57
	s_delay_alu instid0(VALU_DEP_4) | instskip(NEXT) | instid1(VALU_DEP_3)
	v_add_f32_e32 v51, v51, v63
	v_add_f32_e32 v23, v15, v67
	s_delay_alu instid0(VALU_DEP_2)
	v_add_f32_e32 v21, v51, v65
	s_and_not1_saveexec_b32 s20, s20
	s_cbranch_execz .LBB121_11
.LBB121_37:                             ;   in Loop: Header=BB121_9 Depth=1
	v_dual_mov_b32 v17, 0 :: v_dual_mov_b32 v18, 0
	v_dual_mov_b32 v41, 0 :: v_dual_mov_b32 v20, 0
	s_waitcnt lgkmcnt(0)
	v_dual_mov_b32 v19, 0 :: v_dual_mov_b32 v22, 0
	v_mov_b32_e32 v21, 0
	v_mov_b32_e32 v23, 0
	s_and_saveexec_b32 s43, s3
	s_cbranch_execz .LBB121_43
; %bb.38:                               ;   in Loop: Header=BB121_9 Depth=1
	v_dual_mov_b32 v17, 0 :: v_dual_mov_b32 v18, 0
	v_dual_mov_b32 v41, 0 :: v_dual_mov_b32 v20, 0
	;; [unrolled: 1-line block ×3, first 2 shown]
	v_mov_b32_e32 v21, 0
	v_mov_b32_e32 v23, 0
	s_and_not1_b32 vcc_lo, exec_lo, s38
	s_cbranch_vccnz .LBB121_43
; %bb.39:                               ;   in Loop: Header=BB121_9 Depth=1
	v_mov_b32_e32 v17, 0
	v_mov_b32_e32 v15, v5
	s_mov_b32 s23, s34
.LBB121_40:                             ;   Parent Loop BB121_9 Depth=1
                                        ; =>  This Inner Loop Header: Depth=2
	s_delay_alu instid0(VALU_DEP_1) | instskip(SKIP_1) | instid1(SALU_CYCLE_1)
	v_ashrrev_i32_e32 v16, 31, v15
	s_add_i32 s23, s23, -1
	s_cmp_eq_u32 s23, 0
	s_delay_alu instid0(VALU_DEP_1) | instskip(SKIP_1) | instid1(VALU_DEP_2)
	v_lshlrev_b64 v[18:19], 3, v[15:16]
	v_add_nc_u32_e32 v15, s30, v15
	v_add_co_u32 v18, vcc_lo, s31, v18
	s_delay_alu instid0(VALU_DEP_3)
	v_add_co_ci_u32_e32 v19, vcc_lo, s33, v19, vcc_lo
	global_load_b64 v[18:19], v[18:19], off
	s_waitcnt vmcnt(0)
	scratch_store_b64 v17, v[18:19], off
	v_add_nc_u32_e32 v17, 8, v17
	s_cbranch_scc0 .LBB121_40
; %bb.41:                               ;   in Loop: Header=BB121_9 Depth=1
	s_ashr_i32 s23, s22, 31
	v_dual_mov_b32 v22, 0 :: v_dual_mov_b32 v23, 0
	s_lshl_b64 s[24:25], s[22:23], 3
	v_dual_mov_b32 v42, v40 :: v_dual_mov_b32 v21, 0
	v_add_co_u32 v15, vcc_lo, v38, s24
	v_add_co_ci_u32_e32 v16, vcc_lo, s25, v39, vcc_lo
	v_dual_mov_b32 v20, 0 :: v_dual_mov_b32 v19, 0
	v_dual_mov_b32 v18, 0 :: v_dual_mov_b32 v41, 0
	v_mov_b32_e32 v17, 0
	s_mov_b32 s24, s41
	s_mov_b32 s26, s40
	;; [unrolled: 1-line block ×4, first 2 shown]
.LBB121_42:                             ;   Parent Loop BB121_9 Depth=1
                                        ; =>  This Inner Loop Header: Depth=2
	s_ashr_i32 s29, s28, 31
	s_ashr_i32 s27, s26, 31
	s_lshl_b64 s[44:45], s[28:29], 3
	s_lshl_b64 s[46:47], s[26:27], 3
	v_add_co_u32 v47, vcc_lo, v24, s44
	s_ashr_i32 s25, s24, 31
	v_add_co_ci_u32_e32 v48, vcc_lo, s45, v25, vcc_lo
	v_add_co_u32 v49, vcc_lo, v24, s46
	s_lshl_b64 s[48:49], s[24:25], 3
	v_add_co_ci_u32_e32 v50, vcc_lo, s47, v25, vcc_lo
	scratch_load_b64 v[43:44], v42, off offset:-4
	global_load_b64 v[45:46], v[15:16], off
	v_add_co_u32 v51, vcc_lo, v24, s48
	v_add_co_ci_u32_e32 v52, vcc_lo, s49, v25, vcc_lo
	s_clause 0x2
	global_load_b64 v[47:48], v[47:48], off
	global_load_b64 v[49:50], v[49:50], off
	;; [unrolled: 1-line block ×3, first 2 shown]
	v_add_nc_u32_e32 v42, 8, v42
	v_add_co_u32 v15, vcc_lo, v15, 8
	v_add_co_ci_u32_e32 v16, vcc_lo, 0, v16, vcc_lo
	s_add_i32 s23, s23, -1
	s_add_i32 s28, s28, 1
	s_add_i32 s26, s26, 1
	;; [unrolled: 1-line block ×3, first 2 shown]
	s_cmp_lg_u32 s23, 0
	s_waitcnt vmcnt(3)
	v_mul_f32_e32 v53, v44, v46
	v_mul_f32_e32 v46, v43, v46
	s_delay_alu instid0(VALU_DEP_2) | instskip(SKIP_2) | instid1(VALU_DEP_3)
	v_fma_f32 v53, v43, v45, -v53
	s_waitcnt vmcnt(0)
	v_mul_f32_e32 v55, v44, v52
	v_fmac_f32_e32 v46, v44, v45
	v_mul_f32_e32 v45, v44, v48
	v_mul_f32_e32 v48, v43, v48
	v_dual_mul_f32 v54, v44, v50 :: v_dual_add_f32 v17, v17, v53
	v_mul_f32_e32 v50, v43, v50
	s_delay_alu instid0(VALU_DEP_4) | instskip(NEXT) | instid1(VALU_DEP_2)
	v_fma_f32 v45, v43, v47, -v45
	v_fmac_f32_e32 v50, v44, v49
	v_fmac_f32_e32 v48, v44, v47
	s_delay_alu instid0(VALU_DEP_2) | instskip(NEXT) | instid1(VALU_DEP_2)
	v_dual_add_f32 v18, v18, v45 :: v_dual_add_f32 v21, v21, v50
	v_add_f32_e32 v19, v19, v48
	v_dual_mul_f32 v52, v43, v52 :: v_dual_add_f32 v41, v41, v46
	v_fma_f32 v46, v43, v49, -v54
	v_fma_f32 v43, v43, v51, -v55
	s_delay_alu instid0(VALU_DEP_3) | instskip(NEXT) | instid1(VALU_DEP_2)
	v_fmac_f32_e32 v52, v44, v51
	v_dual_add_f32 v20, v20, v46 :: v_dual_add_f32 v23, v23, v43
	s_delay_alu instid0(VALU_DEP_2)
	v_add_f32_e32 v22, v22, v52
	s_cbranch_scc1 .LBB121_42
.LBB121_43:                             ;   in Loop: Header=BB121_9 Depth=1
	s_or_b32 exec_lo, exec_lo, s43
	s_delay_alu instid0(SALU_CYCLE_1)
	s_or_b32 exec_lo, exec_lo, s20
	s_and_saveexec_b32 s20, s0
	s_cbranch_execnz .LBB121_12
	s_branch .LBB121_13
.LBB121_44:                             ;   in Loop: Header=BB121_9 Depth=1
	ds_load_b64 v[16:17], v36
	s_or_b32 exec_lo, exec_lo, s20
	s_and_saveexec_b32 s20, s0
	s_cbranch_execz .LBB121_17
.LBB121_45:                             ;   in Loop: Header=BB121_9 Depth=1
	s_waitcnt lgkmcnt(0)
	ds_bpermute_b32 v15, v33, v16
	ds_bpermute_b32 v41, v33, v17
	s_waitcnt lgkmcnt(0)
	v_dual_add_f32 v15, v16, v15 :: v_dual_add_f32 v16, v17, v41
	ds_bpermute_b32 v17, v34, v15
	ds_bpermute_b32 v41, v34, v16
	s_waitcnt lgkmcnt(1)
	v_add_f32_e32 v15, v15, v17
	s_waitcnt lgkmcnt(0)
	v_add_f32_e32 v17, v16, v41
	ds_bpermute_b32 v16, v35, v15
	s_waitcnt lgkmcnt(0)
	v_add_f32_e32 v16, v15, v16
	ds_bpermute_b32 v41, v35, v17
	s_waitcnt lgkmcnt(0)
	v_add_f32_e32 v17, v17, v41
	s_or_b32 exec_lo, exec_lo, s20
	s_and_saveexec_b32 s20, s0
	s_cbranch_execnz .LBB121_18
	s_branch .LBB121_19
.LBB121_46:                             ;   in Loop: Header=BB121_9 Depth=1
	ds_load_b64 v[18:19], v36
	s_or_b32 exec_lo, exec_lo, s20
	s_and_saveexec_b32 s20, s0
	s_cbranch_execz .LBB121_23
.LBB121_47:                             ;   in Loop: Header=BB121_9 Depth=1
	s_waitcnt lgkmcnt(0)
	ds_bpermute_b32 v15, v33, v18
	ds_bpermute_b32 v41, v33, v19
	s_waitcnt lgkmcnt(0)
	v_dual_add_f32 v15, v18, v15 :: v_dual_add_f32 v18, v19, v41
	ds_bpermute_b32 v19, v34, v15
	ds_bpermute_b32 v41, v34, v18
	s_waitcnt lgkmcnt(1)
	v_add_f32_e32 v15, v15, v19
	s_waitcnt lgkmcnt(0)
	v_add_f32_e32 v19, v18, v41
	ds_bpermute_b32 v18, v35, v15
	s_waitcnt lgkmcnt(0)
	v_add_f32_e32 v18, v15, v18
	ds_bpermute_b32 v41, v35, v19
	s_waitcnt lgkmcnt(0)
	v_add_f32_e32 v19, v19, v41
	s_or_b32 exec_lo, exec_lo, s20
	s_and_saveexec_b32 s20, s0
	s_cbranch_execnz .LBB121_24
	s_branch .LBB121_25
.LBB121_48:                             ;   in Loop: Header=BB121_9 Depth=1
	ds_load_b64 v[20:21], v36
	s_or_b32 exec_lo, exec_lo, s20
	s_and_saveexec_b32 s20, s0
	s_cbranch_execz .LBB121_29
.LBB121_49:                             ;   in Loop: Header=BB121_9 Depth=1
	s_waitcnt lgkmcnt(0)
	ds_bpermute_b32 v15, v33, v20
	ds_bpermute_b32 v41, v33, v21
	s_waitcnt lgkmcnt(0)
	v_dual_add_f32 v15, v20, v15 :: v_dual_add_f32 v20, v21, v41
	ds_bpermute_b32 v21, v34, v15
	ds_bpermute_b32 v41, v34, v20
	s_waitcnt lgkmcnt(1)
	v_add_f32_e32 v15, v15, v21
	s_waitcnt lgkmcnt(0)
	v_add_f32_e32 v21, v20, v41
	ds_bpermute_b32 v20, v35, v15
	s_waitcnt lgkmcnt(0)
	v_add_f32_e32 v20, v15, v20
	ds_bpermute_b32 v41, v35, v21
	s_waitcnt lgkmcnt(0)
	v_add_f32_e32 v21, v21, v41
	s_or_b32 exec_lo, exec_lo, s20
	s_and_saveexec_b32 s20, s0
	s_cbranch_execnz .LBB121_30
	s_branch .LBB121_31
.LBB121_50:                             ;   in Loop: Header=BB121_9 Depth=1
	ds_load_b64 v[22:23], v36
	s_or_b32 exec_lo, exec_lo, s20
	s_and_saveexec_b32 s20, s0
	s_cbranch_execz .LBB121_35
.LBB121_51:                             ;   in Loop: Header=BB121_9 Depth=1
	s_waitcnt lgkmcnt(0)
	ds_bpermute_b32 v15, v33, v22
	ds_bpermute_b32 v41, v33, v23
	s_waitcnt lgkmcnt(0)
	v_dual_add_f32 v15, v22, v15 :: v_dual_add_f32 v22, v23, v41
	ds_bpermute_b32 v23, v34, v15
	ds_bpermute_b32 v41, v34, v22
	s_waitcnt lgkmcnt(1)
	v_add_f32_e32 v15, v15, v23
	s_waitcnt lgkmcnt(0)
	v_add_f32_e32 v23, v22, v41
	ds_bpermute_b32 v22, v35, v15
	s_waitcnt lgkmcnt(0)
	v_add_f32_e32 v22, v15, v22
	ds_bpermute_b32 v41, v35, v23
	s_waitcnt lgkmcnt(0)
	v_add_f32_e32 v23, v23, v41
	s_or_b32 exec_lo, exec_lo, s20
	s_and_saveexec_b32 s23, s5
	s_cbranch_execz .LBB121_8
.LBB121_52:                             ;   in Loop: Header=BB121_9 Depth=1
	v_mul_f32_e32 v42, s10, v17
	v_mul_f32_e32 v15, s11, v17
	s_mul_i32 s20, s35, s12
	v_mul_f32_e32 v17, s11, v21
	s_add_i32 s20, s20, s14
	v_fmac_f32_e32 v42, s11, v16
	s_lshl_b64 s[24:25], s[20:21], 3
	v_fma_f32 v41, v16, s10, -v15
	s_add_u32 s24, s37, s24
	s_addc_u32 s25, s36, s25
	s_add_i32 s20, s20, s12
	v_mul_f32_e32 v15, s11, v19
	global_store_b64 v14, v[41:42], s[24:25]
	v_mul_f32_e32 v16, s10, v19
	s_lshl_b64 s[24:25], s[20:21], 3
	v_mul_f32_e32 v19, s10, v21
	s_add_u32 s24, s37, s24
	s_addc_u32 s25, s36, s25
	v_fmac_f32_e32 v16, s11, v18
	s_add_i32 s20, s20, s12
	v_fma_f32 v15, v18, s10, -v15
	v_fma_f32 v18, v20, s10, -v17
	s_waitcnt lgkmcnt(0)
	v_mul_f32_e32 v17, s11, v23
	s_lshl_b64 s[26:27], s[20:21], 3
	v_mul_f32_e32 v21, s10, v23
	s_add_u32 s26, s37, s26
	s_addc_u32 s27, s36, s27
	s_add_i32 s20, s20, s12
	v_fmac_f32_e32 v19, s11, v20
	v_fma_f32 v20, v22, s10, -v17
	v_fmac_f32_e32 v21, s11, v22
	s_lshl_b64 s[28:29], s[20:21], 3
	global_store_b64 v14, v[15:16], s[24:25]
	s_add_u32 s24, s37, s28
	s_addc_u32 s25, s36, s29
	s_clause 0x1
	global_store_b64 v14, v[18:19], s[26:27]
	global_store_b64 v14, v[20:21], s[24:25]
	s_branch .LBB121_8
.LBB121_53:
	s_mov_b32 s35, 0
.LBB121_54:
	s_delay_alu instid0(SALU_CYCLE_1)
	s_cmp_ge_i32 s35, s9
	s_cbranch_scc1 .LBB121_76
; %bb.55:
	v_cmp_gt_u32_e64 s1, 16, v28
	v_cmp_ge_i32_e64 s4, s8, v31
	s_cmp_gt_i32 s34, 0
	s_mov_b32 s15, 0
	s_cselect_b32 s20, -1, 0
	v_cndmask_b32_e64 v2, 0, 1, s1
	v_cmp_gt_u32_e64 s1, 24, v28
	s_lshl_b64 s[14:15], s[14:15], 3
	v_cmp_ge_i32_e32 vcc_lo, s8, v30
	s_add_u32 s8, s37, s14
	v_lshlrev_b32_e32 v2, 4, v2
	v_cndmask_b32_e64 v5, 0, 1, s1
	v_cmp_gt_u32_e64 s1, 28, v28
	s_addc_u32 s14, s36, s15
	v_cmp_gt_u32_e64 s0, 32, v0
	v_add_lshl_u32 v14, v2, v28, 2
	v_lshlrev_b32_e32 v5, 3, v5
	v_cndmask_b32_e64 v6, 0, 1, s1
	v_cmp_gt_u32_e64 s1, 30, v28
	v_ashrrev_i32_e32 v2, 31, v1
	v_cmp_gt_u32_e64 s2, 8, v0
	v_add_lshl_u32 v15, v5, v28, 2
	v_add_nc_u32_e32 v5, s30, v1
	v_cndmask_b32_e64 v7, 0, 1, s1
	v_lshlrev_b32_e32 v6, 2, v6
	v_cmp_ne_u32_e64 s1, 31, v28
	v_lshlrev_b64 v[9:10], 3, v[1:2]
	v_cmp_eq_u32_e64 s3, 0, v0
	v_lshlrev_b32_e32 v7, 1, v7
	v_add_lshl_u32 v16, v6, v28, 2
	v_add_co_ci_u32_e64 v8, s1, 0, v28, s1
	v_ashrrev_i32_e32 v6, 31, v5
	s_delay_alu instid0(VALU_DEP_4) | instskip(SKIP_1) | instid1(VALU_DEP_4)
	v_add_lshl_u32 v17, v7, v28, 2
	v_add_nc_u32_e32 v7, s30, v5
	v_lshlrev_b32_e32 v18, 2, v8
	v_dual_mov_b32 v2, 0 :: v_dual_lshlrev_b32 v13, 3, v27
	v_lshlrev_b64 v[11:12], 3, v[5:6]
	s_delay_alu instid0(VALU_DEP_4) | instskip(SKIP_2) | instid1(VALU_DEP_1)
	v_add_nc_u32_e32 v20, s30, v7
	v_ashrrev_i32_e32 v8, 31, v7
	v_add_co_u32 v5, s5, s31, v9
	v_add_co_ci_u32_e64 v6, s5, s33, v10, s5
	s_delay_alu instid0(VALU_DEP_4) | instskip(NEXT) | instid1(VALU_DEP_4)
	v_ashrrev_i32_e32 v21, 31, v20
	v_lshlrev_b64 v[9:10], 3, v[7:8]
	v_add_co_u32 v7, s5, s31, v11
	s_delay_alu instid0(VALU_DEP_1) | instskip(NEXT) | instid1(VALU_DEP_4)
	v_add_co_ci_u32_e64 v8, s5, s33, v12, s5
	v_lshlrev_b64 v[11:12], 3, v[20:21]
	s_delay_alu instid0(VALU_DEP_4) | instskip(NEXT) | instid1(VALU_DEP_1)
	v_add_co_u32 v9, s5, s31, v9
	v_add_co_ci_u32_e64 v10, s5, s33, v10, s5
	v_cmp_eq_u32_e64 s1, 0, v27
	s_delay_alu instid0(VALU_DEP_4) | instskip(NEXT) | instid1(VALU_DEP_1)
	v_add_co_u32 v11, s5, s31, v11
	v_add_co_ci_u32_e64 v12, s5, s33, v12, s5
	s_and_b32 s5, s20, s4
	s_add_u32 s4, s6, s18
	s_addc_u32 s6, s7, s19
	s_add_u32 s4, s16, s4
	s_addc_u32 s6, s17, s6
	v_add_co_u32 v0, s4, s4, v3
	v_and_b32_e32 v19, 56, v29
	v_add_co_ci_u32_e64 v20, s4, s6, v4, s4
	s_mul_i32 s6, s35, s13
	s_branch .LBB121_57
.LBB121_56:                             ;   in Loop: Header=BB121_57 Depth=1
	s_or_b32 exec_lo, exec_lo, s4
	s_add_i32 s35, s35, 1
	s_add_i32 s6, s6, s13
	s_cmp_lt_i32 s35, s9
	s_cbranch_scc0 .LBB121_76
.LBB121_57:                             ; =>This Loop Header: Depth=1
                                        ;     Child Loop BB121_69 Depth 2
                                        ;     Child Loop BB121_71 Depth 2
                                        ; implicit-def: $vgpr21
                                        ; implicit-def: $vgpr22
	s_and_saveexec_b32 s4, vcc_lo
	s_delay_alu instid0(SALU_CYCLE_1)
	s_xor_b32 s7, exec_lo, s4
	s_cbranch_execnz .LBB121_66
; %bb.58:                               ;   in Loop: Header=BB121_57 Depth=1
	s_and_not1_saveexec_b32 s15, s7
	s_cbranch_execnz .LBB121_67
.LBB121_59:                             ;   in Loop: Header=BB121_57 Depth=1
	s_or_b32 exec_lo, exec_lo, s15
	s_and_saveexec_b32 s4, s0
	s_cbranch_execz .LBB121_61
.LBB121_60:                             ;   in Loop: Header=BB121_57 Depth=1
	s_waitcnt lgkmcnt(0)
	v_mov_b32_e32 v3, v2
	ds_store_b64 v13, v[2:3]
.LBB121_61:                             ;   in Loop: Header=BB121_57 Depth=1
	s_or_b32 exec_lo, exec_lo, s4
	s_waitcnt lgkmcnt(0)
	ds_bpermute_b32 v3, v14, v21
	s_waitcnt lgkmcnt(1)
	ds_bpermute_b32 v4, v14, v22
	s_waitcnt lgkmcnt(0)
	s_waitcnt_vscnt null, 0x0
	s_barrier
	buffer_gl0_inv
	v_dual_add_f32 v3, v21, v3 :: v_dual_add_f32 v4, v22, v4
	ds_bpermute_b32 v21, v15, v3
	ds_bpermute_b32 v22, v15, v4
	s_waitcnt lgkmcnt(0)
	v_dual_add_f32 v3, v3, v21 :: v_dual_add_f32 v4, v4, v22
	ds_bpermute_b32 v21, v16, v3
	ds_bpermute_b32 v22, v16, v4
	s_waitcnt lgkmcnt(0)
	;; [unrolled: 4-line block ×3, first 2 shown]
	v_dual_add_f32 v3, v3, v21 :: v_dual_add_f32 v4, v4, v22
	ds_bpermute_b32 v21, v18, v3
	ds_bpermute_b32 v22, v18, v4
	s_and_saveexec_b32 s4, s1
	s_cbranch_execz .LBB121_63
; %bb.62:                               ;   in Loop: Header=BB121_57 Depth=1
	s_waitcnt lgkmcnt(0)
	v_dual_add_f32 v4, v4, v22 :: v_dual_add_f32 v3, v3, v21
	ds_store_b64 v19, v[3:4]
.LBB121_63:                             ;   in Loop: Header=BB121_57 Depth=1
	s_or_b32 exec_lo, exec_lo, s4
	v_dual_mov_b32 v4, 0 :: v_dual_mov_b32 v3, 0
	s_waitcnt lgkmcnt(0)
	s_barrier
	buffer_gl0_inv
	s_and_saveexec_b32 s4, s2
	s_cbranch_execnz .LBB121_73
; %bb.64:                               ;   in Loop: Header=BB121_57 Depth=1
	s_or_b32 exec_lo, exec_lo, s4
	s_and_saveexec_b32 s4, s0
	s_cbranch_execnz .LBB121_74
.LBB121_65:                             ;   in Loop: Header=BB121_57 Depth=1
	s_or_b32 exec_lo, exec_lo, s4
	s_and_saveexec_b32 s4, s3
	s_cbranch_execz .LBB121_56
	s_branch .LBB121_75
.LBB121_66:                             ;   in Loop: Header=BB121_57 Depth=1
	s_mul_i32 s16, s35, s13
	s_delay_alu instid0(SALU_CYCLE_1) | instskip(NEXT) | instid1(SALU_CYCLE_1)
	s_ashr_i32 s17, s16, 31
	s_lshl_b64 s[16:17], s[16:17], 3
	s_waitcnt lgkmcnt(0)
	v_add_co_u32 v3, s4, v24, s16
	s_delay_alu instid0(VALU_DEP_1)
	v_add_co_ci_u32_e64 v4, s4, s17, v25, s4
	global_load_b128 v[27:30], v[3:4], off
	s_clause 0x1
	global_load_b64 v[31:32], v[5:6], off
	global_load_b64 v[33:34], v[7:8], off
	global_load_b128 v[35:38], v[3:4], off offset:16
	s_clause 0x1
	global_load_b64 v[39:40], v[9:10], off
	global_load_b64 v[41:42], v[11:12], off
	s_waitcnt vmcnt(3)
	scratch_store_b128 off, v[31:34], off
	s_waitcnt vmcnt(0)
	scratch_store_b128 off, v[39:42], off offset:16
	s_waitcnt lgkmcnt(0)
	v_dual_mul_f32 v3, v32, v28 :: v_dual_mul_f32 v22, v33, v30
	v_dual_mul_f32 v4, v31, v28 :: v_dual_mul_f32 v21, v34, v30
	v_mul_f32_e32 v23, v40, v36
	s_delay_alu instid0(VALU_DEP_3) | instskip(NEXT) | instid1(VALU_DEP_4)
	v_fma_f32 v3, v31, v27, -v3
	v_fmac_f32_e32 v22, v34, v29
	s_delay_alu instid0(VALU_DEP_4) | instskip(SKIP_3) | instid1(VALU_DEP_4)
	v_fmac_f32_e32 v4, v32, v27
	v_dual_mul_f32 v28, v39, v36 :: v_dual_mul_f32 v27, v42, v38
	v_fma_f32 v21, v33, v29, -v21
	v_mul_f32_e32 v29, v41, v38
	v_dual_add_f32 v3, 0, v3 :: v_dual_add_f32 v4, 0, v4
	v_fma_f32 v23, v39, v35, -v23
	s_delay_alu instid0(VALU_DEP_3) | instskip(NEXT) | instid1(VALU_DEP_3)
	v_dual_fmac_f32 v28, v40, v35 :: v_dual_fmac_f32 v29, v42, v37
	v_dual_add_f32 v3, v3, v21 :: v_dual_add_f32 v4, v4, v22
	v_fma_f32 v21, v41, v37, -v27
	s_delay_alu instid0(VALU_DEP_2) | instskip(NEXT) | instid1(VALU_DEP_1)
	v_dual_add_f32 v3, v3, v23 :: v_dual_add_f32 v4, v4, v28
	v_add_f32_e32 v21, v3, v21
	s_delay_alu instid0(VALU_DEP_2)
	v_add_f32_e32 v22, v4, v29
	s_and_not1_saveexec_b32 s15, s7
	s_cbranch_execz .LBB121_59
.LBB121_67:                             ;   in Loop: Header=BB121_57 Depth=1
	s_waitcnt lgkmcnt(0)
	v_dual_mov_b32 v21, 0 :: v_dual_mov_b32 v22, 0
	s_and_saveexec_b32 s16, s5
	s_cbranch_execz .LBB121_72
; %bb.68:                               ;   in Loop: Header=BB121_57 Depth=1
	v_mov_b32_e32 v21, 0
	v_mov_b32_e32 v3, v1
	s_mov_b32 s7, s34
.LBB121_69:                             ;   Parent Loop BB121_57 Depth=1
                                        ; =>  This Inner Loop Header: Depth=2
	s_delay_alu instid0(VALU_DEP_1) | instskip(SKIP_1) | instid1(SALU_CYCLE_1)
	v_ashrrev_i32_e32 v4, 31, v3
	s_add_i32 s7, s7, -1
	s_cmp_eq_u32 s7, 0
	s_delay_alu instid0(VALU_DEP_1) | instskip(SKIP_1) | instid1(VALU_DEP_2)
	v_lshlrev_b64 v[22:23], 3, v[3:4]
	v_add_nc_u32_e32 v3, s30, v3
	v_add_co_u32 v22, s4, s31, v22
	s_delay_alu instid0(VALU_DEP_1)
	v_add_co_ci_u32_e64 v23, s4, s33, v23, s4
	global_load_b64 v[22:23], v[22:23], off
	s_waitcnt vmcnt(0)
	scratch_store_b64 v21, v[22:23], off
	v_add_nc_u32_e32 v21, 8, v21
	s_cbranch_scc0 .LBB121_69
; %bb.70:                               ;   in Loop: Header=BB121_57 Depth=1
	s_ashr_i32 s7, s6, 31
	v_dual_mov_b32 v21, 0 :: v_dual_mov_b32 v22, 0
	s_lshl_b64 s[18:19], s[6:7], 3
	v_mov_b32_e32 v23, v26
	v_add_co_u32 v3, s4, v0, s18
	s_delay_alu instid0(VALU_DEP_1)
	v_add_co_ci_u32_e64 v4, s4, s19, v20, s4
	s_mov_b32 s7, s34
	.p2align	6
.LBB121_71:                             ;   Parent Loop BB121_57 Depth=1
                                        ; =>  This Inner Loop Header: Depth=2
	global_load_b64 v[27:28], v[3:4], off
	scratch_load_b64 v[29:30], v23, off offset:-4
	v_add_co_u32 v3, s4, v3, 8
	s_delay_alu instid0(VALU_DEP_1)
	v_add_co_ci_u32_e64 v4, s4, 0, v4, s4
	s_add_i32 s7, s7, -1
	v_add_nc_u32_e32 v23, 8, v23
	s_cmp_lg_u32 s7, 0
	s_waitcnt vmcnt(0)
	v_mul_f32_e32 v31, v30, v28
	v_mul_f32_e32 v28, v29, v28
	s_delay_alu instid0(VALU_DEP_2) | instskip(NEXT) | instid1(VALU_DEP_1)
	v_fma_f32 v29, v29, v27, -v31
	v_dual_fmac_f32 v28, v30, v27 :: v_dual_add_f32 v21, v21, v29
	s_delay_alu instid0(VALU_DEP_1)
	v_add_f32_e32 v22, v22, v28
	s_cbranch_scc1 .LBB121_71
.LBB121_72:                             ;   in Loop: Header=BB121_57 Depth=1
	s_or_b32 exec_lo, exec_lo, s16
	s_delay_alu instid0(SALU_CYCLE_1)
	s_or_b32 exec_lo, exec_lo, s15
	s_and_saveexec_b32 s4, s0
	s_cbranch_execnz .LBB121_60
	s_branch .LBB121_61
.LBB121_73:                             ;   in Loop: Header=BB121_57 Depth=1
	ds_load_b64 v[3:4], v13
	s_or_b32 exec_lo, exec_lo, s4
	s_and_saveexec_b32 s4, s0
	s_cbranch_execz .LBB121_65
.LBB121_74:                             ;   in Loop: Header=BB121_57 Depth=1
	s_waitcnt lgkmcnt(0)
	ds_bpermute_b32 v21, v16, v3
	ds_bpermute_b32 v22, v16, v4
	s_waitcnt lgkmcnt(0)
	v_dual_add_f32 v3, v3, v21 :: v_dual_add_f32 v4, v4, v22
	ds_bpermute_b32 v21, v17, v3
	ds_bpermute_b32 v22, v17, v4
	s_waitcnt lgkmcnt(0)
	v_dual_add_f32 v3, v3, v21 :: v_dual_add_f32 v4, v4, v22
	;; [unrolled: 4-line block ×3, first 2 shown]
	s_or_b32 exec_lo, exec_lo, s4
	s_and_saveexec_b32 s4, s3
	s_cbranch_execz .LBB121_56
.LBB121_75:                             ;   in Loop: Header=BB121_57 Depth=1
	s_waitcnt lgkmcnt(0)
	v_mul_f32_e32 v22, s10, v4
	v_mul_f32_e32 v21, s11, v4
	s_mul_hi_u32 s17, s35, s12
	s_mul_i32 s16, s35, s12
	s_delay_alu instid0(VALU_DEP_2) | instskip(NEXT) | instid1(VALU_DEP_2)
	v_fmac_f32_e32 v22, s11, v3
	v_fma_f32 v21, v3, s10, -v21
	s_lshl_b64 s[16:17], s[16:17], 3
	s_delay_alu instid0(SALU_CYCLE_1)
	s_add_u32 s16, s8, s16
	s_addc_u32 s17, s14, s17
	global_store_b64 v2, v[21:22], s[16:17]
	s_branch .LBB121_56
.LBB121_76:
	s_nop 0
	s_sendmsg sendmsg(MSG_DEALLOC_VGPRS)
	s_endpgm
	.section	.rodata,"a",@progbits
	.p2align	6, 0x0
	.amdhsa_kernel _ZL23rocblas_gemvt_sn_kernelILb0ELi256ELi4Ei19rocblas_complex_numIfES1_S1_EviiT4_lPKT3_lilS5_lilPT5_i
		.amdhsa_group_segment_fixed_size 256
		.amdhsa_private_segment_fixed_size 48
		.amdhsa_kernarg_size 360
		.amdhsa_user_sgpr_count 14
		.amdhsa_user_sgpr_dispatch_ptr 0
		.amdhsa_user_sgpr_queue_ptr 0
		.amdhsa_user_sgpr_kernarg_segment_ptr 1
		.amdhsa_user_sgpr_dispatch_id 0
		.amdhsa_user_sgpr_private_segment_size 0
		.amdhsa_wavefront_size32 1
		.amdhsa_uses_dynamic_stack 0
		.amdhsa_enable_private_segment 1
		.amdhsa_system_sgpr_workgroup_id_x 1
		.amdhsa_system_sgpr_workgroup_id_y 0
		.amdhsa_system_sgpr_workgroup_id_z 1
		.amdhsa_system_sgpr_workgroup_info 0
		.amdhsa_system_vgpr_workitem_id 0
		.amdhsa_next_free_vgpr 84
		.amdhsa_next_free_sgpr 50
		.amdhsa_reserve_vcc 1
		.amdhsa_float_round_mode_32 0
		.amdhsa_float_round_mode_16_64 0
		.amdhsa_float_denorm_mode_32 3
		.amdhsa_float_denorm_mode_16_64 3
		.amdhsa_dx10_clamp 1
		.amdhsa_ieee_mode 1
		.amdhsa_fp16_overflow 0
		.amdhsa_workgroup_processor_mode 1
		.amdhsa_memory_ordered 1
		.amdhsa_forward_progress 0
		.amdhsa_shared_vgpr_count 0
		.amdhsa_exception_fp_ieee_invalid_op 0
		.amdhsa_exception_fp_denorm_src 0
		.amdhsa_exception_fp_ieee_div_zero 0
		.amdhsa_exception_fp_ieee_overflow 0
		.amdhsa_exception_fp_ieee_underflow 0
		.amdhsa_exception_fp_ieee_inexact 0
		.amdhsa_exception_int_div_zero 0
	.end_amdhsa_kernel
	.section	.text._ZL23rocblas_gemvt_sn_kernelILb0ELi256ELi4Ei19rocblas_complex_numIfES1_S1_EviiT4_lPKT3_lilS5_lilPT5_i,"axG",@progbits,_ZL23rocblas_gemvt_sn_kernelILb0ELi256ELi4Ei19rocblas_complex_numIfES1_S1_EviiT4_lPKT3_lilS5_lilPT5_i,comdat
.Lfunc_end121:
	.size	_ZL23rocblas_gemvt_sn_kernelILb0ELi256ELi4Ei19rocblas_complex_numIfES1_S1_EviiT4_lPKT3_lilS5_lilPT5_i, .Lfunc_end121-_ZL23rocblas_gemvt_sn_kernelILb0ELi256ELi4Ei19rocblas_complex_numIfES1_S1_EviiT4_lPKT3_lilS5_lilPT5_i
                                        ; -- End function
	.section	.AMDGPU.csdata,"",@progbits
; Kernel info:
; codeLenInByte = 5436
; NumSgprs: 52
; NumVgprs: 84
; ScratchSize: 48
; MemoryBound: 0
; FloatMode: 240
; IeeeMode: 1
; LDSByteSize: 256 bytes/workgroup (compile time only)
; SGPRBlocks: 6
; VGPRBlocks: 10
; NumSGPRsForWavesPerEU: 52
; NumVGPRsForWavesPerEU: 84
; Occupancy: 16
; WaveLimiterHint : 1
; COMPUTE_PGM_RSRC2:SCRATCH_EN: 1
; COMPUTE_PGM_RSRC2:USER_SGPR: 14
; COMPUTE_PGM_RSRC2:TRAP_HANDLER: 0
; COMPUTE_PGM_RSRC2:TGID_X_EN: 1
; COMPUTE_PGM_RSRC2:TGID_Y_EN: 0
; COMPUTE_PGM_RSRC2:TGID_Z_EN: 1
; COMPUTE_PGM_RSRC2:TIDIG_COMP_CNT: 0
	.section	.text._ZL23rocblas_gemvt_sn_kernelILb0ELi256ELi4El19rocblas_complex_numIfES1_S1_EviiT4_lPKT3_lilS5_lilPT5_i,"axG",@progbits,_ZL23rocblas_gemvt_sn_kernelILb0ELi256ELi4El19rocblas_complex_numIfES1_S1_EviiT4_lPKT3_lilS5_lilPT5_i,comdat
	.globl	_ZL23rocblas_gemvt_sn_kernelILb0ELi256ELi4El19rocblas_complex_numIfES1_S1_EviiT4_lPKT3_lilS5_lilPT5_i ; -- Begin function _ZL23rocblas_gemvt_sn_kernelILb0ELi256ELi4El19rocblas_complex_numIfES1_S1_EviiT4_lPKT3_lilS5_lilPT5_i
	.p2align	8
	.type	_ZL23rocblas_gemvt_sn_kernelILb0ELi256ELi4El19rocblas_complex_numIfES1_S1_EviiT4_lPKT3_lilS5_lilPT5_i,@function
_ZL23rocblas_gemvt_sn_kernelILb0ELi256ELi4El19rocblas_complex_numIfES1_S1_EviiT4_lPKT3_lilS5_lilPT5_i: ; @_ZL23rocblas_gemvt_sn_kernelILb0ELi256ELi4El19rocblas_complex_numIfES1_S1_EviiT4_lPKT3_lilS5_lilPT5_i
; %bb.0:
	s_clause 0x2
	s_load_b128 s[8:11], s[0:1], 0x0
	s_load_b32 s12, s[0:1], 0x68
	s_load_b128 s[20:23], s[0:1], 0x50
	v_cmp_eq_u32_e32 vcc_lo, 0, v0
	s_mov_b32 s13, 0
	s_waitcnt lgkmcnt(0)
	s_ashr_i32 s30, s9, 31
	s_mul_hi_u32 s2, s9, s15
	s_mul_i32 s3, s30, s15
	s_mul_i32 s4, s9, s15
	s_add_i32 s2, s2, s3
	s_or_b32 s5, s10, s11
	s_mul_hi_u32 s3, s4, s12
	s_mul_i32 s2, s2, s12
	s_bitset0_b32 s5, 31
	s_add_i32 s3, s3, s2
	s_mul_i32 s2, s4, s12
	s_cmp_lg_u32 s5, 0
	s_mov_b32 s4, -1
	s_cbranch_scc1 .LBB122_5
; %bb.1:
	s_cmp_gt_i32 s9, 0
	s_cselect_b32 s4, -1, 0
	s_delay_alu instid0(SALU_CYCLE_1) | instskip(NEXT) | instid1(SALU_CYCLE_1)
	s_and_b32 s4, vcc_lo, s4
	s_and_saveexec_b32 s16, s4
	s_cbranch_execz .LBB122_4
; %bb.2:
	s_mov_b32 s4, s15
	s_mov_b32 s15, 0
	v_mov_b32_e32 v1, 0
	s_lshl_b64 s[6:7], s[2:3], 3
	s_lshl_b64 s[18:19], s[14:15], 3
	s_mov_b32 s15, s4
	s_add_u32 s4, s6, s18
	s_addc_u32 s5, s7, s19
	s_add_u32 s4, s4, s22
	v_mov_b32_e32 v2, v1
	s_addc_u32 s5, s5, s23
	s_add_u32 s4, s4, 4
	s_addc_u32 s5, s5, 0
	s_lshl_b64 s[6:7], s[12:13], 3
	s_mov_b32 s13, s9
.LBB122_3:                              ; =>This Inner Loop Header: Depth=1
	s_delay_alu instid0(SALU_CYCLE_1)
	s_add_i32 s13, s13, -1
	global_store_b64 v1, v[1:2], s[4:5] offset:-4
	s_add_u32 s4, s4, s6
	s_addc_u32 s5, s5, s7
	s_cmp_eq_u32 s13, 0
	s_cbranch_scc0 .LBB122_3
.LBB122_4:
	s_or_b32 exec_lo, exec_lo, s16
	s_mov_b32 s4, 0
.LBB122_5:
	s_delay_alu instid0(SALU_CYCLE_1)
	s_and_not1_b32 vcc_lo, exec_lo, s4
	s_cbranch_vccnz .LBB122_76
; %bb.6:
	s_clause 0x4
	s_load_b32 s24, s[0:1], 0x28
	s_load_b32 s26, s[0:1], 0x48
	s_load_b128 s[4:7], s[0:1], 0x30
	s_load_b64 s[28:29], s[0:1], 0x40
	s_load_b128 s[16:19], s[0:1], 0x18
	s_mul_i32 s1, s15, s21
	s_mul_hi_u32 s13, s15, s20
	s_mul_i32 s0, s15, s20
	s_add_i32 s1, s13, s1
	v_and_b32_e32 v29, 31, v0
	s_lshl_b64 s[20:21], s[0:1], 3
	v_mbcnt_lo_u32_b32 v32, -1, 0
	v_lshrrev_b32_e32 v34, 2, v0
	v_or_b32_e64 v28, 0, 4
	s_waitcnt lgkmcnt(0)
	s_ashr_i32 s25, s24, 31
	s_ashr_i32 s27, s26, 31
	s_add_u32 s0, s6, s20
	s_addc_u32 s1, s7, s21
	s_lshl_b64 s[28:29], s[28:29], 3
	s_mul_i32 s5, s15, s5
	s_add_u32 s33, s0, s28
	s_addc_u32 s40, s1, s29
	s_lshl_b64 s[0:1], s[2:3], 3
	s_mul_hi_u32 s13, s15, s4
	s_add_u32 s41, s22, s0
	s_mul_i32 s2, s15, s4
	s_addc_u32 s42, s23, s1
	s_add_i32 s3, s13, s5
	v_cmp_gt_u32_e64 s0, 32, v0
	s_lshl_b64 s[22:23], s[2:3], 3
	v_cmp_gt_u32_e64 s1, 8, v0
	s_add_u32 s2, s16, s22
	s_addc_u32 s3, s17, s23
	s_lshl_b64 s[18:19], s[18:19], 3
	s_delay_alu instid0(SALU_CYCLE_1)
	s_add_u32 s2, s2, s18
	s_addc_u32 s3, s3, s19
	s_lshl_b32 s4, s14, 10
	s_ashr_i32 s5, s8, 31
	v_lshl_or_b32 v5, v0, 2, s4
	s_lshr_b32 s4, s30, 30
	s_lshr_b32 s5, s5, 30
	s_add_i32 s4, s9, s4
	s_add_i32 s5, s8, s5
	v_ashrrev_i32_e32 v6, 31, v5
	s_and_b32 s43, s4, -4
	s_and_b32 s4, s5, -4
	v_add_nc_u32_e32 v35, 4, v5
	s_sub_i32 s13, s8, s4
	v_lshlrev_b64 v[3:4], 3, v[5:6]
	v_or_b32_e32 v33, 1, v5
	v_or_b32_e32 v31, 2, v5
	v_add_nc_u32_e32 v36, s13, v5
	v_or_b32_e32 v30, 3, v5
	s_cmp_lt_i32 s43, 1
	v_add_co_u32 v1, vcc_lo, s2, v3
	v_add_co_ci_u32_e32 v2, vcc_lo, s3, v4, vcc_lo
	s_cbranch_scc1 .LBB122_53
; %bb.7:
	v_cmp_gt_u32_e32 vcc_lo, 16, v32
	v_mad_i64_i32 v[12:13], null, s26, v30, 0
	s_mov_b32 s15, 0
	s_cmp_gt_i32 s13, 0
	v_cndmask_b32_e64 v6, 0, 1, vcc_lo
	v_cmp_gt_u32_e32 vcc_lo, 24, v32
	s_cselect_b32 s44, -1, 0
	s_lshl_b64 s[30:31], s[14:15], 3
	s_delay_alu instid0(VALU_DEP_3) | instskip(SKIP_4) | instid1(VALU_DEP_3)
	v_lshlrev_b64 v[12:13], 3, v[12:13]
	v_dual_mov_b32 v19, v2 :: v_dual_lshlrev_b32 v6, 4, v6
	v_cndmask_b32_e64 v7, 0, 1, vcc_lo
	v_cmp_gt_u32_e32 vcc_lo, 28, v32
	s_add_u32 s45, s41, s30
	v_add_lshl_u32 v37, v6, v32, 2
	s_delay_alu instid0(VALU_DEP_3)
	v_dual_mov_b32 v16, 0 :: v_dual_lshlrev_b32 v7, 3, v7
	v_cndmask_b32_e64 v8, 0, 1, vcc_lo
	v_cmp_gt_u32_e32 vcc_lo, 30, v32
	s_addc_u32 s46, s42, s31
	s_add_u32 s30, s6, s28
	v_add_lshl_u32 v38, v7, v32, 2
	v_lshlrev_b32_e32 v8, 2, v8
	v_cndmask_b32_e64 v9, 0, 1, vcc_lo
	v_cmp_ne_u32_e32 vcc_lo, 31, v32
	v_mad_i64_i32 v[6:7], null, s26, v5, 0
	s_delay_alu instid0(VALU_DEP_4) | instskip(NEXT) | instid1(VALU_DEP_4)
	v_add_lshl_u32 v39, v8, v32, 2
	v_dual_mov_b32 v18, v1 :: v_dual_lshlrev_b32 v9, 1, v9
	v_add_co_ci_u32_e32 v10, vcc_lo, 0, v32, vcc_lo
	s_addc_u32 s31, s7, s29
	s_delay_alu instid0(VALU_DEP_2) | instskip(SKIP_1) | instid1(VALU_DEP_3)
	v_add_lshl_u32 v40, v9, v32, 2
	v_mad_i64_i32 v[8:9], null, s26, v33, 0
	v_lshlrev_b32_e32 v41, 2, v10
	v_mad_i64_i32 v[10:11], null, s26, v31, 0
	v_lshlrev_b64 v[14:15], 3, v[6:7]
	s_add_u32 s30, s30, s20
	s_addc_u32 s31, s31, s21
	s_delay_alu instid0(VALU_DEP_4)
	v_lshlrev_b64 v[8:9], 3, v[8:9]
	v_cmp_ge_i32_e64 s2, s8, v35
	v_cmp_ge_i32_e64 s3, s8, v36
	v_add_co_u32 v6, vcc_lo, s33, v14
	v_lshlrev_b64 v[10:11], 3, v[10:11]
	v_add_co_ci_u32_e32 v7, vcc_lo, s40, v15, vcc_lo
	v_add_co_u32 v8, vcc_lo, s33, v8
	v_add_co_ci_u32_e32 v9, vcc_lo, s40, v9, vcc_lo
	s_delay_alu instid0(VALU_DEP_4)
	v_add_co_u32 v10, vcc_lo, s33, v10
	v_add_co_ci_u32_e32 v11, vcc_lo, s40, v11, vcc_lo
	v_add_co_u32 v12, vcc_lo, s33, v12
	v_add_co_ci_u32_e32 v13, vcc_lo, s40, v13, vcc_lo
	v_add_co_u32 v14, vcc_lo, s30, v14
	v_cmp_eq_u32_e64 s4, 0, v29
	v_lshlrev_b32_e32 v42, 3, v29
	v_and_b32_e32 v43, 56, v34
	v_cmp_eq_u32_e64 s5, 0, v0
	v_add_co_ci_u32_e32 v15, vcc_lo, s31, v15, vcc_lo
	v_or_b32_e64 v44, 0, 4
	s_lshl_b64 s[30:31], s[26:27], 3
	s_mul_hi_i32 s47, s24, 24
	s_mul_i32 s48, s24, 24
	s_lshl_b64 s[34:35], s[24:25], 5
	s_lshl_b64 s[36:37], s[24:25], 3
	;; [unrolled: 1-line block ×3, first 2 shown]
	s_branch .LBB122_9
.LBB122_8:                              ;   in Loop: Header=BB122_9 Depth=1
	s_or_b32 exec_lo, exec_lo, s49
	v_add_co_u32 v18, vcc_lo, v18, s34
	v_add_co_ci_u32_e32 v19, vcc_lo, s35, v19, vcc_lo
	s_add_i32 s15, s15, 4
	s_delay_alu instid0(SALU_CYCLE_1)
	s_cmp_ge_i32 s15, s43
	s_cbranch_scc1 .LBB122_54
.LBB122_9:                              ; =>This Loop Header: Depth=1
                                        ;     Child Loop BB122_40 Depth 2
                                        ;     Child Loop BB122_42 Depth 2
                                        ; implicit-def: $vgpr45
                                        ; implicit-def: $vgpr46
                                        ; implicit-def: $vgpr22
                                        ; implicit-def: $vgpr23
                                        ; implicit-def: $vgpr24
                                        ; implicit-def: $vgpr25
                                        ; implicit-def: $vgpr27
                                        ; implicit-def: $vgpr26
	s_and_saveexec_b32 s49, s2
	s_delay_alu instid0(SALU_CYCLE_1)
	s_xor_b32 s49, exec_lo, s49
	s_cbranch_execnz .LBB122_36
; %bb.10:                               ;   in Loop: Header=BB122_9 Depth=1
	s_and_not1_saveexec_b32 s49, s49
	s_cbranch_execnz .LBB122_37
.LBB122_11:                             ;   in Loop: Header=BB122_9 Depth=1
	s_or_b32 exec_lo, exec_lo, s49
	s_and_saveexec_b32 s49, s0
	s_cbranch_execz .LBB122_13
.LBB122_12:                             ;   in Loop: Header=BB122_9 Depth=1
	v_mov_b32_e32 v17, v16
	ds_store_b64 v42, v[16:17]
.LBB122_13:                             ;   in Loop: Header=BB122_9 Depth=1
	s_or_b32 exec_lo, exec_lo, s49
	ds_bpermute_b32 v17, v37, v45
	ds_bpermute_b32 v20, v37, v46
	s_waitcnt lgkmcnt(0)
	s_waitcnt_vscnt null, 0x0
	s_barrier
	buffer_gl0_inv
	v_dual_add_f32 v17, v45, v17 :: v_dual_add_f32 v20, v46, v20
	ds_bpermute_b32 v21, v38, v17
	ds_bpermute_b32 v45, v38, v20
	s_waitcnt lgkmcnt(1)
	v_add_f32_e32 v17, v17, v21
	s_waitcnt lgkmcnt(0)
	v_add_f32_e32 v20, v20, v45
	ds_bpermute_b32 v21, v39, v17
	ds_bpermute_b32 v45, v39, v20
	s_waitcnt lgkmcnt(1)
	v_add_f32_e32 v17, v17, v21
	s_waitcnt lgkmcnt(0)
	v_add_f32_e32 v20, v20, v45
	;; [unrolled: 6-line block ×3, first 2 shown]
	ds_bpermute_b32 v21, v41, v17
	ds_bpermute_b32 v45, v41, v20
	s_and_saveexec_b32 s49, s4
	s_cbranch_execz .LBB122_15
; %bb.14:                               ;   in Loop: Header=BB122_9 Depth=1
	s_waitcnt lgkmcnt(0)
	v_add_f32_e32 v46, v20, v45
	v_add_f32_e32 v45, v17, v21
	ds_store_b64 v43, v[45:46]
.LBB122_15:                             ;   in Loop: Header=BB122_9 Depth=1
	s_or_b32 exec_lo, exec_lo, s49
	s_waitcnt lgkmcnt(1)
	v_dual_mov_b32 v21, 0 :: v_dual_mov_b32 v20, 0
	s_waitcnt lgkmcnt(0)
	s_barrier
	buffer_gl0_inv
	s_and_saveexec_b32 s49, s1
	s_cbranch_execnz .LBB122_44
; %bb.16:                               ;   in Loop: Header=BB122_9 Depth=1
	s_or_b32 exec_lo, exec_lo, s49
	s_and_saveexec_b32 s49, s0
	s_cbranch_execnz .LBB122_45
.LBB122_17:                             ;   in Loop: Header=BB122_9 Depth=1
	s_or_b32 exec_lo, exec_lo, s49
	s_and_saveexec_b32 s49, s0
	s_cbranch_execz .LBB122_19
.LBB122_18:                             ;   in Loop: Header=BB122_9 Depth=1
	v_mov_b32_e32 v17, v16
	ds_store_b64 v42, v[16:17]
.LBB122_19:                             ;   in Loop: Header=BB122_9 Depth=1
	s_or_b32 exec_lo, exec_lo, s49
	ds_bpermute_b32 v17, v37, v22
	ds_bpermute_b32 v45, v37, v23
	s_waitcnt lgkmcnt(0)
	s_barrier
	buffer_gl0_inv
	v_add_f32_e32 v17, v22, v17
	v_add_f32_e32 v22, v23, v45
	ds_bpermute_b32 v23, v38, v17
	s_waitcnt lgkmcnt(0)
	v_add_f32_e32 v17, v17, v23
	ds_bpermute_b32 v45, v38, v22
	ds_bpermute_b32 v23, v39, v17
	s_waitcnt lgkmcnt(0)
	v_dual_add_f32 v22, v22, v45 :: v_dual_add_f32 v17, v17, v23
	ds_bpermute_b32 v45, v39, v22
	ds_bpermute_b32 v23, v40, v17
	s_waitcnt lgkmcnt(0)
	v_dual_add_f32 v22, v22, v45 :: v_dual_add_f32 v17, v17, v23
	ds_bpermute_b32 v45, v40, v22
	ds_bpermute_b32 v23, v41, v17
	s_waitcnt lgkmcnt(1)
	v_add_f32_e32 v22, v22, v45
	ds_bpermute_b32 v45, v41, v22
	s_and_saveexec_b32 s49, s4
	s_cbranch_execz .LBB122_21
; %bb.20:                               ;   in Loop: Header=BB122_9 Depth=1
	s_waitcnt lgkmcnt(0)
	v_dual_add_f32 v46, v22, v45 :: v_dual_add_f32 v45, v17, v23
	ds_store_b64 v43, v[45:46]
.LBB122_21:                             ;   in Loop: Header=BB122_9 Depth=1
	s_or_b32 exec_lo, exec_lo, s49
	s_waitcnt lgkmcnt(1)
	v_dual_mov_b32 v23, 0 :: v_dual_mov_b32 v22, 0
	s_waitcnt lgkmcnt(0)
	s_barrier
	buffer_gl0_inv
	s_and_saveexec_b32 s49, s1
	s_cbranch_execnz .LBB122_46
; %bb.22:                               ;   in Loop: Header=BB122_9 Depth=1
	s_or_b32 exec_lo, exec_lo, s49
	s_and_saveexec_b32 s49, s0
	s_cbranch_execnz .LBB122_47
.LBB122_23:                             ;   in Loop: Header=BB122_9 Depth=1
	s_or_b32 exec_lo, exec_lo, s49
	s_and_saveexec_b32 s49, s0
	s_cbranch_execz .LBB122_25
.LBB122_24:                             ;   in Loop: Header=BB122_9 Depth=1
	v_mov_b32_e32 v17, v16
	ds_store_b64 v42, v[16:17]
.LBB122_25:                             ;   in Loop: Header=BB122_9 Depth=1
	s_or_b32 exec_lo, exec_lo, s49
	ds_bpermute_b32 v17, v37, v24
	ds_bpermute_b32 v45, v37, v25
	s_waitcnt lgkmcnt(0)
	s_barrier
	buffer_gl0_inv
	v_add_f32_e32 v17, v24, v17
	v_add_f32_e32 v24, v25, v45
	ds_bpermute_b32 v25, v38, v17
	ds_bpermute_b32 v45, v38, v24
	s_waitcnt lgkmcnt(1)
	v_add_f32_e32 v17, v17, v25
	s_waitcnt lgkmcnt(0)
	v_add_f32_e32 v24, v24, v45
	ds_bpermute_b32 v25, v39, v17
	ds_bpermute_b32 v45, v39, v24
	s_waitcnt lgkmcnt(1)
	v_add_f32_e32 v17, v17, v25
	s_waitcnt lgkmcnt(0)
	;; [unrolled: 6-line block ×3, first 2 shown]
	v_add_f32_e32 v24, v24, v45
	ds_bpermute_b32 v25, v41, v17
	ds_bpermute_b32 v45, v41, v24
	s_and_saveexec_b32 s49, s4
	s_cbranch_execz .LBB122_27
; %bb.26:                               ;   in Loop: Header=BB122_9 Depth=1
	s_waitcnt lgkmcnt(0)
	v_add_f32_e32 v46, v24, v45
	v_add_f32_e32 v45, v17, v25
	ds_store_b64 v43, v[45:46]
.LBB122_27:                             ;   in Loop: Header=BB122_9 Depth=1
	s_or_b32 exec_lo, exec_lo, s49
	s_waitcnt lgkmcnt(1)
	v_dual_mov_b32 v25, 0 :: v_dual_mov_b32 v24, 0
	s_waitcnt lgkmcnt(0)
	s_barrier
	buffer_gl0_inv
	s_and_saveexec_b32 s49, s1
	s_cbranch_execnz .LBB122_48
; %bb.28:                               ;   in Loop: Header=BB122_9 Depth=1
	s_or_b32 exec_lo, exec_lo, s49
	s_and_saveexec_b32 s49, s0
	s_cbranch_execnz .LBB122_49
.LBB122_29:                             ;   in Loop: Header=BB122_9 Depth=1
	s_or_b32 exec_lo, exec_lo, s49
	s_and_saveexec_b32 s49, s0
	s_cbranch_execz .LBB122_31
.LBB122_30:                             ;   in Loop: Header=BB122_9 Depth=1
	v_mov_b32_e32 v17, v16
	ds_store_b64 v42, v[16:17]
.LBB122_31:                             ;   in Loop: Header=BB122_9 Depth=1
	s_or_b32 exec_lo, exec_lo, s49
	ds_bpermute_b32 v17, v37, v27
	ds_bpermute_b32 v45, v37, v26
	s_waitcnt lgkmcnt(0)
	s_barrier
	buffer_gl0_inv
	v_add_f32_e32 v17, v27, v17
	ds_bpermute_b32 v27, v38, v17
	s_waitcnt lgkmcnt(0)
	v_dual_add_f32 v26, v26, v45 :: v_dual_add_f32 v17, v17, v27
	ds_bpermute_b32 v45, v38, v26
	ds_bpermute_b32 v27, v39, v17
	s_waitcnt lgkmcnt(0)
	v_dual_add_f32 v26, v26, v45 :: v_dual_add_f32 v17, v17, v27
	ds_bpermute_b32 v45, v39, v26
	;; [unrolled: 4-line block ×3, first 2 shown]
	ds_bpermute_b32 v27, v41, v17
	s_waitcnt lgkmcnt(1)
	v_add_f32_e32 v26, v26, v45
	ds_bpermute_b32 v45, v41, v26
	s_and_saveexec_b32 s49, s4
	s_cbranch_execz .LBB122_33
; %bb.32:                               ;   in Loop: Header=BB122_9 Depth=1
	s_waitcnt lgkmcnt(0)
	v_dual_add_f32 v46, v26, v45 :: v_dual_add_f32 v45, v17, v27
	ds_store_b64 v43, v[45:46]
.LBB122_33:                             ;   in Loop: Header=BB122_9 Depth=1
	s_or_b32 exec_lo, exec_lo, s49
	s_waitcnt lgkmcnt(1)
	v_dual_mov_b32 v27, 0 :: v_dual_mov_b32 v26, 0
	s_waitcnt lgkmcnt(0)
	s_barrier
	buffer_gl0_inv
	s_and_saveexec_b32 s49, s1
	s_cbranch_execnz .LBB122_50
; %bb.34:                               ;   in Loop: Header=BB122_9 Depth=1
	s_or_b32 exec_lo, exec_lo, s49
	s_and_saveexec_b32 s49, s0
	s_cbranch_execnz .LBB122_51
.LBB122_35:                             ;   in Loop: Header=BB122_9 Depth=1
	s_or_b32 exec_lo, exec_lo, s49
	s_and_saveexec_b32 s49, s5
	s_cbranch_execz .LBB122_8
	s_branch .LBB122_52
.LBB122_36:                             ;   in Loop: Header=BB122_9 Depth=1
	s_mul_i32 s51, s15, s25
	s_mul_hi_u32 s52, s15, s24
	s_mul_i32 s50, s15, s24
	s_add_i32 s51, s52, s51
	s_clause 0x3
	global_load_b64 v[47:48], v[6:7], off
	global_load_b64 v[49:50], v[8:9], off
	;; [unrolled: 1-line block ×4, first 2 shown]
	s_lshl_b64 s[50:51], s[50:51], 3
	s_delay_alu instid0(SALU_CYCLE_1)
	v_add_co_u32 v24, vcc_lo, v1, s50
	s_or_b32 s50, s15, 1
	v_add_co_ci_u32_e32 v25, vcc_lo, s51, v2, vcc_lo
	s_mul_i32 s51, s50, s25
	s_mul_hi_u32 s52, s50, s24
	s_mul_i32 s50, s50, s24
	s_add_i32 s51, s52, s51
	s_or_b32 s52, s15, 2
	s_lshl_b64 s[50:51], s[50:51], 3
	s_mul_i32 s53, s52, s25
	s_mul_hi_u32 s54, s52, s24
	v_add_co_u32 v45, vcc_lo, v1, s50
	v_add_co_ci_u32_e32 v46, vcc_lo, s51, v2, vcc_lo
	s_add_i32 s51, s54, s53
	s_or_b32 s54, s15, 3
	s_mul_i32 s50, s52, s24
	s_mul_i32 s52, s54, s25
	s_mul_hi_u32 s53, s54, s24
	s_lshl_b64 s[50:51], s[50:51], 3
	global_load_b128 v[20:23], v[24:25], off offset:16
	s_waitcnt lgkmcnt(0)
	global_load_b128 v[24:27], v[24:25], off
	s_add_i32 s53, s53, s52
	s_mul_i32 s52, s54, s24
	v_add_co_u32 v71, vcc_lo, v1, s50
	v_add_co_ci_u32_e32 v72, vcc_lo, s51, v2, vcc_lo
	s_lshl_b64 s[50:51], s[52:53], 3
	s_delay_alu instid0(SALU_CYCLE_1)
	v_add_co_u32 v75, vcc_lo, v1, s50
	v_add_co_ci_u32_e32 v76, vcc_lo, s51, v2, vcc_lo
	s_clause 0x5
	global_load_b128 v[55:58], v[45:46], off
	global_load_b128 v[59:62], v[71:72], off
	;; [unrolled: 1-line block ×3, first 2 shown]
	global_load_b128 v[67:70], v[45:46], off offset:16
	global_load_b128 v[71:74], v[71:72], off offset:16
	;; [unrolled: 1-line block ×3, first 2 shown]
	s_waitcnt vmcnt(10)
	scratch_store_b128 off, v[47:50], off
	s_waitcnt vmcnt(8)
	scratch_store_b128 off, v[51:54], off offset:16
	s_waitcnt vmcnt(7)
	v_mul_f32_e32 v79, v54, v23
	s_waitcnt vmcnt(6)
	v_mul_f32_e32 v17, v48, v25
	v_mul_f32_e32 v25, v47, v25
	v_dual_mul_f32 v45, v50, v27 :: v_dual_mul_f32 v46, v52, v21
	v_mul_f32_e32 v27, v49, v27
	v_mul_f32_e32 v23, v53, v23
	s_waitcnt vmcnt(5)
	v_dual_mul_f32 v21, v51, v21 :: v_dual_mul_f32 v80, v48, v56
	v_mul_f32_e32 v56, v47, v56
	s_waitcnt vmcnt(3)
	v_mul_f32_e32 v82, v48, v64
	v_mul_f32_e32 v81, v48, v60
	;; [unrolled: 1-line block ×3, first 2 shown]
	v_fma_f32 v17, v47, v24, -v17
	v_dual_mul_f32 v64, v47, v64 :: v_dual_mul_f32 v83, v50, v58
	s_waitcnt vmcnt(2)
	v_mul_f32_e32 v86, v52, v68
	v_mul_f32_e32 v58, v49, v58
	;; [unrolled: 1-line block ×3, first 2 shown]
	s_waitcnt vmcnt(1)
	v_dual_mul_f32 v62, v49, v62 :: v_dual_mul_f32 v87, v52, v72
	v_dual_mul_f32 v85, v50, v66 :: v_dual_mul_f32 v68, v51, v68
	v_dual_mul_f32 v66, v49, v66 :: v_dual_fmac_f32 v25, v48, v24
	v_dual_mul_f32 v90, v54, v74 :: v_dual_add_f32 v17, 0, v17
	v_fma_f32 v24, v49, v26, -v45
	v_dual_fmac_f32 v23, v54, v22 :: v_dual_fmac_f32 v56, v48, v55
	v_fma_f32 v45, v47, v59, -v81
	s_delay_alu instid0(VALU_DEP_3)
	v_dual_fmac_f32 v60, v48, v59 :: v_dual_add_f32 v17, v17, v24
	v_dual_mul_f32 v72, v51, v72 :: v_dual_mul_f32 v89, v54, v70
	s_waitcnt vmcnt(0)
	v_dual_mul_f32 v88, v52, v76 :: v_dual_mul_f32 v91, v54, v78
	v_dual_mul_f32 v76, v51, v76 :: v_dual_fmac_f32 v27, v50, v26
	v_dual_mul_f32 v70, v53, v70 :: v_dual_fmac_f32 v21, v52, v20
	v_dual_mul_f32 v74, v53, v74 :: v_dual_add_f32 v25, 0, v25
	v_dual_mul_f32 v78, v53, v78 :: v_dual_add_f32 v45, 0, v45
	v_fma_f32 v26, v51, v20, -v46
	v_fma_f32 v20, v53, v22, -v79
	;; [unrolled: 1-line block ×5, first 2 shown]
	v_add_f32_e32 v56, 0, v56
	v_fmac_f32_e32 v62, v50, v61
	v_add_f32_e32 v60, 0, v60
	v_fmac_f32_e32 v58, v50, v57
	v_fma_f32 v57, v49, v61, -v84
	v_fmac_f32_e32 v64, v48, v63
	v_fma_f32 v59, v49, v65, -v85
	v_dual_fmac_f32 v66, v50, v65 :: v_dual_add_f32 v17, v17, v26
	v_add_f32_e32 v46, 0, v46
	v_add_f32_e32 v24, v25, v27
	v_dual_add_f32 v22, 0, v22 :: v_dual_add_f32 v27, v45, v57
	v_add_f32_e32 v64, 0, v64
	v_fma_f32 v61, v51, v67, -v86
	s_delay_alu instid0(VALU_DEP_4)
	v_add_f32_e32 v21, v24, v21
	v_fma_f32 v63, v51, v71, -v87
	v_fma_f32 v65, v51, v75, -v88
	v_fmac_f32_e32 v76, v52, v75
	v_fmac_f32_e32 v70, v54, v69
	v_dual_add_f32 v22, v22, v55 :: v_dual_add_f32 v55, v64, v66
	v_fmac_f32_e32 v72, v52, v71
	v_add_f32_e32 v45, v60, v62
	v_dual_add_f32 v25, v56, v58 :: v_dual_add_f32 v46, v46, v59
	s_delay_alu instid0(VALU_DEP_4)
	v_dual_add_f32 v55, v55, v76 :: v_dual_fmac_f32 v68, v52, v67
	v_fma_f32 v67, v53, v69, -v89
	v_fma_f32 v69, v53, v73, -v90
	v_fmac_f32_e32 v74, v54, v73
	v_fma_f32 v71, v53, v77, -v91
	v_add_f32_e32 v22, v22, v61
	v_dual_add_f32 v24, v25, v68 :: v_dual_add_f32 v25, v27, v63
	v_fmac_f32_e32 v78, v54, v77
	v_dual_add_f32 v26, v45, v72 :: v_dual_add_f32 v27, v46, v65
	v_add_f32_e32 v45, v17, v20
	s_delay_alu instid0(VALU_DEP_4) | instskip(SKIP_1) | instid1(VALU_DEP_4)
	v_dual_add_f32 v46, v21, v23 :: v_dual_add_f32 v23, v24, v70
	v_add_f32_e32 v22, v22, v67
	v_dual_add_f32 v24, v25, v69 :: v_dual_add_f32 v25, v26, v74
	v_add_f32_e32 v27, v27, v71
	v_add_f32_e32 v26, v55, v78
	s_and_not1_saveexec_b32 s49, s49
	s_cbranch_execz .LBB122_11
.LBB122_37:                             ;   in Loop: Header=BB122_9 Depth=1
	v_dual_mov_b32 v45, 0 :: v_dual_mov_b32 v46, 0
	v_dual_mov_b32 v22, 0 :: v_dual_mov_b32 v23, 0
	;; [unrolled: 1-line block ×3, first 2 shown]
	s_waitcnt lgkmcnt(0)
	v_dual_mov_b32 v27, 0 :: v_dual_mov_b32 v26, 0
	s_and_saveexec_b32 s50, s3
	s_cbranch_execz .LBB122_43
; %bb.38:                               ;   in Loop: Header=BB122_9 Depth=1
	v_dual_mov_b32 v45, 0 :: v_dual_mov_b32 v46, 0
	v_dual_mov_b32 v22, 0 :: v_dual_mov_b32 v23, 0
	;; [unrolled: 1-line block ×4, first 2 shown]
	s_and_not1_b32 vcc_lo, exec_lo, s44
	s_cbranch_vccnz .LBB122_43
; %bb.39:                               ;   in Loop: Header=BB122_9 Depth=1
	v_mov_b32_e32 v21, v15
	v_dual_mov_b32 v17, 0 :: v_dual_mov_b32 v20, v14
	s_mov_b32 s51, s13
.LBB122_40:                             ;   Parent Loop BB122_9 Depth=1
                                        ; =>  This Inner Loop Header: Depth=2
	global_load_b64 v[22:23], v[20:21], off
	v_add_co_u32 v20, vcc_lo, v20, s30
	v_add_co_ci_u32_e32 v21, vcc_lo, s31, v21, vcc_lo
	s_add_i32 s51, s51, -1
	s_delay_alu instid0(SALU_CYCLE_1)
	s_cmp_eq_u32 s51, 0
	s_waitcnt vmcnt(0)
	scratch_store_b64 v17, v[22:23], off
	v_add_nc_u32_e32 v17, 8, v17
	s_cbranch_scc0 .LBB122_40
; %bb.41:                               ;   in Loop: Header=BB122_9 Depth=1
	v_dual_mov_b32 v26, 0 :: v_dual_mov_b32 v21, v19
	v_dual_mov_b32 v20, v18 :: v_dual_mov_b32 v17, v44
	;; [unrolled: 1-line block ×5, first 2 shown]
	v_mov_b32_e32 v45, 0
	s_mov_b32 s51, s13
.LBB122_42:                             ;   Parent Loop BB122_9 Depth=1
                                        ; =>  This Inner Loop Header: Depth=2
	v_add_co_u32 v51, vcc_lo, v20, s36
	v_add_co_ci_u32_e32 v52, vcc_lo, s37, v21, vcc_lo
	v_add_co_u32 v53, vcc_lo, v20, s38
	scratch_load_b64 v[47:48], v17, off offset:-4
	global_load_b64 v[49:50], v[20:21], off
	v_add_co_ci_u32_e32 v54, vcc_lo, s39, v21, vcc_lo
	v_add_co_u32 v55, vcc_lo, v20, s48
	v_add_co_ci_u32_e32 v56, vcc_lo, s47, v21, vcc_lo
	s_clause 0x2
	global_load_b64 v[51:52], v[51:52], off
	global_load_b64 v[53:54], v[53:54], off
	;; [unrolled: 1-line block ×3, first 2 shown]
	v_add_nc_u32_e32 v17, 8, v17
	v_add_co_u32 v20, vcc_lo, v20, 8
	v_add_co_ci_u32_e32 v21, vcc_lo, 0, v21, vcc_lo
	s_add_i32 s51, s51, -1
	s_delay_alu instid0(SALU_CYCLE_1) | instskip(SKIP_3) | instid1(VALU_DEP_2)
	s_cmp_lg_u32 s51, 0
	s_waitcnt vmcnt(3)
	v_mul_f32_e32 v57, v48, v50
	v_mul_f32_e32 v50, v47, v50
	v_fma_f32 v57, v47, v49, -v57
	s_delay_alu instid0(VALU_DEP_2)
	v_fmac_f32_e32 v50, v48, v49
	s_waitcnt vmcnt(2)
	v_mul_f32_e32 v49, v48, v52
	v_mul_f32_e32 v52, v47, v52
	s_waitcnt vmcnt(1)
	v_dual_mul_f32 v58, v48, v54 :: v_dual_add_f32 v45, v45, v57
	v_mul_f32_e32 v54, v47, v54
	v_fma_f32 v49, v47, v51, -v49
	v_fmac_f32_e32 v52, v48, v51
	s_delay_alu instid0(VALU_DEP_3) | instskip(NEXT) | instid1(VALU_DEP_2)
	v_fmac_f32_e32 v54, v48, v53
	v_dual_add_f32 v22, v22, v49 :: v_dual_add_f32 v23, v23, v52
	s_waitcnt vmcnt(0)
	v_dual_mul_f32 v59, v48, v56 :: v_dual_add_f32 v46, v46, v50
	v_mul_f32_e32 v56, v47, v56
	v_fma_f32 v50, v47, v53, -v58
	s_delay_alu instid0(VALU_DEP_3) | instskip(NEXT) | instid1(VALU_DEP_1)
	v_fma_f32 v47, v47, v55, -v59
	v_dual_add_f32 v24, v24, v50 :: v_dual_add_f32 v27, v27, v47
	s_delay_alu instid0(VALU_DEP_4) | instskip(NEXT) | instid1(VALU_DEP_1)
	v_dual_add_f32 v25, v25, v54 :: v_dual_fmac_f32 v56, v48, v55
	v_add_f32_e32 v26, v26, v56
	s_cbranch_scc1 .LBB122_42
.LBB122_43:                             ;   in Loop: Header=BB122_9 Depth=1
	s_or_b32 exec_lo, exec_lo, s50
	s_delay_alu instid0(SALU_CYCLE_1)
	s_or_b32 exec_lo, exec_lo, s49
	s_and_saveexec_b32 s49, s0
	s_cbranch_execnz .LBB122_12
	s_branch .LBB122_13
.LBB122_44:                             ;   in Loop: Header=BB122_9 Depth=1
	ds_load_b64 v[20:21], v42
	s_or_b32 exec_lo, exec_lo, s49
	s_and_saveexec_b32 s49, s0
	s_cbranch_execz .LBB122_17
.LBB122_45:                             ;   in Loop: Header=BB122_9 Depth=1
	s_waitcnt lgkmcnt(0)
	ds_bpermute_b32 v17, v39, v20
	ds_bpermute_b32 v45, v39, v21
	s_waitcnt lgkmcnt(1)
	v_add_f32_e32 v17, v20, v17
	s_waitcnt lgkmcnt(0)
	v_add_f32_e32 v20, v21, v45
	ds_bpermute_b32 v21, v40, v17
	ds_bpermute_b32 v45, v40, v20
	s_waitcnt lgkmcnt(1)
	v_add_f32_e32 v17, v17, v21
	s_waitcnt lgkmcnt(0)
	v_add_f32_e32 v21, v20, v45
	ds_bpermute_b32 v20, v41, v17
	s_waitcnt lgkmcnt(0)
	v_add_f32_e32 v20, v17, v20
	ds_bpermute_b32 v45, v41, v21
	s_waitcnt lgkmcnt(0)
	v_add_f32_e32 v21, v21, v45
	s_or_b32 exec_lo, exec_lo, s49
	s_and_saveexec_b32 s49, s0
	s_cbranch_execnz .LBB122_18
	s_branch .LBB122_19
.LBB122_46:                             ;   in Loop: Header=BB122_9 Depth=1
	ds_load_b64 v[22:23], v42
	s_or_b32 exec_lo, exec_lo, s49
	s_and_saveexec_b32 s49, s0
	s_cbranch_execz .LBB122_23
.LBB122_47:                             ;   in Loop: Header=BB122_9 Depth=1
	s_waitcnt lgkmcnt(0)
	ds_bpermute_b32 v17, v39, v22
	ds_bpermute_b32 v45, v39, v23
	s_waitcnt lgkmcnt(1)
	v_add_f32_e32 v17, v22, v17
	s_waitcnt lgkmcnt(0)
	v_add_f32_e32 v22, v23, v45
	ds_bpermute_b32 v23, v40, v17
	s_waitcnt lgkmcnt(0)
	v_add_f32_e32 v17, v17, v23
	ds_bpermute_b32 v45, v40, v22
	s_waitcnt lgkmcnt(0)
	v_add_f32_e32 v23, v22, v45
	ds_bpermute_b32 v22, v41, v17
	s_waitcnt lgkmcnt(0)
	v_add_f32_e32 v22, v17, v22
	ds_bpermute_b32 v45, v41, v23
	s_waitcnt lgkmcnt(0)
	v_add_f32_e32 v23, v23, v45
	s_or_b32 exec_lo, exec_lo, s49
	s_and_saveexec_b32 s49, s0
	s_cbranch_execnz .LBB122_24
	s_branch .LBB122_25
.LBB122_48:                             ;   in Loop: Header=BB122_9 Depth=1
	ds_load_b64 v[24:25], v42
	s_or_b32 exec_lo, exec_lo, s49
	s_and_saveexec_b32 s49, s0
	s_cbranch_execz .LBB122_29
.LBB122_49:                             ;   in Loop: Header=BB122_9 Depth=1
	s_waitcnt lgkmcnt(0)
	ds_bpermute_b32 v17, v39, v24
	ds_bpermute_b32 v45, v39, v25
	s_waitcnt lgkmcnt(1)
	v_add_f32_e32 v17, v24, v17
	s_waitcnt lgkmcnt(0)
	v_add_f32_e32 v24, v25, v45
	ds_bpermute_b32 v25, v40, v17
	ds_bpermute_b32 v45, v40, v24
	s_waitcnt lgkmcnt(1)
	v_add_f32_e32 v17, v17, v25
	s_waitcnt lgkmcnt(0)
	v_add_f32_e32 v25, v24, v45
	ds_bpermute_b32 v24, v41, v17
	s_waitcnt lgkmcnt(0)
	v_add_f32_e32 v24, v17, v24
	ds_bpermute_b32 v45, v41, v25
	s_waitcnt lgkmcnt(0)
	v_add_f32_e32 v25, v25, v45
	s_or_b32 exec_lo, exec_lo, s49
	s_and_saveexec_b32 s49, s0
	s_cbranch_execnz .LBB122_30
	s_branch .LBB122_31
.LBB122_50:                             ;   in Loop: Header=BB122_9 Depth=1
	ds_load_b64 v[26:27], v42
	s_or_b32 exec_lo, exec_lo, s49
	s_and_saveexec_b32 s49, s0
	s_cbranch_execz .LBB122_35
.LBB122_51:                             ;   in Loop: Header=BB122_9 Depth=1
	s_waitcnt lgkmcnt(0)
	ds_bpermute_b32 v17, v39, v26
	ds_bpermute_b32 v45, v39, v27
	s_waitcnt lgkmcnt(1)
	v_add_f32_e32 v17, v26, v17
	s_waitcnt lgkmcnt(0)
	v_add_f32_e32 v26, v27, v45
	ds_bpermute_b32 v27, v40, v17
	s_waitcnt lgkmcnt(0)
	v_add_f32_e32 v17, v17, v27
	ds_bpermute_b32 v45, v40, v26
	;; [unrolled: 3-line block ×4, first 2 shown]
	s_waitcnt lgkmcnt(0)
	v_add_f32_e32 v27, v27, v45
	s_or_b32 exec_lo, exec_lo, s49
	s_and_saveexec_b32 s49, s5
	s_cbranch_execz .LBB122_8
.LBB122_52:                             ;   in Loop: Header=BB122_9 Depth=1
	v_mul_f32_e32 v46, s10, v21
	v_mul_f32_e32 v17, s11, v21
	s_mul_hi_u32 s51, s15, s12
	s_mul_i32 s50, s15, s12
	s_delay_alu instid0(VALU_DEP_2)
	v_dual_mul_f32 v21, s10, v23 :: v_dual_fmac_f32 v46, s11, v20
	s_lshl_b64 s[50:51], s[50:51], 3
	v_fma_f32 v45, v20, s10, -v17
	s_add_u32 s50, s45, s50
	s_addc_u32 s51, s46, s51
	v_mul_f32_e32 v17, s11, v23
	v_mul_f32_e32 v23, s10, v25
	global_store_b64 v16, v[45:46], s[50:51]
	s_or_b32 s50, s15, 1
	v_fmac_f32_e32 v21, s11, v22
	s_mul_hi_u32 s51, s50, s12
	s_mul_i32 s50, s50, s12
	v_fma_f32 v20, v22, s10, -v17
	s_lshl_b64 s[50:51], s[50:51], 3
	v_mul_f32_e32 v17, s11, v25
	s_add_u32 s50, s45, s50
	s_addc_u32 s51, s46, s51
	s_or_b32 s52, s15, 2
	s_waitcnt lgkmcnt(0)
	v_mul_f32_e32 v25, s10, v27
	s_mul_hi_u32 s53, s52, s12
	s_mul_i32 s52, s52, s12
	v_fma_f32 v22, v24, s10, -v17
	s_lshl_b64 s[52:53], s[52:53], 3
	v_mul_f32_e32 v17, s11, v27
	s_add_u32 s52, s45, s52
	s_addc_u32 s53, s46, s53
	s_or_b32 s54, s15, 3
	v_fmac_f32_e32 v23, s11, v24
	s_mul_hi_u32 s55, s54, s12
	s_mul_i32 s54, s54, s12
	v_fma_f32 v24, v26, s10, -v17
	v_fmac_f32_e32 v25, s11, v26
	s_lshl_b64 s[54:55], s[54:55], 3
	global_store_b64 v16, v[20:21], s[50:51]
	s_add_u32 s50, s45, s54
	s_addc_u32 s51, s46, s55
	s_clause 0x1
	global_store_b64 v16, v[22:23], s[52:53]
	global_store_b64 v16, v[24:25], s[50:51]
	s_branch .LBB122_8
.LBB122_53:
	s_mov_b32 s15, 0
.LBB122_54:
	s_delay_alu instid0(SALU_CYCLE_1)
	s_cmp_ge_i32 s15, s9
	s_cbranch_scc1 .LBB122_76
; %bb.55:
	v_cmp_gt_u32_e64 s1, 16, v32
	v_mad_i64_i32 v[15:16], null, s26, v30, 0
	v_cmp_ge_i32_e64 s4, s8, v36
	s_cmp_gt_i32 s13, 0
	s_delay_alu instid0(VALU_DEP_3)
	v_cndmask_b32_e64 v6, 0, 1, s1
	v_cmp_gt_u32_e64 s1, 24, v32
	s_mov_b32 s31, 0
	s_mov_b32 s30, s14
	s_cselect_b32 s34, -1, 0
	v_lshlrev_b32_e32 v6, 4, v6
	v_cndmask_b32_e64 v7, 0, 1, s1
	v_cmp_gt_u32_e64 s1, 28, v32
	s_lshl_b64 s[30:31], s[30:31], 3
	v_cmp_ge_i32_e32 vcc_lo, s8, v35
	v_add_lshl_u32 v19, v6, v32, 2
	v_lshlrev_b32_e32 v7, 3, v7
	v_cndmask_b32_e64 v8, 0, 1, s1
	v_cmp_gt_u32_e64 s1, 30, v32
	s_add_u32 s8, s41, s30
	s_addc_u32 s14, s42, s31
	v_add_lshl_u32 v20, v7, v32, 2
	v_lshlrev_b32_e32 v8, 2, v8
	v_cndmask_b32_e64 v9, 0, 1, s1
	v_cmp_ne_u32_e64 s1, 31, v32
	v_mad_i64_i32 v[6:7], null, s26, v5, 0
	s_delay_alu instid0(VALU_DEP_4) | instskip(NEXT) | instid1(VALU_DEP_4)
	v_add_lshl_u32 v21, v8, v32, 2
	v_lshlrev_b32_e32 v9, 1, v9
	s_delay_alu instid0(VALU_DEP_4) | instskip(SKIP_2) | instid1(VALU_DEP_4)
	v_add_co_ci_u32_e64 v10, s1, 0, v32, s1
	v_cmp_gt_u32_e64 s0, 32, v0
	v_lshlrev_b32_e32 v18, 3, v29
	v_add_lshl_u32 v22, v9, v32, 2
	v_mad_i64_i32 v[8:9], null, s26, v33, 0
	v_lshlrev_b32_e32 v23, 2, v10
	v_mad_i64_i32 v[10:11], null, s26, v31, 0
	v_lshlrev_b64 v[13:14], 3, v[6:7]
	v_cmp_eq_u32_e64 s1, 0, v29
	v_and_b32_e32 v24, 56, v34
	v_lshlrev_b64 v[7:8], 3, v[8:9]
	v_cmp_gt_u32_e64 s2, 8, v0
	v_cmp_eq_u32_e64 s3, 0, v0
	v_add_co_u32 v5, s5, s33, v13
	v_lshlrev_b64 v[9:10], 3, v[10:11]
	v_add_co_ci_u32_e64 v6, s5, s40, v14, s5
	v_add_co_u32 v7, s5, s33, v7
	v_lshlrev_b64 v[11:12], 3, v[15:16]
	v_mov_b32_e32 v15, 0
	v_add_co_ci_u32_e64 v8, s5, s40, v8, s5
	v_add_co_u32 v9, s5, s33, v9
	s_delay_alu instid0(VALU_DEP_1) | instskip(SKIP_1) | instid1(VALU_DEP_1)
	v_add_co_ci_u32_e64 v10, s5, s40, v10, s5
	v_add_co_u32 v11, s5, s33, v11
	v_add_co_ci_u32_e64 v12, s5, s40, v12, s5
	s_and_b32 s5, s34, s4
	s_add_u32 s4, s6, s28
	s_addc_u32 s6, s7, s29
	s_add_u32 s4, s4, s20
	s_mul_i32 s7, s25, s15
	s_mul_hi_u32 s20, s24, s15
	s_addc_u32 s21, s6, s21
	s_add_i32 s7, s20, s7
	s_mul_i32 s6, s24, s15
	v_add_co_u32 v13, s4, s4, v13
	s_delay_alu instid0(VALU_DEP_1)
	v_add_co_ci_u32_e64 v14, s4, s21, v14, s4
	s_lshl_b64 s[20:21], s[6:7], 3
	s_lshl_b64 s[6:7], s[26:27], 3
	s_add_u32 s4, s22, s20
	s_addc_u32 s20, s23, s21
	s_add_u32 s4, s4, s18
	s_addc_u32 s18, s20, s19
	;; [unrolled: 2-line block ×3, first 2 shown]
	v_add_co_u32 v3, s4, s4, v3
	s_delay_alu instid0(VALU_DEP_1)
	v_add_co_ci_u32_e64 v4, s4, s16, v4, s4
	s_lshl_b64 s[16:17], s[24:25], 3
	s_branch .LBB122_57
.LBB122_56:                             ;   in Loop: Header=BB122_57 Depth=1
	s_or_b32 exec_lo, exec_lo, s4
	v_add_co_u32 v3, s4, v3, s16
	s_delay_alu instid0(VALU_DEP_1) | instskip(SKIP_1) | instid1(SALU_CYCLE_1)
	v_add_co_ci_u32_e64 v4, s4, s17, v4, s4
	s_add_i32 s15, s15, 1
	s_cmp_lt_i32 s15, s9
	s_cbranch_scc0 .LBB122_76
.LBB122_57:                             ; =>This Loop Header: Depth=1
                                        ;     Child Loop BB122_69 Depth 2
                                        ;     Child Loop BB122_71 Depth 2
                                        ; implicit-def: $vgpr0
                                        ; implicit-def: $vgpr25
	s_and_saveexec_b32 s4, vcc_lo
	s_delay_alu instid0(SALU_CYCLE_1)
	s_xor_b32 s18, exec_lo, s4
	s_cbranch_execnz .LBB122_66
; %bb.58:                               ;   in Loop: Header=BB122_57 Depth=1
	s_and_not1_saveexec_b32 s18, s18
	s_cbranch_execnz .LBB122_67
.LBB122_59:                             ;   in Loop: Header=BB122_57 Depth=1
	s_or_b32 exec_lo, exec_lo, s18
	s_and_saveexec_b32 s4, s0
	s_cbranch_execz .LBB122_61
.LBB122_60:                             ;   in Loop: Header=BB122_57 Depth=1
	s_waitcnt lgkmcnt(0)
	v_mov_b32_e32 v16, v15
	ds_store_b64 v18, v[15:16]
.LBB122_61:                             ;   in Loop: Header=BB122_57 Depth=1
	s_or_b32 exec_lo, exec_lo, s4
	s_waitcnt lgkmcnt(0)
	ds_bpermute_b32 v16, v19, v0
	ds_bpermute_b32 v17, v19, v25
	s_waitcnt lgkmcnt(0)
	s_waitcnt_vscnt null, 0x0
	s_barrier
	buffer_gl0_inv
	v_add_f32_e32 v0, v0, v16
	v_add_f32_e32 v16, v25, v17
	ds_bpermute_b32 v17, v20, v0
	ds_bpermute_b32 v25, v20, v16
	s_waitcnt lgkmcnt(1)
	v_add_f32_e32 v0, v0, v17
	s_waitcnt lgkmcnt(0)
	v_add_f32_e32 v16, v16, v25
	ds_bpermute_b32 v17, v21, v0
	ds_bpermute_b32 v25, v21, v16
	s_waitcnt lgkmcnt(1)
	v_add_f32_e32 v0, v0, v17
	s_waitcnt lgkmcnt(0)
	;; [unrolled: 6-line block ×3, first 2 shown]
	v_add_f32_e32 v16, v16, v25
	ds_bpermute_b32 v17, v23, v0
	ds_bpermute_b32 v25, v23, v16
	s_and_saveexec_b32 s4, s1
	s_cbranch_execz .LBB122_63
; %bb.62:                               ;   in Loop: Header=BB122_57 Depth=1
	s_waitcnt lgkmcnt(0)
	v_add_f32_e32 v26, v16, v25
	v_add_f32_e32 v25, v0, v17
	ds_store_b64 v24, v[25:26]
.LBB122_63:                             ;   in Loop: Header=BB122_57 Depth=1
	s_or_b32 exec_lo, exec_lo, s4
	s_waitcnt lgkmcnt(1)
	v_dual_mov_b32 v17, 0 :: v_dual_mov_b32 v16, 0
	s_waitcnt lgkmcnt(0)
	s_barrier
	buffer_gl0_inv
	s_and_saveexec_b32 s4, s2
	s_cbranch_execnz .LBB122_73
; %bb.64:                               ;   in Loop: Header=BB122_57 Depth=1
	s_or_b32 exec_lo, exec_lo, s4
	s_and_saveexec_b32 s4, s0
	s_cbranch_execnz .LBB122_74
.LBB122_65:                             ;   in Loop: Header=BB122_57 Depth=1
	s_or_b32 exec_lo, exec_lo, s4
	s_and_saveexec_b32 s4, s3
	s_cbranch_execz .LBB122_56
	s_branch .LBB122_75
.LBB122_66:                             ;   in Loop: Header=BB122_57 Depth=1
	s_mul_i32 s4, s15, s25
	s_mul_hi_u32 s19, s15, s24
	s_mul_i32 s20, s15, s24
	s_add_i32 s21, s19, s4
	s_delay_alu instid0(SALU_CYCLE_1) | instskip(SKIP_2) | instid1(VALU_DEP_1)
	s_lshl_b64 s[20:21], s[20:21], 3
	s_waitcnt lgkmcnt(0)
	v_add_co_u32 v16, s4, v1, s20
	v_add_co_ci_u32_e64 v17, s4, s21, v2, s4
	global_load_b128 v[29:32], v[16:17], off
	s_clause 0x1
	global_load_b64 v[33:34], v[5:6], off
	global_load_b64 v[35:36], v[7:8], off
	global_load_b128 v[37:40], v[16:17], off offset:16
	s_clause 0x1
	global_load_b64 v[41:42], v[9:10], off
	global_load_b64 v[43:44], v[11:12], off
	s_waitcnt vmcnt(3)
	scratch_store_b128 off, v[33:36], off
	s_waitcnt vmcnt(0)
	scratch_store_b128 off, v[41:44], off offset:16
	v_dual_mul_f32 v0, v34, v30 :: v_dual_mul_f32 v17, v36, v32
	v_dual_mul_f32 v16, v33, v30 :: v_dual_mul_f32 v25, v35, v32
	s_waitcnt lgkmcnt(0)
	v_mul_f32_e32 v27, v41, v38
	s_delay_alu instid0(VALU_DEP_3) | instskip(SKIP_3) | instid1(VALU_DEP_4)
	v_fma_f32 v0, v33, v29, -v0
	v_mul_f32_e32 v26, v42, v38
	v_dual_fmac_f32 v16, v34, v29 :: v_dual_mul_f32 v29, v44, v40
	v_fma_f32 v17, v35, v31, -v17
	v_dual_fmac_f32 v25, v36, v31 :: v_dual_add_f32 v0, 0, v0
	s_delay_alu instid0(VALU_DEP_3) | instskip(SKIP_2) | instid1(VALU_DEP_4)
	v_dual_add_f32 v16, 0, v16 :: v_dual_fmac_f32 v27, v42, v37
	v_mul_f32_e32 v30, v43, v40
	v_fma_f32 v26, v41, v37, -v26
	v_add_f32_e32 v0, v0, v17
	s_delay_alu instid0(VALU_DEP_4) | instskip(SKIP_2) | instid1(VALU_DEP_4)
	v_add_f32_e32 v16, v16, v25
	v_fma_f32 v17, v43, v39, -v29
	v_fmac_f32_e32 v30, v44, v39
	v_add_f32_e32 v0, v0, v26
	s_delay_alu instid0(VALU_DEP_4) | instskip(NEXT) | instid1(VALU_DEP_2)
	v_add_f32_e32 v16, v16, v27
	v_add_f32_e32 v0, v0, v17
	s_delay_alu instid0(VALU_DEP_2)
	v_add_f32_e32 v25, v16, v30
	s_and_not1_saveexec_b32 s18, s18
	s_cbranch_execz .LBB122_59
.LBB122_67:                             ;   in Loop: Header=BB122_57 Depth=1
	v_dual_mov_b32 v0, 0 :: v_dual_mov_b32 v25, 0
	s_and_saveexec_b32 s19, s5
	s_cbranch_execz .LBB122_72
; %bb.68:                               ;   in Loop: Header=BB122_57 Depth=1
	s_waitcnt lgkmcnt(0)
	v_dual_mov_b32 v0, 0 :: v_dual_mov_b32 v17, v14
	v_mov_b32_e32 v16, v13
	s_mov_b32 s20, s13
.LBB122_69:                             ;   Parent Loop BB122_57 Depth=1
                                        ; =>  This Inner Loop Header: Depth=2
	s_waitcnt lgkmcnt(0)
	global_load_b64 v[25:26], v[16:17], off
	v_add_co_u32 v16, s4, v16, s6
	s_delay_alu instid0(VALU_DEP_1) | instskip(SKIP_1) | instid1(SALU_CYCLE_1)
	v_add_co_ci_u32_e64 v17, s4, s7, v17, s4
	s_add_i32 s20, s20, -1
	s_cmp_eq_u32 s20, 0
	s_waitcnt vmcnt(0)
	scratch_store_b64 v0, v[25:26], off
	v_add_nc_u32_e32 v0, 8, v0
	s_cbranch_scc0 .LBB122_69
; %bb.70:                               ;   in Loop: Header=BB122_57 Depth=1
	v_dual_mov_b32 v0, 0 :: v_dual_mov_b32 v17, v4
	v_dual_mov_b32 v16, v3 :: v_dual_mov_b32 v25, 0
	v_mov_b32_e32 v26, v28
	s_mov_b32 s20, s13
	.p2align	6
.LBB122_71:                             ;   Parent Loop BB122_57 Depth=1
                                        ; =>  This Inner Loop Header: Depth=2
	global_load_b64 v[29:30], v[16:17], off
	scratch_load_b64 v[31:32], v26, off offset:-4
	v_add_co_u32 v16, s4, v16, 8
	v_add_nc_u32_e32 v26, 8, v26
	v_add_co_ci_u32_e64 v17, s4, 0, v17, s4
	s_add_i32 s20, s20, -1
	s_delay_alu instid0(SALU_CYCLE_1) | instskip(SKIP_3) | instid1(VALU_DEP_2)
	s_cmp_lg_u32 s20, 0
	s_waitcnt vmcnt(0)
	v_mul_f32_e32 v27, v32, v30
	v_mul_f32_e32 v30, v31, v30
	v_fma_f32 v27, v31, v29, -v27
	s_delay_alu instid0(VALU_DEP_2) | instskip(NEXT) | instid1(VALU_DEP_1)
	v_fmac_f32_e32 v30, v32, v29
	v_dual_add_f32 v0, v0, v27 :: v_dual_add_f32 v25, v25, v30
	s_cbranch_scc1 .LBB122_71
.LBB122_72:                             ;   in Loop: Header=BB122_57 Depth=1
	s_or_b32 exec_lo, exec_lo, s19
	s_delay_alu instid0(SALU_CYCLE_1)
	s_or_b32 exec_lo, exec_lo, s18
	s_and_saveexec_b32 s4, s0
	s_cbranch_execnz .LBB122_60
	s_branch .LBB122_61
.LBB122_73:                             ;   in Loop: Header=BB122_57 Depth=1
	ds_load_b64 v[16:17], v18
	s_or_b32 exec_lo, exec_lo, s4
	s_and_saveexec_b32 s4, s0
	s_cbranch_execz .LBB122_65
.LBB122_74:                             ;   in Loop: Header=BB122_57 Depth=1
	s_waitcnt lgkmcnt(0)
	ds_bpermute_b32 v0, v21, v16
	ds_bpermute_b32 v25, v21, v17
	s_waitcnt lgkmcnt(1)
	v_add_f32_e32 v0, v16, v0
	s_waitcnt lgkmcnt(0)
	v_add_f32_e32 v16, v17, v25
	ds_bpermute_b32 v17, v22, v0
	ds_bpermute_b32 v25, v22, v16
	s_waitcnt lgkmcnt(1)
	v_add_f32_e32 v0, v0, v17
	s_waitcnt lgkmcnt(0)
	v_add_f32_e32 v17, v16, v25
	ds_bpermute_b32 v16, v23, v0
	ds_bpermute_b32 v25, v23, v17
	s_waitcnt lgkmcnt(0)
	v_dual_add_f32 v16, v0, v16 :: v_dual_add_f32 v17, v17, v25
	s_or_b32 exec_lo, exec_lo, s4
	s_and_saveexec_b32 s4, s3
	s_cbranch_execz .LBB122_56
.LBB122_75:                             ;   in Loop: Header=BB122_57 Depth=1
	s_waitcnt lgkmcnt(0)
	v_mul_f32_e32 v0, s11, v17
	v_mul_f32_e32 v26, s10, v17
	s_mul_hi_u32 s19, s15, s12
	s_mul_i32 s18, s15, s12
	s_delay_alu instid0(SALU_CYCLE_1)
	s_lshl_b64 s[18:19], s[18:19], 3
	v_fma_f32 v25, v16, s10, -v0
	v_fmac_f32_e32 v26, s11, v16
	s_add_u32 s18, s8, s18
	s_addc_u32 s19, s14, s19
	global_store_b64 v15, v[25:26], s[18:19]
	s_branch .LBB122_56
.LBB122_76:
	s_nop 0
	s_sendmsg sendmsg(MSG_DEALLOC_VGPRS)
	s_endpgm
	.section	.rodata,"a",@progbits
	.p2align	6, 0x0
	.amdhsa_kernel _ZL23rocblas_gemvt_sn_kernelILb0ELi256ELi4El19rocblas_complex_numIfES1_S1_EviiT4_lPKT3_lilS5_lilPT5_i
		.amdhsa_group_segment_fixed_size 256
		.amdhsa_private_segment_fixed_size 48
		.amdhsa_kernarg_size 360
		.amdhsa_user_sgpr_count 14
		.amdhsa_user_sgpr_dispatch_ptr 0
		.amdhsa_user_sgpr_queue_ptr 0
		.amdhsa_user_sgpr_kernarg_segment_ptr 1
		.amdhsa_user_sgpr_dispatch_id 0
		.amdhsa_user_sgpr_private_segment_size 0
		.amdhsa_wavefront_size32 1
		.amdhsa_uses_dynamic_stack 0
		.amdhsa_enable_private_segment 1
		.amdhsa_system_sgpr_workgroup_id_x 1
		.amdhsa_system_sgpr_workgroup_id_y 0
		.amdhsa_system_sgpr_workgroup_id_z 1
		.amdhsa_system_sgpr_workgroup_info 0
		.amdhsa_system_vgpr_workitem_id 0
		.amdhsa_next_free_vgpr 92
		.amdhsa_next_free_sgpr 56
		.amdhsa_reserve_vcc 1
		.amdhsa_float_round_mode_32 0
		.amdhsa_float_round_mode_16_64 0
		.amdhsa_float_denorm_mode_32 3
		.amdhsa_float_denorm_mode_16_64 3
		.amdhsa_dx10_clamp 1
		.amdhsa_ieee_mode 1
		.amdhsa_fp16_overflow 0
		.amdhsa_workgroup_processor_mode 1
		.amdhsa_memory_ordered 1
		.amdhsa_forward_progress 0
		.amdhsa_shared_vgpr_count 0
		.amdhsa_exception_fp_ieee_invalid_op 0
		.amdhsa_exception_fp_denorm_src 0
		.amdhsa_exception_fp_ieee_div_zero 0
		.amdhsa_exception_fp_ieee_overflow 0
		.amdhsa_exception_fp_ieee_underflow 0
		.amdhsa_exception_fp_ieee_inexact 0
		.amdhsa_exception_int_div_zero 0
	.end_amdhsa_kernel
	.section	.text._ZL23rocblas_gemvt_sn_kernelILb0ELi256ELi4El19rocblas_complex_numIfES1_S1_EviiT4_lPKT3_lilS5_lilPT5_i,"axG",@progbits,_ZL23rocblas_gemvt_sn_kernelILb0ELi256ELi4El19rocblas_complex_numIfES1_S1_EviiT4_lPKT3_lilS5_lilPT5_i,comdat
.Lfunc_end122:
	.size	_ZL23rocblas_gemvt_sn_kernelILb0ELi256ELi4El19rocblas_complex_numIfES1_S1_EviiT4_lPKT3_lilS5_lilPT5_i, .Lfunc_end122-_ZL23rocblas_gemvt_sn_kernelILb0ELi256ELi4El19rocblas_complex_numIfES1_S1_EviiT4_lPKT3_lilS5_lilPT5_i
                                        ; -- End function
	.section	.AMDGPU.csdata,"",@progbits
; Kernel info:
; codeLenInByte = 5564
; NumSgprs: 58
; NumVgprs: 92
; ScratchSize: 48
; MemoryBound: 0
; FloatMode: 240
; IeeeMode: 1
; LDSByteSize: 256 bytes/workgroup (compile time only)
; SGPRBlocks: 7
; VGPRBlocks: 11
; NumSGPRsForWavesPerEU: 58
; NumVGPRsForWavesPerEU: 92
; Occupancy: 16
; WaveLimiterHint : 1
; COMPUTE_PGM_RSRC2:SCRATCH_EN: 1
; COMPUTE_PGM_RSRC2:USER_SGPR: 14
; COMPUTE_PGM_RSRC2:TRAP_HANDLER: 0
; COMPUTE_PGM_RSRC2:TGID_X_EN: 1
; COMPUTE_PGM_RSRC2:TGID_Y_EN: 0
; COMPUTE_PGM_RSRC2:TGID_Z_EN: 1
; COMPUTE_PGM_RSRC2:TIDIG_COMP_CNT: 0
	.section	.text._ZL23rocblas_gemvt_sn_reduceILi256ELi8E19rocblas_complex_numIfES1_S1_EviT2_lPT3_lilPT1_i,"axG",@progbits,_ZL23rocblas_gemvt_sn_reduceILi256ELi8E19rocblas_complex_numIfES1_S1_EviT2_lPT3_lilPT1_i,comdat
	.globl	_ZL23rocblas_gemvt_sn_reduceILi256ELi8E19rocblas_complex_numIfES1_S1_EviT2_lPT3_lilPT1_i ; -- Begin function _ZL23rocblas_gemvt_sn_reduceILi256ELi8E19rocblas_complex_numIfES1_S1_EviT2_lPT3_lilPT1_i
	.p2align	8
	.type	_ZL23rocblas_gemvt_sn_reduceILi256ELi8E19rocblas_complex_numIfES1_S1_EviT2_lPT3_lilPT1_i,@function
_ZL23rocblas_gemvt_sn_reduceILi256ELi8E19rocblas_complex_numIfES1_S1_EviT2_lPT3_lilPT1_i: ; @_ZL23rocblas_gemvt_sn_reduceILi256ELi8E19rocblas_complex_numIfES1_S1_EviT2_lPT3_lilPT1_i
; %bb.0:
	s_clause 0x2
	s_load_b128 s[4:7], s[0:1], 0x0
	s_load_b32 s2, s[0:1], 0x4c
	s_load_b64 s[8:9], s[0:1], 0x38
	v_dual_mov_b32 v3, 0 :: v_dual_mov_b32 v4, 0
	v_lshlrev_b32_e32 v5, 3, v0
	s_mov_b32 s13, 0
	s_waitcnt lgkmcnt(0)
	s_ashr_i32 s7, s4, 31
	s_mul_i32 s10, s2, s15
	s_add_u32 s2, s0, 0x48
	s_addc_u32 s3, s1, 0
	s_lshr_b32 s11, s7, 29
	s_add_i32 s10, s10, s14
	s_add_i32 s11, s4, s11
	s_mul_i32 s12, s10, s7
	s_and_b32 s7, s11, -8
	s_mul_hi_u32 s11, s10, s4
	s_mul_i32 s10, s10, s4
	s_add_i32 s11, s11, s12
	s_mov_b32 s12, exec_lo
	v_cmpx_gt_i32_e64 s7, v5
	s_cbranch_execz .LBB123_4
; %bb.1:
	s_load_b32 s2, s[2:3], 0xc
	v_dual_mov_b32 v4, 0 :: v_dual_lshlrev_b32 v1, 6, v0
	s_lshl_b64 s[16:17], s[10:11], 3
	v_mov_b32_e32 v3, 0
	s_waitcnt lgkmcnt(0)
	s_and_b32 s2, s2, 0xffff
	s_delay_alu instid0(SALU_CYCLE_1) | instskip(SKIP_3) | instid1(VALU_DEP_1)
	s_lshl_b32 s3, s2, 3
	s_add_u32 s16, s8, s16
	s_addc_u32 s17, s9, s17
	v_add_co_u32 v1, s16, s16, v1
	v_add_co_ci_u32_e64 v2, null, s17, 0, s16
	s_lshl_b32 s16, s2, 6
	s_delay_alu instid0(VALU_DEP_2) | instskip(NEXT) | instid1(VALU_DEP_2)
	v_add_co_u32 v1, vcc_lo, v1, 60
	v_add_co_ci_u32_e32 v2, vcc_lo, 0, v2, vcc_lo
	s_set_inst_prefetch_distance 0x1
	.p2align	6
.LBB123_2:                              ; =>This Inner Loop Header: Depth=1
	s_clause 0x3
	global_load_b128 v[6:9], v[1:2], off offset:-60
	global_load_b128 v[10:13], v[1:2], off offset:-44
	;; [unrolled: 1-line block ×4, first 2 shown]
	v_add_co_u32 v1, vcc_lo, v1, s16
	v_add_co_ci_u32_e32 v2, vcc_lo, 0, v2, vcc_lo
	s_waitcnt vmcnt(3)
	v_dual_add_f32 v4, v4, v6 :: v_dual_add_f32 v3, v3, v7
	s_delay_alu instid0(VALU_DEP_1) | instskip(SKIP_1) | instid1(VALU_DEP_1)
	v_dual_add_f32 v4, v4, v8 :: v_dual_add_f32 v3, v3, v9
	s_waitcnt vmcnt(2)
	v_dual_add_f32 v4, v4, v10 :: v_dual_add_f32 v3, v3, v11
	s_delay_alu instid0(VALU_DEP_1) | instskip(SKIP_1) | instid1(VALU_DEP_1)
	v_dual_add_f32 v4, v4, v12 :: v_dual_add_f32 v3, v3, v13
	;; [unrolled: 4-line block ×3, first 2 shown]
	s_waitcnt vmcnt(0)
	v_dual_add_f32 v4, v4, v18 :: v_dual_add_nc_u32 v5, s3, v5
	s_delay_alu instid0(VALU_DEP_2) | instskip(NEXT) | instid1(VALU_DEP_2)
	v_add_f32_e32 v3, v3, v19
	v_cmp_le_i32_e64 s2, s7, v5
	s_delay_alu instid0(VALU_DEP_2) | instskip(NEXT) | instid1(VALU_DEP_2)
	v_dual_add_f32 v4, v4, v20 :: v_dual_add_f32 v3, v3, v21
	s_or_b32 s13, s2, s13
	s_delay_alu instid0(SALU_CYCLE_1)
	s_and_not1_b32 exec_lo, exec_lo, s13
	s_cbranch_execnz .LBB123_2
; %bb.3:
	s_set_inst_prefetch_distance 0x2
	s_or_b32 exec_lo, exec_lo, s13
.LBB123_4:
	s_delay_alu instid0(SALU_CYCLE_1) | instskip(SKIP_1) | instid1(SALU_CYCLE_1)
	s_or_b32 exec_lo, exec_lo, s12
	s_sub_i32 s2, s4, s7
	v_cmp_gt_u32_e32 vcc_lo, s2, v0
	s_and_saveexec_b32 s2, vcc_lo
	s_cbranch_execz .LBB123_6
; %bb.5:
	v_xad_u32 v1, v0, -1, s4
	v_mov_b32_e32 v2, 0
	s_lshl_b64 s[10:11], s[10:11], 3
	s_delay_alu instid0(SALU_CYCLE_1) | instskip(SKIP_1) | instid1(VALU_DEP_1)
	s_add_u32 s3, s8, s10
	s_addc_u32 s4, s9, s11
	v_lshlrev_b64 v[1:2], 3, v[1:2]
	s_delay_alu instid0(VALU_DEP_1) | instskip(NEXT) | instid1(VALU_DEP_2)
	v_add_co_u32 v1, vcc_lo, s3, v1
	v_add_co_ci_u32_e32 v2, vcc_lo, s4, v2, vcc_lo
	global_load_b64 v[1:2], v[1:2], off
	s_waitcnt vmcnt(0)
	v_dual_add_f32 v4, v4, v1 :: v_dual_add_f32 v3, v3, v2
.LBB123_6:
	s_or_b32 exec_lo, exec_lo, s2
	v_and_b32_e32 v1, 31, v0
	v_cmp_gt_u32_e32 vcc_lo, 32, v0
	s_delay_alu instid0(VALU_DEP_2)
	v_lshlrev_b32_e32 v5, 3, v1
	s_and_saveexec_b32 s2, vcc_lo
	s_cbranch_execz .LBB123_8
; %bb.7:
	v_mov_b32_e32 v6, 0
	s_delay_alu instid0(VALU_DEP_1)
	v_mov_b32_e32 v7, v6
	ds_store_b64 v5, v[6:7]
.LBB123_8:
	s_or_b32 exec_lo, exec_lo, s2
	v_mbcnt_lo_u32_b32 v2, -1, 0
	s_mov_b32 s3, exec_lo
	s_waitcnt lgkmcnt(0)
	s_barrier
	buffer_gl0_inv
	v_cmp_gt_u32_e64 s2, 16, v2
	s_delay_alu instid0(VALU_DEP_1) | instskip(SKIP_1) | instid1(VALU_DEP_2)
	v_cndmask_b32_e64 v6, 0, 1, s2
	v_cmp_gt_u32_e64 s2, 24, v2
	v_lshlrev_b32_e32 v6, 4, v6
	s_delay_alu instid0(VALU_DEP_2) | instskip(SKIP_1) | instid1(VALU_DEP_3)
	v_cndmask_b32_e64 v8, 0, 1, s2
	v_cmp_gt_u32_e64 s2, 28, v2
	v_add_lshl_u32 v6, v6, v2, 2
	s_delay_alu instid0(VALU_DEP_3)
	v_lshlrev_b32_e32 v8, 3, v8
	ds_bpermute_b32 v7, v6, v4
	ds_bpermute_b32 v6, v6, v3
	v_add_lshl_u32 v8, v8, v2, 2
	s_waitcnt lgkmcnt(1)
	v_add_f32_e32 v4, v4, v7
	s_waitcnt lgkmcnt(0)
	v_add_f32_e32 v6, v3, v6
	v_cndmask_b32_e64 v3, 0, 1, s2
	v_cmp_gt_u32_e64 s2, 30, v2
	ds_bpermute_b32 v7, v8, v4
	v_lshlrev_b32_e32 v3, 2, v3
	ds_bpermute_b32 v8, v8, v6
	v_add_lshl_u32 v3, v3, v2, 2
	s_waitcnt lgkmcnt(1)
	v_add_f32_e32 v7, v4, v7
	v_cndmask_b32_e64 v4, 0, 1, s2
	v_cmp_ne_u32_e64 s2, 31, v2
	s_waitcnt lgkmcnt(0)
	v_add_f32_e32 v6, v6, v8
	ds_bpermute_b32 v8, v3, v7
	v_lshlrev_b32_e32 v4, 1, v4
	ds_bpermute_b32 v9, v3, v6
	v_add_lshl_u32 v4, v4, v2, 2
	v_add_co_ci_u32_e64 v2, s2, 0, v2, s2
	s_waitcnt lgkmcnt(0)
	v_dual_add_f32 v7, v7, v8 :: v_dual_add_f32 v8, v6, v9
	s_delay_alu instid0(VALU_DEP_2)
	v_lshlrev_b32_e32 v6, 2, v2
	ds_bpermute_b32 v9, v4, v7
	ds_bpermute_b32 v10, v4, v8
	s_waitcnt lgkmcnt(1)
	v_add_f32_e32 v2, v7, v9
	s_waitcnt lgkmcnt(0)
	v_add_f32_e32 v8, v8, v10
	ds_bpermute_b32 v7, v6, v2
	ds_bpermute_b32 v9, v6, v8
	v_cmpx_eq_u32_e32 0, v1
	s_cbranch_execz .LBB123_10
; %bb.9:
	v_lshrrev_b32_e32 v1, 2, v0
	s_waitcnt lgkmcnt(0)
	v_dual_add_f32 v8, v8, v9 :: v_dual_add_f32 v7, v2, v7
	s_delay_alu instid0(VALU_DEP_2)
	v_and_b32_e32 v1, 56, v1
	ds_store_b64 v1, v[7:8]
.LBB123_10:
	s_or_b32 exec_lo, exec_lo, s3
	v_dual_mov_b32 v2, 0 :: v_dual_mov_b32 v1, 0
	s_mov_b32 s3, exec_lo
	s_waitcnt lgkmcnt(0)
	s_barrier
	buffer_gl0_inv
	v_cmpx_gt_u32_e32 8, v0
	s_cbranch_execz .LBB123_12
; %bb.11:
	ds_load_b64 v[1:2], v5
.LBB123_12:
	s_or_b32 exec_lo, exec_lo, s3
	s_and_saveexec_b32 s2, vcc_lo
	s_cbranch_execz .LBB123_14
; %bb.13:
	s_waitcnt lgkmcnt(0)
	ds_bpermute_b32 v5, v3, v1
	ds_bpermute_b32 v3, v3, v2
	s_waitcnt lgkmcnt(0)
	v_dual_add_f32 v1, v1, v5 :: v_dual_add_f32 v2, v2, v3
	ds_bpermute_b32 v3, v4, v1
	ds_bpermute_b32 v4, v4, v2
	s_waitcnt lgkmcnt(0)
	v_dual_add_f32 v1, v1, v3 :: v_dual_add_f32 v2, v2, v4
	;; [unrolled: 4-line block ×3, first 2 shown]
.LBB123_14:
	s_or_b32 exec_lo, exec_lo, s2
	s_delay_alu instid0(SALU_CYCLE_1)
	s_mov_b32 s2, exec_lo
	v_cmpx_eq_u32_e32 0, v0
	s_cbranch_execz .LBB123_18
; %bb.15:
	s_clause 0x2
	s_load_b64 s[8:9], s[0:1], 0x30
	s_load_b32 s4, s[0:1], 0x28
	s_load_b128 s[0:3], s[0:1], 0x18
	v_cmp_neq_f32_e64 s7, s5, 0
	s_waitcnt lgkmcnt(0)
	s_mul_i32 s9, s15, s9
	s_mul_hi_u32 s10, s15, s8
	s_mul_i32 s8, s15, s8
	s_add_i32 s9, s10, s9
	v_cmp_neq_f32_e64 s10, s6, 0
	s_lshl_b64 s[8:9], s[8:9], 3
	s_ashr_i32 s11, s4, 31
	s_add_u32 s8, s0, s8
	s_addc_u32 s9, s1, s9
	s_lshl_b64 s[0:1], s[2:3], 3
	s_mul_i32 s11, s11, s14
	s_add_u32 s2, s8, s0
	s_addc_u32 s3, s9, s1
	s_or_b32 s0, s7, s10
	s_mul_hi_u32 s1, s4, s14
	s_and_not1_b32 vcc_lo, exec_lo, s0
	s_add_i32 s1, s1, s11
	s_mul_i32 s0, s4, s14
	s_cbranch_vccnz .LBB123_17
; %bb.16:
	s_lshl_b64 s[8:9], s[0:1], 3
	s_delay_alu instid0(SALU_CYCLE_1)
	s_add_u32 s8, s2, s8
	s_addc_u32 s9, s3, s9
	s_load_b64 s[8:9], s[8:9], 0x0
	s_waitcnt lgkmcnt(0)
	v_mul_f32_e64 v0, s6, s9
	v_mul_f32_e64 v3, s5, s9
	s_delay_alu instid0(VALU_DEP_2) | instskip(NEXT) | instid1(VALU_DEP_2)
	v_fma_f32 v0, s5, s8, -v0
	v_fmac_f32_e64 v3, s6, s8
	s_delay_alu instid0(VALU_DEP_1)
	v_dual_add_f32 v1, v0, v1 :: v_dual_add_f32 v2, v3, v2
.LBB123_17:
	s_lshl_b64 s[0:1], s[0:1], 3
	v_mov_b32_e32 v0, 0
	s_add_u32 s0, s2, s0
	s_addc_u32 s1, s3, s1
	global_store_b64 v0, v[1:2], s[0:1]
.LBB123_18:
	s_nop 0
	s_sendmsg sendmsg(MSG_DEALLOC_VGPRS)
	s_endpgm
	.section	.rodata,"a",@progbits
	.p2align	6, 0x0
	.amdhsa_kernel _ZL23rocblas_gemvt_sn_reduceILi256ELi8E19rocblas_complex_numIfES1_S1_EviT2_lPT3_lilPT1_i
		.amdhsa_group_segment_fixed_size 256
		.amdhsa_private_segment_fixed_size 0
		.amdhsa_kernarg_size 328
		.amdhsa_user_sgpr_count 13
		.amdhsa_user_sgpr_dispatch_ptr 0
		.amdhsa_user_sgpr_queue_ptr 0
		.amdhsa_user_sgpr_kernarg_segment_ptr 1
		.amdhsa_user_sgpr_dispatch_id 0
		.amdhsa_user_sgpr_private_segment_size 0
		.amdhsa_wavefront_size32 1
		.amdhsa_uses_dynamic_stack 0
		.amdhsa_enable_private_segment 0
		.amdhsa_system_sgpr_workgroup_id_x 1
		.amdhsa_system_sgpr_workgroup_id_y 1
		.amdhsa_system_sgpr_workgroup_id_z 1
		.amdhsa_system_sgpr_workgroup_info 0
		.amdhsa_system_vgpr_workitem_id 0
		.amdhsa_next_free_vgpr 22
		.amdhsa_next_free_sgpr 18
		.amdhsa_reserve_vcc 1
		.amdhsa_float_round_mode_32 0
		.amdhsa_float_round_mode_16_64 0
		.amdhsa_float_denorm_mode_32 3
		.amdhsa_float_denorm_mode_16_64 3
		.amdhsa_dx10_clamp 1
		.amdhsa_ieee_mode 1
		.amdhsa_fp16_overflow 0
		.amdhsa_workgroup_processor_mode 1
		.amdhsa_memory_ordered 1
		.amdhsa_forward_progress 0
		.amdhsa_shared_vgpr_count 0
		.amdhsa_exception_fp_ieee_invalid_op 0
		.amdhsa_exception_fp_denorm_src 0
		.amdhsa_exception_fp_ieee_div_zero 0
		.amdhsa_exception_fp_ieee_overflow 0
		.amdhsa_exception_fp_ieee_underflow 0
		.amdhsa_exception_fp_ieee_inexact 0
		.amdhsa_exception_int_div_zero 0
	.end_amdhsa_kernel
	.section	.text._ZL23rocblas_gemvt_sn_reduceILi256ELi8E19rocblas_complex_numIfES1_S1_EviT2_lPT3_lilPT1_i,"axG",@progbits,_ZL23rocblas_gemvt_sn_reduceILi256ELi8E19rocblas_complex_numIfES1_S1_EviT2_lPT3_lilPT1_i,comdat
.Lfunc_end123:
	.size	_ZL23rocblas_gemvt_sn_reduceILi256ELi8E19rocblas_complex_numIfES1_S1_EviT2_lPT3_lilPT1_i, .Lfunc_end123-_ZL23rocblas_gemvt_sn_reduceILi256ELi8E19rocblas_complex_numIfES1_S1_EviT2_lPT3_lilPT1_i
                                        ; -- End function
	.section	.AMDGPU.csdata,"",@progbits
; Kernel info:
; codeLenInByte = 1296
; NumSgprs: 20
; NumVgprs: 22
; ScratchSize: 0
; MemoryBound: 0
; FloatMode: 240
; IeeeMode: 1
; LDSByteSize: 256 bytes/workgroup (compile time only)
; SGPRBlocks: 2
; VGPRBlocks: 2
; NumSGPRsForWavesPerEU: 20
; NumVGPRsForWavesPerEU: 22
; Occupancy: 16
; WaveLimiterHint : 0
; COMPUTE_PGM_RSRC2:SCRATCH_EN: 0
; COMPUTE_PGM_RSRC2:USER_SGPR: 13
; COMPUTE_PGM_RSRC2:TRAP_HANDLER: 0
; COMPUTE_PGM_RSRC2:TGID_X_EN: 1
; COMPUTE_PGM_RSRC2:TGID_Y_EN: 1
; COMPUTE_PGM_RSRC2:TGID_Z_EN: 1
; COMPUTE_PGM_RSRC2:TIDIG_COMP_CNT: 0
	.section	.text._ZL32rocblas_gemvt_warp_reduce_kernelILb0ELi256Ei19rocblas_complex_numIfEPKS1_S1_EviiT3_lPKT2_lT1_lS7_lS8_lS4_lPT4_lS8_li,"axG",@progbits,_ZL32rocblas_gemvt_warp_reduce_kernelILb0ELi256Ei19rocblas_complex_numIfEPKS1_S1_EviiT3_lPKT2_lT1_lS7_lS8_lS4_lPT4_lS8_li,comdat
	.globl	_ZL32rocblas_gemvt_warp_reduce_kernelILb0ELi256Ei19rocblas_complex_numIfEPKS1_S1_EviiT3_lPKT2_lT1_lS7_lS8_lS4_lPT4_lS8_li ; -- Begin function _ZL32rocblas_gemvt_warp_reduce_kernelILb0ELi256Ei19rocblas_complex_numIfEPKS1_S1_EviiT3_lPKT2_lT1_lS7_lS8_lS4_lPT4_lS8_li
	.p2align	8
	.type	_ZL32rocblas_gemvt_warp_reduce_kernelILb0ELi256Ei19rocblas_complex_numIfEPKS1_S1_EviiT3_lPKT2_lT1_lS7_lS8_lS4_lPT4_lS8_li,@function
_ZL32rocblas_gemvt_warp_reduce_kernelILb0ELi256Ei19rocblas_complex_numIfEPKS1_S1_EviiT3_lPKT2_lT1_lS7_lS8_lS4_lPT4_lS8_li: ; @_ZL32rocblas_gemvt_warp_reduce_kernelILb0ELi256Ei19rocblas_complex_numIfEPKS1_S1_EviiT3_lPKT2_lT1_lS7_lS8_lS4_lPT4_lS8_li
; %bb.0:
	s_clause 0x1
	s_load_b256 s[4:11], s[0:1], 0x8
	s_load_b256 s[16:23], s[0:1], 0x50
	s_waitcnt lgkmcnt(0)
	s_mul_i32 s3, s15, s7
	s_mul_hi_u32 s7, s15, s6
	s_mul_i32 s2, s15, s6
	s_add_i32 s3, s7, s3
	s_mul_hi_u32 s6, s15, s20
	s_lshl_b64 s[2:3], s[2:3], 3
	s_delay_alu instid0(SALU_CYCLE_1)
	s_add_u32 s2, s4, s2
	s_addc_u32 s3, s5, s3
	s_load_b64 s[4:5], s[2:3], 0x0
	s_mul_i32 s3, s15, s21
	s_mul_i32 s2, s15, s20
	s_add_i32 s3, s6, s3
	s_delay_alu instid0(SALU_CYCLE_1) | instskip(NEXT) | instid1(SALU_CYCLE_1)
	s_lshl_b64 s[2:3], s[2:3], 3
	s_add_u32 s2, s18, s2
	s_addc_u32 s3, s19, s3
	s_load_b64 s[2:3], s[2:3], 0x0
	s_waitcnt lgkmcnt(0)
	v_cmp_neq_f32_e64 s6, s4, 0
	v_cmp_neq_f32_e64 s7, s5, 0
	s_delay_alu instid0(VALU_DEP_1) | instskip(NEXT) | instid1(SALU_CYCLE_1)
	s_or_b32 s6, s6, s7
	s_and_b32 vcc_lo, exec_lo, s6
	s_mov_b32 s6, -1
	s_cbranch_vccnz .LBB124_2
; %bb.1:
	v_cmp_neq_f32_e64 s6, s2, 1.0
	v_cmp_neq_f32_e64 s7, s3, 0
	s_delay_alu instid0(VALU_DEP_1)
	s_or_b32 s6, s6, s7
.LBB124_2:
	s_delay_alu instid0(SALU_CYCLE_1)
	s_and_not1_b32 vcc_lo, exec_lo, s6
	s_cbranch_vccnz .LBB124_28
; %bb.3:
	s_clause 0x2
	s_load_b64 s[6:7], s[0:1], 0x80
	s_load_b64 s[12:13], s[0:1], 0x70
	s_load_b32 s18, s[0:1], 0x78
	v_cmp_eq_u32_e32 vcc_lo, 0, v0
	s_waitcnt lgkmcnt(0)
	s_mul_i32 s7, s15, s7
	s_mul_hi_u32 s19, s15, s6
	s_mul_i32 s6, s15, s6
	s_add_i32 s7, s19, s7
	s_delay_alu instid0(SALU_CYCLE_1) | instskip(NEXT) | instid1(SALU_CYCLE_1)
	s_lshl_b64 s[6:7], s[6:7], 3
	s_add_u32 s19, s22, s6
	s_addc_u32 s20, s23, s7
	s_lshl_b64 s[6:7], s[12:13], 3
	s_delay_alu instid0(SALU_CYCLE_1) | instskip(SKIP_2) | instid1(SALU_CYCLE_1)
	s_add_u32 s12, s19, s6
	s_addc_u32 s13, s20, s7
	s_or_b32 s6, s4, s5
	s_bitset0_b32 s6, 31
	s_delay_alu instid0(SALU_CYCLE_1)
	s_cmp_lg_u32 s6, 0
	s_mov_b32 s6, -1
	s_cbranch_scc1 .LBB124_9
; %bb.4:
	s_and_saveexec_b32 s19, vcc_lo
	s_cbranch_execz .LBB124_8
; %bb.5:
	v_cmp_neq_f32_e64 s6, s2, 0
	v_cmp_neq_f32_e64 s7, s3, 0
	v_dual_mov_b32 v3, 0 :: v_dual_mov_b32 v2, 0
	v_mov_b32_e32 v1, 0
	s_delay_alu instid0(VALU_DEP_3)
	s_or_b32 s7, s6, s7
	s_mul_i32 s6, s14, s18
	s_and_not1_b32 vcc_lo, exec_lo, s7
	s_ashr_i32 s7, s6, 31
	s_cbranch_vccnz .LBB124_7
; %bb.6:
	s_lshl_b64 s[20:21], s[6:7], 3
	s_delay_alu instid0(SALU_CYCLE_1)
	s_add_u32 s20, s12, s20
	s_addc_u32 s21, s13, s21
	s_load_b64 s[20:21], s[20:21], 0x0
	s_waitcnt lgkmcnt(0)
	v_mul_f32_e64 v1, s3, s21
	v_mul_f32_e64 v2, s2, s21
	s_delay_alu instid0(VALU_DEP_2) | instskip(NEXT) | instid1(VALU_DEP_2)
	v_fma_f32 v1, s2, s20, -v1
	v_fmac_f32_e64 v2, s3, s20
.LBB124_7:
	s_lshl_b64 s[6:7], s[6:7], 3
	s_delay_alu instid0(SALU_CYCLE_1)
	s_add_u32 s6, s12, s6
	s_addc_u32 s7, s13, s7
	global_store_b64 v3, v[1:2], s[6:7]
.LBB124_8:
	s_or_b32 exec_lo, exec_lo, s19
	s_mov_b32 s6, 0
.LBB124_9:
	s_delay_alu instid0(SALU_CYCLE_1)
	s_and_not1_b32 vcc_lo, exec_lo, s6
	s_cbranch_vccnz .LBB124_28
; %bb.10:
	s_mul_i32 s17, s15, s17
	s_mul_hi_u32 s24, s15, s16
	s_mul_i32 s16, s15, s16
	s_add_i32 s17, s24, s17
	s_clause 0x2
	s_load_b128 s[20:23], s[0:1], 0x30
	s_load_b64 s[6:7], s[0:1], 0x40
	s_load_b32 s19, s[0:1], 0x28
	s_lshl_b64 s[24:25], s[16:17], 3
	s_clause 0x1
	s_load_b32 s16, s[0:1], 0x0
	s_load_b32 s1, s[0:1], 0x48
	v_dual_mov_b32 v7, 0 :: v_dual_mov_b32 v8, 0
	s_waitcnt lgkmcnt(0)
	s_add_u32 s17, s22, s24
	s_addc_u32 s23, s23, s25
	s_lshl_b64 s[6:7], s[6:7], 3
	s_mul_i32 s21, s15, s21
	s_mul_hi_u32 s22, s15, s20
	s_add_u32 s6, s17, s6
	v_cmp_gt_i32_e32 vcc_lo, s16, v0
	s_mul_i32 s20, s15, s20
	s_addc_u32 s7, s23, s7
	s_add_i32 s21, s22, s21
	s_delay_alu instid0(SALU_CYCLE_1)
	s_lshl_b64 s[20:21], s[20:21], 3
	v_cndmask_b32_e32 v1, 0, v0, vcc_lo
	s_add_u32 s15, s8, s20
	s_addc_u32 s17, s9, s21
	s_lshl_b64 s[8:9], s[10:11], 3
	s_mul_i32 s10, s14, s19
	s_add_u32 s15, s15, s8
	s_addc_u32 s17, s17, s9
	s_ashr_i32 s11, s10, 31
	v_lshlrev_b32_e32 v1, 3, v1
	s_lshl_b64 s[8:9], s[10:11], 3
	s_delay_alu instid0(SALU_CYCLE_1)
	s_add_u32 s8, s8, s15
	s_addc_u32 s9, s9, s17
	s_ashr_i32 s0, s16, 31
	v_add_co_u32 v1, s8, s8, v1
	s_lshr_b32 s0, s0, 24
	v_add_co_ci_u32_e64 v2, null, s9, 0, s8
	s_add_i32 s0, s16, s0
	s_mov_b32 s8, exec_lo
	s_and_b32 s0, s0, 0xffffff00
	s_delay_alu instid0(SALU_CYCLE_1)
	v_cmpx_gt_i32_e64 s0, v0
	s_cbranch_execz .LBB124_14
; %bb.11:
	v_mul_lo_u32 v3, v0, s1
	v_dual_mov_b32 v7, 0 :: v_dual_mov_b32 v6, v2
	v_dual_mov_b32 v5, v1 :: v_dual_mov_b32 v8, 0
	v_mov_b32_e32 v9, v0
	s_lshl_b32 s10, s1, 8
	s_mov_b32 s9, 0
	.p2align	6
.LBB124_12:                             ; =>This Inner Loop Header: Depth=1
	s_delay_alu instid0(VALU_DEP_4) | instskip(NEXT) | instid1(VALU_DEP_1)
	v_ashrrev_i32_e32 v4, 31, v3
	v_lshlrev_b64 v[10:11], 3, v[3:4]
	v_add_nc_u32_e32 v3, s10, v3
	s_delay_alu instid0(VALU_DEP_2) | instskip(NEXT) | instid1(VALU_DEP_3)
	v_add_co_u32 v10, vcc_lo, s6, v10
	v_add_co_ci_u32_e32 v11, vcc_lo, s7, v11, vcc_lo
	global_load_b64 v[12:13], v[5:6], off
	global_load_b64 v[10:11], v[10:11], off
	v_add_co_u32 v5, vcc_lo, 0x800, v5
	v_add_co_ci_u32_e32 v6, vcc_lo, 0, v6, vcc_lo
	s_waitcnt vmcnt(0)
	v_mul_f32_e32 v4, v11, v13
	v_mul_f32_e32 v13, v10, v13
	s_delay_alu instid0(VALU_DEP_2) | instskip(SKIP_1) | instid1(VALU_DEP_3)
	v_fma_f32 v4, v10, v12, -v4
	v_add_nc_u32_e32 v9, 0x100, v9
	v_fmac_f32_e32 v13, v11, v12
	s_delay_alu instid0(VALU_DEP_3) | instskip(NEXT) | instid1(VALU_DEP_3)
	v_add_f32_e32 v8, v8, v4
	v_cmp_le_i32_e32 vcc_lo, s0, v9
	s_delay_alu instid0(VALU_DEP_3) | instskip(SKIP_1) | instid1(SALU_CYCLE_1)
	v_add_f32_e32 v7, v7, v13
	s_or_b32 s9, vcc_lo, s9
	s_and_not1_b32 exec_lo, exec_lo, s9
	s_cbranch_execnz .LBB124_12
; %bb.13:
	s_or_b32 exec_lo, exec_lo, s9
.LBB124_14:
	s_delay_alu instid0(SALU_CYCLE_1) | instskip(SKIP_2) | instid1(VALU_DEP_1)
	s_or_b32 exec_lo, exec_lo, s8
	v_add_nc_u32_e32 v3, s0, v0
	s_mov_b32 s8, exec_lo
	v_cmpx_gt_i32_e64 s16, v3
	s_cbranch_execz .LBB124_16
; %bb.15:
	v_mul_lo_u32 v3, v3, s1
	s_ashr_i32 s1, s0, 31
	s_delay_alu instid0(SALU_CYCLE_1) | instskip(NEXT) | instid1(SALU_CYCLE_1)
	s_lshl_b64 s[0:1], s[0:1], 3
	v_add_co_u32 v1, vcc_lo, v1, s0
	v_add_co_ci_u32_e32 v2, vcc_lo, s1, v2, vcc_lo
	s_delay_alu instid0(VALU_DEP_3) | instskip(NEXT) | instid1(VALU_DEP_1)
	v_ashrrev_i32_e32 v4, 31, v3
	v_lshlrev_b64 v[3:4], 3, v[3:4]
	s_delay_alu instid0(VALU_DEP_1) | instskip(NEXT) | instid1(VALU_DEP_2)
	v_add_co_u32 v3, vcc_lo, s6, v3
	v_add_co_ci_u32_e32 v4, vcc_lo, s7, v4, vcc_lo
	global_load_b64 v[1:2], v[1:2], off
	global_load_b64 v[3:4], v[3:4], off
	s_waitcnt vmcnt(0)
	v_mul_f32_e32 v5, v4, v2
	v_mul_f32_e32 v2, v3, v2
	s_delay_alu instid0(VALU_DEP_2) | instskip(NEXT) | instid1(VALU_DEP_2)
	v_fma_f32 v3, v3, v1, -v5
	v_fmac_f32_e32 v2, v4, v1
	s_delay_alu instid0(VALU_DEP_1)
	v_dual_add_f32 v8, v8, v3 :: v_dual_add_f32 v7, v7, v2
.LBB124_16:
	s_or_b32 exec_lo, exec_lo, s8
	v_and_b32_e32 v1, 31, v0
	v_cmp_gt_u32_e32 vcc_lo, 32, v0
	s_delay_alu instid0(VALU_DEP_2)
	v_lshlrev_b32_e32 v3, 3, v1
	s_and_saveexec_b32 s0, vcc_lo
	s_cbranch_execz .LBB124_18
; %bb.17:
	v_mov_b32_e32 v4, 0
	s_delay_alu instid0(VALU_DEP_1)
	v_mov_b32_e32 v5, v4
	ds_store_b64 v3, v[4:5]
.LBB124_18:
	s_or_b32 exec_lo, exec_lo, s0
	v_mbcnt_lo_u32_b32 v2, -1, 0
	s_mov_b32 s1, exec_lo
	s_waitcnt lgkmcnt(0)
	s_waitcnt_vscnt null, 0x0
	s_barrier
	buffer_gl0_inv
	v_cmp_gt_u32_e64 s0, 16, v2
	s_delay_alu instid0(VALU_DEP_1) | instskip(SKIP_1) | instid1(VALU_DEP_2)
	v_cndmask_b32_e64 v4, 0, 1, s0
	v_cmp_gt_u32_e64 s0, 24, v2
	v_lshlrev_b32_e32 v4, 4, v4
	s_delay_alu instid0(VALU_DEP_2) | instskip(SKIP_1) | instid1(VALU_DEP_3)
	v_cndmask_b32_e64 v6, 0, 1, s0
	v_cmp_gt_u32_e64 s0, 28, v2
	v_add_lshl_u32 v4, v4, v2, 2
	ds_bpermute_b32 v5, v4, v8
	ds_bpermute_b32 v4, v4, v7
	s_waitcnt lgkmcnt(1)
	v_dual_add_f32 v5, v8, v5 :: v_dual_lshlrev_b32 v6, 3, v6
	s_waitcnt lgkmcnt(0)
	v_add_f32_e32 v7, v7, v4
	s_delay_alu instid0(VALU_DEP_2)
	v_add_lshl_u32 v6, v6, v2, 2
	v_cndmask_b32_e64 v4, 0, 1, s0
	v_cmp_gt_u32_e64 s0, 30, v2
	ds_bpermute_b32 v8, v6, v5
	ds_bpermute_b32 v6, v6, v7
	s_waitcnt lgkmcnt(1)
	v_add_f32_e32 v8, v5, v8
	v_cndmask_b32_e64 v5, 0, 1, s0
	s_waitcnt lgkmcnt(0)
	v_add_f32_e32 v6, v7, v6
	v_cmp_ne_u32_e64 s0, 31, v2
	s_delay_alu instid0(VALU_DEP_3) | instskip(SKIP_1) | instid1(VALU_DEP_2)
	v_lshlrev_b32_e32 v5, 1, v5
	v_lshlrev_b32_e32 v4, 2, v4
	v_add_lshl_u32 v5, v5, v2, 2
	s_delay_alu instid0(VALU_DEP_2)
	v_add_lshl_u32 v4, v4, v2, 2
	v_add_co_ci_u32_e64 v2, s0, 0, v2, s0
	ds_bpermute_b32 v7, v4, v8
	ds_bpermute_b32 v9, v4, v6
	s_waitcnt lgkmcnt(0)
	v_dual_add_f32 v7, v8, v7 :: v_dual_add_f32 v8, v6, v9
	v_lshlrev_b32_e32 v6, 2, v2
	ds_bpermute_b32 v9, v5, v7
	ds_bpermute_b32 v10, v5, v8
	s_waitcnt lgkmcnt(1)
	v_add_f32_e32 v2, v7, v9
	s_waitcnt lgkmcnt(0)
	v_add_f32_e32 v8, v8, v10
	ds_bpermute_b32 v7, v6, v2
	ds_bpermute_b32 v9, v6, v8
	v_cmpx_eq_u32_e32 0, v1
	s_cbranch_execz .LBB124_20
; %bb.19:
	v_lshrrev_b32_e32 v1, 2, v0
	s_waitcnt lgkmcnt(0)
	v_dual_add_f32 v8, v8, v9 :: v_dual_add_f32 v7, v2, v7
	s_delay_alu instid0(VALU_DEP_2)
	v_and_b32_e32 v1, 56, v1
	ds_store_b64 v1, v[7:8]
.LBB124_20:
	s_or_b32 exec_lo, exec_lo, s1
	v_dual_mov_b32 v2, 0 :: v_dual_mov_b32 v1, 0
	s_mov_b32 s1, exec_lo
	s_waitcnt lgkmcnt(0)
	s_barrier
	buffer_gl0_inv
	v_cmpx_gt_u32_e32 8, v0
	s_cbranch_execz .LBB124_22
; %bb.21:
	ds_load_b64 v[1:2], v3
.LBB124_22:
	s_or_b32 exec_lo, exec_lo, s1
	s_and_saveexec_b32 s0, vcc_lo
	s_cbranch_execz .LBB124_24
; %bb.23:
	s_waitcnt lgkmcnt(0)
	ds_bpermute_b32 v3, v4, v1
	ds_bpermute_b32 v4, v4, v2
	s_waitcnt lgkmcnt(0)
	v_dual_add_f32 v1, v1, v3 :: v_dual_add_f32 v2, v2, v4
	ds_bpermute_b32 v3, v5, v1
	ds_bpermute_b32 v4, v5, v2
	s_waitcnt lgkmcnt(0)
	v_dual_add_f32 v1, v1, v3 :: v_dual_add_f32 v2, v2, v4
	;; [unrolled: 4-line block ×3, first 2 shown]
.LBB124_24:
	s_or_b32 exec_lo, exec_lo, s0
	s_delay_alu instid0(SALU_CYCLE_1)
	s_mov_b32 s0, exec_lo
	v_cmpx_eq_u32_e32 0, v0
	s_cbranch_execz .LBB124_28
; %bb.25:
	s_waitcnt lgkmcnt(0)
	v_mul_f32_e32 v3, s4, v2
	v_mul_f32_e32 v0, s5, v2
	v_cmp_neq_f32_e64 s0, s2, 0
	v_cmp_neq_f32_e64 s1, s3, 0
	s_delay_alu instid0(VALU_DEP_4) | instskip(NEXT) | instid1(VALU_DEP_4)
	v_fmac_f32_e32 v3, s5, v1
	v_fma_f32 v2, v1, s4, -v0
	s_delay_alu instid0(VALU_DEP_3)
	s_or_b32 s1, s0, s1
	s_mul_i32 s0, s14, s18
	s_and_not1_b32 vcc_lo, exec_lo, s1
	s_ashr_i32 s1, s0, 31
	s_cbranch_vccnz .LBB124_27
; %bb.26:
	s_lshl_b64 s[4:5], s[0:1], 3
	v_mov_b32_e32 v0, 0
	s_add_u32 s4, s12, s4
	s_addc_u32 s5, s13, s5
	global_load_b64 v[0:1], v0, s[4:5]
	s_waitcnt vmcnt(0)
	v_mul_f32_e32 v4, s3, v1
	v_mul_f32_e32 v1, s2, v1
	s_delay_alu instid0(VALU_DEP_1) | instskip(NEXT) | instid1(VALU_DEP_3)
	v_fmac_f32_e32 v1, s3, v0
	v_fma_f32 v4, s2, v0, -v4
	s_delay_alu instid0(VALU_DEP_1)
	v_dual_add_f32 v3, v3, v1 :: v_dual_add_f32 v2, v2, v4
.LBB124_27:
	s_lshl_b64 s[0:1], s[0:1], 3
	v_mov_b32_e32 v0, 0
	s_add_u32 s0, s12, s0
	s_addc_u32 s1, s13, s1
	global_store_b64 v0, v[2:3], s[0:1]
.LBB124_28:
	s_nop 0
	s_sendmsg sendmsg(MSG_DEALLOC_VGPRS)
	s_endpgm
	.section	.rodata,"a",@progbits
	.p2align	6, 0x0
	.amdhsa_kernel _ZL32rocblas_gemvt_warp_reduce_kernelILb0ELi256Ei19rocblas_complex_numIfEPKS1_S1_EviiT3_lPKT2_lT1_lS7_lS8_lS4_lPT4_lS8_li
		.amdhsa_group_segment_fixed_size 256
		.amdhsa_private_segment_fixed_size 0
		.amdhsa_kernarg_size 140
		.amdhsa_user_sgpr_count 14
		.amdhsa_user_sgpr_dispatch_ptr 0
		.amdhsa_user_sgpr_queue_ptr 0
		.amdhsa_user_sgpr_kernarg_segment_ptr 1
		.amdhsa_user_sgpr_dispatch_id 0
		.amdhsa_user_sgpr_private_segment_size 0
		.amdhsa_wavefront_size32 1
		.amdhsa_uses_dynamic_stack 0
		.amdhsa_enable_private_segment 0
		.amdhsa_system_sgpr_workgroup_id_x 1
		.amdhsa_system_sgpr_workgroup_id_y 0
		.amdhsa_system_sgpr_workgroup_id_z 1
		.amdhsa_system_sgpr_workgroup_info 0
		.amdhsa_system_vgpr_workitem_id 0
		.amdhsa_next_free_vgpr 14
		.amdhsa_next_free_sgpr 26
		.amdhsa_reserve_vcc 1
		.amdhsa_float_round_mode_32 0
		.amdhsa_float_round_mode_16_64 0
		.amdhsa_float_denorm_mode_32 3
		.amdhsa_float_denorm_mode_16_64 3
		.amdhsa_dx10_clamp 1
		.amdhsa_ieee_mode 1
		.amdhsa_fp16_overflow 0
		.amdhsa_workgroup_processor_mode 1
		.amdhsa_memory_ordered 1
		.amdhsa_forward_progress 0
		.amdhsa_shared_vgpr_count 0
		.amdhsa_exception_fp_ieee_invalid_op 0
		.amdhsa_exception_fp_denorm_src 0
		.amdhsa_exception_fp_ieee_div_zero 0
		.amdhsa_exception_fp_ieee_overflow 0
		.amdhsa_exception_fp_ieee_underflow 0
		.amdhsa_exception_fp_ieee_inexact 0
		.amdhsa_exception_int_div_zero 0
	.end_amdhsa_kernel
	.section	.text._ZL32rocblas_gemvt_warp_reduce_kernelILb0ELi256Ei19rocblas_complex_numIfEPKS1_S1_EviiT3_lPKT2_lT1_lS7_lS8_lS4_lPT4_lS8_li,"axG",@progbits,_ZL32rocblas_gemvt_warp_reduce_kernelILb0ELi256Ei19rocblas_complex_numIfEPKS1_S1_EviiT3_lPKT2_lT1_lS7_lS8_lS4_lPT4_lS8_li,comdat
.Lfunc_end124:
	.size	_ZL32rocblas_gemvt_warp_reduce_kernelILb0ELi256Ei19rocblas_complex_numIfEPKS1_S1_EviiT3_lPKT2_lT1_lS7_lS8_lS4_lPT4_lS8_li, .Lfunc_end124-_ZL32rocblas_gemvt_warp_reduce_kernelILb0ELi256Ei19rocblas_complex_numIfEPKS1_S1_EviiT3_lPKT2_lT1_lS7_lS8_lS4_lPT4_lS8_li
                                        ; -- End function
	.section	.AMDGPU.csdata,"",@progbits
; Kernel info:
; codeLenInByte = 1768
; NumSgprs: 28
; NumVgprs: 14
; ScratchSize: 0
; MemoryBound: 0
; FloatMode: 240
; IeeeMode: 1
; LDSByteSize: 256 bytes/workgroup (compile time only)
; SGPRBlocks: 3
; VGPRBlocks: 1
; NumSGPRsForWavesPerEU: 28
; NumVGPRsForWavesPerEU: 14
; Occupancy: 16
; WaveLimiterHint : 1
; COMPUTE_PGM_RSRC2:SCRATCH_EN: 0
; COMPUTE_PGM_RSRC2:USER_SGPR: 14
; COMPUTE_PGM_RSRC2:TRAP_HANDLER: 0
; COMPUTE_PGM_RSRC2:TGID_X_EN: 1
; COMPUTE_PGM_RSRC2:TGID_Y_EN: 0
; COMPUTE_PGM_RSRC2:TGID_Z_EN: 1
; COMPUTE_PGM_RSRC2:TIDIG_COMP_CNT: 0
	.section	.text._ZL32rocblas_gemvt_warp_reduce_kernelILb0ELi256El19rocblas_complex_numIfEPKS1_S1_EviiT3_lPKT2_lT1_lS7_lS8_lS4_lPT4_lS8_li,"axG",@progbits,_ZL32rocblas_gemvt_warp_reduce_kernelILb0ELi256El19rocblas_complex_numIfEPKS1_S1_EviiT3_lPKT2_lT1_lS7_lS8_lS4_lPT4_lS8_li,comdat
	.globl	_ZL32rocblas_gemvt_warp_reduce_kernelILb0ELi256El19rocblas_complex_numIfEPKS1_S1_EviiT3_lPKT2_lT1_lS7_lS8_lS4_lPT4_lS8_li ; -- Begin function _ZL32rocblas_gemvt_warp_reduce_kernelILb0ELi256El19rocblas_complex_numIfEPKS1_S1_EviiT3_lPKT2_lT1_lS7_lS8_lS4_lPT4_lS8_li
	.p2align	8
	.type	_ZL32rocblas_gemvt_warp_reduce_kernelILb0ELi256El19rocblas_complex_numIfEPKS1_S1_EviiT3_lPKT2_lT1_lS7_lS8_lS4_lPT4_lS8_li,@function
_ZL32rocblas_gemvt_warp_reduce_kernelILb0ELi256El19rocblas_complex_numIfEPKS1_S1_EviiT3_lPKT2_lT1_lS7_lS8_lS4_lPT4_lS8_li: ; @_ZL32rocblas_gemvt_warp_reduce_kernelILb0ELi256El19rocblas_complex_numIfEPKS1_S1_EviiT3_lPKT2_lT1_lS7_lS8_lS4_lPT4_lS8_li
; %bb.0:
	s_clause 0x1
	s_load_b512 s[36:51], s[0:1], 0x8
	s_load_b512 s[16:31], s[0:1], 0x48
	s_waitcnt lgkmcnt(0)
	s_mul_i32 s3, s15, s39
	s_mul_hi_u32 s4, s15, s38
	s_mul_i32 s2, s15, s38
	s_add_i32 s3, s4, s3
	s_mul_hi_u32 s6, s15, s22
	s_lshl_b64 s[2:3], s[2:3], 3
	s_delay_alu instid0(SALU_CYCLE_1)
	s_add_u32 s2, s36, s2
	s_addc_u32 s3, s37, s3
	s_load_b64 s[4:5], s[2:3], 0x0
	s_mul_i32 s3, s15, s23
	s_mul_i32 s2, s15, s22
	s_add_i32 s3, s6, s3
	s_delay_alu instid0(SALU_CYCLE_1) | instskip(NEXT) | instid1(SALU_CYCLE_1)
	s_lshl_b64 s[2:3], s[2:3], 3
	s_add_u32 s2, s20, s2
	s_addc_u32 s3, s21, s3
	s_load_b64 s[2:3], s[2:3], 0x0
	s_waitcnt lgkmcnt(0)
	v_cmp_neq_f32_e64 s6, s4, 0
	v_cmp_neq_f32_e64 s7, s5, 0
	s_delay_alu instid0(VALU_DEP_1) | instskip(NEXT) | instid1(SALU_CYCLE_1)
	s_or_b32 s6, s6, s7
	s_and_b32 vcc_lo, exec_lo, s6
	s_mov_b32 s6, -1
	s_cbranch_vccnz .LBB125_2
; %bb.1:
	v_cmp_neq_f32_e64 s6, s2, 1.0
	v_cmp_neq_f32_e64 s7, s3, 0
	s_delay_alu instid0(VALU_DEP_1)
	s_or_b32 s6, s6, s7
.LBB125_2:
	s_delay_alu instid0(SALU_CYCLE_1)
	s_and_not1_b32 vcc_lo, exec_lo, s6
	s_cbranch_vccnz .LBB125_28
; %bb.3:
	s_mul_i32 s7, s15, s31
	s_mul_hi_u32 s8, s15, s30
	s_mul_i32 s6, s15, s30
	s_add_i32 s7, s8, s7
	v_cmp_eq_u32_e32 vcc_lo, 0, v0
	s_lshl_b64 s[6:7], s[6:7], 3
	s_delay_alu instid0(SALU_CYCLE_1) | instskip(SKIP_2) | instid1(SALU_CYCLE_1)
	s_add_u32 s8, s24, s6
	s_addc_u32 s9, s25, s7
	s_lshl_b64 s[6:7], s[26:27], 3
	s_add_u32 s12, s8, s6
	s_addc_u32 s13, s9, s7
	s_or_b32 s6, s4, s5
	s_delay_alu instid0(SALU_CYCLE_1) | instskip(NEXT) | instid1(SALU_CYCLE_1)
	s_bitset0_b32 s6, 31
	s_cmp_lg_u32 s6, 0
	s_mov_b32 s6, -1
	s_cbranch_scc1 .LBB125_9
; %bb.4:
	s_and_saveexec_b32 s8, vcc_lo
	s_cbranch_execz .LBB125_8
; %bb.5:
	v_cmp_neq_f32_e64 s6, s2, 0
	v_cmp_neq_f32_e64 s7, s3, 0
	s_mul_i32 s9, s14, s29
	s_ashr_i32 s10, s14, 31
	v_dual_mov_b32 v3, 0 :: v_dual_mov_b32 v2, 0
	s_delay_alu instid0(VALU_DEP_2)
	s_or_b32 s6, s6, s7
	s_mul_hi_u32 s7, s14, s28
	v_mov_b32_e32 v1, 0
	s_add_i32 s7, s7, s9
	s_mul_i32 s10, s10, s28
	s_and_not1_b32 vcc_lo, exec_lo, s6
	s_add_i32 s7, s7, s10
	s_mul_i32 s6, s14, s28
	s_cbranch_vccnz .LBB125_7
; %bb.6:
	s_lshl_b64 s[10:11], s[6:7], 3
	s_delay_alu instid0(SALU_CYCLE_1)
	s_add_u32 s10, s12, s10
	s_addc_u32 s11, s13, s11
	s_load_b64 s[10:11], s[10:11], 0x0
	s_waitcnt lgkmcnt(0)
	v_mul_f32_e64 v1, s3, s11
	v_mul_f32_e64 v2, s2, s11
	s_delay_alu instid0(VALU_DEP_2) | instskip(NEXT) | instid1(VALU_DEP_2)
	v_fma_f32 v1, s2, s10, -v1
	v_fmac_f32_e64 v2, s3, s10
.LBB125_7:
	s_lshl_b64 s[6:7], s[6:7], 3
	s_delay_alu instid0(SALU_CYCLE_1)
	s_add_u32 s6, s12, s6
	s_addc_u32 s7, s13, s7
	global_store_b64 v3, v[1:2], s[6:7]
.LBB125_8:
	s_or_b32 exec_lo, exec_lo, s8
	s_mov_b32 s6, 0
.LBB125_9:
	s_delay_alu instid0(SALU_CYCLE_1)
	s_and_not1_b32 vcc_lo, exec_lo, s6
	s_cbranch_vccnz .LBB125_28
; %bb.10:
	s_load_b32 s9, s[0:1], 0x0
	s_mul_i32 s7, s15, s47
	s_mul_hi_u32 s8, s15, s46
	s_mul_i32 s0, s15, s46
	s_add_i32 s1, s8, s7
	s_mul_i32 s6, s15, s19
	s_mul_hi_u32 s7, s15, s18
	s_lshl_b64 s[0:1], s[0:1], 3
	s_add_i32 s7, s7, s6
	s_add_u32 s6, s40, s0
	s_addc_u32 s8, s41, s1
	s_lshl_b64 s[0:1], s[42:43], 3
	s_mul_hi_u32 s10, s14, s44
	s_add_u32 s0, s6, s0
	s_addc_u32 s6, s8, s1
	s_mul_i32 s8, s14, s45
	s_ashr_i32 s1, s14, 31
	s_add_i32 s8, s10, s8
	s_mul_i32 s10, s1, s44
	v_mov_b32_e32 v7, 0
	s_waitcnt lgkmcnt(0)
	v_cmp_gt_i32_e32 vcc_lo, s9, v0
	s_add_i32 s11, s8, s10
	s_mul_i32 s10, s14, s44
	v_mov_b32_e32 v8, 0
	s_lshl_b64 s[10:11], s[10:11], 3
	v_cndmask_b32_e32 v1, 0, v0, vcc_lo
	s_add_u32 s0, s10, s0
	s_addc_u32 s6, s11, s6
	s_ashr_i32 s8, s9, 31
	s_delay_alu instid0(SALU_CYCLE_1) | instskip(SKIP_2) | instid1(SALU_CYCLE_1)
	s_lshr_b32 s8, s8, 24
	v_lshlrev_b32_e32 v1, 3, v1
	s_add_i32 s8, s9, s8
	s_and_b32 s8, s8, 0xffffff00
	s_delay_alu instid0(VALU_DEP_1) | instskip(NEXT) | instid1(VALU_DEP_1)
	v_add_co_u32 v1, s0, s0, v1
	v_add_co_ci_u32_e64 v2, null, s6, 0, s0
	s_mul_i32 s6, s15, s18
	s_mov_b32 s15, exec_lo
	v_cmpx_gt_i32_e64 s8, v0
	s_cbranch_execz .LBB125_14
; %bb.11:
	v_mad_u64_u32 v[5:6], null, s16, v0, 0
	s_lshl_b64 s[18:19], s[50:51], 3
	s_lshl_b64 s[10:11], s[6:7], 3
	s_add_u32 s0, s48, s18
	s_addc_u32 s18, s49, s19
	s_add_u32 s0, s0, s10
	s_addc_u32 s10, s18, s11
	s_delay_alu instid0(VALU_DEP_1) | instskip(SKIP_2) | instid1(VALU_DEP_2)
	v_dual_mov_b32 v3, v6 :: v_dual_mov_b32 v8, 0
	v_mov_b32_e32 v9, v0
	s_mov_b32 s18, 0
	v_mad_u64_u32 v[6:7], null, s17, v0, v[3:4]
	v_dual_mov_b32 v7, 0 :: v_dual_mov_b32 v4, v2
	v_mov_b32_e32 v3, v1
	s_delay_alu instid0(VALU_DEP_3) | instskip(NEXT) | instid1(VALU_DEP_1)
	v_lshlrev_b64 v[5:6], 3, v[5:6]
	v_add_co_u32 v5, vcc_lo, s0, v5
	s_delay_alu instid0(VALU_DEP_2) | instskip(SKIP_1) | instid1(VALU_DEP_2)
	v_add_co_ci_u32_e32 v6, vcc_lo, s10, v6, vcc_lo
	s_lshl_b64 s[10:11], s[16:17], 11
	v_add_co_u32 v5, vcc_lo, v5, 4
	s_delay_alu instid0(VALU_DEP_2)
	v_add_co_ci_u32_e32 v6, vcc_lo, 0, v6, vcc_lo
	.p2align	6
.LBB125_12:                             ; =>This Inner Loop Header: Depth=1
	global_load_b64 v[10:11], v[3:4], off
	global_load_b64 v[12:13], v[5:6], off offset:-4
	v_add_nc_u32_e32 v9, 0x100, v9
	v_add_co_u32 v3, vcc_lo, 0x800, v3
	v_add_co_ci_u32_e32 v4, vcc_lo, 0, v4, vcc_lo
	v_add_co_u32 v5, vcc_lo, v5, s10
	v_add_co_ci_u32_e32 v6, vcc_lo, s11, v6, vcc_lo
	s_waitcnt vmcnt(0)
	v_mul_f32_e32 v14, v13, v11
	v_mul_f32_e32 v11, v12, v11
	v_cmp_le_i32_e64 s0, s8, v9
	s_delay_alu instid0(VALU_DEP_3) | instskip(NEXT) | instid1(VALU_DEP_3)
	v_fma_f32 v12, v12, v10, -v14
	v_fmac_f32_e32 v11, v13, v10
	s_delay_alu instid0(VALU_DEP_3) | instskip(NEXT) | instid1(VALU_DEP_1)
	s_or_b32 s18, s0, s18
	v_dual_add_f32 v8, v8, v12 :: v_dual_add_f32 v7, v7, v11
	s_and_not1_b32 exec_lo, exec_lo, s18
	s_cbranch_execnz .LBB125_12
; %bb.13:
	s_or_b32 exec_lo, exec_lo, s18
.LBB125_14:
	s_delay_alu instid0(SALU_CYCLE_1) | instskip(SKIP_2) | instid1(VALU_DEP_1)
	s_or_b32 exec_lo, exec_lo, s15
	v_add_nc_u32_e32 v3, s8, v0
	s_mov_b32 s0, exec_lo
	v_cmpx_gt_i32_e64 s9, v3
	s_cbranch_execz .LBB125_16
; %bb.15:
	v_ashrrev_i32_e32 v6, 31, v3
	v_mul_lo_u32 v9, v3, s17
	v_mad_u64_u32 v[4:5], null, v3, s16, 0
	s_lshl_b64 s[6:7], s[6:7], 3
	s_delay_alu instid0(VALU_DEP_3) | instskip(SKIP_3) | instid1(SALU_CYCLE_1)
	v_mul_lo_u32 v3, v6, s16
	s_add_u32 s9, s48, s6
	s_addc_u32 s10, s49, s7
	s_lshl_b64 s[6:7], s[50:51], 3
	s_add_u32 s11, s9, s6
	s_addc_u32 s10, s10, s7
	s_ashr_i32 s9, s8, 31
	s_delay_alu instid0(VALU_DEP_1) | instskip(SKIP_1) | instid1(SALU_CYCLE_1)
	v_add3_u32 v5, v5, v9, v3
	s_lshl_b64 s[6:7], s[8:9], 3
	v_add_co_u32 v1, vcc_lo, v1, s6
	s_delay_alu instid0(VALU_DEP_2) | instskip(SKIP_1) | instid1(VALU_DEP_2)
	v_lshlrev_b64 v[3:4], 3, v[4:5]
	v_add_co_ci_u32_e32 v2, vcc_lo, s7, v2, vcc_lo
	v_add_co_u32 v3, vcc_lo, s11, v3
	s_delay_alu instid0(VALU_DEP_3)
	v_add_co_ci_u32_e32 v4, vcc_lo, s10, v4, vcc_lo
	global_load_b64 v[1:2], v[1:2], off
	global_load_b64 v[3:4], v[3:4], off
	s_waitcnt vmcnt(0)
	v_mul_f32_e32 v5, v4, v2
	v_mul_f32_e32 v2, v3, v2
	s_delay_alu instid0(VALU_DEP_2) | instskip(NEXT) | instid1(VALU_DEP_2)
	v_fma_f32 v3, v3, v1, -v5
	v_fmac_f32_e32 v2, v4, v1
	s_delay_alu instid0(VALU_DEP_1)
	v_dual_add_f32 v8, v8, v3 :: v_dual_add_f32 v7, v7, v2
.LBB125_16:
	s_or_b32 exec_lo, exec_lo, s0
	v_and_b32_e32 v1, 31, v0
	v_cmp_gt_u32_e32 vcc_lo, 32, v0
	s_delay_alu instid0(VALU_DEP_2)
	v_lshlrev_b32_e32 v3, 3, v1
	s_and_saveexec_b32 s0, vcc_lo
	s_cbranch_execz .LBB125_18
; %bb.17:
	v_mov_b32_e32 v4, 0
	s_delay_alu instid0(VALU_DEP_1)
	v_mov_b32_e32 v5, v4
	ds_store_b64 v3, v[4:5]
.LBB125_18:
	s_or_b32 exec_lo, exec_lo, s0
	v_mbcnt_lo_u32_b32 v2, -1, 0
	s_mov_b32 s6, exec_lo
	s_waitcnt lgkmcnt(0)
	s_waitcnt_vscnt null, 0x0
	s_barrier
	buffer_gl0_inv
	v_cmp_gt_u32_e64 s0, 16, v2
	s_delay_alu instid0(VALU_DEP_1) | instskip(SKIP_1) | instid1(VALU_DEP_2)
	v_cndmask_b32_e64 v4, 0, 1, s0
	v_cmp_gt_u32_e64 s0, 24, v2
	v_lshlrev_b32_e32 v4, 4, v4
	s_delay_alu instid0(VALU_DEP_2) | instskip(SKIP_1) | instid1(VALU_DEP_3)
	v_cndmask_b32_e64 v6, 0, 1, s0
	v_cmp_gt_u32_e64 s0, 28, v2
	v_add_lshl_u32 v4, v4, v2, 2
	ds_bpermute_b32 v5, v4, v8
	ds_bpermute_b32 v4, v4, v7
	s_waitcnt lgkmcnt(1)
	v_dual_add_f32 v5, v8, v5 :: v_dual_lshlrev_b32 v6, 3, v6
	s_waitcnt lgkmcnt(0)
	v_add_f32_e32 v7, v7, v4
	s_delay_alu instid0(VALU_DEP_2)
	v_add_lshl_u32 v6, v6, v2, 2
	v_cndmask_b32_e64 v4, 0, 1, s0
	v_cmp_gt_u32_e64 s0, 30, v2
	ds_bpermute_b32 v8, v6, v5
	ds_bpermute_b32 v6, v6, v7
	s_waitcnt lgkmcnt(1)
	v_add_f32_e32 v8, v5, v8
	v_cndmask_b32_e64 v5, 0, 1, s0
	s_waitcnt lgkmcnt(0)
	v_add_f32_e32 v6, v7, v6
	v_cmp_ne_u32_e64 s0, 31, v2
	s_delay_alu instid0(VALU_DEP_3) | instskip(SKIP_1) | instid1(VALU_DEP_2)
	v_lshlrev_b32_e32 v5, 1, v5
	v_lshlrev_b32_e32 v4, 2, v4
	v_add_lshl_u32 v5, v5, v2, 2
	s_delay_alu instid0(VALU_DEP_2)
	v_add_lshl_u32 v4, v4, v2, 2
	v_add_co_ci_u32_e64 v2, s0, 0, v2, s0
	ds_bpermute_b32 v7, v4, v8
	ds_bpermute_b32 v9, v4, v6
	s_waitcnt lgkmcnt(0)
	v_dual_add_f32 v7, v8, v7 :: v_dual_add_f32 v8, v6, v9
	v_lshlrev_b32_e32 v6, 2, v2
	ds_bpermute_b32 v9, v5, v7
	ds_bpermute_b32 v10, v5, v8
	s_waitcnt lgkmcnt(1)
	v_add_f32_e32 v2, v7, v9
	s_waitcnt lgkmcnt(0)
	v_add_f32_e32 v8, v8, v10
	ds_bpermute_b32 v7, v6, v2
	ds_bpermute_b32 v9, v6, v8
	v_cmpx_eq_u32_e32 0, v1
	s_cbranch_execz .LBB125_20
; %bb.19:
	v_lshrrev_b32_e32 v1, 2, v0
	s_waitcnt lgkmcnt(0)
	v_dual_add_f32 v8, v8, v9 :: v_dual_add_f32 v7, v2, v7
	s_delay_alu instid0(VALU_DEP_2)
	v_and_b32_e32 v1, 56, v1
	ds_store_b64 v1, v[7:8]
.LBB125_20:
	s_or_b32 exec_lo, exec_lo, s6
	v_dual_mov_b32 v2, 0 :: v_dual_mov_b32 v1, 0
	s_mov_b32 s6, exec_lo
	s_waitcnt lgkmcnt(0)
	s_barrier
	buffer_gl0_inv
	v_cmpx_gt_u32_e32 8, v0
	s_cbranch_execz .LBB125_22
; %bb.21:
	ds_load_b64 v[1:2], v3
.LBB125_22:
	s_or_b32 exec_lo, exec_lo, s6
	s_and_saveexec_b32 s0, vcc_lo
	s_cbranch_execz .LBB125_24
; %bb.23:
	s_waitcnt lgkmcnt(0)
	ds_bpermute_b32 v3, v4, v1
	ds_bpermute_b32 v4, v4, v2
	s_waitcnt lgkmcnt(0)
	v_dual_add_f32 v1, v1, v3 :: v_dual_add_f32 v2, v2, v4
	ds_bpermute_b32 v3, v5, v1
	ds_bpermute_b32 v4, v5, v2
	s_waitcnt lgkmcnt(0)
	v_dual_add_f32 v1, v1, v3 :: v_dual_add_f32 v2, v2, v4
	;; [unrolled: 4-line block ×3, first 2 shown]
.LBB125_24:
	s_or_b32 exec_lo, exec_lo, s0
	s_delay_alu instid0(SALU_CYCLE_1)
	s_mov_b32 s0, exec_lo
	v_cmpx_eq_u32_e32 0, v0
	s_cbranch_execz .LBB125_28
; %bb.25:
	v_cmp_neq_f32_e64 s0, s2, 0
	v_cmp_neq_f32_e64 s6, s3, 0
	s_waitcnt lgkmcnt(0)
	v_mul_f32_e32 v0, s5, v2
	v_mul_f32_e32 v4, s4, v2
	s_mul_i32 s1, s1, s28
	s_or_b32 s0, s0, s6
	s_delay_alu instid0(VALU_DEP_2)
	v_fma_f32 v3, v1, s4, -v0
	s_mul_i32 s4, s14, s29
	s_mul_hi_u32 s6, s14, s28
	v_fmac_f32_e32 v4, s5, v1
	s_add_i32 s4, s6, s4
	s_and_not1_b32 vcc_lo, exec_lo, s0
	s_add_i32 s1, s4, s1
	s_mul_i32 s0, s14, s28
	s_cbranch_vccnz .LBB125_27
; %bb.26:
	s_lshl_b64 s[4:5], s[0:1], 3
	v_mov_b32_e32 v0, 0
	s_add_u32 s4, s12, s4
	s_addc_u32 s5, s13, s5
	global_load_b64 v[0:1], v0, s[4:5]
	s_waitcnt vmcnt(0)
	v_mul_f32_e32 v2, s3, v1
	v_mul_f32_e32 v1, s2, v1
	s_delay_alu instid0(VALU_DEP_1) | instskip(NEXT) | instid1(VALU_DEP_3)
	v_fmac_f32_e32 v1, s3, v0
	v_fma_f32 v2, s2, v0, -v2
	s_delay_alu instid0(VALU_DEP_1)
	v_dual_add_f32 v4, v4, v1 :: v_dual_add_f32 v3, v3, v2
.LBB125_27:
	s_lshl_b64 s[0:1], s[0:1], 3
	v_mov_b32_e32 v0, 0
	s_add_u32 s0, s12, s0
	s_addc_u32 s1, s13, s1
	global_store_b64 v0, v[3:4], s[0:1]
.LBB125_28:
	s_nop 0
	s_sendmsg sendmsg(MSG_DEALLOC_VGPRS)
	s_endpgm
	.section	.rodata,"a",@progbits
	.p2align	6, 0x0
	.amdhsa_kernel _ZL32rocblas_gemvt_warp_reduce_kernelILb0ELi256El19rocblas_complex_numIfEPKS1_S1_EviiT3_lPKT2_lT1_lS7_lS8_lS4_lPT4_lS8_li
		.amdhsa_group_segment_fixed_size 256
		.amdhsa_private_segment_fixed_size 0
		.amdhsa_kernarg_size 140
		.amdhsa_user_sgpr_count 14
		.amdhsa_user_sgpr_dispatch_ptr 0
		.amdhsa_user_sgpr_queue_ptr 0
		.amdhsa_user_sgpr_kernarg_segment_ptr 1
		.amdhsa_user_sgpr_dispatch_id 0
		.amdhsa_user_sgpr_private_segment_size 0
		.amdhsa_wavefront_size32 1
		.amdhsa_uses_dynamic_stack 0
		.amdhsa_enable_private_segment 0
		.amdhsa_system_sgpr_workgroup_id_x 1
		.amdhsa_system_sgpr_workgroup_id_y 0
		.amdhsa_system_sgpr_workgroup_id_z 1
		.amdhsa_system_sgpr_workgroup_info 0
		.amdhsa_system_vgpr_workitem_id 0
		.amdhsa_next_free_vgpr 15
		.amdhsa_next_free_sgpr 52
		.amdhsa_reserve_vcc 1
		.amdhsa_float_round_mode_32 0
		.amdhsa_float_round_mode_16_64 0
		.amdhsa_float_denorm_mode_32 3
		.amdhsa_float_denorm_mode_16_64 3
		.amdhsa_dx10_clamp 1
		.amdhsa_ieee_mode 1
		.amdhsa_fp16_overflow 0
		.amdhsa_workgroup_processor_mode 1
		.amdhsa_memory_ordered 1
		.amdhsa_forward_progress 0
		.amdhsa_shared_vgpr_count 0
		.amdhsa_exception_fp_ieee_invalid_op 0
		.amdhsa_exception_fp_denorm_src 0
		.amdhsa_exception_fp_ieee_div_zero 0
		.amdhsa_exception_fp_ieee_overflow 0
		.amdhsa_exception_fp_ieee_underflow 0
		.amdhsa_exception_fp_ieee_inexact 0
		.amdhsa_exception_int_div_zero 0
	.end_amdhsa_kernel
	.section	.text._ZL32rocblas_gemvt_warp_reduce_kernelILb0ELi256El19rocblas_complex_numIfEPKS1_S1_EviiT3_lPKT2_lT1_lS7_lS8_lS4_lPT4_lS8_li,"axG",@progbits,_ZL32rocblas_gemvt_warp_reduce_kernelILb0ELi256El19rocblas_complex_numIfEPKS1_S1_EviiT3_lPKT2_lT1_lS7_lS8_lS4_lPT4_lS8_li,comdat
.Lfunc_end125:
	.size	_ZL32rocblas_gemvt_warp_reduce_kernelILb0ELi256El19rocblas_complex_numIfEPKS1_S1_EviiT3_lPKT2_lT1_lS7_lS8_lS4_lPT4_lS8_li, .Lfunc_end125-_ZL32rocblas_gemvt_warp_reduce_kernelILb0ELi256El19rocblas_complex_numIfEPKS1_S1_EviiT3_lPKT2_lT1_lS7_lS8_lS4_lPT4_lS8_li
                                        ; -- End function
	.section	.AMDGPU.csdata,"",@progbits
; Kernel info:
; codeLenInByte = 1828
; NumSgprs: 54
; NumVgprs: 15
; ScratchSize: 0
; MemoryBound: 0
; FloatMode: 240
; IeeeMode: 1
; LDSByteSize: 256 bytes/workgroup (compile time only)
; SGPRBlocks: 6
; VGPRBlocks: 1
; NumSGPRsForWavesPerEU: 54
; NumVGPRsForWavesPerEU: 15
; Occupancy: 16
; WaveLimiterHint : 0
; COMPUTE_PGM_RSRC2:SCRATCH_EN: 0
; COMPUTE_PGM_RSRC2:USER_SGPR: 14
; COMPUTE_PGM_RSRC2:TRAP_HANDLER: 0
; COMPUTE_PGM_RSRC2:TGID_X_EN: 1
; COMPUTE_PGM_RSRC2:TGID_Y_EN: 0
; COMPUTE_PGM_RSRC2:TGID_Z_EN: 1
; COMPUTE_PGM_RSRC2:TIDIG_COMP_CNT: 0
	.section	.text._ZL32rocblas_gemvt_warp_reduce_kernelILb0ELi256Ei19rocblas_complex_numIfES1_S1_EviiT3_lPKT2_lT1_lS5_lS6_lS2_lPT4_lS6_li,"axG",@progbits,_ZL32rocblas_gemvt_warp_reduce_kernelILb0ELi256Ei19rocblas_complex_numIfES1_S1_EviiT3_lPKT2_lT1_lS5_lS6_lS2_lPT4_lS6_li,comdat
	.globl	_ZL32rocblas_gemvt_warp_reduce_kernelILb0ELi256Ei19rocblas_complex_numIfES1_S1_EviiT3_lPKT2_lT1_lS5_lS6_lS2_lPT4_lS6_li ; -- Begin function _ZL32rocblas_gemvt_warp_reduce_kernelILb0ELi256Ei19rocblas_complex_numIfES1_S1_EviiT3_lPKT2_lT1_lS5_lS6_lS2_lPT4_lS6_li
	.p2align	8
	.type	_ZL32rocblas_gemvt_warp_reduce_kernelILb0ELi256Ei19rocblas_complex_numIfES1_S1_EviiT3_lPKT2_lT1_lS5_lS6_lS2_lPT4_lS6_li,@function
_ZL32rocblas_gemvt_warp_reduce_kernelILb0ELi256Ei19rocblas_complex_numIfES1_S1_EviiT3_lPKT2_lT1_lS5_lS6_lS2_lPT4_lS6_li: ; @_ZL32rocblas_gemvt_warp_reduce_kernelILb0ELi256Ei19rocblas_complex_numIfES1_S1_EviiT3_lPKT2_lT1_lS5_lS6_lS2_lPT4_lS6_li
; %bb.0:
	s_clause 0x1
	s_load_b64 s[4:5], s[0:1], 0x8
	s_load_b64 s[2:3], s[0:1], 0x58
	s_waitcnt lgkmcnt(0)
	v_cmp_neq_f32_e64 s6, s4, 0
	v_cmp_neq_f32_e64 s7, s5, 0
	s_delay_alu instid0(VALU_DEP_1) | instskip(NEXT) | instid1(SALU_CYCLE_1)
	s_or_b32 s6, s6, s7
	s_and_b32 vcc_lo, exec_lo, s6
	s_mov_b32 s6, -1
	s_cbranch_vccnz .LBB126_2
; %bb.1:
	v_cmp_neq_f32_e64 s6, s2, 1.0
	v_cmp_neq_f32_e64 s7, s3, 0
	s_delay_alu instid0(VALU_DEP_1)
	s_or_b32 s6, s6, s7
.LBB126_2:
	s_delay_alu instid0(SALU_CYCLE_1)
	s_and_not1_b32 vcc_lo, exec_lo, s6
	s_cbranch_vccnz .LBB126_28
; %bb.3:
	s_clause 0x2
	s_load_b64 s[6:7], s[0:1], 0x80
	s_load_b128 s[16:19], s[0:1], 0x68
	s_load_b32 s10, s[0:1], 0x78
	v_cmp_eq_u32_e32 vcc_lo, 0, v0
	s_waitcnt lgkmcnt(0)
	s_mul_i32 s7, s15, s7
	s_mul_hi_u32 s8, s15, s6
	s_mul_i32 s6, s15, s6
	s_add_i32 s7, s8, s7
	s_delay_alu instid0(SALU_CYCLE_1) | instskip(NEXT) | instid1(SALU_CYCLE_1)
	s_lshl_b64 s[6:7], s[6:7], 3
	s_add_u32 s8, s16, s6
	s_addc_u32 s9, s17, s7
	s_lshl_b64 s[6:7], s[18:19], 3
	s_delay_alu instid0(SALU_CYCLE_1) | instskip(SKIP_2) | instid1(SALU_CYCLE_1)
	s_add_u32 s8, s8, s6
	s_addc_u32 s9, s9, s7
	s_or_b32 s6, s4, s5
	s_bitset0_b32 s6, 31
	s_delay_alu instid0(SALU_CYCLE_1)
	s_cmp_lg_u32 s6, 0
	s_mov_b32 s6, -1
	s_cbranch_scc1 .LBB126_9
; %bb.4:
	s_and_saveexec_b32 s11, vcc_lo
	s_cbranch_execz .LBB126_8
; %bb.5:
	v_cmp_neq_f32_e64 s6, s2, 0
	v_cmp_neq_f32_e64 s7, s3, 0
	v_dual_mov_b32 v3, 0 :: v_dual_mov_b32 v2, 0
	v_mov_b32_e32 v1, 0
	s_delay_alu instid0(VALU_DEP_3)
	s_or_b32 s7, s6, s7
	s_mul_i32 s6, s14, s10
	s_and_not1_b32 vcc_lo, exec_lo, s7
	s_ashr_i32 s7, s6, 31
	s_cbranch_vccnz .LBB126_7
; %bb.6:
	s_lshl_b64 s[12:13], s[6:7], 3
	s_delay_alu instid0(SALU_CYCLE_1)
	s_add_u32 s12, s8, s12
	s_addc_u32 s13, s9, s13
	s_load_b64 s[12:13], s[12:13], 0x0
	s_waitcnt lgkmcnt(0)
	v_mul_f32_e64 v1, s3, s13
	v_mul_f32_e64 v2, s2, s13
	s_delay_alu instid0(VALU_DEP_2) | instskip(NEXT) | instid1(VALU_DEP_2)
	v_fma_f32 v1, s2, s12, -v1
	v_fmac_f32_e64 v2, s3, s12
.LBB126_7:
	s_lshl_b64 s[6:7], s[6:7], 3
	s_delay_alu instid0(SALU_CYCLE_1)
	s_add_u32 s6, s8, s6
	s_addc_u32 s7, s9, s7
	global_store_b64 v3, v[1:2], s[6:7]
.LBB126_8:
	s_or_b32 exec_lo, exec_lo, s11
	s_mov_b32 s6, 0
.LBB126_9:
	s_delay_alu instid0(SALU_CYCLE_1)
	s_and_not1_b32 vcc_lo, exec_lo, s6
	s_cbranch_vccnz .LBB126_28
; %bb.10:
	s_clause 0x6
	s_load_b64 s[12:13], s[0:1], 0x50
	s_load_b128 s[16:19], s[0:1], 0x30
	s_load_b64 s[24:25], s[0:1], 0x40
	s_load_b32 s6, s[0:1], 0x0
	s_load_b128 s[20:23], s[0:1], 0x18
	s_load_b32 s26, s[0:1], 0x28
	s_load_b32 s1, s[0:1], 0x48
	v_dual_mov_b32 v7, 0 :: v_dual_mov_b32 v8, 0
	s_waitcnt lgkmcnt(0)
	s_mul_i32 s0, s15, s13
	s_mul_hi_u32 s7, s15, s12
	s_mul_i32 s12, s15, s12
	s_add_i32 s13, s7, s0
	s_mul_i32 s0, s15, s17
	s_lshl_b64 s[12:13], s[12:13], 3
	s_mul_hi_u32 s17, s15, s16
	s_add_u32 s7, s18, s12
	s_addc_u32 s11, s19, s13
	s_lshl_b64 s[12:13], s[24:25], 3
	v_cmp_gt_i32_e32 vcc_lo, s6, v0
	s_add_u32 s7, s7, s12
	s_mul_i32 s16, s15, s16
	s_addc_u32 s11, s11, s13
	s_add_i32 s17, s17, s0
	v_cndmask_b32_e32 v1, 0, v0, vcc_lo
	s_lshl_b64 s[12:13], s[16:17], 3
	s_mul_i32 s16, s14, s26
	s_add_u32 s0, s20, s12
	s_addc_u32 s15, s21, s13
	s_lshl_b64 s[12:13], s[22:23], 3
	v_lshlrev_b32_e32 v1, 3, v1
	s_add_u32 s0, s0, s12
	s_addc_u32 s15, s15, s13
	s_ashr_i32 s17, s16, 31
	s_delay_alu instid0(SALU_CYCLE_1) | instskip(NEXT) | instid1(SALU_CYCLE_1)
	s_lshl_b64 s[12:13], s[16:17], 3
	s_add_u32 s12, s12, s0
	s_addc_u32 s13, s13, s15
	s_ashr_i32 s0, s6, 31
	v_add_co_u32 v1, s12, s12, v1
	s_lshr_b32 s0, s0, 24
	v_add_co_ci_u32_e64 v2, null, s13, 0, s12
	s_add_i32 s0, s6, s0
	s_mov_b32 s12, exec_lo
	s_and_b32 s0, s0, 0xffffff00
	s_delay_alu instid0(SALU_CYCLE_1)
	v_cmpx_gt_i32_e64 s0, v0
	s_cbranch_execz .LBB126_14
; %bb.11:
	v_mul_lo_u32 v3, v0, s1
	v_dual_mov_b32 v7, 0 :: v_dual_mov_b32 v6, v2
	v_dual_mov_b32 v5, v1 :: v_dual_mov_b32 v8, 0
	v_mov_b32_e32 v9, v0
	s_lshl_b32 s15, s1, 8
	s_mov_b32 s13, 0
	.p2align	6
.LBB126_12:                             ; =>This Inner Loop Header: Depth=1
	s_delay_alu instid0(VALU_DEP_4) | instskip(NEXT) | instid1(VALU_DEP_1)
	v_ashrrev_i32_e32 v4, 31, v3
	v_lshlrev_b64 v[10:11], 3, v[3:4]
	v_add_nc_u32_e32 v3, s15, v3
	s_delay_alu instid0(VALU_DEP_2) | instskip(NEXT) | instid1(VALU_DEP_3)
	v_add_co_u32 v10, vcc_lo, s7, v10
	v_add_co_ci_u32_e32 v11, vcc_lo, s11, v11, vcc_lo
	global_load_b64 v[12:13], v[5:6], off
	global_load_b64 v[10:11], v[10:11], off
	v_add_co_u32 v5, vcc_lo, 0x800, v5
	v_add_co_ci_u32_e32 v6, vcc_lo, 0, v6, vcc_lo
	s_waitcnt vmcnt(0)
	v_mul_f32_e32 v4, v11, v13
	v_mul_f32_e32 v13, v10, v13
	s_delay_alu instid0(VALU_DEP_2) | instskip(SKIP_1) | instid1(VALU_DEP_3)
	v_fma_f32 v4, v10, v12, -v4
	v_add_nc_u32_e32 v9, 0x100, v9
	v_fmac_f32_e32 v13, v11, v12
	s_delay_alu instid0(VALU_DEP_3) | instskip(NEXT) | instid1(VALU_DEP_3)
	v_add_f32_e32 v8, v8, v4
	v_cmp_le_i32_e32 vcc_lo, s0, v9
	s_delay_alu instid0(VALU_DEP_3) | instskip(SKIP_1) | instid1(SALU_CYCLE_1)
	v_add_f32_e32 v7, v7, v13
	s_or_b32 s13, vcc_lo, s13
	s_and_not1_b32 exec_lo, exec_lo, s13
	s_cbranch_execnz .LBB126_12
; %bb.13:
	s_or_b32 exec_lo, exec_lo, s13
.LBB126_14:
	s_delay_alu instid0(SALU_CYCLE_1) | instskip(SKIP_1) | instid1(VALU_DEP_1)
	s_or_b32 exec_lo, exec_lo, s12
	v_add_nc_u32_e32 v3, s0, v0
	v_cmp_gt_i32_e32 vcc_lo, s6, v3
	s_and_saveexec_b32 s6, vcc_lo
	s_cbranch_execz .LBB126_16
; %bb.15:
	v_mul_lo_u32 v3, v3, s1
	s_ashr_i32 s1, s0, 31
	s_delay_alu instid0(SALU_CYCLE_1) | instskip(NEXT) | instid1(SALU_CYCLE_1)
	s_lshl_b64 s[0:1], s[0:1], 3
	v_add_co_u32 v1, vcc_lo, v1, s0
	v_add_co_ci_u32_e32 v2, vcc_lo, s1, v2, vcc_lo
	s_delay_alu instid0(VALU_DEP_3) | instskip(NEXT) | instid1(VALU_DEP_1)
	v_ashrrev_i32_e32 v4, 31, v3
	v_lshlrev_b64 v[3:4], 3, v[3:4]
	s_delay_alu instid0(VALU_DEP_1) | instskip(NEXT) | instid1(VALU_DEP_2)
	v_add_co_u32 v3, vcc_lo, s7, v3
	v_add_co_ci_u32_e32 v4, vcc_lo, s11, v4, vcc_lo
	global_load_b64 v[1:2], v[1:2], off
	global_load_b64 v[3:4], v[3:4], off
	s_waitcnt vmcnt(0)
	v_mul_f32_e32 v5, v4, v2
	v_mul_f32_e32 v2, v3, v2
	s_delay_alu instid0(VALU_DEP_2) | instskip(NEXT) | instid1(VALU_DEP_2)
	v_fma_f32 v3, v3, v1, -v5
	v_fmac_f32_e32 v2, v4, v1
	s_delay_alu instid0(VALU_DEP_1)
	v_dual_add_f32 v8, v8, v3 :: v_dual_add_f32 v7, v7, v2
.LBB126_16:
	s_or_b32 exec_lo, exec_lo, s6
	v_and_b32_e32 v1, 31, v0
	v_cmp_gt_u32_e32 vcc_lo, 32, v0
	s_delay_alu instid0(VALU_DEP_2)
	v_lshlrev_b32_e32 v3, 3, v1
	s_and_saveexec_b32 s0, vcc_lo
	s_cbranch_execz .LBB126_18
; %bb.17:
	v_mov_b32_e32 v4, 0
	s_delay_alu instid0(VALU_DEP_1)
	v_mov_b32_e32 v5, v4
	ds_store_b64 v3, v[4:5]
.LBB126_18:
	s_or_b32 exec_lo, exec_lo, s0
	v_mbcnt_lo_u32_b32 v2, -1, 0
	s_mov_b32 s1, exec_lo
	s_waitcnt lgkmcnt(0)
	s_waitcnt_vscnt null, 0x0
	s_barrier
	buffer_gl0_inv
	v_cmp_gt_u32_e64 s0, 16, v2
	s_delay_alu instid0(VALU_DEP_1) | instskip(SKIP_1) | instid1(VALU_DEP_2)
	v_cndmask_b32_e64 v4, 0, 1, s0
	v_cmp_gt_u32_e64 s0, 24, v2
	v_lshlrev_b32_e32 v4, 4, v4
	s_delay_alu instid0(VALU_DEP_2) | instskip(SKIP_1) | instid1(VALU_DEP_3)
	v_cndmask_b32_e64 v6, 0, 1, s0
	v_cmp_gt_u32_e64 s0, 28, v2
	v_add_lshl_u32 v4, v4, v2, 2
	ds_bpermute_b32 v5, v4, v8
	ds_bpermute_b32 v4, v4, v7
	s_waitcnt lgkmcnt(1)
	v_dual_add_f32 v5, v8, v5 :: v_dual_lshlrev_b32 v6, 3, v6
	s_waitcnt lgkmcnt(0)
	v_add_f32_e32 v7, v7, v4
	s_delay_alu instid0(VALU_DEP_2)
	v_add_lshl_u32 v6, v6, v2, 2
	v_cndmask_b32_e64 v4, 0, 1, s0
	v_cmp_gt_u32_e64 s0, 30, v2
	ds_bpermute_b32 v8, v6, v5
	ds_bpermute_b32 v6, v6, v7
	s_waitcnt lgkmcnt(1)
	v_add_f32_e32 v8, v5, v8
	v_cndmask_b32_e64 v5, 0, 1, s0
	s_waitcnt lgkmcnt(0)
	v_add_f32_e32 v6, v7, v6
	v_cmp_ne_u32_e64 s0, 31, v2
	s_delay_alu instid0(VALU_DEP_3) | instskip(SKIP_1) | instid1(VALU_DEP_2)
	v_lshlrev_b32_e32 v5, 1, v5
	v_lshlrev_b32_e32 v4, 2, v4
	v_add_lshl_u32 v5, v5, v2, 2
	s_delay_alu instid0(VALU_DEP_2)
	v_add_lshl_u32 v4, v4, v2, 2
	v_add_co_ci_u32_e64 v2, s0, 0, v2, s0
	ds_bpermute_b32 v7, v4, v8
	ds_bpermute_b32 v9, v4, v6
	s_waitcnt lgkmcnt(0)
	v_dual_add_f32 v7, v8, v7 :: v_dual_add_f32 v8, v6, v9
	v_lshlrev_b32_e32 v6, 2, v2
	ds_bpermute_b32 v9, v5, v7
	ds_bpermute_b32 v10, v5, v8
	s_waitcnt lgkmcnt(1)
	v_add_f32_e32 v2, v7, v9
	s_waitcnt lgkmcnt(0)
	v_add_f32_e32 v8, v8, v10
	ds_bpermute_b32 v7, v6, v2
	ds_bpermute_b32 v9, v6, v8
	v_cmpx_eq_u32_e32 0, v1
	s_cbranch_execz .LBB126_20
; %bb.19:
	v_lshrrev_b32_e32 v1, 2, v0
	s_waitcnt lgkmcnt(0)
	v_dual_add_f32 v8, v8, v9 :: v_dual_add_f32 v7, v2, v7
	s_delay_alu instid0(VALU_DEP_2)
	v_and_b32_e32 v1, 56, v1
	ds_store_b64 v1, v[7:8]
.LBB126_20:
	s_or_b32 exec_lo, exec_lo, s1
	v_dual_mov_b32 v2, 0 :: v_dual_mov_b32 v1, 0
	s_mov_b32 s1, exec_lo
	s_waitcnt lgkmcnt(0)
	s_barrier
	buffer_gl0_inv
	v_cmpx_gt_u32_e32 8, v0
	s_cbranch_execz .LBB126_22
; %bb.21:
	ds_load_b64 v[1:2], v3
.LBB126_22:
	s_or_b32 exec_lo, exec_lo, s1
	s_and_saveexec_b32 s0, vcc_lo
	s_cbranch_execz .LBB126_24
; %bb.23:
	s_waitcnt lgkmcnt(0)
	ds_bpermute_b32 v3, v4, v1
	ds_bpermute_b32 v4, v4, v2
	s_waitcnt lgkmcnt(0)
	v_dual_add_f32 v1, v1, v3 :: v_dual_add_f32 v2, v2, v4
	ds_bpermute_b32 v3, v5, v1
	ds_bpermute_b32 v4, v5, v2
	s_waitcnt lgkmcnt(0)
	v_dual_add_f32 v1, v1, v3 :: v_dual_add_f32 v2, v2, v4
	;; [unrolled: 4-line block ×3, first 2 shown]
.LBB126_24:
	s_or_b32 exec_lo, exec_lo, s0
	s_delay_alu instid0(SALU_CYCLE_1)
	s_mov_b32 s0, exec_lo
	v_cmpx_eq_u32_e32 0, v0
	s_cbranch_execz .LBB126_28
; %bb.25:
	s_waitcnt lgkmcnt(0)
	v_mul_f32_e32 v3, s4, v2
	v_mul_f32_e32 v0, s5, v2
	v_cmp_neq_f32_e64 s0, s2, 0
	v_cmp_neq_f32_e64 s1, s3, 0
	s_delay_alu instid0(VALU_DEP_4) | instskip(NEXT) | instid1(VALU_DEP_4)
	v_fmac_f32_e32 v3, s5, v1
	v_fma_f32 v2, v1, s4, -v0
	s_delay_alu instid0(VALU_DEP_3)
	s_or_b32 s1, s0, s1
	s_mul_i32 s0, s14, s10
	s_and_not1_b32 vcc_lo, exec_lo, s1
	s_ashr_i32 s1, s0, 31
	s_cbranch_vccnz .LBB126_27
; %bb.26:
	s_lshl_b64 s[4:5], s[0:1], 3
	v_mov_b32_e32 v0, 0
	s_add_u32 s4, s8, s4
	s_addc_u32 s5, s9, s5
	global_load_b64 v[0:1], v0, s[4:5]
	s_waitcnt vmcnt(0)
	v_mul_f32_e32 v4, s3, v1
	v_mul_f32_e32 v1, s2, v1
	s_delay_alu instid0(VALU_DEP_1) | instskip(NEXT) | instid1(VALU_DEP_3)
	v_fmac_f32_e32 v1, s3, v0
	v_fma_f32 v4, s2, v0, -v4
	s_delay_alu instid0(VALU_DEP_1)
	v_dual_add_f32 v3, v3, v1 :: v_dual_add_f32 v2, v2, v4
.LBB126_27:
	s_lshl_b64 s[0:1], s[0:1], 3
	v_mov_b32_e32 v0, 0
	s_add_u32 s0, s8, s0
	s_addc_u32 s1, s9, s1
	global_store_b64 v0, v[2:3], s[0:1]
.LBB126_28:
	s_nop 0
	s_sendmsg sendmsg(MSG_DEALLOC_VGPRS)
	s_endpgm
	.section	.rodata,"a",@progbits
	.p2align	6, 0x0
	.amdhsa_kernel _ZL32rocblas_gemvt_warp_reduce_kernelILb0ELi256Ei19rocblas_complex_numIfES1_S1_EviiT3_lPKT2_lT1_lS5_lS6_lS2_lPT4_lS6_li
		.amdhsa_group_segment_fixed_size 256
		.amdhsa_private_segment_fixed_size 0
		.amdhsa_kernarg_size 140
		.amdhsa_user_sgpr_count 14
		.amdhsa_user_sgpr_dispatch_ptr 0
		.amdhsa_user_sgpr_queue_ptr 0
		.amdhsa_user_sgpr_kernarg_segment_ptr 1
		.amdhsa_user_sgpr_dispatch_id 0
		.amdhsa_user_sgpr_private_segment_size 0
		.amdhsa_wavefront_size32 1
		.amdhsa_uses_dynamic_stack 0
		.amdhsa_enable_private_segment 0
		.amdhsa_system_sgpr_workgroup_id_x 1
		.amdhsa_system_sgpr_workgroup_id_y 0
		.amdhsa_system_sgpr_workgroup_id_z 1
		.amdhsa_system_sgpr_workgroup_info 0
		.amdhsa_system_vgpr_workitem_id 0
		.amdhsa_next_free_vgpr 14
		.amdhsa_next_free_sgpr 27
		.amdhsa_reserve_vcc 1
		.amdhsa_float_round_mode_32 0
		.amdhsa_float_round_mode_16_64 0
		.amdhsa_float_denorm_mode_32 3
		.amdhsa_float_denorm_mode_16_64 3
		.amdhsa_dx10_clamp 1
		.amdhsa_ieee_mode 1
		.amdhsa_fp16_overflow 0
		.amdhsa_workgroup_processor_mode 1
		.amdhsa_memory_ordered 1
		.amdhsa_forward_progress 0
		.amdhsa_shared_vgpr_count 0
		.amdhsa_exception_fp_ieee_invalid_op 0
		.amdhsa_exception_fp_denorm_src 0
		.amdhsa_exception_fp_ieee_div_zero 0
		.amdhsa_exception_fp_ieee_overflow 0
		.amdhsa_exception_fp_ieee_underflow 0
		.amdhsa_exception_fp_ieee_inexact 0
		.amdhsa_exception_int_div_zero 0
	.end_amdhsa_kernel
	.section	.text._ZL32rocblas_gemvt_warp_reduce_kernelILb0ELi256Ei19rocblas_complex_numIfES1_S1_EviiT3_lPKT2_lT1_lS5_lS6_lS2_lPT4_lS6_li,"axG",@progbits,_ZL32rocblas_gemvt_warp_reduce_kernelILb0ELi256Ei19rocblas_complex_numIfES1_S1_EviiT3_lPKT2_lT1_lS5_lS6_lS2_lPT4_lS6_li,comdat
.Lfunc_end126:
	.size	_ZL32rocblas_gemvt_warp_reduce_kernelILb0ELi256Ei19rocblas_complex_numIfES1_S1_EviiT3_lPKT2_lT1_lS5_lS6_lS2_lPT4_lS6_li, .Lfunc_end126-_ZL32rocblas_gemvt_warp_reduce_kernelILb0ELi256Ei19rocblas_complex_numIfES1_S1_EviiT3_lPKT2_lT1_lS5_lS6_lS2_lPT4_lS6_li
                                        ; -- End function
	.section	.AMDGPU.csdata,"",@progbits
; Kernel info:
; codeLenInByte = 1688
; NumSgprs: 29
; NumVgprs: 14
; ScratchSize: 0
; MemoryBound: 0
; FloatMode: 240
; IeeeMode: 1
; LDSByteSize: 256 bytes/workgroup (compile time only)
; SGPRBlocks: 3
; VGPRBlocks: 1
; NumSGPRsForWavesPerEU: 29
; NumVGPRsForWavesPerEU: 14
; Occupancy: 16
; WaveLimiterHint : 1
; COMPUTE_PGM_RSRC2:SCRATCH_EN: 0
; COMPUTE_PGM_RSRC2:USER_SGPR: 14
; COMPUTE_PGM_RSRC2:TRAP_HANDLER: 0
; COMPUTE_PGM_RSRC2:TGID_X_EN: 1
; COMPUTE_PGM_RSRC2:TGID_Y_EN: 0
; COMPUTE_PGM_RSRC2:TGID_Z_EN: 1
; COMPUTE_PGM_RSRC2:TIDIG_COMP_CNT: 0
	.section	.text._ZL32rocblas_gemvt_warp_reduce_kernelILb0ELi256El19rocblas_complex_numIfES1_S1_EviiT3_lPKT2_lT1_lS5_lS6_lS2_lPT4_lS6_li,"axG",@progbits,_ZL32rocblas_gemvt_warp_reduce_kernelILb0ELi256El19rocblas_complex_numIfES1_S1_EviiT3_lPKT2_lT1_lS5_lS6_lS2_lPT4_lS6_li,comdat
	.globl	_ZL32rocblas_gemvt_warp_reduce_kernelILb0ELi256El19rocblas_complex_numIfES1_S1_EviiT3_lPKT2_lT1_lS5_lS6_lS2_lPT4_lS6_li ; -- Begin function _ZL32rocblas_gemvt_warp_reduce_kernelILb0ELi256El19rocblas_complex_numIfES1_S1_EviiT3_lPKT2_lT1_lS5_lS6_lS2_lPT4_lS6_li
	.p2align	8
	.type	_ZL32rocblas_gemvt_warp_reduce_kernelILb0ELi256El19rocblas_complex_numIfES1_S1_EviiT3_lPKT2_lT1_lS5_lS6_lS2_lPT4_lS6_li,@function
_ZL32rocblas_gemvt_warp_reduce_kernelILb0ELi256El19rocblas_complex_numIfES1_S1_EviiT3_lPKT2_lT1_lS5_lS6_lS2_lPT4_lS6_li: ; @_ZL32rocblas_gemvt_warp_reduce_kernelILb0ELi256El19rocblas_complex_numIfES1_S1_EviiT3_lPKT2_lT1_lS5_lS6_lS2_lPT4_lS6_li
; %bb.0:
	s_clause 0x1
	s_load_b64 s[12:13], s[0:1], 0x8
	s_load_b64 s[2:3], s[0:1], 0x58
	s_waitcnt lgkmcnt(0)
	v_cmp_neq_f32_e64 s4, s12, 0
	v_cmp_neq_f32_e64 s5, s13, 0
	s_delay_alu instid0(VALU_DEP_1) | instskip(NEXT) | instid1(SALU_CYCLE_1)
	s_or_b32 s4, s4, s5
	s_and_b32 vcc_lo, exec_lo, s4
	s_mov_b32 s4, -1
	s_cbranch_vccnz .LBB127_2
; %bb.1:
	v_cmp_neq_f32_e64 s4, s2, 1.0
	v_cmp_neq_f32_e64 s5, s3, 0
	s_delay_alu instid0(VALU_DEP_1)
	s_or_b32 s4, s4, s5
.LBB127_2:
	s_delay_alu instid0(SALU_CYCLE_1)
	s_and_not1_b32 vcc_lo, exec_lo, s4
	s_cbranch_vccnz .LBB127_28
; %bb.3:
	s_load_b256 s[4:11], s[0:1], 0x68
	v_cmp_eq_u32_e32 vcc_lo, 0, v0
	s_waitcnt lgkmcnt(0)
	s_mul_i32 s11, s15, s11
	s_mul_hi_u32 s16, s15, s10
	s_mul_i32 s10, s15, s10
	s_add_i32 s11, s16, s11
	s_delay_alu instid0(SALU_CYCLE_1) | instskip(NEXT) | instid1(SALU_CYCLE_1)
	s_lshl_b64 s[10:11], s[10:11], 3
	s_add_u32 s10, s4, s10
	s_addc_u32 s11, s5, s11
	s_lshl_b64 s[4:5], s[6:7], 3
	s_delay_alu instid0(SALU_CYCLE_1) | instskip(SKIP_2) | instid1(SALU_CYCLE_1)
	s_add_u32 s33, s10, s4
	s_addc_u32 s34, s11, s5
	s_or_b32 s4, s12, s13
	s_bitset0_b32 s4, 31
	s_delay_alu instid0(SALU_CYCLE_1)
	s_cmp_lg_u32 s4, 0
	s_mov_b32 s4, -1
	s_cbranch_scc1 .LBB127_9
; %bb.4:
	s_and_saveexec_b32 s6, vcc_lo
	s_cbranch_execz .LBB127_8
; %bb.5:
	v_cmp_neq_f32_e64 s4, s2, 0
	v_cmp_neq_f32_e64 s5, s3, 0
	s_mul_i32 s7, s14, s9
	s_ashr_i32 s10, s14, 31
	v_dual_mov_b32 v3, 0 :: v_dual_mov_b32 v2, 0
	s_delay_alu instid0(VALU_DEP_2)
	s_or_b32 s4, s4, s5
	s_mul_hi_u32 s5, s14, s8
	v_mov_b32_e32 v1, 0
	s_add_i32 s5, s5, s7
	s_mul_i32 s10, s10, s8
	s_and_not1_b32 vcc_lo, exec_lo, s4
	s_add_i32 s5, s5, s10
	s_mul_i32 s4, s14, s8
	s_cbranch_vccnz .LBB127_7
; %bb.6:
	s_lshl_b64 s[10:11], s[4:5], 3
	s_delay_alu instid0(SALU_CYCLE_1)
	s_add_u32 s10, s33, s10
	s_addc_u32 s11, s34, s11
	s_load_b64 s[10:11], s[10:11], 0x0
	s_waitcnt lgkmcnt(0)
	v_mul_f32_e64 v1, s3, s11
	v_mul_f32_e64 v2, s2, s11
	s_delay_alu instid0(VALU_DEP_2) | instskip(NEXT) | instid1(VALU_DEP_2)
	v_fma_f32 v1, s2, s10, -v1
	v_fmac_f32_e64 v2, s3, s10
.LBB127_7:
	s_lshl_b64 s[4:5], s[4:5], 3
	s_delay_alu instid0(SALU_CYCLE_1)
	s_add_u32 s4, s33, s4
	s_addc_u32 s5, s34, s5
	global_store_b64 v3, v[1:2], s[4:5]
.LBB127_8:
	s_or_b32 exec_lo, exec_lo, s6
	s_mov_b32 s4, 0
.LBB127_9:
	s_delay_alu instid0(SALU_CYCLE_1)
	s_and_not1_b32 vcc_lo, exec_lo, s4
	s_cbranch_vccnz .LBB127_28
; %bb.10:
	s_clause 0x1
	s_load_b512 s[16:31], s[0:1], 0x18
	s_load_b32 s7, s[0:1], 0x0
	v_dual_mov_b32 v7, 0 :: v_dual_mov_b32 v8, 0
	s_waitcnt lgkmcnt(0)
	s_mul_i32 s1, s15, s23
	s_mul_hi_u32 s6, s15, s22
	s_mul_i32 s0, s15, s22
	s_add_i32 s1, s6, s1
	s_mul_i32 s4, s15, s31
	s_mul_hi_u32 s5, s15, s30
	s_lshl_b64 s[0:1], s[0:1], 3
	s_add_i32 s5, s5, s4
	v_cmp_gt_i32_e32 vcc_lo, s7, v0
	s_add_u32 s4, s16, s0
	s_addc_u32 s10, s17, s1
	s_lshl_b64 s[0:1], s[18:19], 3
	s_mul_i32 s6, s14, s21
	s_add_u32 s0, s4, s0
	s_mul_hi_u32 s11, s14, s20
	s_addc_u32 s4, s10, s1
	s_ashr_i32 s1, s14, 31
	v_cndmask_b32_e32 v1, 0, v0, vcc_lo
	s_add_i32 s6, s11, s6
	s_mul_i32 s11, s1, s20
	s_mul_i32 s10, s14, s20
	s_add_i32 s11, s6, s11
	v_lshlrev_b32_e32 v1, 3, v1
	s_lshl_b64 s[10:11], s[10:11], 3
	s_delay_alu instid0(SALU_CYCLE_1)
	s_add_u32 s0, s10, s0
	s_addc_u32 s4, s11, s4
	s_ashr_i32 s6, s7, 31
	v_add_co_u32 v1, s0, s0, v1
	s_lshr_b32 s6, s6, 24
	v_add_co_ci_u32_e64 v2, null, s4, 0, s0
	s_add_i32 s6, s7, s6
	s_mul_i32 s4, s15, s30
	s_and_b32 s6, s6, 0xffffff00
	s_mov_b32 s15, exec_lo
	v_cmpx_gt_i32_e64 s6, v0
	s_cbranch_execz .LBB127_14
; %bb.11:
	v_mad_u64_u32 v[5:6], null, s28, v0, 0
	s_lshl_b64 s[16:17], s[26:27], 3
	s_lshl_b64 s[10:11], s[4:5], 3
	s_add_u32 s0, s24, s16
	s_addc_u32 s16, s25, s17
	s_add_u32 s0, s0, s10
	s_addc_u32 s10, s16, s11
	s_delay_alu instid0(VALU_DEP_1) | instskip(SKIP_2) | instid1(VALU_DEP_2)
	v_dual_mov_b32 v3, v6 :: v_dual_mov_b32 v8, 0
	v_mov_b32_e32 v9, v0
	s_mov_b32 s16, 0
	v_mad_u64_u32 v[6:7], null, s29, v0, v[3:4]
	v_dual_mov_b32 v7, 0 :: v_dual_mov_b32 v4, v2
	v_mov_b32_e32 v3, v1
	s_delay_alu instid0(VALU_DEP_3) | instskip(NEXT) | instid1(VALU_DEP_1)
	v_lshlrev_b64 v[5:6], 3, v[5:6]
	v_add_co_u32 v5, vcc_lo, s0, v5
	s_delay_alu instid0(VALU_DEP_2) | instskip(SKIP_1) | instid1(VALU_DEP_2)
	v_add_co_ci_u32_e32 v6, vcc_lo, s10, v6, vcc_lo
	s_lshl_b64 s[10:11], s[28:29], 11
	v_add_co_u32 v5, vcc_lo, v5, 4
	s_delay_alu instid0(VALU_DEP_2)
	v_add_co_ci_u32_e32 v6, vcc_lo, 0, v6, vcc_lo
	.p2align	6
.LBB127_12:                             ; =>This Inner Loop Header: Depth=1
	global_load_b64 v[10:11], v[3:4], off
	global_load_b64 v[12:13], v[5:6], off offset:-4
	v_add_nc_u32_e32 v9, 0x100, v9
	v_add_co_u32 v3, vcc_lo, 0x800, v3
	v_add_co_ci_u32_e32 v4, vcc_lo, 0, v4, vcc_lo
	v_add_co_u32 v5, vcc_lo, v5, s10
	v_add_co_ci_u32_e32 v6, vcc_lo, s11, v6, vcc_lo
	s_waitcnt vmcnt(0)
	v_mul_f32_e32 v14, v13, v11
	v_mul_f32_e32 v11, v12, v11
	v_cmp_le_i32_e64 s0, s6, v9
	s_delay_alu instid0(VALU_DEP_3) | instskip(NEXT) | instid1(VALU_DEP_3)
	v_fma_f32 v12, v12, v10, -v14
	v_fmac_f32_e32 v11, v13, v10
	s_delay_alu instid0(VALU_DEP_3) | instskip(NEXT) | instid1(VALU_DEP_1)
	s_or_b32 s16, s0, s16
	v_dual_add_f32 v8, v8, v12 :: v_dual_add_f32 v7, v7, v11
	s_and_not1_b32 exec_lo, exec_lo, s16
	s_cbranch_execnz .LBB127_12
; %bb.13:
	s_or_b32 exec_lo, exec_lo, s16
.LBB127_14:
	s_delay_alu instid0(SALU_CYCLE_1) | instskip(SKIP_2) | instid1(VALU_DEP_1)
	s_or_b32 exec_lo, exec_lo, s15
	v_add_nc_u32_e32 v3, s6, v0
	s_mov_b32 s0, exec_lo
	v_cmpx_gt_i32_e64 s7, v3
	s_cbranch_execz .LBB127_16
; %bb.15:
	v_ashrrev_i32_e32 v6, 31, v3
	v_mul_lo_u32 v9, v3, s29
	v_mad_u64_u32 v[4:5], null, v3, s28, 0
	s_lshl_b64 s[4:5], s[4:5], 3
	s_delay_alu instid0(VALU_DEP_3) | instskip(SKIP_3) | instid1(SALU_CYCLE_1)
	v_mul_lo_u32 v3, v6, s28
	s_add_u32 s7, s24, s4
	s_addc_u32 s10, s25, s5
	s_lshl_b64 s[4:5], s[26:27], 3
	s_add_u32 s11, s7, s4
	s_addc_u32 s10, s10, s5
	s_ashr_i32 s7, s6, 31
	s_delay_alu instid0(VALU_DEP_1) | instskip(SKIP_1) | instid1(SALU_CYCLE_1)
	v_add3_u32 v5, v5, v9, v3
	s_lshl_b64 s[4:5], s[6:7], 3
	v_add_co_u32 v1, vcc_lo, v1, s4
	s_delay_alu instid0(VALU_DEP_2) | instskip(SKIP_1) | instid1(VALU_DEP_2)
	v_lshlrev_b64 v[3:4], 3, v[4:5]
	v_add_co_ci_u32_e32 v2, vcc_lo, s5, v2, vcc_lo
	v_add_co_u32 v3, vcc_lo, s11, v3
	s_delay_alu instid0(VALU_DEP_3)
	v_add_co_ci_u32_e32 v4, vcc_lo, s10, v4, vcc_lo
	global_load_b64 v[1:2], v[1:2], off
	global_load_b64 v[3:4], v[3:4], off
	s_waitcnt vmcnt(0)
	v_mul_f32_e32 v5, v4, v2
	v_mul_f32_e32 v2, v3, v2
	s_delay_alu instid0(VALU_DEP_2) | instskip(NEXT) | instid1(VALU_DEP_2)
	v_fma_f32 v3, v3, v1, -v5
	v_fmac_f32_e32 v2, v4, v1
	s_delay_alu instid0(VALU_DEP_1)
	v_dual_add_f32 v8, v8, v3 :: v_dual_add_f32 v7, v7, v2
.LBB127_16:
	s_or_b32 exec_lo, exec_lo, s0
	v_and_b32_e32 v1, 31, v0
	v_cmp_gt_u32_e32 vcc_lo, 32, v0
	s_delay_alu instid0(VALU_DEP_2)
	v_lshlrev_b32_e32 v3, 3, v1
	s_and_saveexec_b32 s0, vcc_lo
	s_cbranch_execz .LBB127_18
; %bb.17:
	v_mov_b32_e32 v4, 0
	s_delay_alu instid0(VALU_DEP_1)
	v_mov_b32_e32 v5, v4
	ds_store_b64 v3, v[4:5]
.LBB127_18:
	s_or_b32 exec_lo, exec_lo, s0
	v_mbcnt_lo_u32_b32 v2, -1, 0
	s_mov_b32 s4, exec_lo
	s_waitcnt lgkmcnt(0)
	s_waitcnt_vscnt null, 0x0
	s_barrier
	buffer_gl0_inv
	v_cmp_gt_u32_e64 s0, 16, v2
	s_delay_alu instid0(VALU_DEP_1) | instskip(SKIP_1) | instid1(VALU_DEP_2)
	v_cndmask_b32_e64 v4, 0, 1, s0
	v_cmp_gt_u32_e64 s0, 24, v2
	v_lshlrev_b32_e32 v4, 4, v4
	s_delay_alu instid0(VALU_DEP_2) | instskip(SKIP_1) | instid1(VALU_DEP_3)
	v_cndmask_b32_e64 v6, 0, 1, s0
	v_cmp_gt_u32_e64 s0, 28, v2
	v_add_lshl_u32 v4, v4, v2, 2
	ds_bpermute_b32 v5, v4, v8
	ds_bpermute_b32 v4, v4, v7
	s_waitcnt lgkmcnt(1)
	v_dual_add_f32 v5, v8, v5 :: v_dual_lshlrev_b32 v6, 3, v6
	s_waitcnt lgkmcnt(0)
	v_add_f32_e32 v7, v7, v4
	s_delay_alu instid0(VALU_DEP_2)
	v_add_lshl_u32 v6, v6, v2, 2
	v_cndmask_b32_e64 v4, 0, 1, s0
	v_cmp_gt_u32_e64 s0, 30, v2
	ds_bpermute_b32 v8, v6, v5
	ds_bpermute_b32 v6, v6, v7
	s_waitcnt lgkmcnt(1)
	v_add_f32_e32 v8, v5, v8
	v_cndmask_b32_e64 v5, 0, 1, s0
	s_waitcnt lgkmcnt(0)
	v_add_f32_e32 v6, v7, v6
	v_cmp_ne_u32_e64 s0, 31, v2
	s_delay_alu instid0(VALU_DEP_3) | instskip(SKIP_1) | instid1(VALU_DEP_2)
	v_lshlrev_b32_e32 v5, 1, v5
	v_lshlrev_b32_e32 v4, 2, v4
	v_add_lshl_u32 v5, v5, v2, 2
	s_delay_alu instid0(VALU_DEP_2)
	v_add_lshl_u32 v4, v4, v2, 2
	v_add_co_ci_u32_e64 v2, s0, 0, v2, s0
	ds_bpermute_b32 v7, v4, v8
	ds_bpermute_b32 v9, v4, v6
	s_waitcnt lgkmcnt(0)
	v_dual_add_f32 v7, v8, v7 :: v_dual_add_f32 v8, v6, v9
	v_lshlrev_b32_e32 v6, 2, v2
	ds_bpermute_b32 v9, v5, v7
	ds_bpermute_b32 v10, v5, v8
	s_waitcnt lgkmcnt(1)
	v_add_f32_e32 v2, v7, v9
	s_waitcnt lgkmcnt(0)
	v_add_f32_e32 v8, v8, v10
	ds_bpermute_b32 v7, v6, v2
	ds_bpermute_b32 v9, v6, v8
	v_cmpx_eq_u32_e32 0, v1
	s_cbranch_execz .LBB127_20
; %bb.19:
	v_lshrrev_b32_e32 v1, 2, v0
	s_waitcnt lgkmcnt(0)
	v_dual_add_f32 v8, v8, v9 :: v_dual_add_f32 v7, v2, v7
	s_delay_alu instid0(VALU_DEP_2)
	v_and_b32_e32 v1, 56, v1
	ds_store_b64 v1, v[7:8]
.LBB127_20:
	s_or_b32 exec_lo, exec_lo, s4
	v_dual_mov_b32 v2, 0 :: v_dual_mov_b32 v1, 0
	s_mov_b32 s4, exec_lo
	s_waitcnt lgkmcnt(0)
	s_barrier
	buffer_gl0_inv
	v_cmpx_gt_u32_e32 8, v0
	s_cbranch_execz .LBB127_22
; %bb.21:
	ds_load_b64 v[1:2], v3
.LBB127_22:
	s_or_b32 exec_lo, exec_lo, s4
	s_and_saveexec_b32 s0, vcc_lo
	s_cbranch_execz .LBB127_24
; %bb.23:
	s_waitcnt lgkmcnt(0)
	ds_bpermute_b32 v3, v4, v1
	ds_bpermute_b32 v4, v4, v2
	s_waitcnt lgkmcnt(0)
	v_dual_add_f32 v1, v1, v3 :: v_dual_add_f32 v2, v2, v4
	ds_bpermute_b32 v3, v5, v1
	ds_bpermute_b32 v4, v5, v2
	s_waitcnt lgkmcnt(0)
	v_dual_add_f32 v1, v1, v3 :: v_dual_add_f32 v2, v2, v4
	;; [unrolled: 4-line block ×3, first 2 shown]
.LBB127_24:
	s_or_b32 exec_lo, exec_lo, s0
	s_delay_alu instid0(SALU_CYCLE_1)
	s_mov_b32 s0, exec_lo
	v_cmpx_eq_u32_e32 0, v0
	s_cbranch_execz .LBB127_28
; %bb.25:
	v_cmp_neq_f32_e64 s0, s2, 0
	v_cmp_neq_f32_e64 s4, s3, 0
	s_waitcnt lgkmcnt(0)
	v_mul_f32_e32 v0, s13, v2
	v_mul_f32_e32 v4, s12, v2
	s_mul_hi_u32 s5, s14, s8
	s_mul_i32 s1, s1, s8
	s_or_b32 s0, s0, s4
	s_mul_i32 s4, s14, s9
	v_fma_f32 v3, v1, s12, -v0
	v_fmac_f32_e32 v4, s13, v1
	s_add_i32 s4, s5, s4
	s_and_not1_b32 vcc_lo, exec_lo, s0
	s_add_i32 s1, s4, s1
	s_mul_i32 s0, s14, s8
	s_cbranch_vccnz .LBB127_27
; %bb.26:
	s_lshl_b64 s[4:5], s[0:1], 3
	v_mov_b32_e32 v0, 0
	s_add_u32 s4, s33, s4
	s_addc_u32 s5, s34, s5
	global_load_b64 v[0:1], v0, s[4:5]
	s_waitcnt vmcnt(0)
	v_mul_f32_e32 v2, s3, v1
	v_mul_f32_e32 v1, s2, v1
	s_delay_alu instid0(VALU_DEP_1) | instskip(NEXT) | instid1(VALU_DEP_3)
	v_fmac_f32_e32 v1, s3, v0
	v_fma_f32 v2, s2, v0, -v2
	s_delay_alu instid0(VALU_DEP_1)
	v_dual_add_f32 v4, v4, v1 :: v_dual_add_f32 v3, v3, v2
.LBB127_27:
	s_lshl_b64 s[0:1], s[0:1], 3
	v_mov_b32_e32 v0, 0
	s_add_u32 s0, s33, s0
	s_addc_u32 s1, s34, s1
	global_store_b64 v0, v[3:4], s[0:1]
.LBB127_28:
	s_nop 0
	s_sendmsg sendmsg(MSG_DEALLOC_VGPRS)
	s_endpgm
	.section	.rodata,"a",@progbits
	.p2align	6, 0x0
	.amdhsa_kernel _ZL32rocblas_gemvt_warp_reduce_kernelILb0ELi256El19rocblas_complex_numIfES1_S1_EviiT3_lPKT2_lT1_lS5_lS6_lS2_lPT4_lS6_li
		.amdhsa_group_segment_fixed_size 256
		.amdhsa_private_segment_fixed_size 0
		.amdhsa_kernarg_size 140
		.amdhsa_user_sgpr_count 14
		.amdhsa_user_sgpr_dispatch_ptr 0
		.amdhsa_user_sgpr_queue_ptr 0
		.amdhsa_user_sgpr_kernarg_segment_ptr 1
		.amdhsa_user_sgpr_dispatch_id 0
		.amdhsa_user_sgpr_private_segment_size 0
		.amdhsa_wavefront_size32 1
		.amdhsa_uses_dynamic_stack 0
		.amdhsa_enable_private_segment 0
		.amdhsa_system_sgpr_workgroup_id_x 1
		.amdhsa_system_sgpr_workgroup_id_y 0
		.amdhsa_system_sgpr_workgroup_id_z 1
		.amdhsa_system_sgpr_workgroup_info 0
		.amdhsa_system_vgpr_workitem_id 0
		.amdhsa_next_free_vgpr 15
		.amdhsa_next_free_sgpr 35
		.amdhsa_reserve_vcc 1
		.amdhsa_float_round_mode_32 0
		.amdhsa_float_round_mode_16_64 0
		.amdhsa_float_denorm_mode_32 3
		.amdhsa_float_denorm_mode_16_64 3
		.amdhsa_dx10_clamp 1
		.amdhsa_ieee_mode 1
		.amdhsa_fp16_overflow 0
		.amdhsa_workgroup_processor_mode 1
		.amdhsa_memory_ordered 1
		.amdhsa_forward_progress 0
		.amdhsa_shared_vgpr_count 0
		.amdhsa_exception_fp_ieee_invalid_op 0
		.amdhsa_exception_fp_denorm_src 0
		.amdhsa_exception_fp_ieee_div_zero 0
		.amdhsa_exception_fp_ieee_overflow 0
		.amdhsa_exception_fp_ieee_underflow 0
		.amdhsa_exception_fp_ieee_inexact 0
		.amdhsa_exception_int_div_zero 0
	.end_amdhsa_kernel
	.section	.text._ZL32rocblas_gemvt_warp_reduce_kernelILb0ELi256El19rocblas_complex_numIfES1_S1_EviiT3_lPKT2_lT1_lS5_lS6_lS2_lPT4_lS6_li,"axG",@progbits,_ZL32rocblas_gemvt_warp_reduce_kernelILb0ELi256El19rocblas_complex_numIfES1_S1_EviiT3_lPKT2_lT1_lS5_lS6_lS2_lPT4_lS6_li,comdat
.Lfunc_end127:
	.size	_ZL32rocblas_gemvt_warp_reduce_kernelILb0ELi256El19rocblas_complex_numIfES1_S1_EviiT3_lPKT2_lT1_lS5_lS6_lS2_lPT4_lS6_li, .Lfunc_end127-_ZL32rocblas_gemvt_warp_reduce_kernelILb0ELi256El19rocblas_complex_numIfES1_S1_EviiT3_lPKT2_lT1_lS5_lS6_lS2_lPT4_lS6_li
                                        ; -- End function
	.section	.AMDGPU.csdata,"",@progbits
; Kernel info:
; codeLenInByte = 1764
; NumSgprs: 37
; NumVgprs: 15
; ScratchSize: 0
; MemoryBound: 0
; FloatMode: 240
; IeeeMode: 1
; LDSByteSize: 256 bytes/workgroup (compile time only)
; SGPRBlocks: 4
; VGPRBlocks: 1
; NumSGPRsForWavesPerEU: 37
; NumVGPRsForWavesPerEU: 15
; Occupancy: 16
; WaveLimiterHint : 1
; COMPUTE_PGM_RSRC2:SCRATCH_EN: 0
; COMPUTE_PGM_RSRC2:USER_SGPR: 14
; COMPUTE_PGM_RSRC2:TRAP_HANDLER: 0
; COMPUTE_PGM_RSRC2:TGID_X_EN: 1
; COMPUTE_PGM_RSRC2:TGID_Y_EN: 0
; COMPUTE_PGM_RSRC2:TGID_Z_EN: 1
; COMPUTE_PGM_RSRC2:TIDIG_COMP_CNT: 0
	.section	.text._ZL20rocblas_gemvt_kernelILb0ELi256E19rocblas_complex_numIfEPKS1_S1_EviiT2_lPKT1_lilS7_lilS4_lPT3_lili,"axG",@progbits,_ZL20rocblas_gemvt_kernelILb0ELi256E19rocblas_complex_numIfEPKS1_S1_EviiT2_lPKT1_lilS7_lilS4_lPT3_lili,comdat
	.globl	_ZL20rocblas_gemvt_kernelILb0ELi256E19rocblas_complex_numIfEPKS1_S1_EviiT2_lPKT1_lilS7_lilS4_lPT3_lili ; -- Begin function _ZL20rocblas_gemvt_kernelILb0ELi256E19rocblas_complex_numIfEPKS1_S1_EviiT2_lPKT1_lilS7_lilS4_lPT3_lili
	.p2align	8
	.type	_ZL20rocblas_gemvt_kernelILb0ELi256E19rocblas_complex_numIfEPKS1_S1_EviiT2_lPKT1_lilS7_lilS4_lPT3_lili,@function
_ZL20rocblas_gemvt_kernelILb0ELi256E19rocblas_complex_numIfEPKS1_S1_EviiT2_lPKT1_lilS7_lilS4_lPT3_lili: ; @_ZL20rocblas_gemvt_kernelILb0ELi256E19rocblas_complex_numIfEPKS1_S1_EviiT2_lPKT1_lilS7_lilS4_lPT3_lili
; %bb.0:
	s_clause 0x1
	s_load_b256 s[16:23], s[0:1], 0x8
	s_load_b256 s[4:11], s[0:1], 0x50
	s_waitcnt lgkmcnt(0)
	s_mul_i32 s3, s15, s19
	s_mul_hi_u32 s12, s15, s18
	s_mul_i32 s2, s15, s18
	s_add_i32 s3, s12, s3
	s_delay_alu instid0(SALU_CYCLE_1) | instskip(NEXT) | instid1(SALU_CYCLE_1)
	s_lshl_b64 s[2:3], s[2:3], 3
	s_add_u32 s2, s16, s2
	s_addc_u32 s3, s17, s3
	s_load_b64 s[12:13], s[2:3], 0x0
	s_mul_i32 s3, s15, s9
	s_mul_hi_u32 s9, s15, s8
	s_mul_i32 s2, s15, s8
	s_add_i32 s3, s9, s3
	s_delay_alu instid0(SALU_CYCLE_1) | instskip(NEXT) | instid1(SALU_CYCLE_1)
	s_lshl_b64 s[2:3], s[2:3], 3
	s_add_u32 s2, s6, s2
	s_addc_u32 s3, s7, s3
	s_load_b64 s[2:3], s[2:3], 0x0
	s_waitcnt lgkmcnt(0)
	v_cmp_neq_f32_e64 s6, s12, 0
	v_cmp_neq_f32_e64 s7, s13, 0
	s_delay_alu instid0(VALU_DEP_1) | instskip(NEXT) | instid1(SALU_CYCLE_1)
	s_or_b32 s6, s6, s7
	s_and_b32 vcc_lo, exec_lo, s6
	s_mov_b32 s6, -1
	s_cbranch_vccnz .LBB128_2
; %bb.1:
	v_cmp_neq_f32_e64 s6, s2, 1.0
	v_cmp_neq_f32_e64 s7, s3, 0
	s_delay_alu instid0(VALU_DEP_1)
	s_or_b32 s6, s6, s7
.LBB128_2:
	s_delay_alu instid0(SALU_CYCLE_1)
	s_and_not1_b32 vcc_lo, exec_lo, s6
	s_cbranch_vccnz .LBB128_35
; %bb.3:
	s_clause 0x2
	s_load_b64 s[6:7], s[0:1], 0x80
	s_load_b64 s[8:9], s[0:1], 0x70
	s_load_b32 s24, s[0:1], 0x78
	v_cmp_eq_u32_e32 vcc_lo, 0, v0
	s_waitcnt lgkmcnt(0)
	s_mul_i32 s7, s15, s7
	s_mul_hi_u32 s16, s15, s6
	s_mul_i32 s6, s15, s6
	s_add_i32 s7, s16, s7
	s_delay_alu instid0(SALU_CYCLE_1) | instskip(NEXT) | instid1(SALU_CYCLE_1)
	s_lshl_b64 s[6:7], s[6:7], 3
	s_add_u32 s10, s10, s6
	s_addc_u32 s11, s11, s7
	s_lshl_b64 s[6:7], s[8:9], 3
	s_delay_alu instid0(SALU_CYCLE_1) | instskip(SKIP_2) | instid1(SALU_CYCLE_1)
	s_add_u32 s18, s10, s6
	s_addc_u32 s19, s11, s7
	s_or_b32 s6, s12, s13
	s_bitset0_b32 s6, 31
	s_delay_alu instid0(SALU_CYCLE_1)
	s_cmp_lg_u32 s6, 0
	s_mov_b32 s6, -1
	s_cbranch_scc1 .LBB128_9
; %bb.4:
	s_and_saveexec_b32 s8, vcc_lo
	s_cbranch_execz .LBB128_8
; %bb.5:
	v_cmp_neq_f32_e64 s6, s2, 0
	v_cmp_neq_f32_e64 s7, s3, 0
	v_dual_mov_b32 v3, 0 :: v_dual_mov_b32 v2, 0
	v_mov_b32_e32 v1, 0
	s_delay_alu instid0(VALU_DEP_3)
	s_or_b32 s6, s6, s7
	s_mul_hi_i32 s7, s24, s14
	s_and_not1_b32 vcc_lo, exec_lo, s6
	s_mul_i32 s6, s24, s14
	s_cbranch_vccnz .LBB128_7
; %bb.6:
	s_lshl_b64 s[10:11], s[6:7], 3
	s_delay_alu instid0(SALU_CYCLE_1)
	s_add_u32 s10, s18, s10
	s_addc_u32 s11, s19, s11
	s_load_b64 s[10:11], s[10:11], 0x0
	s_waitcnt lgkmcnt(0)
	v_mul_f32_e64 v1, s3, s11
	v_mul_f32_e64 v2, s2, s11
	s_delay_alu instid0(VALU_DEP_2) | instskip(NEXT) | instid1(VALU_DEP_2)
	v_fma_f32 v1, s2, s10, -v1
	v_fmac_f32_e64 v2, s3, s10
.LBB128_7:
	s_lshl_b64 s[6:7], s[6:7], 3
	s_delay_alu instid0(SALU_CYCLE_1)
	s_add_u32 s6, s18, s6
	s_addc_u32 s7, s19, s7
	global_store_b64 v3, v[1:2], s[6:7]
.LBB128_8:
	s_or_b32 exec_lo, exec_lo, s8
	s_mov_b32 s6, 0
.LBB128_9:
	s_delay_alu instid0(SALU_CYCLE_1)
	s_and_not1_b32 vcc_lo, exec_lo, s6
	s_cbranch_vccnz .LBB128_35
; %bb.10:
	s_clause 0x4
	s_load_b128 s[8:11], s[0:1], 0x30
	s_load_b32 s25, s[0:1], 0x0
	s_load_b32 s16, s[0:1], 0x28
	s_load_b64 s[6:7], s[0:1], 0x40
	s_load_b32 s0, s[0:1], 0x48
	s_mul_i32 s5, s15, s5
	s_mul_hi_u32 s17, s15, s4
	s_mul_i32 s4, s15, s4
	s_add_i32 s5, s17, s5
	v_mov_b32_e32 v2, 0
	s_waitcnt lgkmcnt(0)
	s_mul_i32 s1, s15, s9
	s_mul_hi_u32 s9, s15, s8
	v_cmp_gt_i32_e32 vcc_lo, s25, v0
	s_mul_i32 s8, s15, s8
	s_add_i32 s9, s9, s1
	s_mul_hi_i32 s17, s16, s14
	s_lshl_b64 s[8:9], s[8:9], 3
	v_cndmask_b32_e32 v1, 0, v0, vcc_lo
	s_add_u32 s1, s20, s8
	s_addc_u32 s20, s21, s9
	s_lshl_b64 s[8:9], s[22:23], 3
	s_mul_i32 s16, s16, s14
	s_add_u32 s1, s1, s8
	s_addc_u32 s20, s20, s9
	s_lshl_b64 s[8:9], s[16:17], 3
	v_lshlrev_b32_e32 v1, 3, v1
	s_add_u32 s1, s8, s1
	s_addc_u32 s8, s9, s20
	s_ashr_i32 s9, s25, 31
	s_delay_alu instid0(SALU_CYCLE_1) | instskip(SKIP_1) | instid1(VALU_DEP_1)
	s_lshr_b32 s9, s9, 24
	v_add_co_u32 v3, s1, s1, v1
	v_add_co_ci_u32_e64 v4, null, s8, 0, s1
	s_add_i32 s1, s25, s9
	v_mov_b32_e32 v1, v2
	s_and_b32 s8, s1, 0xffffff00
	s_cmpk_lt_i32 s25, 0x100
	s_cbranch_scc1 .LBB128_13
; %bb.11:
	v_mad_i64_i32 v[5:6], null, s0, v0, 0
	s_lshl_b64 s[20:21], s[6:7], 3
	s_ashr_i32 s1, s0, 31
	s_lshl_b64 s[16:17], s[4:5], 3
	s_add_u32 s9, s10, s20
	s_addc_u32 s15, s11, s21
	s_add_u32 s9, s9, s16
	s_delay_alu instid0(VALU_DEP_1) | instskip(SKIP_4) | instid1(VALU_DEP_2)
	v_lshlrev_b64 v[5:6], 3, v[5:6]
	s_addc_u32 s15, s15, s17
	v_mov_b32_e32 v2, 0
	s_lshl_b64 s[16:17], s[0:1], 11
	s_mov_b32 s1, 0
	v_add_co_u32 v1, vcc_lo, s9, v5
	v_add_co_ci_u32_e32 v8, vcc_lo, s15, v6, vcc_lo
	v_mov_b32_e32 v6, v4
	s_delay_alu instid0(VALU_DEP_3)
	v_add_co_u32 v7, vcc_lo, v1, 4
	v_mov_b32_e32 v5, v3
	v_mov_b32_e32 v1, v2
	v_add_co_ci_u32_e32 v8, vcc_lo, 0, v8, vcc_lo
	.p2align	6
.LBB128_12:                             ; =>This Inner Loop Header: Depth=1
	global_load_b64 v[9:10], v[5:6], off
	global_load_b64 v[11:12], v[7:8], off offset:-4
	v_add_co_u32 v7, vcc_lo, v7, s16
	v_add_co_ci_u32_e32 v8, vcc_lo, s17, v8, vcc_lo
	v_add_co_u32 v5, vcc_lo, 0x800, v5
	v_add_co_ci_u32_e32 v6, vcc_lo, 0, v6, vcc_lo
	s_addk_i32 s1, 0x100
	s_delay_alu instid0(SALU_CYCLE_1) | instskip(SKIP_3) | instid1(VALU_DEP_2)
	s_cmp_ge_i32 s1, s8
	s_waitcnt vmcnt(0)
	v_mul_f32_e32 v13, v12, v10
	v_mul_f32_e32 v10, v11, v10
	v_fma_f32 v11, v11, v9, -v13
	s_delay_alu instid0(VALU_DEP_1) | instskip(NEXT) | instid1(VALU_DEP_1)
	v_dual_add_f32 v1, v1, v11 :: v_dual_fmac_f32 v10, v12, v9
	v_add_f32_e32 v2, v2, v10
	s_cbranch_scc0 .LBB128_12
.LBB128_13:
	v_add_nc_u32_e32 v5, s8, v0
	s_mov_b32 s1, exec_lo
	s_delay_alu instid0(VALU_DEP_1)
	v_cmpx_gt_i32_e64 s25, v5
	s_cbranch_execz .LBB128_15
; %bb.14:
	v_mad_i64_i32 v[6:7], null, s0, v5, 0
	s_lshl_b64 s[4:5], s[4:5], 3
	s_delay_alu instid0(SALU_CYCLE_1) | instskip(SKIP_2) | instid1(SALU_CYCLE_1)
	s_add_u32 s9, s10, s4
	s_addc_u32 s10, s11, s5
	s_lshl_b64 s[4:5], s[6:7], 3
	s_add_u32 s0, s9, s4
	s_addc_u32 s6, s10, s5
	s_ashr_i32 s9, s8, 31
	v_lshlrev_b64 v[5:6], 3, v[6:7]
	s_lshl_b64 s[4:5], s[8:9], 3
	s_delay_alu instid0(SALU_CYCLE_1) | instskip(SKIP_1) | instid1(VALU_DEP_3)
	v_add_co_u32 v3, vcc_lo, v3, s4
	v_add_co_ci_u32_e32 v4, vcc_lo, s5, v4, vcc_lo
	v_add_co_u32 v5, vcc_lo, s0, v5
	s_delay_alu instid0(VALU_DEP_4)
	v_add_co_ci_u32_e32 v6, vcc_lo, s6, v6, vcc_lo
	global_load_b64 v[3:4], v[3:4], off
	global_load_b64 v[5:6], v[5:6], off
	s_waitcnt vmcnt(0)
	v_mul_f32_e32 v7, v6, v4
	v_mul_f32_e32 v4, v5, v4
	s_delay_alu instid0(VALU_DEP_2) | instskip(NEXT) | instid1(VALU_DEP_1)
	v_fma_f32 v5, v5, v3, -v7
	v_dual_fmac_f32 v4, v6, v3 :: v_dual_add_f32 v1, v1, v5
	s_delay_alu instid0(VALU_DEP_1)
	v_add_f32_e32 v2, v2, v4
.LBB128_15:
	s_or_b32 exec_lo, exec_lo, s1
	v_lshlrev_b32_e32 v3, 3, v0
	s_mov_b32 s0, exec_lo
	ds_store_b64 v3, v[1:2]
	s_waitcnt lgkmcnt(0)
	s_waitcnt_vscnt null, 0x0
	s_barrier
	buffer_gl0_inv
	v_cmpx_gt_u32_e32 0x80, v0
	s_cbranch_execz .LBB128_17
; %bb.16:
	ds_load_2addr_stride64_b64 v[4:7], v3 offset1:2
	s_waitcnt lgkmcnt(0)
	v_dual_add_f32 v1, v6, v4 :: v_dual_add_f32 v2, v7, v5
	ds_store_b64 v3, v[1:2]
.LBB128_17:
	s_or_b32 exec_lo, exec_lo, s0
	s_delay_alu instid0(SALU_CYCLE_1)
	s_mov_b32 s0, exec_lo
	s_waitcnt lgkmcnt(0)
	s_barrier
	buffer_gl0_inv
	v_cmpx_gt_u32_e32 64, v0
	s_cbranch_execz .LBB128_19
; %bb.18:
	ds_load_2addr_stride64_b64 v[4:7], v3 offset1:1
	s_waitcnt lgkmcnt(0)
	v_dual_add_f32 v1, v6, v4 :: v_dual_add_f32 v2, v7, v5
	ds_store_b64 v3, v[1:2]
.LBB128_19:
	s_or_b32 exec_lo, exec_lo, s0
	s_delay_alu instid0(SALU_CYCLE_1)
	s_mov_b32 s0, exec_lo
	s_waitcnt lgkmcnt(0)
	s_barrier
	buffer_gl0_inv
	v_cmpx_gt_u32_e32 32, v0
	s_cbranch_execz .LBB128_21
; %bb.20:
	ds_load_2addr_b64 v[4:7], v3 offset1:32
	s_waitcnt lgkmcnt(0)
	v_dual_add_f32 v1, v6, v4 :: v_dual_add_f32 v2, v7, v5
	ds_store_b64 v3, v[1:2]
.LBB128_21:
	s_or_b32 exec_lo, exec_lo, s0
	s_delay_alu instid0(SALU_CYCLE_1)
	s_mov_b32 s0, exec_lo
	s_waitcnt lgkmcnt(0)
	s_barrier
	buffer_gl0_inv
	v_cmpx_gt_u32_e32 16, v0
	s_cbranch_execz .LBB128_23
; %bb.22:
	ds_load_2addr_b64 v[4:7], v3 offset1:16
	s_waitcnt lgkmcnt(0)
	v_dual_add_f32 v1, v6, v4 :: v_dual_add_f32 v2, v7, v5
	ds_store_b64 v3, v[1:2]
.LBB128_23:
	;; [unrolled: 14-line block ×5, first 2 shown]
	s_or_b32 exec_lo, exec_lo, s0
	v_cmp_eq_u32_e32 vcc_lo, 0, v0
	s_waitcnt lgkmcnt(0)
	s_barrier
	buffer_gl0_inv
	s_and_saveexec_b32 s0, vcc_lo
	s_cbranch_execz .LBB128_31
; %bb.30:
	v_mov_b32_e32 v4, 0
	ds_load_b128 v[0:3], v4
	s_waitcnt lgkmcnt(0)
	v_dual_add_f32 v1, v3, v1 :: v_dual_add_f32 v0, v2, v0
	ds_store_b64 v4, v[0:1]
.LBB128_31:
	s_or_b32 exec_lo, exec_lo, s0
	s_waitcnt lgkmcnt(0)
	s_barrier
	buffer_gl0_inv
	s_and_saveexec_b32 s0, vcc_lo
	s_cbranch_execz .LBB128_35
; %bb.32:
	v_mov_b32_e32 v2, 0
	v_cmp_neq_f32_e64 s0, s2, 0
	v_cmp_neq_f32_e64 s1, s3, 0
	ds_load_b64 v[3:4], v2
	s_or_b32 s0, s0, s1
	s_mul_hi_i32 s1, s24, s14
	s_and_not1_b32 vcc_lo, exec_lo, s0
	s_mul_i32 s0, s24, s14
	s_waitcnt lgkmcnt(0)
	v_mul_f32_e32 v1, s12, v4
	s_delay_alu instid0(VALU_DEP_1) | instskip(NEXT) | instid1(VALU_DEP_1)
	v_dual_mul_f32 v0, s13, v4 :: v_dual_fmac_f32 v1, s13, v3
	v_fma_f32 v0, v3, s12, -v0
	s_cbranch_vccnz .LBB128_34
; %bb.33:
	s_lshl_b64 s[4:5], s[0:1], 3
	s_delay_alu instid0(SALU_CYCLE_1)
	s_add_u32 s4, s18, s4
	s_addc_u32 s5, s19, s5
	global_load_b64 v[3:4], v2, s[4:5]
	s_waitcnt vmcnt(0)
	v_mul_f32_e32 v5, s3, v4
	v_mul_f32_e32 v4, s2, v4
	s_delay_alu instid0(VALU_DEP_1) | instskip(NEXT) | instid1(VALU_DEP_3)
	v_fmac_f32_e32 v4, s3, v3
	v_fma_f32 v5, s2, v3, -v5
	s_delay_alu instid0(VALU_DEP_1)
	v_dual_add_f32 v1, v1, v4 :: v_dual_add_f32 v0, v0, v5
.LBB128_34:
	s_lshl_b64 s[0:1], s[0:1], 3
	s_delay_alu instid0(SALU_CYCLE_1)
	s_add_u32 s0, s18, s0
	s_addc_u32 s1, s19, s1
	global_store_b64 v2, v[0:1], s[0:1]
.LBB128_35:
	s_nop 0
	s_sendmsg sendmsg(MSG_DEALLOC_VGPRS)
	s_endpgm
	.section	.rodata,"a",@progbits
	.p2align	6, 0x0
	.amdhsa_kernel _ZL20rocblas_gemvt_kernelILb0ELi256E19rocblas_complex_numIfEPKS1_S1_EviiT2_lPKT1_lilS7_lilS4_lPT3_lili
		.amdhsa_group_segment_fixed_size 2048
		.amdhsa_private_segment_fixed_size 0
		.amdhsa_kernarg_size 140
		.amdhsa_user_sgpr_count 14
		.amdhsa_user_sgpr_dispatch_ptr 0
		.amdhsa_user_sgpr_queue_ptr 0
		.amdhsa_user_sgpr_kernarg_segment_ptr 1
		.amdhsa_user_sgpr_dispatch_id 0
		.amdhsa_user_sgpr_private_segment_size 0
		.amdhsa_wavefront_size32 1
		.amdhsa_uses_dynamic_stack 0
		.amdhsa_enable_private_segment 0
		.amdhsa_system_sgpr_workgroup_id_x 1
		.amdhsa_system_sgpr_workgroup_id_y 0
		.amdhsa_system_sgpr_workgroup_id_z 1
		.amdhsa_system_sgpr_workgroup_info 0
		.amdhsa_system_vgpr_workitem_id 0
		.amdhsa_next_free_vgpr 14
		.amdhsa_next_free_sgpr 26
		.amdhsa_reserve_vcc 1
		.amdhsa_float_round_mode_32 0
		.amdhsa_float_round_mode_16_64 0
		.amdhsa_float_denorm_mode_32 3
		.amdhsa_float_denorm_mode_16_64 3
		.amdhsa_dx10_clamp 1
		.amdhsa_ieee_mode 1
		.amdhsa_fp16_overflow 0
		.amdhsa_workgroup_processor_mode 1
		.amdhsa_memory_ordered 1
		.amdhsa_forward_progress 0
		.amdhsa_shared_vgpr_count 0
		.amdhsa_exception_fp_ieee_invalid_op 0
		.amdhsa_exception_fp_denorm_src 0
		.amdhsa_exception_fp_ieee_div_zero 0
		.amdhsa_exception_fp_ieee_overflow 0
		.amdhsa_exception_fp_ieee_underflow 0
		.amdhsa_exception_fp_ieee_inexact 0
		.amdhsa_exception_int_div_zero 0
	.end_amdhsa_kernel
	.section	.text._ZL20rocblas_gemvt_kernelILb0ELi256E19rocblas_complex_numIfEPKS1_S1_EviiT2_lPKT1_lilS7_lilS4_lPT3_lili,"axG",@progbits,_ZL20rocblas_gemvt_kernelILb0ELi256E19rocblas_complex_numIfEPKS1_S1_EviiT2_lPKT1_lilS7_lilS4_lPT3_lili,comdat
.Lfunc_end128:
	.size	_ZL20rocblas_gemvt_kernelILb0ELi256E19rocblas_complex_numIfEPKS1_S1_EviiT2_lPKT1_lilS7_lilS4_lPT3_lili, .Lfunc_end128-_ZL20rocblas_gemvt_kernelILb0ELi256E19rocblas_complex_numIfEPKS1_S1_EviiT2_lPKT1_lilS7_lilS4_lPT3_lili
                                        ; -- End function
	.section	.AMDGPU.csdata,"",@progbits
; Kernel info:
; codeLenInByte = 1740
; NumSgprs: 28
; NumVgprs: 14
; ScratchSize: 0
; MemoryBound: 0
; FloatMode: 240
; IeeeMode: 1
; LDSByteSize: 2048 bytes/workgroup (compile time only)
; SGPRBlocks: 3
; VGPRBlocks: 1
; NumSGPRsForWavesPerEU: 28
; NumVGPRsForWavesPerEU: 14
; Occupancy: 16
; WaveLimiterHint : 1
; COMPUTE_PGM_RSRC2:SCRATCH_EN: 0
; COMPUTE_PGM_RSRC2:USER_SGPR: 14
; COMPUTE_PGM_RSRC2:TRAP_HANDLER: 0
; COMPUTE_PGM_RSRC2:TGID_X_EN: 1
; COMPUTE_PGM_RSRC2:TGID_Y_EN: 0
; COMPUTE_PGM_RSRC2:TGID_Z_EN: 1
; COMPUTE_PGM_RSRC2:TIDIG_COMP_CNT: 0
	.section	.text._ZL20rocblas_gemvt_kernelILb0ELi256E19rocblas_complex_numIfES1_S1_EviiT2_lPKT1_lilS5_lilS2_lPT3_lili,"axG",@progbits,_ZL20rocblas_gemvt_kernelILb0ELi256E19rocblas_complex_numIfES1_S1_EviiT2_lPKT1_lilS5_lilS2_lPT3_lili,comdat
	.globl	_ZL20rocblas_gemvt_kernelILb0ELi256E19rocblas_complex_numIfES1_S1_EviiT2_lPKT1_lilS5_lilS2_lPT3_lili ; -- Begin function _ZL20rocblas_gemvt_kernelILb0ELi256E19rocblas_complex_numIfES1_S1_EviiT2_lPKT1_lilS5_lilS2_lPT3_lili
	.p2align	8
	.type	_ZL20rocblas_gemvt_kernelILb0ELi256E19rocblas_complex_numIfES1_S1_EviiT2_lPKT1_lilS5_lilS2_lPT3_lili,@function
_ZL20rocblas_gemvt_kernelILb0ELi256E19rocblas_complex_numIfES1_S1_EviiT2_lPKT1_lilS5_lilS2_lPT3_lili: ; @_ZL20rocblas_gemvt_kernelILb0ELi256E19rocblas_complex_numIfES1_S1_EviiT2_lPKT1_lilS5_lilS2_lPT3_lili
; %bb.0:
	s_clause 0x1
	s_load_b64 s[8:9], s[0:1], 0x8
	s_load_b64 s[2:3], s[0:1], 0x58
	s_waitcnt lgkmcnt(0)
	v_cmp_neq_f32_e64 s4, s8, 0
	v_cmp_neq_f32_e64 s5, s9, 0
	s_delay_alu instid0(VALU_DEP_1) | instskip(NEXT) | instid1(SALU_CYCLE_1)
	s_or_b32 s4, s4, s5
	s_and_b32 vcc_lo, exec_lo, s4
	s_mov_b32 s4, -1
	s_cbranch_vccnz .LBB129_2
; %bb.1:
	v_cmp_neq_f32_e64 s4, s2, 1.0
	v_cmp_neq_f32_e64 s5, s3, 0
	s_delay_alu instid0(VALU_DEP_1)
	s_or_b32 s4, s4, s5
.LBB129_2:
	s_delay_alu instid0(SALU_CYCLE_1)
	s_and_not1_b32 vcc_lo, exec_lo, s4
	s_cbranch_vccnz .LBB129_35
; %bb.3:
	s_clause 0x2
	s_load_b64 s[10:11], s[0:1], 0x80
	s_load_b128 s[4:7], s[0:1], 0x68
	s_load_b32 s20, s[0:1], 0x78
	v_cmp_eq_u32_e32 vcc_lo, 0, v0
	s_waitcnt lgkmcnt(0)
	s_mul_i32 s11, s15, s11
	s_mul_hi_u32 s12, s15, s10
	s_mul_i32 s10, s15, s10
	s_add_i32 s11, s12, s11
	s_delay_alu instid0(SALU_CYCLE_1) | instskip(NEXT) | instid1(SALU_CYCLE_1)
	s_lshl_b64 s[10:11], s[10:11], 3
	s_add_u32 s10, s4, s10
	s_addc_u32 s11, s5, s11
	s_lshl_b64 s[4:5], s[6:7], 3
	s_delay_alu instid0(SALU_CYCLE_1) | instskip(SKIP_2) | instid1(SALU_CYCLE_1)
	s_add_u32 s18, s10, s4
	s_addc_u32 s19, s11, s5
	s_or_b32 s4, s8, s9
	s_bitset0_b32 s4, 31
	s_delay_alu instid0(SALU_CYCLE_1)
	s_cmp_lg_u32 s4, 0
	s_mov_b32 s4, -1
	s_cbranch_scc1 .LBB129_9
; %bb.4:
	s_and_saveexec_b32 s6, vcc_lo
	s_cbranch_execz .LBB129_8
; %bb.5:
	v_cmp_neq_f32_e64 s4, s2, 0
	v_cmp_neq_f32_e64 s5, s3, 0
	v_dual_mov_b32 v3, 0 :: v_dual_mov_b32 v2, 0
	v_mov_b32_e32 v1, 0
	s_delay_alu instid0(VALU_DEP_3)
	s_or_b32 s4, s4, s5
	s_mul_hi_i32 s5, s20, s14
	s_and_not1_b32 vcc_lo, exec_lo, s4
	s_mul_i32 s4, s20, s14
	s_cbranch_vccnz .LBB129_7
; %bb.6:
	s_lshl_b64 s[10:11], s[4:5], 3
	s_delay_alu instid0(SALU_CYCLE_1)
	s_add_u32 s10, s18, s10
	s_addc_u32 s11, s19, s11
	s_load_b64 s[10:11], s[10:11], 0x0
	s_waitcnt lgkmcnt(0)
	v_mul_f32_e64 v1, s3, s11
	v_mul_f32_e64 v2, s2, s11
	s_delay_alu instid0(VALU_DEP_2) | instskip(NEXT) | instid1(VALU_DEP_2)
	v_fma_f32 v1, s2, s10, -v1
	v_fmac_f32_e64 v2, s3, s10
.LBB129_7:
	s_lshl_b64 s[4:5], s[4:5], 3
	s_delay_alu instid0(SALU_CYCLE_1)
	s_add_u32 s4, s18, s4
	s_addc_u32 s5, s19, s5
	global_store_b64 v3, v[1:2], s[4:5]
.LBB129_8:
	s_or_b32 exec_lo, exec_lo, s6
	s_mov_b32 s4, 0
.LBB129_9:
	s_delay_alu instid0(SALU_CYCLE_1)
	s_and_not1_b32 vcc_lo, exec_lo, s4
	s_cbranch_vccnz .LBB129_35
; %bb.10:
	s_clause 0x6
	s_load_b64 s[16:17], s[0:1], 0x50
	s_load_b128 s[4:7], s[0:1], 0x30
	s_load_b32 s13, s[0:1], 0x0
	s_load_b32 s12, s[0:1], 0x28
	s_load_b128 s[24:27], s[0:1], 0x18
	s_load_b64 s[10:11], s[0:1], 0x40
	s_load_b32 s0, s[0:1], 0x48
	v_mov_b32_e32 v2, 0
	s_waitcnt lgkmcnt(0)
	s_mul_i32 s1, s15, s17
	s_mul_i32 s5, s15, s5
	s_mul_hi_u32 s21, s15, s4
	v_cmp_gt_i32_e32 vcc_lo, s13, v0
	s_mul_i32 s4, s15, s4
	s_add_i32 s5, s21, s5
	s_mul_hi_u32 s17, s15, s16
	s_lshl_b64 s[28:29], s[4:5], 3
	v_cndmask_b32_e32 v1, 0, v0, vcc_lo
	s_add_i32 s5, s17, s1
	s_add_u32 s1, s24, s28
	s_addc_u32 s4, s25, s29
	s_lshl_b64 s[24:25], s[26:27], 3
	s_mul_hi_i32 s23, s12, s14
	s_mul_i32 s22, s12, s14
	s_add_u32 s1, s1, s24
	s_addc_u32 s4, s4, s25
	s_lshl_b64 s[22:23], s[22:23], 3
	v_lshlrev_b32_e32 v1, 3, v1
	s_add_u32 s1, s22, s1
	s_addc_u32 s4, s23, s4
	s_ashr_i32 s12, s13, 31
	s_delay_alu instid0(SALU_CYCLE_1) | instskip(SKIP_1) | instid1(VALU_DEP_1)
	s_lshr_b32 s12, s12, 24
	v_add_co_u32 v3, s1, s1, v1
	v_add_co_ci_u32_e64 v4, null, s4, 0, s1
	s_add_i32 s1, s13, s12
	v_mov_b32_e32 v1, v2
	s_and_b32 s12, s1, 0xffffff00
	s_cmpk_lt_i32 s13, 0x100
	s_mul_i32 s4, s15, s16
	s_cbranch_scc1 .LBB129_13
; %bb.11:
	v_mad_i64_i32 v[5:6], null, s0, v0, 0
	s_lshl_b64 s[22:23], s[10:11], 3
	s_ashr_i32 s1, s0, 31
	s_lshl_b64 s[16:17], s[4:5], 3
	s_add_u32 s15, s6, s22
	s_addc_u32 s21, s7, s23
	s_add_u32 s15, s15, s16
	s_delay_alu instid0(VALU_DEP_1) | instskip(SKIP_2) | instid1(VALU_DEP_2)
	v_lshlrev_b64 v[5:6], 3, v[5:6]
	s_addc_u32 s16, s21, s17
	v_mov_b32_e32 v2, 0
	v_add_co_u32 v1, vcc_lo, s15, v5
	s_delay_alu instid0(VALU_DEP_3) | instskip(SKIP_1) | instid1(VALU_DEP_3)
	v_add_co_ci_u32_e32 v8, vcc_lo, s16, v6, vcc_lo
	v_mov_b32_e32 v6, v4
	v_add_co_u32 v7, vcc_lo, v1, 4
	v_mov_b32_e32 v5, v3
	v_mov_b32_e32 v1, v2
	v_add_co_ci_u32_e32 v8, vcc_lo, 0, v8, vcc_lo
	s_lshl_b64 s[16:17], s[0:1], 11
	s_mov_b32 s1, 0
	.p2align	6
.LBB129_12:                             ; =>This Inner Loop Header: Depth=1
	global_load_b64 v[9:10], v[5:6], off
	global_load_b64 v[11:12], v[7:8], off offset:-4
	v_add_co_u32 v7, vcc_lo, v7, s16
	v_add_co_ci_u32_e32 v8, vcc_lo, s17, v8, vcc_lo
	v_add_co_u32 v5, vcc_lo, 0x800, v5
	v_add_co_ci_u32_e32 v6, vcc_lo, 0, v6, vcc_lo
	s_addk_i32 s1, 0x100
	s_delay_alu instid0(SALU_CYCLE_1) | instskip(SKIP_3) | instid1(VALU_DEP_2)
	s_cmp_ge_i32 s1, s12
	s_waitcnt vmcnt(0)
	v_mul_f32_e32 v13, v12, v10
	v_mul_f32_e32 v10, v11, v10
	v_fma_f32 v11, v11, v9, -v13
	s_delay_alu instid0(VALU_DEP_1) | instskip(NEXT) | instid1(VALU_DEP_1)
	v_dual_add_f32 v1, v1, v11 :: v_dual_fmac_f32 v10, v12, v9
	v_add_f32_e32 v2, v2, v10
	s_cbranch_scc0 .LBB129_12
.LBB129_13:
	v_add_nc_u32_e32 v5, s12, v0
	s_mov_b32 s1, exec_lo
	s_delay_alu instid0(VALU_DEP_1)
	v_cmpx_gt_i32_e64 s13, v5
	s_cbranch_execz .LBB129_15
; %bb.14:
	v_mad_i64_i32 v[6:7], null, s0, v5, 0
	s_lshl_b64 s[4:5], s[4:5], 3
	s_delay_alu instid0(SALU_CYCLE_1) | instskip(SKIP_2) | instid1(SALU_CYCLE_1)
	s_add_u32 s6, s6, s4
	s_addc_u32 s7, s7, s5
	s_lshl_b64 s[4:5], s[10:11], 3
	s_add_u32 s0, s6, s4
	s_addc_u32 s6, s7, s5
	s_ashr_i32 s13, s12, 31
	v_lshlrev_b64 v[5:6], 3, v[6:7]
	s_lshl_b64 s[4:5], s[12:13], 3
	s_delay_alu instid0(SALU_CYCLE_1) | instskip(SKIP_1) | instid1(VALU_DEP_3)
	v_add_co_u32 v3, vcc_lo, v3, s4
	v_add_co_ci_u32_e32 v4, vcc_lo, s5, v4, vcc_lo
	v_add_co_u32 v5, vcc_lo, s0, v5
	s_delay_alu instid0(VALU_DEP_4)
	v_add_co_ci_u32_e32 v6, vcc_lo, s6, v6, vcc_lo
	global_load_b64 v[3:4], v[3:4], off
	global_load_b64 v[5:6], v[5:6], off
	s_waitcnt vmcnt(0)
	v_mul_f32_e32 v7, v6, v4
	v_mul_f32_e32 v4, v5, v4
	s_delay_alu instid0(VALU_DEP_2) | instskip(NEXT) | instid1(VALU_DEP_1)
	v_fma_f32 v5, v5, v3, -v7
	v_dual_fmac_f32 v4, v6, v3 :: v_dual_add_f32 v1, v1, v5
	s_delay_alu instid0(VALU_DEP_1)
	v_add_f32_e32 v2, v2, v4
.LBB129_15:
	s_or_b32 exec_lo, exec_lo, s1
	v_lshlrev_b32_e32 v3, 3, v0
	s_mov_b32 s0, exec_lo
	ds_store_b64 v3, v[1:2]
	s_waitcnt lgkmcnt(0)
	s_waitcnt_vscnt null, 0x0
	s_barrier
	buffer_gl0_inv
	v_cmpx_gt_u32_e32 0x80, v0
	s_cbranch_execz .LBB129_17
; %bb.16:
	ds_load_2addr_stride64_b64 v[4:7], v3 offset1:2
	s_waitcnt lgkmcnt(0)
	v_dual_add_f32 v1, v6, v4 :: v_dual_add_f32 v2, v7, v5
	ds_store_b64 v3, v[1:2]
.LBB129_17:
	s_or_b32 exec_lo, exec_lo, s0
	s_delay_alu instid0(SALU_CYCLE_1)
	s_mov_b32 s0, exec_lo
	s_waitcnt lgkmcnt(0)
	s_barrier
	buffer_gl0_inv
	v_cmpx_gt_u32_e32 64, v0
	s_cbranch_execz .LBB129_19
; %bb.18:
	ds_load_2addr_stride64_b64 v[4:7], v3 offset1:1
	s_waitcnt lgkmcnt(0)
	v_dual_add_f32 v1, v6, v4 :: v_dual_add_f32 v2, v7, v5
	ds_store_b64 v3, v[1:2]
.LBB129_19:
	s_or_b32 exec_lo, exec_lo, s0
	s_delay_alu instid0(SALU_CYCLE_1)
	s_mov_b32 s0, exec_lo
	s_waitcnt lgkmcnt(0)
	s_barrier
	buffer_gl0_inv
	v_cmpx_gt_u32_e32 32, v0
	s_cbranch_execz .LBB129_21
; %bb.20:
	ds_load_2addr_b64 v[4:7], v3 offset1:32
	s_waitcnt lgkmcnt(0)
	v_dual_add_f32 v1, v6, v4 :: v_dual_add_f32 v2, v7, v5
	ds_store_b64 v3, v[1:2]
.LBB129_21:
	s_or_b32 exec_lo, exec_lo, s0
	s_delay_alu instid0(SALU_CYCLE_1)
	s_mov_b32 s0, exec_lo
	s_waitcnt lgkmcnt(0)
	s_barrier
	buffer_gl0_inv
	v_cmpx_gt_u32_e32 16, v0
	s_cbranch_execz .LBB129_23
; %bb.22:
	ds_load_2addr_b64 v[4:7], v3 offset1:16
	s_waitcnt lgkmcnt(0)
	v_dual_add_f32 v1, v6, v4 :: v_dual_add_f32 v2, v7, v5
	ds_store_b64 v3, v[1:2]
.LBB129_23:
	;; [unrolled: 14-line block ×5, first 2 shown]
	s_or_b32 exec_lo, exec_lo, s0
	v_cmp_eq_u32_e32 vcc_lo, 0, v0
	s_waitcnt lgkmcnt(0)
	s_barrier
	buffer_gl0_inv
	s_and_saveexec_b32 s0, vcc_lo
	s_cbranch_execz .LBB129_31
; %bb.30:
	v_mov_b32_e32 v4, 0
	ds_load_b128 v[0:3], v4
	s_waitcnt lgkmcnt(0)
	v_dual_add_f32 v1, v3, v1 :: v_dual_add_f32 v0, v2, v0
	ds_store_b64 v4, v[0:1]
.LBB129_31:
	s_or_b32 exec_lo, exec_lo, s0
	s_waitcnt lgkmcnt(0)
	s_barrier
	buffer_gl0_inv
	s_and_saveexec_b32 s0, vcc_lo
	s_cbranch_execz .LBB129_35
; %bb.32:
	v_mov_b32_e32 v2, 0
	v_cmp_neq_f32_e64 s0, s2, 0
	v_cmp_neq_f32_e64 s1, s3, 0
	ds_load_b64 v[3:4], v2
	s_or_b32 s0, s0, s1
	s_mul_hi_i32 s1, s20, s14
	s_and_not1_b32 vcc_lo, exec_lo, s0
	s_mul_i32 s0, s20, s14
	s_waitcnt lgkmcnt(0)
	v_mul_f32_e32 v1, s8, v4
	s_delay_alu instid0(VALU_DEP_1) | instskip(NEXT) | instid1(VALU_DEP_1)
	v_dual_mul_f32 v0, s9, v4 :: v_dual_fmac_f32 v1, s9, v3
	v_fma_f32 v0, v3, s8, -v0
	s_cbranch_vccnz .LBB129_34
; %bb.33:
	s_lshl_b64 s[4:5], s[0:1], 3
	s_delay_alu instid0(SALU_CYCLE_1)
	s_add_u32 s4, s18, s4
	s_addc_u32 s5, s19, s5
	global_load_b64 v[3:4], v2, s[4:5]
	s_waitcnt vmcnt(0)
	v_mul_f32_e32 v5, s3, v4
	v_mul_f32_e32 v4, s2, v4
	s_delay_alu instid0(VALU_DEP_1) | instskip(NEXT) | instid1(VALU_DEP_3)
	v_fmac_f32_e32 v4, s3, v3
	v_fma_f32 v5, s2, v3, -v5
	s_delay_alu instid0(VALU_DEP_1)
	v_dual_add_f32 v1, v1, v4 :: v_dual_add_f32 v0, v0, v5
.LBB129_34:
	s_lshl_b64 s[0:1], s[0:1], 3
	s_delay_alu instid0(SALU_CYCLE_1)
	s_add_u32 s0, s18, s0
	s_addc_u32 s1, s19, s1
	global_store_b64 v2, v[0:1], s[0:1]
.LBB129_35:
	s_nop 0
	s_sendmsg sendmsg(MSG_DEALLOC_VGPRS)
	s_endpgm
	.section	.rodata,"a",@progbits
	.p2align	6, 0x0
	.amdhsa_kernel _ZL20rocblas_gemvt_kernelILb0ELi256E19rocblas_complex_numIfES1_S1_EviiT2_lPKT1_lilS5_lilS2_lPT3_lili
		.amdhsa_group_segment_fixed_size 2048
		.amdhsa_private_segment_fixed_size 0
		.amdhsa_kernarg_size 140
		.amdhsa_user_sgpr_count 14
		.amdhsa_user_sgpr_dispatch_ptr 0
		.amdhsa_user_sgpr_queue_ptr 0
		.amdhsa_user_sgpr_kernarg_segment_ptr 1
		.amdhsa_user_sgpr_dispatch_id 0
		.amdhsa_user_sgpr_private_segment_size 0
		.amdhsa_wavefront_size32 1
		.amdhsa_uses_dynamic_stack 0
		.amdhsa_enable_private_segment 0
		.amdhsa_system_sgpr_workgroup_id_x 1
		.amdhsa_system_sgpr_workgroup_id_y 0
		.amdhsa_system_sgpr_workgroup_id_z 1
		.amdhsa_system_sgpr_workgroup_info 0
		.amdhsa_system_vgpr_workitem_id 0
		.amdhsa_next_free_vgpr 14
		.amdhsa_next_free_sgpr 30
		.amdhsa_reserve_vcc 1
		.amdhsa_float_round_mode_32 0
		.amdhsa_float_round_mode_16_64 0
		.amdhsa_float_denorm_mode_32 3
		.amdhsa_float_denorm_mode_16_64 3
		.amdhsa_dx10_clamp 1
		.amdhsa_ieee_mode 1
		.amdhsa_fp16_overflow 0
		.amdhsa_workgroup_processor_mode 1
		.amdhsa_memory_ordered 1
		.amdhsa_forward_progress 0
		.amdhsa_shared_vgpr_count 0
		.amdhsa_exception_fp_ieee_invalid_op 0
		.amdhsa_exception_fp_denorm_src 0
		.amdhsa_exception_fp_ieee_div_zero 0
		.amdhsa_exception_fp_ieee_overflow 0
		.amdhsa_exception_fp_ieee_underflow 0
		.amdhsa_exception_fp_ieee_inexact 0
		.amdhsa_exception_int_div_zero 0
	.end_amdhsa_kernel
	.section	.text._ZL20rocblas_gemvt_kernelILb0ELi256E19rocblas_complex_numIfES1_S1_EviiT2_lPKT1_lilS5_lilS2_lPT3_lili,"axG",@progbits,_ZL20rocblas_gemvt_kernelILb0ELi256E19rocblas_complex_numIfES1_S1_EviiT2_lPKT1_lilS5_lilS2_lPT3_lili,comdat
.Lfunc_end129:
	.size	_ZL20rocblas_gemvt_kernelILb0ELi256E19rocblas_complex_numIfES1_S1_EviiT2_lPKT1_lilS5_lilS2_lPT3_lili, .Lfunc_end129-_ZL20rocblas_gemvt_kernelILb0ELi256E19rocblas_complex_numIfES1_S1_EviiT2_lPKT1_lilS5_lilS2_lPT3_lili
                                        ; -- End function
	.section	.AMDGPU.csdata,"",@progbits
; Kernel info:
; codeLenInByte = 1672
; NumSgprs: 32
; NumVgprs: 14
; ScratchSize: 0
; MemoryBound: 0
; FloatMode: 240
; IeeeMode: 1
; LDSByteSize: 2048 bytes/workgroup (compile time only)
; SGPRBlocks: 3
; VGPRBlocks: 1
; NumSGPRsForWavesPerEU: 32
; NumVGPRsForWavesPerEU: 14
; Occupancy: 16
; WaveLimiterHint : 1
; COMPUTE_PGM_RSRC2:SCRATCH_EN: 0
; COMPUTE_PGM_RSRC2:USER_SGPR: 14
; COMPUTE_PGM_RSRC2:TRAP_HANDLER: 0
; COMPUTE_PGM_RSRC2:TGID_X_EN: 1
; COMPUTE_PGM_RSRC2:TGID_Y_EN: 0
; COMPUTE_PGM_RSRC2:TGID_Z_EN: 1
; COMPUTE_PGM_RSRC2:TIDIG_COMP_CNT: 0
	.section	.text._ZL32rocblas_gemvt_warp_reduce_kernelILb0ELi1024Ei19rocblas_complex_numIfEPKS1_S1_EviiT3_lPKT2_lT1_lS7_lS8_lS4_lPT4_lS8_li,"axG",@progbits,_ZL32rocblas_gemvt_warp_reduce_kernelILb0ELi1024Ei19rocblas_complex_numIfEPKS1_S1_EviiT3_lPKT2_lT1_lS7_lS8_lS4_lPT4_lS8_li,comdat
	.globl	_ZL32rocblas_gemvt_warp_reduce_kernelILb0ELi1024Ei19rocblas_complex_numIfEPKS1_S1_EviiT3_lPKT2_lT1_lS7_lS8_lS4_lPT4_lS8_li ; -- Begin function _ZL32rocblas_gemvt_warp_reduce_kernelILb0ELi1024Ei19rocblas_complex_numIfEPKS1_S1_EviiT3_lPKT2_lT1_lS7_lS8_lS4_lPT4_lS8_li
	.p2align	8
	.type	_ZL32rocblas_gemvt_warp_reduce_kernelILb0ELi1024Ei19rocblas_complex_numIfEPKS1_S1_EviiT3_lPKT2_lT1_lS7_lS8_lS4_lPT4_lS8_li,@function
_ZL32rocblas_gemvt_warp_reduce_kernelILb0ELi1024Ei19rocblas_complex_numIfEPKS1_S1_EviiT3_lPKT2_lT1_lS7_lS8_lS4_lPT4_lS8_li: ; @_ZL32rocblas_gemvt_warp_reduce_kernelILb0ELi1024Ei19rocblas_complex_numIfEPKS1_S1_EviiT3_lPKT2_lT1_lS7_lS8_lS4_lPT4_lS8_li
; %bb.0:
	s_clause 0x1
	s_load_b256 s[4:11], s[0:1], 0x8
	s_load_b256 s[16:23], s[0:1], 0x50
	s_waitcnt lgkmcnt(0)
	s_mul_i32 s3, s15, s7
	s_mul_hi_u32 s7, s15, s6
	s_mul_i32 s2, s15, s6
	s_add_i32 s3, s7, s3
	s_mul_hi_u32 s6, s15, s20
	s_lshl_b64 s[2:3], s[2:3], 3
	s_delay_alu instid0(SALU_CYCLE_1)
	s_add_u32 s2, s4, s2
	s_addc_u32 s3, s5, s3
	s_load_b64 s[4:5], s[2:3], 0x0
	s_mul_i32 s3, s15, s21
	s_mul_i32 s2, s15, s20
	s_add_i32 s3, s6, s3
	s_delay_alu instid0(SALU_CYCLE_1) | instskip(NEXT) | instid1(SALU_CYCLE_1)
	s_lshl_b64 s[2:3], s[2:3], 3
	s_add_u32 s2, s18, s2
	s_addc_u32 s3, s19, s3
	s_load_b64 s[2:3], s[2:3], 0x0
	s_waitcnt lgkmcnt(0)
	v_cmp_neq_f32_e64 s6, s4, 0
	v_cmp_neq_f32_e64 s7, s5, 0
	s_delay_alu instid0(VALU_DEP_1) | instskip(NEXT) | instid1(SALU_CYCLE_1)
	s_or_b32 s6, s6, s7
	s_and_b32 vcc_lo, exec_lo, s6
	s_mov_b32 s6, -1
	s_cbranch_vccnz .LBB130_2
; %bb.1:
	v_cmp_neq_f32_e64 s6, s2, 1.0
	v_cmp_neq_f32_e64 s7, s3, 0
	s_delay_alu instid0(VALU_DEP_1)
	s_or_b32 s6, s6, s7
.LBB130_2:
	s_delay_alu instid0(SALU_CYCLE_1)
	s_and_not1_b32 vcc_lo, exec_lo, s6
	s_cbranch_vccnz .LBB130_28
; %bb.3:
	s_clause 0x2
	s_load_b64 s[6:7], s[0:1], 0x80
	s_load_b64 s[12:13], s[0:1], 0x70
	s_load_b32 s18, s[0:1], 0x78
	v_cmp_eq_u32_e32 vcc_lo, 0, v0
	s_waitcnt lgkmcnt(0)
	s_mul_i32 s7, s15, s7
	s_mul_hi_u32 s19, s15, s6
	s_mul_i32 s6, s15, s6
	s_add_i32 s7, s19, s7
	s_delay_alu instid0(SALU_CYCLE_1) | instskip(NEXT) | instid1(SALU_CYCLE_1)
	s_lshl_b64 s[6:7], s[6:7], 3
	s_add_u32 s19, s22, s6
	s_addc_u32 s20, s23, s7
	s_lshl_b64 s[6:7], s[12:13], 3
	s_delay_alu instid0(SALU_CYCLE_1) | instskip(SKIP_2) | instid1(SALU_CYCLE_1)
	s_add_u32 s12, s19, s6
	s_addc_u32 s13, s20, s7
	s_or_b32 s6, s4, s5
	s_bitset0_b32 s6, 31
	s_delay_alu instid0(SALU_CYCLE_1)
	s_cmp_lg_u32 s6, 0
	s_mov_b32 s6, -1
	s_cbranch_scc1 .LBB130_9
; %bb.4:
	s_and_saveexec_b32 s19, vcc_lo
	s_cbranch_execz .LBB130_8
; %bb.5:
	v_cmp_neq_f32_e64 s6, s2, 0
	v_cmp_neq_f32_e64 s7, s3, 0
	v_dual_mov_b32 v3, 0 :: v_dual_mov_b32 v2, 0
	v_mov_b32_e32 v1, 0
	s_delay_alu instid0(VALU_DEP_3)
	s_or_b32 s7, s6, s7
	s_mul_i32 s6, s14, s18
	s_and_not1_b32 vcc_lo, exec_lo, s7
	s_ashr_i32 s7, s6, 31
	s_cbranch_vccnz .LBB130_7
; %bb.6:
	s_lshl_b64 s[20:21], s[6:7], 3
	s_delay_alu instid0(SALU_CYCLE_1)
	s_add_u32 s20, s12, s20
	s_addc_u32 s21, s13, s21
	s_load_b64 s[20:21], s[20:21], 0x0
	s_waitcnt lgkmcnt(0)
	v_mul_f32_e64 v1, s3, s21
	v_mul_f32_e64 v2, s2, s21
	s_delay_alu instid0(VALU_DEP_2) | instskip(NEXT) | instid1(VALU_DEP_2)
	v_fma_f32 v1, s2, s20, -v1
	v_fmac_f32_e64 v2, s3, s20
.LBB130_7:
	s_lshl_b64 s[6:7], s[6:7], 3
	s_delay_alu instid0(SALU_CYCLE_1)
	s_add_u32 s6, s12, s6
	s_addc_u32 s7, s13, s7
	global_store_b64 v3, v[1:2], s[6:7]
.LBB130_8:
	s_or_b32 exec_lo, exec_lo, s19
	s_mov_b32 s6, 0
.LBB130_9:
	s_delay_alu instid0(SALU_CYCLE_1)
	s_and_not1_b32 vcc_lo, exec_lo, s6
	s_cbranch_vccnz .LBB130_28
; %bb.10:
	s_mul_i32 s17, s15, s17
	s_mul_hi_u32 s24, s15, s16
	s_mul_i32 s16, s15, s16
	s_add_i32 s17, s24, s17
	s_clause 0x2
	s_load_b128 s[20:23], s[0:1], 0x30
	s_load_b64 s[6:7], s[0:1], 0x40
	s_load_b32 s19, s[0:1], 0x28
	s_lshl_b64 s[24:25], s[16:17], 3
	s_clause 0x1
	s_load_b32 s16, s[0:1], 0x0
	s_load_b32 s1, s[0:1], 0x48
	v_dual_mov_b32 v7, 0 :: v_dual_mov_b32 v8, 0
	s_waitcnt lgkmcnt(0)
	s_add_u32 s17, s22, s24
	s_addc_u32 s23, s23, s25
	s_lshl_b64 s[6:7], s[6:7], 3
	s_mul_i32 s21, s15, s21
	s_mul_hi_u32 s22, s15, s20
	s_add_u32 s6, s17, s6
	v_cmp_gt_i32_e32 vcc_lo, s16, v0
	s_mul_i32 s20, s15, s20
	s_addc_u32 s7, s23, s7
	s_add_i32 s21, s22, s21
	s_delay_alu instid0(SALU_CYCLE_1)
	s_lshl_b64 s[20:21], s[20:21], 3
	v_cndmask_b32_e32 v1, 0, v0, vcc_lo
	s_add_u32 s15, s8, s20
	s_addc_u32 s17, s9, s21
	s_lshl_b64 s[8:9], s[10:11], 3
	s_mul_i32 s10, s14, s19
	s_add_u32 s15, s15, s8
	s_addc_u32 s17, s17, s9
	s_ashr_i32 s11, s10, 31
	v_lshlrev_b32_e32 v1, 3, v1
	s_lshl_b64 s[8:9], s[10:11], 3
	s_delay_alu instid0(SALU_CYCLE_1)
	s_add_u32 s8, s8, s15
	s_addc_u32 s9, s9, s17
	s_ashr_i32 s0, s16, 31
	v_add_co_u32 v1, s8, s8, v1
	s_lshr_b32 s0, s0, 22
	v_add_co_ci_u32_e64 v2, null, s9, 0, s8
	s_add_i32 s0, s16, s0
	s_mov_b32 s8, exec_lo
	s_and_b32 s0, s0, 0xfffffc00
	s_delay_alu instid0(SALU_CYCLE_1)
	v_cmpx_gt_i32_e64 s0, v0
	s_cbranch_execz .LBB130_14
; %bb.11:
	v_mul_lo_u32 v3, v0, s1
	v_dual_mov_b32 v7, 0 :: v_dual_mov_b32 v6, v2
	v_dual_mov_b32 v5, v1 :: v_dual_mov_b32 v8, 0
	v_mov_b32_e32 v9, v0
	s_lshl_b32 s10, s1, 10
	s_mov_b32 s9, 0
	.p2align	6
.LBB130_12:                             ; =>This Inner Loop Header: Depth=1
	s_delay_alu instid0(VALU_DEP_4) | instskip(NEXT) | instid1(VALU_DEP_1)
	v_ashrrev_i32_e32 v4, 31, v3
	v_lshlrev_b64 v[10:11], 3, v[3:4]
	v_add_nc_u32_e32 v3, s10, v3
	s_delay_alu instid0(VALU_DEP_2) | instskip(NEXT) | instid1(VALU_DEP_3)
	v_add_co_u32 v10, vcc_lo, s6, v10
	v_add_co_ci_u32_e32 v11, vcc_lo, s7, v11, vcc_lo
	global_load_b64 v[12:13], v[5:6], off
	global_load_b64 v[10:11], v[10:11], off
	v_add_co_u32 v5, vcc_lo, 0x2000, v5
	v_add_co_ci_u32_e32 v6, vcc_lo, 0, v6, vcc_lo
	s_waitcnt vmcnt(0)
	v_mul_f32_e32 v4, v11, v13
	v_mul_f32_e32 v13, v10, v13
	s_delay_alu instid0(VALU_DEP_2) | instskip(SKIP_1) | instid1(VALU_DEP_3)
	v_fma_f32 v4, v10, v12, -v4
	v_add_nc_u32_e32 v9, 0x400, v9
	v_fmac_f32_e32 v13, v11, v12
	s_delay_alu instid0(VALU_DEP_3) | instskip(NEXT) | instid1(VALU_DEP_3)
	v_add_f32_e32 v8, v8, v4
	v_cmp_le_i32_e32 vcc_lo, s0, v9
	s_delay_alu instid0(VALU_DEP_3) | instskip(SKIP_1) | instid1(SALU_CYCLE_1)
	v_add_f32_e32 v7, v7, v13
	s_or_b32 s9, vcc_lo, s9
	s_and_not1_b32 exec_lo, exec_lo, s9
	s_cbranch_execnz .LBB130_12
; %bb.13:
	s_or_b32 exec_lo, exec_lo, s9
.LBB130_14:
	s_delay_alu instid0(SALU_CYCLE_1) | instskip(SKIP_2) | instid1(VALU_DEP_1)
	s_or_b32 exec_lo, exec_lo, s8
	v_or_b32_e32 v3, s0, v0
	s_mov_b32 s8, exec_lo
	v_cmpx_gt_i32_e64 s16, v3
	s_cbranch_execz .LBB130_16
; %bb.15:
	v_mul_lo_u32 v3, v3, s1
	s_ashr_i32 s1, s0, 31
	s_delay_alu instid0(SALU_CYCLE_1) | instskip(NEXT) | instid1(SALU_CYCLE_1)
	s_lshl_b64 s[0:1], s[0:1], 3
	v_add_co_u32 v1, vcc_lo, v1, s0
	v_add_co_ci_u32_e32 v2, vcc_lo, s1, v2, vcc_lo
	s_delay_alu instid0(VALU_DEP_3) | instskip(NEXT) | instid1(VALU_DEP_1)
	v_ashrrev_i32_e32 v4, 31, v3
	v_lshlrev_b64 v[3:4], 3, v[3:4]
	s_delay_alu instid0(VALU_DEP_1) | instskip(NEXT) | instid1(VALU_DEP_2)
	v_add_co_u32 v3, vcc_lo, s6, v3
	v_add_co_ci_u32_e32 v4, vcc_lo, s7, v4, vcc_lo
	global_load_b64 v[1:2], v[1:2], off
	global_load_b64 v[3:4], v[3:4], off
	s_waitcnt vmcnt(0)
	v_mul_f32_e32 v5, v4, v2
	v_mul_f32_e32 v2, v3, v2
	s_delay_alu instid0(VALU_DEP_2) | instskip(NEXT) | instid1(VALU_DEP_2)
	v_fma_f32 v3, v3, v1, -v5
	v_fmac_f32_e32 v2, v4, v1
	s_delay_alu instid0(VALU_DEP_1)
	v_dual_add_f32 v8, v8, v3 :: v_dual_add_f32 v7, v7, v2
.LBB130_16:
	s_or_b32 exec_lo, exec_lo, s8
	v_and_b32_e32 v1, 31, v0
	v_cmp_gt_u32_e32 vcc_lo, 32, v0
	s_delay_alu instid0(VALU_DEP_2)
	v_lshlrev_b32_e32 v3, 3, v1
	s_and_saveexec_b32 s0, vcc_lo
	s_cbranch_execz .LBB130_18
; %bb.17:
	v_mov_b32_e32 v4, 0
	s_delay_alu instid0(VALU_DEP_1)
	v_mov_b32_e32 v5, v4
	ds_store_b64 v3, v[4:5]
.LBB130_18:
	s_or_b32 exec_lo, exec_lo, s0
	v_mbcnt_lo_u32_b32 v2, -1, 0
	s_mov_b32 s1, exec_lo
	s_waitcnt lgkmcnt(0)
	s_waitcnt_vscnt null, 0x0
	s_barrier
	buffer_gl0_inv
	v_cmp_gt_u32_e64 s0, 16, v2
	s_delay_alu instid0(VALU_DEP_1) | instskip(SKIP_1) | instid1(VALU_DEP_2)
	v_cndmask_b32_e64 v4, 0, 1, s0
	v_cmp_gt_u32_e64 s0, 24, v2
	v_lshlrev_b32_e32 v4, 4, v4
	s_delay_alu instid0(VALU_DEP_2) | instskip(SKIP_1) | instid1(VALU_DEP_3)
	v_cndmask_b32_e64 v5, 0, 1, s0
	v_cmp_gt_u32_e64 s0, 28, v2
	v_add_lshl_u32 v4, v4, v2, 2
	ds_bpermute_b32 v6, v4, v8
	ds_bpermute_b32 v9, v4, v7
	s_waitcnt lgkmcnt(1)
	v_dual_add_f32 v8, v8, v6 :: v_dual_lshlrev_b32 v5, 3, v5
	s_delay_alu instid0(VALU_DEP_1)
	v_add_lshl_u32 v5, v5, v2, 2
	s_waitcnt lgkmcnt(0)
	v_add_f32_e32 v7, v7, v9
	v_cndmask_b32_e64 v6, 0, 1, s0
	v_cmp_gt_u32_e64 s0, 30, v2
	ds_bpermute_b32 v9, v5, v8
	ds_bpermute_b32 v10, v5, v7
	s_waitcnt lgkmcnt(0)
	v_dual_add_f32 v8, v8, v9 :: v_dual_add_f32 v9, v7, v10
	v_lshlrev_b32_e32 v6, 2, v6
	v_cndmask_b32_e64 v7, 0, 1, s0
	v_cmp_ne_u32_e64 s0, 31, v2
	s_delay_alu instid0(VALU_DEP_3) | instskip(SKIP_4) | instid1(VALU_DEP_1)
	v_add_lshl_u32 v6, v6, v2, 2
	ds_bpermute_b32 v10, v6, v8
	ds_bpermute_b32 v11, v6, v9
	s_waitcnt lgkmcnt(1)
	v_dual_add_f32 v10, v8, v10 :: v_dual_lshlrev_b32 v7, 1, v7
	v_add_lshl_u32 v7, v7, v2, 2
	s_waitcnt lgkmcnt(0)
	v_add_f32_e32 v9, v9, v11
	v_add_co_ci_u32_e64 v2, s0, 0, v2, s0
	ds_bpermute_b32 v11, v7, v10
	ds_bpermute_b32 v12, v7, v9
	v_lshlrev_b32_e32 v8, 2, v2
	s_waitcnt lgkmcnt(1)
	v_add_f32_e32 v2, v10, v11
	s_waitcnt lgkmcnt(0)
	v_add_f32_e32 v10, v9, v12
	ds_bpermute_b32 v9, v8, v2
	ds_bpermute_b32 v11, v8, v10
	v_cmpx_eq_u32_e32 0, v1
	s_cbranch_execz .LBB130_20
; %bb.19:
	v_lshrrev_b32_e32 v1, 2, v0
	s_waitcnt lgkmcnt(0)
	v_add_f32_e32 v10, v10, v11
	v_add_f32_e32 v9, v2, v9
	s_delay_alu instid0(VALU_DEP_3)
	v_and_b32_e32 v1, 0xf8, v1
	ds_store_b64 v1, v[9:10]
.LBB130_20:
	s_or_b32 exec_lo, exec_lo, s1
	v_dual_mov_b32 v2, 0 :: v_dual_mov_b32 v1, 0
	s_waitcnt lgkmcnt(0)
	s_barrier
	buffer_gl0_inv
	s_and_saveexec_b32 s0, vcc_lo
	s_cbranch_execz .LBB130_22
; %bb.21:
	ds_load_b64 v[1:2], v3
.LBB130_22:
	s_or_b32 exec_lo, exec_lo, s0
	s_and_saveexec_b32 s0, vcc_lo
	s_cbranch_execz .LBB130_24
; %bb.23:
	s_waitcnt lgkmcnt(0)
	ds_bpermute_b32 v3, v4, v1
	ds_bpermute_b32 v4, v4, v2
	s_waitcnt lgkmcnt(0)
	v_dual_add_f32 v1, v1, v3 :: v_dual_add_f32 v2, v2, v4
	ds_bpermute_b32 v3, v5, v1
	ds_bpermute_b32 v4, v5, v2
	s_waitcnt lgkmcnt(0)
	v_dual_add_f32 v1, v1, v3 :: v_dual_add_f32 v2, v2, v4
	;; [unrolled: 4-line block ×5, first 2 shown]
.LBB130_24:
	s_or_b32 exec_lo, exec_lo, s0
	s_delay_alu instid0(SALU_CYCLE_1)
	s_mov_b32 s0, exec_lo
	v_cmpx_eq_u32_e32 0, v0
	s_cbranch_execz .LBB130_28
; %bb.25:
	s_waitcnt lgkmcnt(0)
	v_mul_f32_e32 v3, s4, v2
	v_mul_f32_e32 v0, s5, v2
	v_cmp_neq_f32_e64 s0, s2, 0
	v_cmp_neq_f32_e64 s1, s3, 0
	s_delay_alu instid0(VALU_DEP_4) | instskip(NEXT) | instid1(VALU_DEP_4)
	v_fmac_f32_e32 v3, s5, v1
	v_fma_f32 v2, v1, s4, -v0
	s_delay_alu instid0(VALU_DEP_3)
	s_or_b32 s1, s0, s1
	s_mul_i32 s0, s14, s18
	s_and_not1_b32 vcc_lo, exec_lo, s1
	s_ashr_i32 s1, s0, 31
	s_cbranch_vccnz .LBB130_27
; %bb.26:
	s_lshl_b64 s[4:5], s[0:1], 3
	v_mov_b32_e32 v0, 0
	s_add_u32 s4, s12, s4
	s_addc_u32 s5, s13, s5
	global_load_b64 v[0:1], v0, s[4:5]
	s_waitcnt vmcnt(0)
	v_mul_f32_e32 v4, s3, v1
	v_mul_f32_e32 v1, s2, v1
	s_delay_alu instid0(VALU_DEP_1) | instskip(NEXT) | instid1(VALU_DEP_3)
	v_fmac_f32_e32 v1, s3, v0
	v_fma_f32 v4, s2, v0, -v4
	s_delay_alu instid0(VALU_DEP_1)
	v_dual_add_f32 v3, v3, v1 :: v_dual_add_f32 v2, v2, v4
.LBB130_27:
	s_lshl_b64 s[0:1], s[0:1], 3
	v_mov_b32_e32 v0, 0
	s_add_u32 s0, s12, s0
	s_addc_u32 s1, s13, s1
	global_store_b64 v0, v[2:3], s[0:1]
.LBB130_28:
	s_nop 0
	s_sendmsg sendmsg(MSG_DEALLOC_VGPRS)
	s_endpgm
	.section	.rodata,"a",@progbits
	.p2align	6, 0x0
	.amdhsa_kernel _ZL32rocblas_gemvt_warp_reduce_kernelILb0ELi1024Ei19rocblas_complex_numIfEPKS1_S1_EviiT3_lPKT2_lT1_lS7_lS8_lS4_lPT4_lS8_li
		.amdhsa_group_segment_fixed_size 256
		.amdhsa_private_segment_fixed_size 0
		.amdhsa_kernarg_size 140
		.amdhsa_user_sgpr_count 14
		.amdhsa_user_sgpr_dispatch_ptr 0
		.amdhsa_user_sgpr_queue_ptr 0
		.amdhsa_user_sgpr_kernarg_segment_ptr 1
		.amdhsa_user_sgpr_dispatch_id 0
		.amdhsa_user_sgpr_private_segment_size 0
		.amdhsa_wavefront_size32 1
		.amdhsa_uses_dynamic_stack 0
		.amdhsa_enable_private_segment 0
		.amdhsa_system_sgpr_workgroup_id_x 1
		.amdhsa_system_sgpr_workgroup_id_y 0
		.amdhsa_system_sgpr_workgroup_id_z 1
		.amdhsa_system_sgpr_workgroup_info 0
		.amdhsa_system_vgpr_workitem_id 0
		.amdhsa_next_free_vgpr 14
		.amdhsa_next_free_sgpr 26
		.amdhsa_reserve_vcc 1
		.amdhsa_float_round_mode_32 0
		.amdhsa_float_round_mode_16_64 0
		.amdhsa_float_denorm_mode_32 3
		.amdhsa_float_denorm_mode_16_64 3
		.amdhsa_dx10_clamp 1
		.amdhsa_ieee_mode 1
		.amdhsa_fp16_overflow 0
		.amdhsa_workgroup_processor_mode 1
		.amdhsa_memory_ordered 1
		.amdhsa_forward_progress 0
		.amdhsa_shared_vgpr_count 0
		.amdhsa_exception_fp_ieee_invalid_op 0
		.amdhsa_exception_fp_denorm_src 0
		.amdhsa_exception_fp_ieee_div_zero 0
		.amdhsa_exception_fp_ieee_overflow 0
		.amdhsa_exception_fp_ieee_underflow 0
		.amdhsa_exception_fp_ieee_inexact 0
		.amdhsa_exception_int_div_zero 0
	.end_amdhsa_kernel
	.section	.text._ZL32rocblas_gemvt_warp_reduce_kernelILb0ELi1024Ei19rocblas_complex_numIfEPKS1_S1_EviiT3_lPKT2_lT1_lS7_lS8_lS4_lPT4_lS8_li,"axG",@progbits,_ZL32rocblas_gemvt_warp_reduce_kernelILb0ELi1024Ei19rocblas_complex_numIfEPKS1_S1_EviiT3_lPKT2_lT1_lS7_lS8_lS4_lPT4_lS8_li,comdat
.Lfunc_end130:
	.size	_ZL32rocblas_gemvt_warp_reduce_kernelILb0ELi1024Ei19rocblas_complex_numIfEPKS1_S1_EviiT3_lPKT2_lT1_lS7_lS8_lS4_lPT4_lS8_li, .Lfunc_end130-_ZL32rocblas_gemvt_warp_reduce_kernelILb0ELi1024Ei19rocblas_complex_numIfEPKS1_S1_EviiT3_lPKT2_lT1_lS7_lS8_lS4_lPT4_lS8_li
                                        ; -- End function
	.section	.AMDGPU.csdata,"",@progbits
; Kernel info:
; codeLenInByte = 1820
; NumSgprs: 28
; NumVgprs: 14
; ScratchSize: 0
; MemoryBound: 0
; FloatMode: 240
; IeeeMode: 1
; LDSByteSize: 256 bytes/workgroup (compile time only)
; SGPRBlocks: 3
; VGPRBlocks: 1
; NumSGPRsForWavesPerEU: 28
; NumVGPRsForWavesPerEU: 14
; Occupancy: 16
; WaveLimiterHint : 1
; COMPUTE_PGM_RSRC2:SCRATCH_EN: 0
; COMPUTE_PGM_RSRC2:USER_SGPR: 14
; COMPUTE_PGM_RSRC2:TRAP_HANDLER: 0
; COMPUTE_PGM_RSRC2:TGID_X_EN: 1
; COMPUTE_PGM_RSRC2:TGID_Y_EN: 0
; COMPUTE_PGM_RSRC2:TGID_Z_EN: 1
; COMPUTE_PGM_RSRC2:TIDIG_COMP_CNT: 0
	.section	.text._ZL32rocblas_gemvt_warp_reduce_kernelILb0ELi1024El19rocblas_complex_numIfEPKS1_S1_EviiT3_lPKT2_lT1_lS7_lS8_lS4_lPT4_lS8_li,"axG",@progbits,_ZL32rocblas_gemvt_warp_reduce_kernelILb0ELi1024El19rocblas_complex_numIfEPKS1_S1_EviiT3_lPKT2_lT1_lS7_lS8_lS4_lPT4_lS8_li,comdat
	.globl	_ZL32rocblas_gemvt_warp_reduce_kernelILb0ELi1024El19rocblas_complex_numIfEPKS1_S1_EviiT3_lPKT2_lT1_lS7_lS8_lS4_lPT4_lS8_li ; -- Begin function _ZL32rocblas_gemvt_warp_reduce_kernelILb0ELi1024El19rocblas_complex_numIfEPKS1_S1_EviiT3_lPKT2_lT1_lS7_lS8_lS4_lPT4_lS8_li
	.p2align	8
	.type	_ZL32rocblas_gemvt_warp_reduce_kernelILb0ELi1024El19rocblas_complex_numIfEPKS1_S1_EviiT3_lPKT2_lT1_lS7_lS8_lS4_lPT4_lS8_li,@function
_ZL32rocblas_gemvt_warp_reduce_kernelILb0ELi1024El19rocblas_complex_numIfEPKS1_S1_EviiT3_lPKT2_lT1_lS7_lS8_lS4_lPT4_lS8_li: ; @_ZL32rocblas_gemvt_warp_reduce_kernelILb0ELi1024El19rocblas_complex_numIfEPKS1_S1_EviiT3_lPKT2_lT1_lS7_lS8_lS4_lPT4_lS8_li
; %bb.0:
	s_clause 0x1
	s_load_b512 s[36:51], s[0:1], 0x8
	s_load_b512 s[16:31], s[0:1], 0x48
	s_waitcnt lgkmcnt(0)
	s_mul_i32 s3, s15, s39
	s_mul_hi_u32 s4, s15, s38
	s_mul_i32 s2, s15, s38
	s_add_i32 s3, s4, s3
	s_mul_hi_u32 s6, s15, s22
	s_lshl_b64 s[2:3], s[2:3], 3
	s_delay_alu instid0(SALU_CYCLE_1)
	s_add_u32 s2, s36, s2
	s_addc_u32 s3, s37, s3
	s_load_b64 s[4:5], s[2:3], 0x0
	s_mul_i32 s3, s15, s23
	s_mul_i32 s2, s15, s22
	s_add_i32 s3, s6, s3
	s_delay_alu instid0(SALU_CYCLE_1) | instskip(NEXT) | instid1(SALU_CYCLE_1)
	s_lshl_b64 s[2:3], s[2:3], 3
	s_add_u32 s2, s20, s2
	s_addc_u32 s3, s21, s3
	s_load_b64 s[2:3], s[2:3], 0x0
	s_waitcnt lgkmcnt(0)
	v_cmp_neq_f32_e64 s6, s4, 0
	v_cmp_neq_f32_e64 s7, s5, 0
	s_delay_alu instid0(VALU_DEP_1) | instskip(NEXT) | instid1(SALU_CYCLE_1)
	s_or_b32 s6, s6, s7
	s_and_b32 vcc_lo, exec_lo, s6
	s_mov_b32 s6, -1
	s_cbranch_vccnz .LBB131_2
; %bb.1:
	v_cmp_neq_f32_e64 s6, s2, 1.0
	v_cmp_neq_f32_e64 s7, s3, 0
	s_delay_alu instid0(VALU_DEP_1)
	s_or_b32 s6, s6, s7
.LBB131_2:
	s_delay_alu instid0(SALU_CYCLE_1)
	s_and_not1_b32 vcc_lo, exec_lo, s6
	s_cbranch_vccnz .LBB131_28
; %bb.3:
	s_mul_i32 s7, s15, s31
	s_mul_hi_u32 s8, s15, s30
	s_mul_i32 s6, s15, s30
	s_add_i32 s7, s8, s7
	v_cmp_eq_u32_e32 vcc_lo, 0, v0
	s_lshl_b64 s[6:7], s[6:7], 3
	s_delay_alu instid0(SALU_CYCLE_1) | instskip(SKIP_2) | instid1(SALU_CYCLE_1)
	s_add_u32 s8, s24, s6
	s_addc_u32 s9, s25, s7
	s_lshl_b64 s[6:7], s[26:27], 3
	s_add_u32 s12, s8, s6
	s_addc_u32 s13, s9, s7
	s_or_b32 s6, s4, s5
	s_delay_alu instid0(SALU_CYCLE_1) | instskip(NEXT) | instid1(SALU_CYCLE_1)
	s_bitset0_b32 s6, 31
	s_cmp_lg_u32 s6, 0
	s_mov_b32 s6, -1
	s_cbranch_scc1 .LBB131_9
; %bb.4:
	s_and_saveexec_b32 s8, vcc_lo
	s_cbranch_execz .LBB131_8
; %bb.5:
	v_cmp_neq_f32_e64 s6, s2, 0
	v_cmp_neq_f32_e64 s7, s3, 0
	s_mul_i32 s9, s14, s29
	s_ashr_i32 s10, s14, 31
	v_dual_mov_b32 v3, 0 :: v_dual_mov_b32 v2, 0
	s_delay_alu instid0(VALU_DEP_2)
	s_or_b32 s6, s6, s7
	s_mul_hi_u32 s7, s14, s28
	v_mov_b32_e32 v1, 0
	s_add_i32 s7, s7, s9
	s_mul_i32 s10, s10, s28
	s_and_not1_b32 vcc_lo, exec_lo, s6
	s_add_i32 s7, s7, s10
	s_mul_i32 s6, s14, s28
	s_cbranch_vccnz .LBB131_7
; %bb.6:
	s_lshl_b64 s[10:11], s[6:7], 3
	s_delay_alu instid0(SALU_CYCLE_1)
	s_add_u32 s10, s12, s10
	s_addc_u32 s11, s13, s11
	s_load_b64 s[10:11], s[10:11], 0x0
	s_waitcnt lgkmcnt(0)
	v_mul_f32_e64 v1, s3, s11
	v_mul_f32_e64 v2, s2, s11
	s_delay_alu instid0(VALU_DEP_2) | instskip(NEXT) | instid1(VALU_DEP_2)
	v_fma_f32 v1, s2, s10, -v1
	v_fmac_f32_e64 v2, s3, s10
.LBB131_7:
	s_lshl_b64 s[6:7], s[6:7], 3
	s_delay_alu instid0(SALU_CYCLE_1)
	s_add_u32 s6, s12, s6
	s_addc_u32 s7, s13, s7
	global_store_b64 v3, v[1:2], s[6:7]
.LBB131_8:
	s_or_b32 exec_lo, exec_lo, s8
	s_mov_b32 s6, 0
.LBB131_9:
	s_delay_alu instid0(SALU_CYCLE_1)
	s_and_not1_b32 vcc_lo, exec_lo, s6
	s_cbranch_vccnz .LBB131_28
; %bb.10:
	s_load_b32 s9, s[0:1], 0x0
	s_mul_i32 s7, s15, s47
	s_mul_hi_u32 s8, s15, s46
	s_mul_i32 s0, s15, s46
	s_add_i32 s1, s8, s7
	s_mul_i32 s6, s15, s19
	s_mul_hi_u32 s7, s15, s18
	s_lshl_b64 s[0:1], s[0:1], 3
	s_add_i32 s7, s7, s6
	s_add_u32 s6, s40, s0
	s_addc_u32 s8, s41, s1
	s_lshl_b64 s[0:1], s[42:43], 3
	s_mul_hi_u32 s10, s14, s44
	s_add_u32 s0, s6, s0
	s_addc_u32 s6, s8, s1
	s_mul_i32 s8, s14, s45
	s_ashr_i32 s1, s14, 31
	s_add_i32 s8, s10, s8
	s_mul_i32 s10, s1, s44
	v_mov_b32_e32 v7, 0
	s_waitcnt lgkmcnt(0)
	v_cmp_gt_i32_e32 vcc_lo, s9, v0
	s_add_i32 s11, s8, s10
	s_mul_i32 s10, s14, s44
	v_mov_b32_e32 v8, 0
	s_lshl_b64 s[10:11], s[10:11], 3
	v_cndmask_b32_e32 v1, 0, v0, vcc_lo
	s_add_u32 s0, s10, s0
	s_addc_u32 s6, s11, s6
	s_ashr_i32 s8, s9, 31
	s_delay_alu instid0(SALU_CYCLE_1) | instskip(SKIP_2) | instid1(SALU_CYCLE_1)
	s_lshr_b32 s8, s8, 22
	v_lshlrev_b32_e32 v1, 3, v1
	s_add_i32 s8, s9, s8
	s_and_b32 s8, s8, 0xfffffc00
	s_delay_alu instid0(VALU_DEP_1) | instskip(NEXT) | instid1(VALU_DEP_1)
	v_add_co_u32 v1, s0, s0, v1
	v_add_co_ci_u32_e64 v2, null, s6, 0, s0
	s_mul_i32 s6, s15, s18
	s_mov_b32 s15, exec_lo
	v_cmpx_gt_i32_e64 s8, v0
	s_cbranch_execz .LBB131_14
; %bb.11:
	v_mad_u64_u32 v[5:6], null, s16, v0, 0
	s_lshl_b64 s[18:19], s[50:51], 3
	s_lshl_b64 s[10:11], s[6:7], 3
	s_add_u32 s0, s48, s18
	s_addc_u32 s18, s49, s19
	s_add_u32 s0, s0, s10
	s_addc_u32 s10, s18, s11
	s_delay_alu instid0(VALU_DEP_1) | instskip(SKIP_2) | instid1(VALU_DEP_2)
	v_dual_mov_b32 v3, v6 :: v_dual_mov_b32 v8, 0
	v_mov_b32_e32 v9, v0
	s_mov_b32 s18, 0
	v_mad_u64_u32 v[6:7], null, s17, v0, v[3:4]
	v_dual_mov_b32 v7, 0 :: v_dual_mov_b32 v4, v2
	v_mov_b32_e32 v3, v1
	s_delay_alu instid0(VALU_DEP_3) | instskip(NEXT) | instid1(VALU_DEP_1)
	v_lshlrev_b64 v[5:6], 3, v[5:6]
	v_add_co_u32 v5, vcc_lo, s0, v5
	s_delay_alu instid0(VALU_DEP_2) | instskip(SKIP_1) | instid1(VALU_DEP_2)
	v_add_co_ci_u32_e32 v6, vcc_lo, s10, v6, vcc_lo
	s_lshl_b64 s[10:11], s[16:17], 13
	v_add_co_u32 v5, vcc_lo, v5, 4
	s_delay_alu instid0(VALU_DEP_2)
	v_add_co_ci_u32_e32 v6, vcc_lo, 0, v6, vcc_lo
	.p2align	6
.LBB131_12:                             ; =>This Inner Loop Header: Depth=1
	global_load_b64 v[10:11], v[3:4], off
	global_load_b64 v[12:13], v[5:6], off offset:-4
	v_add_nc_u32_e32 v9, 0x400, v9
	v_add_co_u32 v3, vcc_lo, 0x2000, v3
	v_add_co_ci_u32_e32 v4, vcc_lo, 0, v4, vcc_lo
	v_add_co_u32 v5, vcc_lo, v5, s10
	v_add_co_ci_u32_e32 v6, vcc_lo, s11, v6, vcc_lo
	s_waitcnt vmcnt(0)
	v_mul_f32_e32 v14, v13, v11
	v_mul_f32_e32 v11, v12, v11
	v_cmp_le_i32_e64 s0, s8, v9
	s_delay_alu instid0(VALU_DEP_3) | instskip(NEXT) | instid1(VALU_DEP_3)
	v_fma_f32 v12, v12, v10, -v14
	v_fmac_f32_e32 v11, v13, v10
	s_delay_alu instid0(VALU_DEP_3) | instskip(NEXT) | instid1(VALU_DEP_1)
	s_or_b32 s18, s0, s18
	v_dual_add_f32 v8, v8, v12 :: v_dual_add_f32 v7, v7, v11
	s_and_not1_b32 exec_lo, exec_lo, s18
	s_cbranch_execnz .LBB131_12
; %bb.13:
	s_or_b32 exec_lo, exec_lo, s18
.LBB131_14:
	s_delay_alu instid0(SALU_CYCLE_1) | instskip(SKIP_2) | instid1(VALU_DEP_1)
	s_or_b32 exec_lo, exec_lo, s15
	v_or_b32_e32 v3, s8, v0
	s_mov_b32 s0, exec_lo
	v_cmpx_gt_i32_e64 s9, v3
	s_cbranch_execz .LBB131_16
; %bb.15:
	v_ashrrev_i32_e32 v6, 31, v3
	v_mul_lo_u32 v9, v3, s17
	v_mad_u64_u32 v[4:5], null, v3, s16, 0
	s_lshl_b64 s[6:7], s[6:7], 3
	s_delay_alu instid0(VALU_DEP_3) | instskip(SKIP_3) | instid1(SALU_CYCLE_1)
	v_mul_lo_u32 v3, v6, s16
	s_add_u32 s9, s48, s6
	s_addc_u32 s10, s49, s7
	s_lshl_b64 s[6:7], s[50:51], 3
	s_add_u32 s11, s9, s6
	s_addc_u32 s10, s10, s7
	s_ashr_i32 s9, s8, 31
	s_delay_alu instid0(VALU_DEP_1) | instskip(SKIP_1) | instid1(SALU_CYCLE_1)
	v_add3_u32 v5, v5, v9, v3
	s_lshl_b64 s[6:7], s[8:9], 3
	v_add_co_u32 v1, vcc_lo, v1, s6
	s_delay_alu instid0(VALU_DEP_2) | instskip(SKIP_1) | instid1(VALU_DEP_2)
	v_lshlrev_b64 v[3:4], 3, v[4:5]
	v_add_co_ci_u32_e32 v2, vcc_lo, s7, v2, vcc_lo
	v_add_co_u32 v3, vcc_lo, s11, v3
	s_delay_alu instid0(VALU_DEP_3)
	v_add_co_ci_u32_e32 v4, vcc_lo, s10, v4, vcc_lo
	global_load_b64 v[1:2], v[1:2], off
	global_load_b64 v[3:4], v[3:4], off
	s_waitcnt vmcnt(0)
	v_mul_f32_e32 v5, v4, v2
	v_mul_f32_e32 v2, v3, v2
	s_delay_alu instid0(VALU_DEP_2) | instskip(NEXT) | instid1(VALU_DEP_2)
	v_fma_f32 v3, v3, v1, -v5
	v_fmac_f32_e32 v2, v4, v1
	s_delay_alu instid0(VALU_DEP_1)
	v_dual_add_f32 v8, v8, v3 :: v_dual_add_f32 v7, v7, v2
.LBB131_16:
	s_or_b32 exec_lo, exec_lo, s0
	v_and_b32_e32 v1, 31, v0
	v_cmp_gt_u32_e32 vcc_lo, 32, v0
	s_delay_alu instid0(VALU_DEP_2)
	v_lshlrev_b32_e32 v3, 3, v1
	s_and_saveexec_b32 s0, vcc_lo
	s_cbranch_execz .LBB131_18
; %bb.17:
	v_mov_b32_e32 v4, 0
	s_delay_alu instid0(VALU_DEP_1)
	v_mov_b32_e32 v5, v4
	ds_store_b64 v3, v[4:5]
.LBB131_18:
	s_or_b32 exec_lo, exec_lo, s0
	v_mbcnt_lo_u32_b32 v2, -1, 0
	s_mov_b32 s6, exec_lo
	s_waitcnt lgkmcnt(0)
	s_waitcnt_vscnt null, 0x0
	s_barrier
	buffer_gl0_inv
	v_cmp_gt_u32_e64 s0, 16, v2
	s_delay_alu instid0(VALU_DEP_1) | instskip(SKIP_1) | instid1(VALU_DEP_2)
	v_cndmask_b32_e64 v4, 0, 1, s0
	v_cmp_gt_u32_e64 s0, 24, v2
	v_lshlrev_b32_e32 v4, 4, v4
	s_delay_alu instid0(VALU_DEP_2) | instskip(SKIP_1) | instid1(VALU_DEP_3)
	v_cndmask_b32_e64 v5, 0, 1, s0
	v_cmp_gt_u32_e64 s0, 28, v2
	v_add_lshl_u32 v4, v4, v2, 2
	ds_bpermute_b32 v6, v4, v8
	ds_bpermute_b32 v9, v4, v7
	s_waitcnt lgkmcnt(1)
	v_dual_add_f32 v8, v8, v6 :: v_dual_lshlrev_b32 v5, 3, v5
	s_delay_alu instid0(VALU_DEP_1)
	v_add_lshl_u32 v5, v5, v2, 2
	s_waitcnt lgkmcnt(0)
	v_add_f32_e32 v7, v7, v9
	v_cndmask_b32_e64 v6, 0, 1, s0
	v_cmp_gt_u32_e64 s0, 30, v2
	ds_bpermute_b32 v9, v5, v8
	ds_bpermute_b32 v10, v5, v7
	s_waitcnt lgkmcnt(0)
	v_dual_add_f32 v8, v8, v9 :: v_dual_add_f32 v9, v7, v10
	v_lshlrev_b32_e32 v6, 2, v6
	v_cndmask_b32_e64 v7, 0, 1, s0
	v_cmp_ne_u32_e64 s0, 31, v2
	s_delay_alu instid0(VALU_DEP_3) | instskip(SKIP_4) | instid1(VALU_DEP_1)
	v_add_lshl_u32 v6, v6, v2, 2
	ds_bpermute_b32 v10, v6, v8
	ds_bpermute_b32 v11, v6, v9
	s_waitcnt lgkmcnt(1)
	v_dual_add_f32 v10, v8, v10 :: v_dual_lshlrev_b32 v7, 1, v7
	v_add_lshl_u32 v7, v7, v2, 2
	s_waitcnt lgkmcnt(0)
	v_add_f32_e32 v9, v9, v11
	v_add_co_ci_u32_e64 v2, s0, 0, v2, s0
	ds_bpermute_b32 v11, v7, v10
	ds_bpermute_b32 v12, v7, v9
	v_lshlrev_b32_e32 v8, 2, v2
	s_waitcnt lgkmcnt(1)
	v_add_f32_e32 v2, v10, v11
	s_waitcnt lgkmcnt(0)
	v_add_f32_e32 v10, v9, v12
	ds_bpermute_b32 v9, v8, v2
	ds_bpermute_b32 v11, v8, v10
	v_cmpx_eq_u32_e32 0, v1
	s_cbranch_execz .LBB131_20
; %bb.19:
	v_lshrrev_b32_e32 v1, 2, v0
	s_waitcnt lgkmcnt(0)
	v_add_f32_e32 v10, v10, v11
	v_add_f32_e32 v9, v2, v9
	s_delay_alu instid0(VALU_DEP_3)
	v_and_b32_e32 v1, 0xf8, v1
	ds_store_b64 v1, v[9:10]
.LBB131_20:
	s_or_b32 exec_lo, exec_lo, s6
	v_dual_mov_b32 v2, 0 :: v_dual_mov_b32 v1, 0
	s_waitcnt lgkmcnt(0)
	s_barrier
	buffer_gl0_inv
	s_and_saveexec_b32 s0, vcc_lo
	s_cbranch_execz .LBB131_22
; %bb.21:
	ds_load_b64 v[1:2], v3
.LBB131_22:
	s_or_b32 exec_lo, exec_lo, s0
	s_and_saveexec_b32 s0, vcc_lo
	s_cbranch_execz .LBB131_24
; %bb.23:
	s_waitcnt lgkmcnt(0)
	ds_bpermute_b32 v3, v4, v1
	ds_bpermute_b32 v4, v4, v2
	s_waitcnt lgkmcnt(0)
	v_dual_add_f32 v1, v1, v3 :: v_dual_add_f32 v2, v2, v4
	ds_bpermute_b32 v3, v5, v1
	ds_bpermute_b32 v4, v5, v2
	s_waitcnt lgkmcnt(0)
	v_dual_add_f32 v1, v1, v3 :: v_dual_add_f32 v2, v2, v4
	ds_bpermute_b32 v3, v6, v1
	ds_bpermute_b32 v4, v6, v2
	s_waitcnt lgkmcnt(0)
	v_dual_add_f32 v1, v1, v3 :: v_dual_add_f32 v2, v2, v4
	ds_bpermute_b32 v3, v7, v1
	ds_bpermute_b32 v4, v7, v2
	s_waitcnt lgkmcnt(0)
	v_dual_add_f32 v1, v1, v3 :: v_dual_add_f32 v2, v2, v4
	ds_bpermute_b32 v3, v8, v1
	ds_bpermute_b32 v4, v8, v2
	s_waitcnt lgkmcnt(0)
	v_dual_add_f32 v1, v1, v3 :: v_dual_add_f32 v2, v2, v4
.LBB131_24:
	s_or_b32 exec_lo, exec_lo, s0
	s_delay_alu instid0(SALU_CYCLE_1)
	s_mov_b32 s0, exec_lo
	v_cmpx_eq_u32_e32 0, v0
	s_cbranch_execz .LBB131_28
; %bb.25:
	v_cmp_neq_f32_e64 s0, s2, 0
	v_cmp_neq_f32_e64 s6, s3, 0
	s_waitcnt lgkmcnt(0)
	v_mul_f32_e32 v0, s5, v2
	v_mul_f32_e32 v4, s4, v2
	s_mul_i32 s1, s1, s28
	s_or_b32 s0, s0, s6
	s_delay_alu instid0(VALU_DEP_2)
	v_fma_f32 v3, v1, s4, -v0
	s_mul_i32 s4, s14, s29
	s_mul_hi_u32 s6, s14, s28
	v_fmac_f32_e32 v4, s5, v1
	s_add_i32 s4, s6, s4
	s_and_not1_b32 vcc_lo, exec_lo, s0
	s_add_i32 s1, s4, s1
	s_mul_i32 s0, s14, s28
	s_cbranch_vccnz .LBB131_27
; %bb.26:
	s_lshl_b64 s[4:5], s[0:1], 3
	v_mov_b32_e32 v0, 0
	s_add_u32 s4, s12, s4
	s_addc_u32 s5, s13, s5
	global_load_b64 v[0:1], v0, s[4:5]
	s_waitcnt vmcnt(0)
	v_mul_f32_e32 v2, s3, v1
	v_mul_f32_e32 v1, s2, v1
	s_delay_alu instid0(VALU_DEP_1) | instskip(NEXT) | instid1(VALU_DEP_3)
	v_fmac_f32_e32 v1, s3, v0
	v_fma_f32 v2, s2, v0, -v2
	s_delay_alu instid0(VALU_DEP_1)
	v_dual_add_f32 v4, v4, v1 :: v_dual_add_f32 v3, v3, v2
.LBB131_27:
	s_lshl_b64 s[0:1], s[0:1], 3
	v_mov_b32_e32 v0, 0
	s_add_u32 s0, s12, s0
	s_addc_u32 s1, s13, s1
	global_store_b64 v0, v[3:4], s[0:1]
.LBB131_28:
	s_nop 0
	s_sendmsg sendmsg(MSG_DEALLOC_VGPRS)
	s_endpgm
	.section	.rodata,"a",@progbits
	.p2align	6, 0x0
	.amdhsa_kernel _ZL32rocblas_gemvt_warp_reduce_kernelILb0ELi1024El19rocblas_complex_numIfEPKS1_S1_EviiT3_lPKT2_lT1_lS7_lS8_lS4_lPT4_lS8_li
		.amdhsa_group_segment_fixed_size 256
		.amdhsa_private_segment_fixed_size 0
		.amdhsa_kernarg_size 140
		.amdhsa_user_sgpr_count 14
		.amdhsa_user_sgpr_dispatch_ptr 0
		.amdhsa_user_sgpr_queue_ptr 0
		.amdhsa_user_sgpr_kernarg_segment_ptr 1
		.amdhsa_user_sgpr_dispatch_id 0
		.amdhsa_user_sgpr_private_segment_size 0
		.amdhsa_wavefront_size32 1
		.amdhsa_uses_dynamic_stack 0
		.amdhsa_enable_private_segment 0
		.amdhsa_system_sgpr_workgroup_id_x 1
		.amdhsa_system_sgpr_workgroup_id_y 0
		.amdhsa_system_sgpr_workgroup_id_z 1
		.amdhsa_system_sgpr_workgroup_info 0
		.amdhsa_system_vgpr_workitem_id 0
		.amdhsa_next_free_vgpr 15
		.amdhsa_next_free_sgpr 52
		.amdhsa_reserve_vcc 1
		.amdhsa_float_round_mode_32 0
		.amdhsa_float_round_mode_16_64 0
		.amdhsa_float_denorm_mode_32 3
		.amdhsa_float_denorm_mode_16_64 3
		.amdhsa_dx10_clamp 1
		.amdhsa_ieee_mode 1
		.amdhsa_fp16_overflow 0
		.amdhsa_workgroup_processor_mode 1
		.amdhsa_memory_ordered 1
		.amdhsa_forward_progress 0
		.amdhsa_shared_vgpr_count 0
		.amdhsa_exception_fp_ieee_invalid_op 0
		.amdhsa_exception_fp_denorm_src 0
		.amdhsa_exception_fp_ieee_div_zero 0
		.amdhsa_exception_fp_ieee_overflow 0
		.amdhsa_exception_fp_ieee_underflow 0
		.amdhsa_exception_fp_ieee_inexact 0
		.amdhsa_exception_int_div_zero 0
	.end_amdhsa_kernel
	.section	.text._ZL32rocblas_gemvt_warp_reduce_kernelILb0ELi1024El19rocblas_complex_numIfEPKS1_S1_EviiT3_lPKT2_lT1_lS7_lS8_lS4_lPT4_lS8_li,"axG",@progbits,_ZL32rocblas_gemvt_warp_reduce_kernelILb0ELi1024El19rocblas_complex_numIfEPKS1_S1_EviiT3_lPKT2_lT1_lS7_lS8_lS4_lPT4_lS8_li,comdat
.Lfunc_end131:
	.size	_ZL32rocblas_gemvt_warp_reduce_kernelILb0ELi1024El19rocblas_complex_numIfEPKS1_S1_EviiT3_lPKT2_lT1_lS7_lS8_lS4_lPT4_lS8_li, .Lfunc_end131-_ZL32rocblas_gemvt_warp_reduce_kernelILb0ELi1024El19rocblas_complex_numIfEPKS1_S1_EviiT3_lPKT2_lT1_lS7_lS8_lS4_lPT4_lS8_li
                                        ; -- End function
	.section	.AMDGPU.csdata,"",@progbits
; Kernel info:
; codeLenInByte = 1880
; NumSgprs: 54
; NumVgprs: 15
; ScratchSize: 0
; MemoryBound: 0
; FloatMode: 240
; IeeeMode: 1
; LDSByteSize: 256 bytes/workgroup (compile time only)
; SGPRBlocks: 6
; VGPRBlocks: 1
; NumSGPRsForWavesPerEU: 54
; NumVGPRsForWavesPerEU: 15
; Occupancy: 16
; WaveLimiterHint : 0
; COMPUTE_PGM_RSRC2:SCRATCH_EN: 0
; COMPUTE_PGM_RSRC2:USER_SGPR: 14
; COMPUTE_PGM_RSRC2:TRAP_HANDLER: 0
; COMPUTE_PGM_RSRC2:TGID_X_EN: 1
; COMPUTE_PGM_RSRC2:TGID_Y_EN: 0
; COMPUTE_PGM_RSRC2:TGID_Z_EN: 1
; COMPUTE_PGM_RSRC2:TIDIG_COMP_CNT: 0
	.section	.text._ZL32rocblas_gemvt_warp_reduce_kernelILb0ELi1024Ei19rocblas_complex_numIfES1_S1_EviiT3_lPKT2_lT1_lS5_lS6_lS2_lPT4_lS6_li,"axG",@progbits,_ZL32rocblas_gemvt_warp_reduce_kernelILb0ELi1024Ei19rocblas_complex_numIfES1_S1_EviiT3_lPKT2_lT1_lS5_lS6_lS2_lPT4_lS6_li,comdat
	.globl	_ZL32rocblas_gemvt_warp_reduce_kernelILb0ELi1024Ei19rocblas_complex_numIfES1_S1_EviiT3_lPKT2_lT1_lS5_lS6_lS2_lPT4_lS6_li ; -- Begin function _ZL32rocblas_gemvt_warp_reduce_kernelILb0ELi1024Ei19rocblas_complex_numIfES1_S1_EviiT3_lPKT2_lT1_lS5_lS6_lS2_lPT4_lS6_li
	.p2align	8
	.type	_ZL32rocblas_gemvt_warp_reduce_kernelILb0ELi1024Ei19rocblas_complex_numIfES1_S1_EviiT3_lPKT2_lT1_lS5_lS6_lS2_lPT4_lS6_li,@function
_ZL32rocblas_gemvt_warp_reduce_kernelILb0ELi1024Ei19rocblas_complex_numIfES1_S1_EviiT3_lPKT2_lT1_lS5_lS6_lS2_lPT4_lS6_li: ; @_ZL32rocblas_gemvt_warp_reduce_kernelILb0ELi1024Ei19rocblas_complex_numIfES1_S1_EviiT3_lPKT2_lT1_lS5_lS6_lS2_lPT4_lS6_li
; %bb.0:
	s_clause 0x1
	s_load_b64 s[4:5], s[0:1], 0x8
	s_load_b64 s[2:3], s[0:1], 0x58
	s_waitcnt lgkmcnt(0)
	v_cmp_neq_f32_e64 s6, s4, 0
	v_cmp_neq_f32_e64 s7, s5, 0
	s_delay_alu instid0(VALU_DEP_1) | instskip(NEXT) | instid1(SALU_CYCLE_1)
	s_or_b32 s6, s6, s7
	s_and_b32 vcc_lo, exec_lo, s6
	s_mov_b32 s6, -1
	s_cbranch_vccnz .LBB132_2
; %bb.1:
	v_cmp_neq_f32_e64 s6, s2, 1.0
	v_cmp_neq_f32_e64 s7, s3, 0
	s_delay_alu instid0(VALU_DEP_1)
	s_or_b32 s6, s6, s7
.LBB132_2:
	s_delay_alu instid0(SALU_CYCLE_1)
	s_and_not1_b32 vcc_lo, exec_lo, s6
	s_cbranch_vccnz .LBB132_28
; %bb.3:
	s_clause 0x2
	s_load_b64 s[6:7], s[0:1], 0x80
	s_load_b128 s[16:19], s[0:1], 0x68
	s_load_b32 s10, s[0:1], 0x78
	v_cmp_eq_u32_e32 vcc_lo, 0, v0
	s_waitcnt lgkmcnt(0)
	s_mul_i32 s7, s15, s7
	s_mul_hi_u32 s8, s15, s6
	s_mul_i32 s6, s15, s6
	s_add_i32 s7, s8, s7
	s_delay_alu instid0(SALU_CYCLE_1) | instskip(NEXT) | instid1(SALU_CYCLE_1)
	s_lshl_b64 s[6:7], s[6:7], 3
	s_add_u32 s8, s16, s6
	s_addc_u32 s9, s17, s7
	s_lshl_b64 s[6:7], s[18:19], 3
	s_delay_alu instid0(SALU_CYCLE_1) | instskip(SKIP_2) | instid1(SALU_CYCLE_1)
	s_add_u32 s8, s8, s6
	s_addc_u32 s9, s9, s7
	s_or_b32 s6, s4, s5
	s_bitset0_b32 s6, 31
	s_delay_alu instid0(SALU_CYCLE_1)
	s_cmp_lg_u32 s6, 0
	s_mov_b32 s6, -1
	s_cbranch_scc1 .LBB132_9
; %bb.4:
	s_and_saveexec_b32 s11, vcc_lo
	s_cbranch_execz .LBB132_8
; %bb.5:
	v_cmp_neq_f32_e64 s6, s2, 0
	v_cmp_neq_f32_e64 s7, s3, 0
	v_dual_mov_b32 v3, 0 :: v_dual_mov_b32 v2, 0
	v_mov_b32_e32 v1, 0
	s_delay_alu instid0(VALU_DEP_3)
	s_or_b32 s7, s6, s7
	s_mul_i32 s6, s14, s10
	s_and_not1_b32 vcc_lo, exec_lo, s7
	s_ashr_i32 s7, s6, 31
	s_cbranch_vccnz .LBB132_7
; %bb.6:
	s_lshl_b64 s[12:13], s[6:7], 3
	s_delay_alu instid0(SALU_CYCLE_1)
	s_add_u32 s12, s8, s12
	s_addc_u32 s13, s9, s13
	s_load_b64 s[12:13], s[12:13], 0x0
	s_waitcnt lgkmcnt(0)
	v_mul_f32_e64 v1, s3, s13
	v_mul_f32_e64 v2, s2, s13
	s_delay_alu instid0(VALU_DEP_2) | instskip(NEXT) | instid1(VALU_DEP_2)
	v_fma_f32 v1, s2, s12, -v1
	v_fmac_f32_e64 v2, s3, s12
.LBB132_7:
	s_lshl_b64 s[6:7], s[6:7], 3
	s_delay_alu instid0(SALU_CYCLE_1)
	s_add_u32 s6, s8, s6
	s_addc_u32 s7, s9, s7
	global_store_b64 v3, v[1:2], s[6:7]
.LBB132_8:
	s_or_b32 exec_lo, exec_lo, s11
	s_mov_b32 s6, 0
.LBB132_9:
	s_delay_alu instid0(SALU_CYCLE_1)
	s_and_not1_b32 vcc_lo, exec_lo, s6
	s_cbranch_vccnz .LBB132_28
; %bb.10:
	s_clause 0x6
	s_load_b64 s[12:13], s[0:1], 0x50
	s_load_b128 s[16:19], s[0:1], 0x30
	s_load_b64 s[24:25], s[0:1], 0x40
	s_load_b32 s6, s[0:1], 0x0
	s_load_b128 s[20:23], s[0:1], 0x18
	s_load_b32 s26, s[0:1], 0x28
	s_load_b32 s1, s[0:1], 0x48
	v_dual_mov_b32 v7, 0 :: v_dual_mov_b32 v8, 0
	s_waitcnt lgkmcnt(0)
	s_mul_i32 s0, s15, s13
	s_mul_hi_u32 s7, s15, s12
	s_mul_i32 s12, s15, s12
	s_add_i32 s13, s7, s0
	s_mul_i32 s0, s15, s17
	s_lshl_b64 s[12:13], s[12:13], 3
	s_mul_hi_u32 s17, s15, s16
	s_add_u32 s7, s18, s12
	s_addc_u32 s11, s19, s13
	s_lshl_b64 s[12:13], s[24:25], 3
	v_cmp_gt_i32_e32 vcc_lo, s6, v0
	s_add_u32 s7, s7, s12
	s_mul_i32 s16, s15, s16
	s_addc_u32 s11, s11, s13
	s_add_i32 s17, s17, s0
	v_cndmask_b32_e32 v1, 0, v0, vcc_lo
	s_lshl_b64 s[12:13], s[16:17], 3
	s_mul_i32 s16, s14, s26
	s_add_u32 s0, s20, s12
	s_addc_u32 s15, s21, s13
	s_lshl_b64 s[12:13], s[22:23], 3
	v_lshlrev_b32_e32 v1, 3, v1
	s_add_u32 s0, s0, s12
	s_addc_u32 s15, s15, s13
	s_ashr_i32 s17, s16, 31
	s_delay_alu instid0(SALU_CYCLE_1) | instskip(NEXT) | instid1(SALU_CYCLE_1)
	s_lshl_b64 s[12:13], s[16:17], 3
	s_add_u32 s12, s12, s0
	s_addc_u32 s13, s13, s15
	s_ashr_i32 s0, s6, 31
	v_add_co_u32 v1, s12, s12, v1
	s_lshr_b32 s0, s0, 22
	v_add_co_ci_u32_e64 v2, null, s13, 0, s12
	s_add_i32 s0, s6, s0
	s_mov_b32 s12, exec_lo
	s_and_b32 s0, s0, 0xfffffc00
	s_delay_alu instid0(SALU_CYCLE_1)
	v_cmpx_gt_i32_e64 s0, v0
	s_cbranch_execz .LBB132_14
; %bb.11:
	v_mul_lo_u32 v3, v0, s1
	v_dual_mov_b32 v7, 0 :: v_dual_mov_b32 v6, v2
	v_dual_mov_b32 v5, v1 :: v_dual_mov_b32 v8, 0
	v_mov_b32_e32 v9, v0
	s_lshl_b32 s15, s1, 10
	s_mov_b32 s13, 0
	.p2align	6
.LBB132_12:                             ; =>This Inner Loop Header: Depth=1
	s_delay_alu instid0(VALU_DEP_4) | instskip(NEXT) | instid1(VALU_DEP_1)
	v_ashrrev_i32_e32 v4, 31, v3
	v_lshlrev_b64 v[10:11], 3, v[3:4]
	v_add_nc_u32_e32 v3, s15, v3
	s_delay_alu instid0(VALU_DEP_2) | instskip(NEXT) | instid1(VALU_DEP_3)
	v_add_co_u32 v10, vcc_lo, s7, v10
	v_add_co_ci_u32_e32 v11, vcc_lo, s11, v11, vcc_lo
	global_load_b64 v[12:13], v[5:6], off
	global_load_b64 v[10:11], v[10:11], off
	v_add_co_u32 v5, vcc_lo, 0x2000, v5
	v_add_co_ci_u32_e32 v6, vcc_lo, 0, v6, vcc_lo
	s_waitcnt vmcnt(0)
	v_mul_f32_e32 v4, v11, v13
	v_mul_f32_e32 v13, v10, v13
	s_delay_alu instid0(VALU_DEP_2) | instskip(SKIP_1) | instid1(VALU_DEP_3)
	v_fma_f32 v4, v10, v12, -v4
	v_add_nc_u32_e32 v9, 0x400, v9
	v_fmac_f32_e32 v13, v11, v12
	s_delay_alu instid0(VALU_DEP_3) | instskip(NEXT) | instid1(VALU_DEP_3)
	v_add_f32_e32 v8, v8, v4
	v_cmp_le_i32_e32 vcc_lo, s0, v9
	s_delay_alu instid0(VALU_DEP_3) | instskip(SKIP_1) | instid1(SALU_CYCLE_1)
	v_add_f32_e32 v7, v7, v13
	s_or_b32 s13, vcc_lo, s13
	s_and_not1_b32 exec_lo, exec_lo, s13
	s_cbranch_execnz .LBB132_12
; %bb.13:
	s_or_b32 exec_lo, exec_lo, s13
.LBB132_14:
	s_delay_alu instid0(SALU_CYCLE_1) | instskip(SKIP_1) | instid1(VALU_DEP_1)
	s_or_b32 exec_lo, exec_lo, s12
	v_or_b32_e32 v3, s0, v0
	v_cmp_gt_i32_e32 vcc_lo, s6, v3
	s_and_saveexec_b32 s6, vcc_lo
	s_cbranch_execz .LBB132_16
; %bb.15:
	v_mul_lo_u32 v3, v3, s1
	s_ashr_i32 s1, s0, 31
	s_delay_alu instid0(SALU_CYCLE_1) | instskip(NEXT) | instid1(SALU_CYCLE_1)
	s_lshl_b64 s[0:1], s[0:1], 3
	v_add_co_u32 v1, vcc_lo, v1, s0
	v_add_co_ci_u32_e32 v2, vcc_lo, s1, v2, vcc_lo
	s_delay_alu instid0(VALU_DEP_3) | instskip(NEXT) | instid1(VALU_DEP_1)
	v_ashrrev_i32_e32 v4, 31, v3
	v_lshlrev_b64 v[3:4], 3, v[3:4]
	s_delay_alu instid0(VALU_DEP_1) | instskip(NEXT) | instid1(VALU_DEP_2)
	v_add_co_u32 v3, vcc_lo, s7, v3
	v_add_co_ci_u32_e32 v4, vcc_lo, s11, v4, vcc_lo
	global_load_b64 v[1:2], v[1:2], off
	global_load_b64 v[3:4], v[3:4], off
	s_waitcnt vmcnt(0)
	v_mul_f32_e32 v5, v4, v2
	v_mul_f32_e32 v2, v3, v2
	s_delay_alu instid0(VALU_DEP_2) | instskip(NEXT) | instid1(VALU_DEP_2)
	v_fma_f32 v3, v3, v1, -v5
	v_fmac_f32_e32 v2, v4, v1
	s_delay_alu instid0(VALU_DEP_1)
	v_dual_add_f32 v8, v8, v3 :: v_dual_add_f32 v7, v7, v2
.LBB132_16:
	s_or_b32 exec_lo, exec_lo, s6
	v_and_b32_e32 v1, 31, v0
	v_cmp_gt_u32_e32 vcc_lo, 32, v0
	s_delay_alu instid0(VALU_DEP_2)
	v_lshlrev_b32_e32 v3, 3, v1
	s_and_saveexec_b32 s0, vcc_lo
	s_cbranch_execz .LBB132_18
; %bb.17:
	v_mov_b32_e32 v4, 0
	s_delay_alu instid0(VALU_DEP_1)
	v_mov_b32_e32 v5, v4
	ds_store_b64 v3, v[4:5]
.LBB132_18:
	s_or_b32 exec_lo, exec_lo, s0
	v_mbcnt_lo_u32_b32 v2, -1, 0
	s_mov_b32 s1, exec_lo
	s_waitcnt lgkmcnt(0)
	s_waitcnt_vscnt null, 0x0
	s_barrier
	buffer_gl0_inv
	v_cmp_gt_u32_e64 s0, 16, v2
	s_delay_alu instid0(VALU_DEP_1) | instskip(SKIP_1) | instid1(VALU_DEP_2)
	v_cndmask_b32_e64 v4, 0, 1, s0
	v_cmp_gt_u32_e64 s0, 24, v2
	v_lshlrev_b32_e32 v4, 4, v4
	s_delay_alu instid0(VALU_DEP_2) | instskip(SKIP_1) | instid1(VALU_DEP_3)
	v_cndmask_b32_e64 v5, 0, 1, s0
	v_cmp_gt_u32_e64 s0, 28, v2
	v_add_lshl_u32 v4, v4, v2, 2
	ds_bpermute_b32 v6, v4, v8
	ds_bpermute_b32 v9, v4, v7
	s_waitcnt lgkmcnt(1)
	v_dual_add_f32 v8, v8, v6 :: v_dual_lshlrev_b32 v5, 3, v5
	s_delay_alu instid0(VALU_DEP_1)
	v_add_lshl_u32 v5, v5, v2, 2
	s_waitcnt lgkmcnt(0)
	v_add_f32_e32 v7, v7, v9
	v_cndmask_b32_e64 v6, 0, 1, s0
	v_cmp_gt_u32_e64 s0, 30, v2
	ds_bpermute_b32 v9, v5, v8
	ds_bpermute_b32 v10, v5, v7
	s_waitcnt lgkmcnt(0)
	v_dual_add_f32 v8, v8, v9 :: v_dual_add_f32 v9, v7, v10
	v_lshlrev_b32_e32 v6, 2, v6
	v_cndmask_b32_e64 v7, 0, 1, s0
	v_cmp_ne_u32_e64 s0, 31, v2
	s_delay_alu instid0(VALU_DEP_3) | instskip(SKIP_4) | instid1(VALU_DEP_1)
	v_add_lshl_u32 v6, v6, v2, 2
	ds_bpermute_b32 v10, v6, v8
	ds_bpermute_b32 v11, v6, v9
	s_waitcnt lgkmcnt(1)
	v_dual_add_f32 v10, v8, v10 :: v_dual_lshlrev_b32 v7, 1, v7
	v_add_lshl_u32 v7, v7, v2, 2
	s_waitcnt lgkmcnt(0)
	v_add_f32_e32 v9, v9, v11
	v_add_co_ci_u32_e64 v2, s0, 0, v2, s0
	ds_bpermute_b32 v11, v7, v10
	ds_bpermute_b32 v12, v7, v9
	v_lshlrev_b32_e32 v8, 2, v2
	s_waitcnt lgkmcnt(1)
	v_add_f32_e32 v2, v10, v11
	s_waitcnt lgkmcnt(0)
	v_add_f32_e32 v10, v9, v12
	ds_bpermute_b32 v9, v8, v2
	ds_bpermute_b32 v11, v8, v10
	v_cmpx_eq_u32_e32 0, v1
	s_cbranch_execz .LBB132_20
; %bb.19:
	v_lshrrev_b32_e32 v1, 2, v0
	s_waitcnt lgkmcnt(0)
	v_add_f32_e32 v10, v10, v11
	v_add_f32_e32 v9, v2, v9
	s_delay_alu instid0(VALU_DEP_3)
	v_and_b32_e32 v1, 0xf8, v1
	ds_store_b64 v1, v[9:10]
.LBB132_20:
	s_or_b32 exec_lo, exec_lo, s1
	v_dual_mov_b32 v2, 0 :: v_dual_mov_b32 v1, 0
	s_waitcnt lgkmcnt(0)
	s_barrier
	buffer_gl0_inv
	s_and_saveexec_b32 s0, vcc_lo
	s_cbranch_execz .LBB132_22
; %bb.21:
	ds_load_b64 v[1:2], v3
.LBB132_22:
	s_or_b32 exec_lo, exec_lo, s0
	s_and_saveexec_b32 s0, vcc_lo
	s_cbranch_execz .LBB132_24
; %bb.23:
	s_waitcnt lgkmcnt(0)
	ds_bpermute_b32 v3, v4, v1
	ds_bpermute_b32 v4, v4, v2
	s_waitcnt lgkmcnt(0)
	v_dual_add_f32 v1, v1, v3 :: v_dual_add_f32 v2, v2, v4
	ds_bpermute_b32 v3, v5, v1
	ds_bpermute_b32 v4, v5, v2
	s_waitcnt lgkmcnt(0)
	v_dual_add_f32 v1, v1, v3 :: v_dual_add_f32 v2, v2, v4
	;; [unrolled: 4-line block ×5, first 2 shown]
.LBB132_24:
	s_or_b32 exec_lo, exec_lo, s0
	s_delay_alu instid0(SALU_CYCLE_1)
	s_mov_b32 s0, exec_lo
	v_cmpx_eq_u32_e32 0, v0
	s_cbranch_execz .LBB132_28
; %bb.25:
	s_waitcnt lgkmcnt(0)
	v_mul_f32_e32 v3, s4, v2
	v_mul_f32_e32 v0, s5, v2
	v_cmp_neq_f32_e64 s0, s2, 0
	v_cmp_neq_f32_e64 s1, s3, 0
	s_delay_alu instid0(VALU_DEP_4) | instskip(NEXT) | instid1(VALU_DEP_4)
	v_fmac_f32_e32 v3, s5, v1
	v_fma_f32 v2, v1, s4, -v0
	s_delay_alu instid0(VALU_DEP_3)
	s_or_b32 s1, s0, s1
	s_mul_i32 s0, s14, s10
	s_and_not1_b32 vcc_lo, exec_lo, s1
	s_ashr_i32 s1, s0, 31
	s_cbranch_vccnz .LBB132_27
; %bb.26:
	s_lshl_b64 s[4:5], s[0:1], 3
	v_mov_b32_e32 v0, 0
	s_add_u32 s4, s8, s4
	s_addc_u32 s5, s9, s5
	global_load_b64 v[0:1], v0, s[4:5]
	s_waitcnt vmcnt(0)
	v_mul_f32_e32 v4, s3, v1
	v_mul_f32_e32 v1, s2, v1
	s_delay_alu instid0(VALU_DEP_1) | instskip(NEXT) | instid1(VALU_DEP_3)
	v_fmac_f32_e32 v1, s3, v0
	v_fma_f32 v4, s2, v0, -v4
	s_delay_alu instid0(VALU_DEP_1)
	v_dual_add_f32 v3, v3, v1 :: v_dual_add_f32 v2, v2, v4
.LBB132_27:
	s_lshl_b64 s[0:1], s[0:1], 3
	v_mov_b32_e32 v0, 0
	s_add_u32 s0, s8, s0
	s_addc_u32 s1, s9, s1
	global_store_b64 v0, v[2:3], s[0:1]
.LBB132_28:
	s_nop 0
	s_sendmsg sendmsg(MSG_DEALLOC_VGPRS)
	s_endpgm
	.section	.rodata,"a",@progbits
	.p2align	6, 0x0
	.amdhsa_kernel _ZL32rocblas_gemvt_warp_reduce_kernelILb0ELi1024Ei19rocblas_complex_numIfES1_S1_EviiT3_lPKT2_lT1_lS5_lS6_lS2_lPT4_lS6_li
		.amdhsa_group_segment_fixed_size 256
		.amdhsa_private_segment_fixed_size 0
		.amdhsa_kernarg_size 140
		.amdhsa_user_sgpr_count 14
		.amdhsa_user_sgpr_dispatch_ptr 0
		.amdhsa_user_sgpr_queue_ptr 0
		.amdhsa_user_sgpr_kernarg_segment_ptr 1
		.amdhsa_user_sgpr_dispatch_id 0
		.amdhsa_user_sgpr_private_segment_size 0
		.amdhsa_wavefront_size32 1
		.amdhsa_uses_dynamic_stack 0
		.amdhsa_enable_private_segment 0
		.amdhsa_system_sgpr_workgroup_id_x 1
		.amdhsa_system_sgpr_workgroup_id_y 0
		.amdhsa_system_sgpr_workgroup_id_z 1
		.amdhsa_system_sgpr_workgroup_info 0
		.amdhsa_system_vgpr_workitem_id 0
		.amdhsa_next_free_vgpr 14
		.amdhsa_next_free_sgpr 27
		.amdhsa_reserve_vcc 1
		.amdhsa_float_round_mode_32 0
		.amdhsa_float_round_mode_16_64 0
		.amdhsa_float_denorm_mode_32 3
		.amdhsa_float_denorm_mode_16_64 3
		.amdhsa_dx10_clamp 1
		.amdhsa_ieee_mode 1
		.amdhsa_fp16_overflow 0
		.amdhsa_workgroup_processor_mode 1
		.amdhsa_memory_ordered 1
		.amdhsa_forward_progress 0
		.amdhsa_shared_vgpr_count 0
		.amdhsa_exception_fp_ieee_invalid_op 0
		.amdhsa_exception_fp_denorm_src 0
		.amdhsa_exception_fp_ieee_div_zero 0
		.amdhsa_exception_fp_ieee_overflow 0
		.amdhsa_exception_fp_ieee_underflow 0
		.amdhsa_exception_fp_ieee_inexact 0
		.amdhsa_exception_int_div_zero 0
	.end_amdhsa_kernel
	.section	.text._ZL32rocblas_gemvt_warp_reduce_kernelILb0ELi1024Ei19rocblas_complex_numIfES1_S1_EviiT3_lPKT2_lT1_lS5_lS6_lS2_lPT4_lS6_li,"axG",@progbits,_ZL32rocblas_gemvt_warp_reduce_kernelILb0ELi1024Ei19rocblas_complex_numIfES1_S1_EviiT3_lPKT2_lT1_lS5_lS6_lS2_lPT4_lS6_li,comdat
.Lfunc_end132:
	.size	_ZL32rocblas_gemvt_warp_reduce_kernelILb0ELi1024Ei19rocblas_complex_numIfES1_S1_EviiT3_lPKT2_lT1_lS5_lS6_lS2_lPT4_lS6_li, .Lfunc_end132-_ZL32rocblas_gemvt_warp_reduce_kernelILb0ELi1024Ei19rocblas_complex_numIfES1_S1_EviiT3_lPKT2_lT1_lS5_lS6_lS2_lPT4_lS6_li
                                        ; -- End function
	.section	.AMDGPU.csdata,"",@progbits
; Kernel info:
; codeLenInByte = 1740
; NumSgprs: 29
; NumVgprs: 14
; ScratchSize: 0
; MemoryBound: 0
; FloatMode: 240
; IeeeMode: 1
; LDSByteSize: 256 bytes/workgroup (compile time only)
; SGPRBlocks: 3
; VGPRBlocks: 1
; NumSGPRsForWavesPerEU: 29
; NumVGPRsForWavesPerEU: 14
; Occupancy: 16
; WaveLimiterHint : 1
; COMPUTE_PGM_RSRC2:SCRATCH_EN: 0
; COMPUTE_PGM_RSRC2:USER_SGPR: 14
; COMPUTE_PGM_RSRC2:TRAP_HANDLER: 0
; COMPUTE_PGM_RSRC2:TGID_X_EN: 1
; COMPUTE_PGM_RSRC2:TGID_Y_EN: 0
; COMPUTE_PGM_RSRC2:TGID_Z_EN: 1
; COMPUTE_PGM_RSRC2:TIDIG_COMP_CNT: 0
	.section	.text._ZL32rocblas_gemvt_warp_reduce_kernelILb0ELi1024El19rocblas_complex_numIfES1_S1_EviiT3_lPKT2_lT1_lS5_lS6_lS2_lPT4_lS6_li,"axG",@progbits,_ZL32rocblas_gemvt_warp_reduce_kernelILb0ELi1024El19rocblas_complex_numIfES1_S1_EviiT3_lPKT2_lT1_lS5_lS6_lS2_lPT4_lS6_li,comdat
	.globl	_ZL32rocblas_gemvt_warp_reduce_kernelILb0ELi1024El19rocblas_complex_numIfES1_S1_EviiT3_lPKT2_lT1_lS5_lS6_lS2_lPT4_lS6_li ; -- Begin function _ZL32rocblas_gemvt_warp_reduce_kernelILb0ELi1024El19rocblas_complex_numIfES1_S1_EviiT3_lPKT2_lT1_lS5_lS6_lS2_lPT4_lS6_li
	.p2align	8
	.type	_ZL32rocblas_gemvt_warp_reduce_kernelILb0ELi1024El19rocblas_complex_numIfES1_S1_EviiT3_lPKT2_lT1_lS5_lS6_lS2_lPT4_lS6_li,@function
_ZL32rocblas_gemvt_warp_reduce_kernelILb0ELi1024El19rocblas_complex_numIfES1_S1_EviiT3_lPKT2_lT1_lS5_lS6_lS2_lPT4_lS6_li: ; @_ZL32rocblas_gemvt_warp_reduce_kernelILb0ELi1024El19rocblas_complex_numIfES1_S1_EviiT3_lPKT2_lT1_lS5_lS6_lS2_lPT4_lS6_li
; %bb.0:
	s_clause 0x1
	s_load_b64 s[12:13], s[0:1], 0x8
	s_load_b64 s[2:3], s[0:1], 0x58
	s_waitcnt lgkmcnt(0)
	v_cmp_neq_f32_e64 s4, s12, 0
	v_cmp_neq_f32_e64 s5, s13, 0
	s_delay_alu instid0(VALU_DEP_1) | instskip(NEXT) | instid1(SALU_CYCLE_1)
	s_or_b32 s4, s4, s5
	s_and_b32 vcc_lo, exec_lo, s4
	s_mov_b32 s4, -1
	s_cbranch_vccnz .LBB133_2
; %bb.1:
	v_cmp_neq_f32_e64 s4, s2, 1.0
	v_cmp_neq_f32_e64 s5, s3, 0
	s_delay_alu instid0(VALU_DEP_1)
	s_or_b32 s4, s4, s5
.LBB133_2:
	s_delay_alu instid0(SALU_CYCLE_1)
	s_and_not1_b32 vcc_lo, exec_lo, s4
	s_cbranch_vccnz .LBB133_28
; %bb.3:
	s_load_b256 s[4:11], s[0:1], 0x68
	v_cmp_eq_u32_e32 vcc_lo, 0, v0
	s_waitcnt lgkmcnt(0)
	s_mul_i32 s11, s15, s11
	s_mul_hi_u32 s16, s15, s10
	s_mul_i32 s10, s15, s10
	s_add_i32 s11, s16, s11
	s_delay_alu instid0(SALU_CYCLE_1) | instskip(NEXT) | instid1(SALU_CYCLE_1)
	s_lshl_b64 s[10:11], s[10:11], 3
	s_add_u32 s10, s4, s10
	s_addc_u32 s11, s5, s11
	s_lshl_b64 s[4:5], s[6:7], 3
	s_delay_alu instid0(SALU_CYCLE_1) | instskip(SKIP_2) | instid1(SALU_CYCLE_1)
	s_add_u32 s33, s10, s4
	s_addc_u32 s34, s11, s5
	s_or_b32 s4, s12, s13
	s_bitset0_b32 s4, 31
	s_delay_alu instid0(SALU_CYCLE_1)
	s_cmp_lg_u32 s4, 0
	s_mov_b32 s4, -1
	s_cbranch_scc1 .LBB133_9
; %bb.4:
	s_and_saveexec_b32 s6, vcc_lo
	s_cbranch_execz .LBB133_8
; %bb.5:
	v_cmp_neq_f32_e64 s4, s2, 0
	v_cmp_neq_f32_e64 s5, s3, 0
	s_mul_i32 s7, s14, s9
	s_ashr_i32 s10, s14, 31
	v_dual_mov_b32 v3, 0 :: v_dual_mov_b32 v2, 0
	s_delay_alu instid0(VALU_DEP_2)
	s_or_b32 s4, s4, s5
	s_mul_hi_u32 s5, s14, s8
	v_mov_b32_e32 v1, 0
	s_add_i32 s5, s5, s7
	s_mul_i32 s10, s10, s8
	s_and_not1_b32 vcc_lo, exec_lo, s4
	s_add_i32 s5, s5, s10
	s_mul_i32 s4, s14, s8
	s_cbranch_vccnz .LBB133_7
; %bb.6:
	s_lshl_b64 s[10:11], s[4:5], 3
	s_delay_alu instid0(SALU_CYCLE_1)
	s_add_u32 s10, s33, s10
	s_addc_u32 s11, s34, s11
	s_load_b64 s[10:11], s[10:11], 0x0
	s_waitcnt lgkmcnt(0)
	v_mul_f32_e64 v1, s3, s11
	v_mul_f32_e64 v2, s2, s11
	s_delay_alu instid0(VALU_DEP_2) | instskip(NEXT) | instid1(VALU_DEP_2)
	v_fma_f32 v1, s2, s10, -v1
	v_fmac_f32_e64 v2, s3, s10
.LBB133_7:
	s_lshl_b64 s[4:5], s[4:5], 3
	s_delay_alu instid0(SALU_CYCLE_1)
	s_add_u32 s4, s33, s4
	s_addc_u32 s5, s34, s5
	global_store_b64 v3, v[1:2], s[4:5]
.LBB133_8:
	s_or_b32 exec_lo, exec_lo, s6
	s_mov_b32 s4, 0
.LBB133_9:
	s_delay_alu instid0(SALU_CYCLE_1)
	s_and_not1_b32 vcc_lo, exec_lo, s4
	s_cbranch_vccnz .LBB133_28
; %bb.10:
	s_clause 0x1
	s_load_b512 s[16:31], s[0:1], 0x18
	s_load_b32 s7, s[0:1], 0x0
	v_dual_mov_b32 v7, 0 :: v_dual_mov_b32 v8, 0
	s_waitcnt lgkmcnt(0)
	s_mul_i32 s1, s15, s23
	s_mul_hi_u32 s6, s15, s22
	s_mul_i32 s0, s15, s22
	s_add_i32 s1, s6, s1
	s_mul_i32 s4, s15, s31
	s_mul_hi_u32 s5, s15, s30
	s_lshl_b64 s[0:1], s[0:1], 3
	s_add_i32 s5, s5, s4
	v_cmp_gt_i32_e32 vcc_lo, s7, v0
	s_add_u32 s4, s16, s0
	s_addc_u32 s10, s17, s1
	s_lshl_b64 s[0:1], s[18:19], 3
	s_mul_i32 s6, s14, s21
	s_add_u32 s0, s4, s0
	s_mul_hi_u32 s11, s14, s20
	s_addc_u32 s4, s10, s1
	s_ashr_i32 s1, s14, 31
	v_cndmask_b32_e32 v1, 0, v0, vcc_lo
	s_add_i32 s6, s11, s6
	s_mul_i32 s11, s1, s20
	s_mul_i32 s10, s14, s20
	s_add_i32 s11, s6, s11
	v_lshlrev_b32_e32 v1, 3, v1
	s_lshl_b64 s[10:11], s[10:11], 3
	s_delay_alu instid0(SALU_CYCLE_1)
	s_add_u32 s0, s10, s0
	s_addc_u32 s4, s11, s4
	s_ashr_i32 s6, s7, 31
	v_add_co_u32 v1, s0, s0, v1
	s_lshr_b32 s6, s6, 22
	v_add_co_ci_u32_e64 v2, null, s4, 0, s0
	s_add_i32 s6, s7, s6
	s_mul_i32 s4, s15, s30
	s_and_b32 s6, s6, 0xfffffc00
	s_mov_b32 s15, exec_lo
	v_cmpx_gt_i32_e64 s6, v0
	s_cbranch_execz .LBB133_14
; %bb.11:
	v_mad_u64_u32 v[5:6], null, s28, v0, 0
	s_lshl_b64 s[16:17], s[26:27], 3
	s_lshl_b64 s[10:11], s[4:5], 3
	s_add_u32 s0, s24, s16
	s_addc_u32 s16, s25, s17
	s_add_u32 s0, s0, s10
	s_addc_u32 s10, s16, s11
	s_delay_alu instid0(VALU_DEP_1) | instskip(SKIP_2) | instid1(VALU_DEP_2)
	v_dual_mov_b32 v3, v6 :: v_dual_mov_b32 v8, 0
	v_mov_b32_e32 v9, v0
	s_mov_b32 s16, 0
	v_mad_u64_u32 v[6:7], null, s29, v0, v[3:4]
	v_dual_mov_b32 v7, 0 :: v_dual_mov_b32 v4, v2
	v_mov_b32_e32 v3, v1
	s_delay_alu instid0(VALU_DEP_3) | instskip(NEXT) | instid1(VALU_DEP_1)
	v_lshlrev_b64 v[5:6], 3, v[5:6]
	v_add_co_u32 v5, vcc_lo, s0, v5
	s_delay_alu instid0(VALU_DEP_2) | instskip(SKIP_1) | instid1(VALU_DEP_2)
	v_add_co_ci_u32_e32 v6, vcc_lo, s10, v6, vcc_lo
	s_lshl_b64 s[10:11], s[28:29], 13
	v_add_co_u32 v5, vcc_lo, v5, 4
	s_delay_alu instid0(VALU_DEP_2)
	v_add_co_ci_u32_e32 v6, vcc_lo, 0, v6, vcc_lo
	.p2align	6
.LBB133_12:                             ; =>This Inner Loop Header: Depth=1
	global_load_b64 v[10:11], v[3:4], off
	global_load_b64 v[12:13], v[5:6], off offset:-4
	v_add_nc_u32_e32 v9, 0x400, v9
	v_add_co_u32 v3, vcc_lo, 0x2000, v3
	v_add_co_ci_u32_e32 v4, vcc_lo, 0, v4, vcc_lo
	v_add_co_u32 v5, vcc_lo, v5, s10
	v_add_co_ci_u32_e32 v6, vcc_lo, s11, v6, vcc_lo
	s_waitcnt vmcnt(0)
	v_mul_f32_e32 v14, v13, v11
	v_mul_f32_e32 v11, v12, v11
	v_cmp_le_i32_e64 s0, s6, v9
	s_delay_alu instid0(VALU_DEP_3) | instskip(NEXT) | instid1(VALU_DEP_3)
	v_fma_f32 v12, v12, v10, -v14
	v_fmac_f32_e32 v11, v13, v10
	s_delay_alu instid0(VALU_DEP_3) | instskip(NEXT) | instid1(VALU_DEP_1)
	s_or_b32 s16, s0, s16
	v_dual_add_f32 v8, v8, v12 :: v_dual_add_f32 v7, v7, v11
	s_and_not1_b32 exec_lo, exec_lo, s16
	s_cbranch_execnz .LBB133_12
; %bb.13:
	s_or_b32 exec_lo, exec_lo, s16
.LBB133_14:
	s_delay_alu instid0(SALU_CYCLE_1) | instskip(SKIP_2) | instid1(VALU_DEP_1)
	s_or_b32 exec_lo, exec_lo, s15
	v_or_b32_e32 v3, s6, v0
	s_mov_b32 s0, exec_lo
	v_cmpx_gt_i32_e64 s7, v3
	s_cbranch_execz .LBB133_16
; %bb.15:
	v_ashrrev_i32_e32 v6, 31, v3
	v_mul_lo_u32 v9, v3, s29
	v_mad_u64_u32 v[4:5], null, v3, s28, 0
	s_lshl_b64 s[4:5], s[4:5], 3
	s_delay_alu instid0(VALU_DEP_3) | instskip(SKIP_3) | instid1(SALU_CYCLE_1)
	v_mul_lo_u32 v3, v6, s28
	s_add_u32 s7, s24, s4
	s_addc_u32 s10, s25, s5
	s_lshl_b64 s[4:5], s[26:27], 3
	s_add_u32 s11, s7, s4
	s_addc_u32 s10, s10, s5
	s_ashr_i32 s7, s6, 31
	s_delay_alu instid0(VALU_DEP_1) | instskip(SKIP_1) | instid1(SALU_CYCLE_1)
	v_add3_u32 v5, v5, v9, v3
	s_lshl_b64 s[4:5], s[6:7], 3
	v_add_co_u32 v1, vcc_lo, v1, s4
	s_delay_alu instid0(VALU_DEP_2) | instskip(SKIP_1) | instid1(VALU_DEP_2)
	v_lshlrev_b64 v[3:4], 3, v[4:5]
	v_add_co_ci_u32_e32 v2, vcc_lo, s5, v2, vcc_lo
	v_add_co_u32 v3, vcc_lo, s11, v3
	s_delay_alu instid0(VALU_DEP_3)
	v_add_co_ci_u32_e32 v4, vcc_lo, s10, v4, vcc_lo
	global_load_b64 v[1:2], v[1:2], off
	global_load_b64 v[3:4], v[3:4], off
	s_waitcnt vmcnt(0)
	v_mul_f32_e32 v5, v4, v2
	v_mul_f32_e32 v2, v3, v2
	s_delay_alu instid0(VALU_DEP_2) | instskip(NEXT) | instid1(VALU_DEP_2)
	v_fma_f32 v3, v3, v1, -v5
	v_fmac_f32_e32 v2, v4, v1
	s_delay_alu instid0(VALU_DEP_1)
	v_dual_add_f32 v8, v8, v3 :: v_dual_add_f32 v7, v7, v2
.LBB133_16:
	s_or_b32 exec_lo, exec_lo, s0
	v_and_b32_e32 v1, 31, v0
	v_cmp_gt_u32_e32 vcc_lo, 32, v0
	s_delay_alu instid0(VALU_DEP_2)
	v_lshlrev_b32_e32 v3, 3, v1
	s_and_saveexec_b32 s0, vcc_lo
	s_cbranch_execz .LBB133_18
; %bb.17:
	v_mov_b32_e32 v4, 0
	s_delay_alu instid0(VALU_DEP_1)
	v_mov_b32_e32 v5, v4
	ds_store_b64 v3, v[4:5]
.LBB133_18:
	s_or_b32 exec_lo, exec_lo, s0
	v_mbcnt_lo_u32_b32 v2, -1, 0
	s_mov_b32 s4, exec_lo
	s_waitcnt lgkmcnt(0)
	s_waitcnt_vscnt null, 0x0
	s_barrier
	buffer_gl0_inv
	v_cmp_gt_u32_e64 s0, 16, v2
	s_delay_alu instid0(VALU_DEP_1) | instskip(SKIP_1) | instid1(VALU_DEP_2)
	v_cndmask_b32_e64 v4, 0, 1, s0
	v_cmp_gt_u32_e64 s0, 24, v2
	v_lshlrev_b32_e32 v4, 4, v4
	s_delay_alu instid0(VALU_DEP_2) | instskip(SKIP_1) | instid1(VALU_DEP_3)
	v_cndmask_b32_e64 v5, 0, 1, s0
	v_cmp_gt_u32_e64 s0, 28, v2
	v_add_lshl_u32 v4, v4, v2, 2
	ds_bpermute_b32 v6, v4, v8
	ds_bpermute_b32 v9, v4, v7
	s_waitcnt lgkmcnt(1)
	v_dual_add_f32 v8, v8, v6 :: v_dual_lshlrev_b32 v5, 3, v5
	s_delay_alu instid0(VALU_DEP_1)
	v_add_lshl_u32 v5, v5, v2, 2
	s_waitcnt lgkmcnt(0)
	v_add_f32_e32 v7, v7, v9
	v_cndmask_b32_e64 v6, 0, 1, s0
	v_cmp_gt_u32_e64 s0, 30, v2
	ds_bpermute_b32 v9, v5, v8
	ds_bpermute_b32 v10, v5, v7
	s_waitcnt lgkmcnt(0)
	v_dual_add_f32 v8, v8, v9 :: v_dual_add_f32 v9, v7, v10
	v_lshlrev_b32_e32 v6, 2, v6
	v_cndmask_b32_e64 v7, 0, 1, s0
	v_cmp_ne_u32_e64 s0, 31, v2
	s_delay_alu instid0(VALU_DEP_3) | instskip(SKIP_4) | instid1(VALU_DEP_1)
	v_add_lshl_u32 v6, v6, v2, 2
	ds_bpermute_b32 v10, v6, v8
	ds_bpermute_b32 v11, v6, v9
	s_waitcnt lgkmcnt(1)
	v_dual_add_f32 v10, v8, v10 :: v_dual_lshlrev_b32 v7, 1, v7
	v_add_lshl_u32 v7, v7, v2, 2
	s_waitcnt lgkmcnt(0)
	v_add_f32_e32 v9, v9, v11
	v_add_co_ci_u32_e64 v2, s0, 0, v2, s0
	ds_bpermute_b32 v11, v7, v10
	ds_bpermute_b32 v12, v7, v9
	v_lshlrev_b32_e32 v8, 2, v2
	s_waitcnt lgkmcnt(1)
	v_add_f32_e32 v2, v10, v11
	s_waitcnt lgkmcnt(0)
	v_add_f32_e32 v10, v9, v12
	ds_bpermute_b32 v9, v8, v2
	ds_bpermute_b32 v11, v8, v10
	v_cmpx_eq_u32_e32 0, v1
	s_cbranch_execz .LBB133_20
; %bb.19:
	v_lshrrev_b32_e32 v1, 2, v0
	s_waitcnt lgkmcnt(0)
	v_add_f32_e32 v10, v10, v11
	v_add_f32_e32 v9, v2, v9
	s_delay_alu instid0(VALU_DEP_3)
	v_and_b32_e32 v1, 0xf8, v1
	ds_store_b64 v1, v[9:10]
.LBB133_20:
	s_or_b32 exec_lo, exec_lo, s4
	v_dual_mov_b32 v2, 0 :: v_dual_mov_b32 v1, 0
	s_waitcnt lgkmcnt(0)
	s_barrier
	buffer_gl0_inv
	s_and_saveexec_b32 s0, vcc_lo
	s_cbranch_execz .LBB133_22
; %bb.21:
	ds_load_b64 v[1:2], v3
.LBB133_22:
	s_or_b32 exec_lo, exec_lo, s0
	s_and_saveexec_b32 s0, vcc_lo
	s_cbranch_execz .LBB133_24
; %bb.23:
	s_waitcnt lgkmcnt(0)
	ds_bpermute_b32 v3, v4, v1
	ds_bpermute_b32 v4, v4, v2
	s_waitcnt lgkmcnt(0)
	v_dual_add_f32 v1, v1, v3 :: v_dual_add_f32 v2, v2, v4
	ds_bpermute_b32 v3, v5, v1
	ds_bpermute_b32 v4, v5, v2
	s_waitcnt lgkmcnt(0)
	v_dual_add_f32 v1, v1, v3 :: v_dual_add_f32 v2, v2, v4
	;; [unrolled: 4-line block ×5, first 2 shown]
.LBB133_24:
	s_or_b32 exec_lo, exec_lo, s0
	s_delay_alu instid0(SALU_CYCLE_1)
	s_mov_b32 s0, exec_lo
	v_cmpx_eq_u32_e32 0, v0
	s_cbranch_execz .LBB133_28
; %bb.25:
	v_cmp_neq_f32_e64 s0, s2, 0
	v_cmp_neq_f32_e64 s4, s3, 0
	s_waitcnt lgkmcnt(0)
	v_mul_f32_e32 v0, s13, v2
	v_mul_f32_e32 v4, s12, v2
	s_mul_hi_u32 s5, s14, s8
	s_mul_i32 s1, s1, s8
	s_or_b32 s0, s0, s4
	s_mul_i32 s4, s14, s9
	v_fma_f32 v3, v1, s12, -v0
	v_fmac_f32_e32 v4, s13, v1
	s_add_i32 s4, s5, s4
	s_and_not1_b32 vcc_lo, exec_lo, s0
	s_add_i32 s1, s4, s1
	s_mul_i32 s0, s14, s8
	s_cbranch_vccnz .LBB133_27
; %bb.26:
	s_lshl_b64 s[4:5], s[0:1], 3
	v_mov_b32_e32 v0, 0
	s_add_u32 s4, s33, s4
	s_addc_u32 s5, s34, s5
	global_load_b64 v[0:1], v0, s[4:5]
	s_waitcnt vmcnt(0)
	v_mul_f32_e32 v2, s3, v1
	v_mul_f32_e32 v1, s2, v1
	s_delay_alu instid0(VALU_DEP_1) | instskip(NEXT) | instid1(VALU_DEP_3)
	v_fmac_f32_e32 v1, s3, v0
	v_fma_f32 v2, s2, v0, -v2
	s_delay_alu instid0(VALU_DEP_1)
	v_dual_add_f32 v4, v4, v1 :: v_dual_add_f32 v3, v3, v2
.LBB133_27:
	s_lshl_b64 s[0:1], s[0:1], 3
	v_mov_b32_e32 v0, 0
	s_add_u32 s0, s33, s0
	s_addc_u32 s1, s34, s1
	global_store_b64 v0, v[3:4], s[0:1]
.LBB133_28:
	s_nop 0
	s_sendmsg sendmsg(MSG_DEALLOC_VGPRS)
	s_endpgm
	.section	.rodata,"a",@progbits
	.p2align	6, 0x0
	.amdhsa_kernel _ZL32rocblas_gemvt_warp_reduce_kernelILb0ELi1024El19rocblas_complex_numIfES1_S1_EviiT3_lPKT2_lT1_lS5_lS6_lS2_lPT4_lS6_li
		.amdhsa_group_segment_fixed_size 256
		.amdhsa_private_segment_fixed_size 0
		.amdhsa_kernarg_size 140
		.amdhsa_user_sgpr_count 14
		.amdhsa_user_sgpr_dispatch_ptr 0
		.amdhsa_user_sgpr_queue_ptr 0
		.amdhsa_user_sgpr_kernarg_segment_ptr 1
		.amdhsa_user_sgpr_dispatch_id 0
		.amdhsa_user_sgpr_private_segment_size 0
		.amdhsa_wavefront_size32 1
		.amdhsa_uses_dynamic_stack 0
		.amdhsa_enable_private_segment 0
		.amdhsa_system_sgpr_workgroup_id_x 1
		.amdhsa_system_sgpr_workgroup_id_y 0
		.amdhsa_system_sgpr_workgroup_id_z 1
		.amdhsa_system_sgpr_workgroup_info 0
		.amdhsa_system_vgpr_workitem_id 0
		.amdhsa_next_free_vgpr 15
		.amdhsa_next_free_sgpr 35
		.amdhsa_reserve_vcc 1
		.amdhsa_float_round_mode_32 0
		.amdhsa_float_round_mode_16_64 0
		.amdhsa_float_denorm_mode_32 3
		.amdhsa_float_denorm_mode_16_64 3
		.amdhsa_dx10_clamp 1
		.amdhsa_ieee_mode 1
		.amdhsa_fp16_overflow 0
		.amdhsa_workgroup_processor_mode 1
		.amdhsa_memory_ordered 1
		.amdhsa_forward_progress 0
		.amdhsa_shared_vgpr_count 0
		.amdhsa_exception_fp_ieee_invalid_op 0
		.amdhsa_exception_fp_denorm_src 0
		.amdhsa_exception_fp_ieee_div_zero 0
		.amdhsa_exception_fp_ieee_overflow 0
		.amdhsa_exception_fp_ieee_underflow 0
		.amdhsa_exception_fp_ieee_inexact 0
		.amdhsa_exception_int_div_zero 0
	.end_amdhsa_kernel
	.section	.text._ZL32rocblas_gemvt_warp_reduce_kernelILb0ELi1024El19rocblas_complex_numIfES1_S1_EviiT3_lPKT2_lT1_lS5_lS6_lS2_lPT4_lS6_li,"axG",@progbits,_ZL32rocblas_gemvt_warp_reduce_kernelILb0ELi1024El19rocblas_complex_numIfES1_S1_EviiT3_lPKT2_lT1_lS5_lS6_lS2_lPT4_lS6_li,comdat
.Lfunc_end133:
	.size	_ZL32rocblas_gemvt_warp_reduce_kernelILb0ELi1024El19rocblas_complex_numIfES1_S1_EviiT3_lPKT2_lT1_lS5_lS6_lS2_lPT4_lS6_li, .Lfunc_end133-_ZL32rocblas_gemvt_warp_reduce_kernelILb0ELi1024El19rocblas_complex_numIfES1_S1_EviiT3_lPKT2_lT1_lS5_lS6_lS2_lPT4_lS6_li
                                        ; -- End function
	.section	.AMDGPU.csdata,"",@progbits
; Kernel info:
; codeLenInByte = 1816
; NumSgprs: 37
; NumVgprs: 15
; ScratchSize: 0
; MemoryBound: 0
; FloatMode: 240
; IeeeMode: 1
; LDSByteSize: 256 bytes/workgroup (compile time only)
; SGPRBlocks: 4
; VGPRBlocks: 1
; NumSGPRsForWavesPerEU: 37
; NumVGPRsForWavesPerEU: 15
; Occupancy: 16
; WaveLimiterHint : 1
; COMPUTE_PGM_RSRC2:SCRATCH_EN: 0
; COMPUTE_PGM_RSRC2:USER_SGPR: 14
; COMPUTE_PGM_RSRC2:TRAP_HANDLER: 0
; COMPUTE_PGM_RSRC2:TGID_X_EN: 1
; COMPUTE_PGM_RSRC2:TGID_Y_EN: 0
; COMPUTE_PGM_RSRC2:TGID_Z_EN: 1
; COMPUTE_PGM_RSRC2:TIDIG_COMP_CNT: 0
	.section	.text._ZL22rocblas_gemvtsm_kernelILb1ELi256E19rocblas_complex_numIfEPKS1_S1_EviiT2_lPKT1_lilS7_lilS4_lPT3_lil,"axG",@progbits,_ZL22rocblas_gemvtsm_kernelILb1ELi256E19rocblas_complex_numIfEPKS1_S1_EviiT2_lPKT1_lilS7_lilS4_lPT3_lil,comdat
	.globl	_ZL22rocblas_gemvtsm_kernelILb1ELi256E19rocblas_complex_numIfEPKS1_S1_EviiT2_lPKT1_lilS7_lilS4_lPT3_lil ; -- Begin function _ZL22rocblas_gemvtsm_kernelILb1ELi256E19rocblas_complex_numIfEPKS1_S1_EviiT2_lPKT1_lilS7_lilS4_lPT3_lil
	.p2align	8
	.type	_ZL22rocblas_gemvtsm_kernelILb1ELi256E19rocblas_complex_numIfEPKS1_S1_EviiT2_lPKT1_lilS7_lilS4_lPT3_lil,@function
_ZL22rocblas_gemvtsm_kernelILb1ELi256E19rocblas_complex_numIfEPKS1_S1_EviiT2_lPKT1_lilS7_lilS4_lPT3_lil: ; @_ZL22rocblas_gemvtsm_kernelILb1ELi256E19rocblas_complex_numIfEPKS1_S1_EviiT2_lPKT1_lilS7_lilS4_lPT3_lil
; %bb.0:
	s_clause 0x1
	s_load_b256 s[4:11], s[0:1], 0x8
	s_load_b256 s[16:23], s[0:1], 0x50
	s_waitcnt lgkmcnt(0)
	s_mul_i32 s3, s15, s7
	s_mul_hi_u32 s7, s15, s6
	s_mul_i32 s2, s15, s6
	s_add_i32 s3, s7, s3
	s_delay_alu instid0(SALU_CYCLE_1) | instskip(NEXT) | instid1(SALU_CYCLE_1)
	s_lshl_b64 s[2:3], s[2:3], 3
	s_add_u32 s2, s4, s2
	s_addc_u32 s3, s5, s3
	s_mul_hi_u32 s4, s15, s20
	s_load_b64 s[24:25], s[2:3], 0x0
	s_mul_i32 s3, s15, s21
	s_mul_i32 s2, s15, s20
	s_add_i32 s3, s4, s3
	s_delay_alu instid0(SALU_CYCLE_1) | instskip(NEXT) | instid1(SALU_CYCLE_1)
	s_lshl_b64 s[2:3], s[2:3], 3
	s_add_u32 s2, s18, s2
	s_addc_u32 s3, s19, s3
	s_load_b64 s[2:3], s[2:3], 0x0
	s_waitcnt lgkmcnt(0)
	v_cmp_neq_f32_e64 s4, s24, 0
	v_cmp_neq_f32_e64 s5, s25, 0
	s_delay_alu instid0(VALU_DEP_1) | instskip(NEXT) | instid1(SALU_CYCLE_1)
	s_or_b32 s4, s4, s5
	s_and_b32 vcc_lo, exec_lo, s4
	s_mov_b32 s4, -1
	s_cbranch_vccnz .LBB134_2
; %bb.1:
	v_cmp_neq_f32_e64 s4, s2, 1.0
	v_cmp_neq_f32_e64 s5, s3, 0
	s_delay_alu instid0(VALU_DEP_1)
	s_or_b32 s4, s4, s5
.LBB134_2:
	s_delay_alu instid0(SALU_CYCLE_1)
	s_and_not1_b32 vcc_lo, exec_lo, s4
	s_cbranch_vccnz .LBB134_36
; %bb.3:
	s_clause 0x3
	s_load_b64 s[4:5], s[0:1], 0x80
	s_load_b32 s12, s[0:1], 0x78
	s_load_b64 s[20:21], s[0:1], 0x70
	s_load_b64 s[18:19], s[0:1], 0x0
	s_or_b32 s6, s24, s25
	s_delay_alu instid0(SALU_CYCLE_1)
	s_bitset0_b32 s6, 31
	s_waitcnt lgkmcnt(0)
	s_mul_i32 s5, s15, s5
	s_mul_hi_u32 s7, s15, s4
	s_mul_i32 s26, s15, s4
	s_add_i32 s27, s7, s5
	s_cmp_lg_u32 s6, 0
	s_mov_b32 s4, -1
	s_cbranch_scc1 .LBB134_18
; %bb.4:
	v_cmp_neq_f32_e64 s4, s2, 0
	v_cmp_neq_f32_e64 s5, s3, 0
	s_delay_alu instid0(VALU_DEP_1)
	s_or_b32 s4, s4, s5
	s_cmp_gt_i32 s19, 0
	s_cselect_b32 s6, -1, 0
	s_and_b32 vcc_lo, exec_lo, s4
	s_mov_b32 s4, -1
	s_cbranch_vccnz .LBB134_11
; %bb.5:
	s_and_not1_b32 vcc_lo, exec_lo, s6
	s_cbranch_vccnz .LBB134_10
; %bb.6:
	v_mad_i64_i32 v[1:2], null, s12, v0, 0
	s_lshl_b64 s[28:29], s[20:21], 3
	s_ashr_i32 s13, s12, 31
	s_lshl_b64 s[4:5], s[26:27], 3
	s_add_u32 s7, s22, s28
	s_addc_u32 s14, s23, s29
	s_add_u32 s4, s7, s4
	s_delay_alu instid0(VALU_DEP_1) | instskip(SKIP_3) | instid1(VALU_DEP_2)
	v_lshlrev_b64 v[1:2], 3, v[1:2]
	s_addc_u32 s5, s14, s5
	v_mov_b32_e32 v3, 0
	s_mov_b32 s7, 0
	v_add_co_u32 v1, vcc_lo, s4, v1
	s_delay_alu instid0(VALU_DEP_3) | instskip(SKIP_1) | instid1(VALU_DEP_2)
	v_add_co_ci_u32_e32 v2, vcc_lo, s5, v2, vcc_lo
	s_lshl_b64 s[4:5], s[12:13], 11
	v_add_co_u32 v1, vcc_lo, v1, 4
	s_delay_alu instid0(VALU_DEP_2)
	v_add_co_ci_u32_e32 v2, vcc_lo, 0, v2, vcc_lo
	s_branch .LBB134_8
.LBB134_7:                              ;   in Loop: Header=BB134_8 Depth=1
	s_or_b32 exec_lo, exec_lo, s13
	v_add_co_u32 v1, vcc_lo, v1, s4
	v_add_co_ci_u32_e32 v2, vcc_lo, s5, v2, vcc_lo
	s_addk_i32 s7, 0x100
	s_delay_alu instid0(SALU_CYCLE_1)
	s_cmp_ge_i32 s7, s19
	s_cbranch_scc1 .LBB134_10
.LBB134_8:                              ; =>This Inner Loop Header: Depth=1
	v_add_nc_u32_e32 v4, s7, v0
	s_mov_b32 s13, exec_lo
	s_delay_alu instid0(VALU_DEP_1)
	v_cmpx_gt_i32_e64 s19, v4
	s_cbranch_execz .LBB134_7
; %bb.9:                                ;   in Loop: Header=BB134_8 Depth=1
	v_mov_b32_e32 v4, v3
	global_store_b64 v[1:2], v[3:4], off offset:-4
	s_branch .LBB134_7
.LBB134_10:
	s_mov_b32 s4, 0
.LBB134_11:
	s_delay_alu instid0(SALU_CYCLE_1)
	s_and_not1_b32 vcc_lo, exec_lo, s4
	s_cbranch_vccnz .LBB134_17
; %bb.12:
	s_and_not1_b32 vcc_lo, exec_lo, s6
	s_cbranch_vccnz .LBB134_17
; %bb.13:
	v_mad_i64_i32 v[1:2], null, s12, v0, 0
	s_lshl_b64 s[6:7], s[20:21], 3
	s_ashr_i32 s13, s12, 31
	s_lshl_b64 s[4:5], s[26:27], 3
	s_add_u32 s6, s22, s6
	s_addc_u32 s7, s23, s7
	s_add_u32 s4, s6, s4
	s_delay_alu instid0(VALU_DEP_1) | instskip(SKIP_2) | instid1(VALU_DEP_1)
	v_lshlrev_b64 v[1:2], 3, v[1:2]
	s_addc_u32 s5, s7, s5
	s_mov_b32 s6, 0
	v_add_co_u32 v1, vcc_lo, s4, v1
	s_delay_alu instid0(VALU_DEP_2) | instskip(SKIP_1) | instid1(VALU_DEP_2)
	v_add_co_ci_u32_e32 v2, vcc_lo, s5, v2, vcc_lo
	s_lshl_b64 s[4:5], s[12:13], 11
	v_add_co_u32 v1, vcc_lo, v1, 4
	s_delay_alu instid0(VALU_DEP_2)
	v_add_co_ci_u32_e32 v2, vcc_lo, 0, v2, vcc_lo
	s_branch .LBB134_15
	.p2align	6
.LBB134_14:                             ;   in Loop: Header=BB134_15 Depth=1
	s_or_b32 exec_lo, exec_lo, s7
	v_add_co_u32 v1, vcc_lo, v1, s4
	v_add_co_ci_u32_e32 v2, vcc_lo, s5, v2, vcc_lo
	s_addk_i32 s6, 0x100
	s_delay_alu instid0(SALU_CYCLE_1)
	s_cmp_ge_i32 s6, s19
	s_cbranch_scc1 .LBB134_17
.LBB134_15:                             ; =>This Inner Loop Header: Depth=1
	v_add_nc_u32_e32 v3, s6, v0
	s_mov_b32 s7, exec_lo
	s_delay_alu instid0(VALU_DEP_1)
	v_cmpx_gt_i32_e64 s19, v3
	s_cbranch_execz .LBB134_14
; %bb.16:                               ;   in Loop: Header=BB134_15 Depth=1
	global_load_b64 v[3:4], v[1:2], off offset:-4
	s_waitcnt vmcnt(0)
	v_mul_f32_e32 v5, s2, v4
	s_delay_alu instid0(VALU_DEP_1) | instskip(NEXT) | instid1(VALU_DEP_1)
	v_dual_mul_f32 v6, s3, v4 :: v_dual_fmac_f32 v5, s3, v3
	v_fma_f32 v4, s2, v3, -v6
	global_store_b64 v[1:2], v[4:5], off offset:-4
	s_branch .LBB134_14
.LBB134_17:
	s_mov_b32 s4, 0
.LBB134_18:
	s_delay_alu instid0(SALU_CYCLE_1)
	s_and_not1_b32 vcc_lo, exec_lo, s4
	s_cbranch_vccnz .LBB134_36
; %bb.19:
	s_clause 0x1
	s_load_b128 s[4:7], s[0:1], 0x30
	s_load_b64 s[28:29], s[0:1], 0x40
	s_mov_b32 s13, exec_lo
	v_cmpx_gt_i32_e64 s18, v0
	s_cbranch_execz .LBB134_21
; %bb.20:
	s_load_b32 s14, s[0:1], 0x48
	s_mul_i32 s17, s15, s17
	s_mul_hi_u32 s30, s15, s16
	s_mul_i32 s16, s15, s16
	s_add_i32 s17, s30, s17
	s_delay_alu instid0(SALU_CYCLE_1)
	s_lshl_b64 s[16:17], s[16:17], 3
	s_waitcnt lgkmcnt(0)
	v_mad_i64_i32 v[1:2], null, s14, v0, 0
	s_add_u32 s14, s6, s16
	s_addc_u32 s16, s7, s17
	s_lshl_b64 s[6:7], s[28:29], 3
	s_delay_alu instid0(SALU_CYCLE_1) | instskip(SKIP_1) | instid1(VALU_DEP_1)
	s_add_u32 s6, s14, s6
	s_addc_u32 s7, s16, s7
	v_lshlrev_b64 v[1:2], 3, v[1:2]
	s_delay_alu instid0(VALU_DEP_1) | instskip(NEXT) | instid1(VALU_DEP_2)
	v_add_co_u32 v1, vcc_lo, s6, v1
	v_add_co_ci_u32_e32 v2, vcc_lo, s7, v2, vcc_lo
	global_load_b64 v[1:2], v[1:2], off
	s_waitcnt vmcnt(0)
	v_mul_f32_e32 v3, s24, v2
	s_delay_alu instid0(VALU_DEP_1) | instskip(NEXT) | instid1(VALU_DEP_1)
	v_dual_mul_f32 v4, s25, v2 :: v_dual_fmac_f32 v3, s25, v1
	v_fma_f32 v2, v1, s24, -v4
	v_lshlrev_b32_e32 v1, 3, v0
	ds_store_b64 v1, v[2:3]
.LBB134_21:
	s_or_b32 exec_lo, exec_lo, s13
	s_cmp_lt_i32 s19, 1
	s_waitcnt lgkmcnt(0)
	s_waitcnt_vscnt null, 0x0
	s_barrier
	buffer_gl0_inv
	s_cbranch_scc1 .LBB134_36
; %bb.22:
	s_load_b32 s24, s[0:1], 0x28
	s_lshl_b64 s[0:1], s[26:27], 3
	v_cmp_neq_f32_e64 s14, s2, 0
	v_cmp_neq_f32_e64 s16, s3, 0
	s_add_u32 s6, s22, s0
	s_addc_u32 s7, s23, s1
	s_lshl_b64 s[0:1], s[20:21], 3
	s_mul_i32 s5, s5, s15
	s_add_u32 s6, s6, s0
	s_addc_u32 s7, s7, s1
	s_ashr_i32 s13, s12, 31
	s_or_b32 s14, s14, s16
	s_mul_hi_u32 s26, s4, s15
	s_mul_i32 s4, s4, s15
	s_waitcnt lgkmcnt(0)
	s_ashr_i32 s25, s24, 31
	s_cmp_gt_i32 s18, 0
	v_mad_i64_i32 v[1:2], null, s24, v0, 0
	s_cselect_b32 s15, -1, 0
	s_and_b32 s16, s18, 7
	s_cmp_gt_u32 s18, 7
	s_cselect_b32 s17, -1, 0
	s_and_b32 s18, s18, 0x7ffffff8
	s_cmp_lg_u32 s16, 0
	s_delay_alu instid0(VALU_DEP_1)
	v_lshlrev_b64 v[1:2], 3, v[1:2]
	s_cselect_b32 s20, -1, 0
	s_add_i32 s5, s26, s5
	s_lshl_b64 s[0:1], s[10:11], 3
	s_lshl_b64 s[4:5], s[4:5], 3
	s_add_u32 s0, s8, s0
	s_addc_u32 s1, s9, s1
	s_add_u32 s0, s0, s4
	s_addc_u32 s1, s1, s5
	v_add_co_u32 v9, vcc_lo, s0, v1
	v_add_co_ci_u32_e32 v10, vcc_lo, s1, v2, vcc_lo
	s_mov_b32 s1, 0
	s_delay_alu instid0(VALU_DEP_2) | instskip(NEXT) | instid1(VALU_DEP_2)
	v_add_co_u32 v1, vcc_lo, v9, 60
	v_add_co_ci_u32_e32 v2, vcc_lo, 0, v10, vcc_lo
	s_lshl_b64 s[4:5], s[24:25], 11
	s_mov_b32 s8, 0
	s_branch .LBB134_25
.LBB134_23:                             ;   in Loop: Header=BB134_25 Depth=1
	s_delay_alu instid0(VALU_DEP_2)
	v_add_co_u32 v3, vcc_lo, s6, v3
	v_add_co_ci_u32_e32 v4, vcc_lo, s7, v4, vcc_lo
	global_store_b64 v[3:4], v[5:6], off
.LBB134_24:                             ;   in Loop: Header=BB134_25 Depth=1
	s_or_b32 exec_lo, exec_lo, s9
	v_add_co_u32 v1, vcc_lo, v1, s4
	v_add_co_ci_u32_e32 v2, vcc_lo, s5, v2, vcc_lo
	v_add_co_u32 v9, vcc_lo, v9, s4
	v_add_co_ci_u32_e32 v10, vcc_lo, s5, v10, vcc_lo
	s_addk_i32 s8, 0x100
	s_delay_alu instid0(SALU_CYCLE_1)
	s_cmp_ge_i32 s8, s19
	s_cbranch_scc1 .LBB134_36
.LBB134_25:                             ; =>This Loop Header: Depth=1
                                        ;     Child Loop BB134_31 Depth 2
                                        ;     Child Loop BB134_35 Depth 2
	v_add_nc_u32_e32 v3, s8, v0
	s_mov_b32 s9, exec_lo
	s_delay_alu instid0(VALU_DEP_1)
	v_cmpx_gt_i32_e64 s19, v3
	s_cbranch_execz .LBB134_24
; %bb.26:                               ;   in Loop: Header=BB134_25 Depth=1
	v_mad_u64_u32 v[6:7], null, v3, s12, 0
	s_and_not1_b32 vcc_lo, exec_lo, s14
	s_delay_alu instid0(VALU_DEP_1) | instskip(NEXT) | instid1(VALU_DEP_1)
	v_mov_b32_e32 v4, v7
	v_mad_u64_u32 v[7:8], null, v3, s13, v[4:5]
	v_mov_b32_e32 v5, 0
	s_delay_alu instid0(VALU_DEP_2)
	v_lshlrev_b64 v[3:4], 3, v[6:7]
	v_mov_b32_e32 v6, 0
	s_cbranch_vccnz .LBB134_28
; %bb.27:                               ;   in Loop: Header=BB134_25 Depth=1
	s_delay_alu instid0(VALU_DEP_2) | instskip(NEXT) | instid1(VALU_DEP_3)
	v_add_co_u32 v5, vcc_lo, s6, v3
	v_add_co_ci_u32_e32 v6, vcc_lo, s7, v4, vcc_lo
	global_load_b64 v[7:8], v[5:6], off
	s_waitcnt vmcnt(0)
	v_mul_f32_e32 v6, s2, v8
	s_delay_alu instid0(VALU_DEP_1) | instskip(NEXT) | instid1(VALU_DEP_1)
	v_dual_mul_f32 v5, s3, v8 :: v_dual_fmac_f32 v6, s3, v7
	v_fma_f32 v5, s2, v7, -v5
.LBB134_28:                             ;   in Loop: Header=BB134_25 Depth=1
	s_and_not1_b32 vcc_lo, exec_lo, s15
	s_cbranch_vccnz .LBB134_23
; %bb.29:                               ;   in Loop: Header=BB134_25 Depth=1
	s_and_not1_b32 vcc_lo, exec_lo, s17
	s_cbranch_vccnz .LBB134_33
; %bb.30:                               ;   in Loop: Header=BB134_25 Depth=1
	v_dual_mov_b32 v8, v2 :: v_dual_mov_b32 v7, v1
	s_mov_b32 s0, 0
	s_mov_b32 s10, 0
.LBB134_31:                             ;   Parent Loop BB134_25 Depth=1
                                        ; =>  This Inner Loop Header: Depth=2
	s_clause 0x3
	global_load_b128 v[11:14], v[7:8], off offset:-60
	global_load_b128 v[15:18], v[7:8], off offset:-44
	;; [unrolled: 1-line block ×4, first 2 shown]
	v_mov_b32_e32 v39, s0
	v_add_co_u32 v7, vcc_lo, v7, 64
	v_add_co_ci_u32_e32 v8, vcc_lo, 0, v8, vcc_lo
	ds_load_b128 v[27:30], v39
	ds_load_b128 v[31:34], v39 offset:16
	ds_load_b128 v[35:38], v39 offset:32
	;; [unrolled: 1-line block ×3, first 2 shown]
	s_add_i32 s10, s10, 8
	s_add_i32 s0, s0, 64
	s_cmp_eq_u32 s18, s10
	s_waitcnt vmcnt(3) lgkmcnt(3)
	v_dual_mul_f32 v43, v12, v28 :: v_dual_mul_f32 v44, v14, v30
	s_waitcnt vmcnt(1) lgkmcnt(1)
	v_mul_f32_e32 v48, v22, v38
	v_dual_mul_f32 v14, v14, v29 :: v_dual_mul_f32 v45, v16, v32
	s_delay_alu instid0(VALU_DEP_3) | instskip(SKIP_3) | instid1(VALU_DEP_3)
	v_dual_fmac_f32 v43, v11, v27 :: v_dual_mul_f32 v46, v18, v34
	v_dual_mul_f32 v47, v20, v36 :: v_dual_mul_f32 v18, v18, v33
	s_waitcnt vmcnt(0) lgkmcnt(0)
	v_dual_mul_f32 v49, v24, v40 :: v_dual_mul_f32 v22, v22, v37
	v_add_f32_e32 v5, v5, v43
	v_fmac_f32_e32 v44, v13, v29
	v_dual_mul_f32 v50, v26, v42 :: v_dual_fmac_f32 v45, v15, v31
	s_delay_alu instid0(VALU_DEP_4) | instskip(NEXT) | instid1(VALU_DEP_3)
	v_fmac_f32_e32 v49, v23, v39
	v_dual_mul_f32 v16, v16, v31 :: v_dual_add_f32 v5, v5, v44
	v_mul_f32_e32 v12, v12, v27
	v_mul_f32_e32 v20, v20, v35
	v_fmac_f32_e32 v46, v17, v33
	v_dual_mul_f32 v26, v26, v41 :: v_dual_fmac_f32 v47, v19, v35
	v_dual_add_f32 v5, v5, v45 :: v_dual_mul_f32 v24, v24, v39
	v_fma_f32 v11, v11, v28, -v12
	v_fma_f32 v12, v13, v30, -v14
	v_fmac_f32_e32 v48, v21, v37
	s_delay_alu instid0(VALU_DEP_4) | instskip(SKIP_1) | instid1(VALU_DEP_2)
	v_add_f32_e32 v5, v5, v46
	v_fmac_f32_e32 v50, v25, v41
	v_add_f32_e32 v5, v5, v47
	v_add_f32_e32 v6, v6, v11
	v_fma_f32 v11, v15, v32, -v16
	s_delay_alu instid0(VALU_DEP_3) | instskip(NEXT) | instid1(VALU_DEP_3)
	v_add_f32_e32 v5, v5, v48
	v_add_f32_e32 v6, v6, v12
	v_fma_f32 v12, v17, v34, -v18
	s_delay_alu instid0(VALU_DEP_2) | instskip(SKIP_1) | instid1(VALU_DEP_2)
	v_dual_add_f32 v5, v5, v49 :: v_dual_add_f32 v6, v6, v11
	v_fma_f32 v11, v19, v36, -v20
	v_dual_add_f32 v5, v5, v50 :: v_dual_add_f32 v6, v6, v12
	v_fma_f32 v12, v21, v38, -v22
	s_delay_alu instid0(VALU_DEP_2) | instskip(SKIP_1) | instid1(VALU_DEP_2)
	v_add_f32_e32 v6, v6, v11
	v_fma_f32 v11, v23, v40, -v24
	v_add_f32_e32 v6, v6, v12
	v_fma_f32 v12, v25, v42, -v26
	s_delay_alu instid0(VALU_DEP_2) | instskip(NEXT) | instid1(VALU_DEP_1)
	v_add_f32_e32 v6, v6, v11
	v_add_f32_e32 v6, v6, v12
	s_cbranch_scc0 .LBB134_31
; %bb.32:                               ;   in Loop: Header=BB134_25 Depth=1
	s_mov_b32 s0, s18
	s_and_not1_b32 vcc_lo, exec_lo, s20
	s_cbranch_vccz .LBB134_34
	s_branch .LBB134_23
.LBB134_33:                             ;   in Loop: Header=BB134_25 Depth=1
	s_mov_b32 s0, 0
	s_and_not1_b32 vcc_lo, exec_lo, s20
	s_cbranch_vccnz .LBB134_23
.LBB134_34:                             ;   in Loop: Header=BB134_25 Depth=1
	s_lshl_b64 s[10:11], s[0:1], 3
	s_lshl_b32 s0, s0, 3
	v_add_co_u32 v7, vcc_lo, v9, s10
	v_add_co_ci_u32_e32 v8, vcc_lo, s11, v10, vcc_lo
	s_mov_b32 s10, s16
	.p2align	6
.LBB134_35:                             ;   Parent Loop BB134_25 Depth=1
                                        ; =>  This Inner Loop Header: Depth=2
	global_load_b64 v[11:12], v[7:8], off
	v_mov_b32_e32 v13, s0
	v_add_co_u32 v7, vcc_lo, v7, 8
	v_add_co_ci_u32_e32 v8, vcc_lo, 0, v8, vcc_lo
	ds_load_b64 v[13:14], v13
	s_add_i32 s10, s10, -1
	s_add_i32 s0, s0, 8
	s_cmp_lg_u32 s10, 0
	s_waitcnt vmcnt(0) lgkmcnt(0)
	v_mul_f32_e32 v15, v12, v14
	s_delay_alu instid0(VALU_DEP_1) | instskip(NEXT) | instid1(VALU_DEP_1)
	v_fmac_f32_e32 v15, v11, v13
	v_dual_mul_f32 v12, v12, v13 :: v_dual_add_f32 v5, v5, v15
	s_delay_alu instid0(VALU_DEP_1) | instskip(NEXT) | instid1(VALU_DEP_1)
	v_fma_f32 v11, v11, v14, -v12
	v_add_f32_e32 v6, v6, v11
	s_cbranch_scc1 .LBB134_35
	s_branch .LBB134_23
.LBB134_36:
	s_nop 0
	s_sendmsg sendmsg(MSG_DEALLOC_VGPRS)
	s_endpgm
	.section	.rodata,"a",@progbits
	.p2align	6, 0x0
	.amdhsa_kernel _ZL22rocblas_gemvtsm_kernelILb1ELi256E19rocblas_complex_numIfEPKS1_S1_EviiT2_lPKT1_lilS7_lilS4_lPT3_lil
		.amdhsa_group_segment_fixed_size 512
		.amdhsa_private_segment_fixed_size 0
		.amdhsa_kernarg_size 136
		.amdhsa_user_sgpr_count 15
		.amdhsa_user_sgpr_dispatch_ptr 0
		.amdhsa_user_sgpr_queue_ptr 0
		.amdhsa_user_sgpr_kernarg_segment_ptr 1
		.amdhsa_user_sgpr_dispatch_id 0
		.amdhsa_user_sgpr_private_segment_size 0
		.amdhsa_wavefront_size32 1
		.amdhsa_uses_dynamic_stack 0
		.amdhsa_enable_private_segment 0
		.amdhsa_system_sgpr_workgroup_id_x 1
		.amdhsa_system_sgpr_workgroup_id_y 0
		.amdhsa_system_sgpr_workgroup_id_z 0
		.amdhsa_system_sgpr_workgroup_info 0
		.amdhsa_system_vgpr_workitem_id 0
		.amdhsa_next_free_vgpr 51
		.amdhsa_next_free_sgpr 31
		.amdhsa_reserve_vcc 1
		.amdhsa_float_round_mode_32 0
		.amdhsa_float_round_mode_16_64 0
		.amdhsa_float_denorm_mode_32 3
		.amdhsa_float_denorm_mode_16_64 3
		.amdhsa_dx10_clamp 1
		.amdhsa_ieee_mode 1
		.amdhsa_fp16_overflow 0
		.amdhsa_workgroup_processor_mode 1
		.amdhsa_memory_ordered 1
		.amdhsa_forward_progress 0
		.amdhsa_shared_vgpr_count 0
		.amdhsa_exception_fp_ieee_invalid_op 0
		.amdhsa_exception_fp_denorm_src 0
		.amdhsa_exception_fp_ieee_div_zero 0
		.amdhsa_exception_fp_ieee_overflow 0
		.amdhsa_exception_fp_ieee_underflow 0
		.amdhsa_exception_fp_ieee_inexact 0
		.amdhsa_exception_int_div_zero 0
	.end_amdhsa_kernel
	.section	.text._ZL22rocblas_gemvtsm_kernelILb1ELi256E19rocblas_complex_numIfEPKS1_S1_EviiT2_lPKT1_lilS7_lilS4_lPT3_lil,"axG",@progbits,_ZL22rocblas_gemvtsm_kernelILb1ELi256E19rocblas_complex_numIfEPKS1_S1_EviiT2_lPKT1_lilS7_lilS4_lPT3_lil,comdat
.Lfunc_end134:
	.size	_ZL22rocblas_gemvtsm_kernelILb1ELi256E19rocblas_complex_numIfEPKS1_S1_EviiT2_lPKT1_lilS7_lilS4_lPT3_lil, .Lfunc_end134-_ZL22rocblas_gemvtsm_kernelILb1ELi256E19rocblas_complex_numIfEPKS1_S1_EviiT2_lPKT1_lilS7_lilS4_lPT3_lil
                                        ; -- End function
	.section	.AMDGPU.csdata,"",@progbits
; Kernel info:
; codeLenInByte = 1876
; NumSgprs: 33
; NumVgprs: 51
; ScratchSize: 0
; MemoryBound: 0
; FloatMode: 240
; IeeeMode: 1
; LDSByteSize: 512 bytes/workgroup (compile time only)
; SGPRBlocks: 4
; VGPRBlocks: 6
; NumSGPRsForWavesPerEU: 33
; NumVGPRsForWavesPerEU: 51
; Occupancy: 16
; WaveLimiterHint : 1
; COMPUTE_PGM_RSRC2:SCRATCH_EN: 0
; COMPUTE_PGM_RSRC2:USER_SGPR: 15
; COMPUTE_PGM_RSRC2:TRAP_HANDLER: 0
; COMPUTE_PGM_RSRC2:TGID_X_EN: 1
; COMPUTE_PGM_RSRC2:TGID_Y_EN: 0
; COMPUTE_PGM_RSRC2:TGID_Z_EN: 0
; COMPUTE_PGM_RSRC2:TIDIG_COMP_CNT: 0
	.section	.text._ZL22rocblas_gemvtsm_kernelILb1ELi256E19rocblas_complex_numIfES1_S1_EviiT2_lPKT1_lilS5_lilS2_lPT3_lil,"axG",@progbits,_ZL22rocblas_gemvtsm_kernelILb1ELi256E19rocblas_complex_numIfES1_S1_EviiT2_lPKT1_lilS5_lilS2_lPT3_lil,comdat
	.globl	_ZL22rocblas_gemvtsm_kernelILb1ELi256E19rocblas_complex_numIfES1_S1_EviiT2_lPKT1_lilS5_lilS2_lPT3_lil ; -- Begin function _ZL22rocblas_gemvtsm_kernelILb1ELi256E19rocblas_complex_numIfES1_S1_EviiT2_lPKT1_lilS5_lilS2_lPT3_lil
	.p2align	8
	.type	_ZL22rocblas_gemvtsm_kernelILb1ELi256E19rocblas_complex_numIfES1_S1_EviiT2_lPKT1_lilS5_lilS2_lPT3_lil,@function
_ZL22rocblas_gemvtsm_kernelILb1ELi256E19rocblas_complex_numIfES1_S1_EviiT2_lPKT1_lilS5_lilS2_lPT3_lil: ; @_ZL22rocblas_gemvtsm_kernelILb1ELi256E19rocblas_complex_numIfES1_S1_EviiT2_lPKT1_lilS5_lilS2_lPT3_lil
; %bb.0:
	s_clause 0x1
	s_load_b128 s[4:7], s[0:1], 0x0
	s_load_b64 s[12:13], s[0:1], 0x58
	s_waitcnt lgkmcnt(0)
	v_cmp_neq_f32_e64 s2, s6, 0
	v_cmp_neq_f32_e64 s3, s7, 0
	s_delay_alu instid0(VALU_DEP_1) | instskip(NEXT) | instid1(SALU_CYCLE_1)
	s_or_b32 s2, s2, s3
	s_and_b32 vcc_lo, exec_lo, s2
	s_mov_b32 s2, -1
	s_cbranch_vccnz .LBB135_2
; %bb.1:
	v_cmp_neq_f32_e64 s2, s12, 1.0
	v_cmp_neq_f32_e64 s3, s13, 0
	s_delay_alu instid0(VALU_DEP_1)
	s_or_b32 s2, s2, s3
.LBB135_2:
	s_delay_alu instid0(SALU_CYCLE_1)
	s_and_not1_b32 vcc_lo, exec_lo, s2
	s_cbranch_vccnz .LBB135_36
; %bb.3:
	s_clause 0x2
	s_load_b64 s[2:3], s[0:1], 0x80
	s_load_b128 s[8:11], s[0:1], 0x68
	s_load_b32 s20, s[0:1], 0x78
	s_or_b32 s14, s6, s7
	s_delay_alu instid0(SALU_CYCLE_1)
	s_bitset0_b32 s14, 31
	s_waitcnt lgkmcnt(0)
	s_mul_i32 s3, s15, s3
	s_mul_hi_u32 s16, s15, s2
	s_mul_i32 s22, s15, s2
	s_add_i32 s23, s16, s3
	s_cmp_lg_u32 s14, 0
	s_mov_b32 s2, -1
	s_cbranch_scc1 .LBB135_18
; %bb.4:
	v_cmp_neq_f32_e64 s2, s12, 0
	v_cmp_neq_f32_e64 s3, s13, 0
	s_delay_alu instid0(VALU_DEP_1)
	s_or_b32 s2, s2, s3
	s_cmp_gt_i32 s5, 0
	s_cselect_b32 s14, -1, 0
	s_and_b32 vcc_lo, exec_lo, s2
	s_mov_b32 s2, -1
	s_cbranch_vccnz .LBB135_11
; %bb.5:
	s_and_not1_b32 vcc_lo, exec_lo, s14
	s_cbranch_vccnz .LBB135_10
; %bb.6:
	v_mad_i64_i32 v[1:2], null, s20, v0, 0
	s_lshl_b64 s[16:17], s[10:11], 3
	s_ashr_i32 s21, s20, 31
	s_lshl_b64 s[2:3], s[22:23], 3
	s_add_u32 s16, s8, s16
	s_addc_u32 s17, s9, s17
	s_add_u32 s2, s16, s2
	s_delay_alu instid0(VALU_DEP_1) | instskip(SKIP_3) | instid1(VALU_DEP_2)
	v_lshlrev_b64 v[1:2], 3, v[1:2]
	s_addc_u32 s3, s17, s3
	v_mov_b32_e32 v3, 0
	s_mov_b32 s16, 0
	v_add_co_u32 v1, vcc_lo, s2, v1
	s_delay_alu instid0(VALU_DEP_3) | instskip(SKIP_1) | instid1(VALU_DEP_2)
	v_add_co_ci_u32_e32 v2, vcc_lo, s3, v2, vcc_lo
	s_lshl_b64 s[2:3], s[20:21], 11
	v_add_co_u32 v1, vcc_lo, v1, 4
	s_delay_alu instid0(VALU_DEP_2)
	v_add_co_ci_u32_e32 v2, vcc_lo, 0, v2, vcc_lo
	s_branch .LBB135_8
.LBB135_7:                              ;   in Loop: Header=BB135_8 Depth=1
	s_or_b32 exec_lo, exec_lo, s17
	v_add_co_u32 v1, vcc_lo, v1, s2
	v_add_co_ci_u32_e32 v2, vcc_lo, s3, v2, vcc_lo
	s_addk_i32 s16, 0x100
	s_delay_alu instid0(SALU_CYCLE_1)
	s_cmp_ge_i32 s16, s5
	s_cbranch_scc1 .LBB135_10
.LBB135_8:                              ; =>This Inner Loop Header: Depth=1
	v_add_nc_u32_e32 v4, s16, v0
	s_mov_b32 s17, exec_lo
	s_delay_alu instid0(VALU_DEP_1)
	v_cmpx_gt_i32_e64 s5, v4
	s_cbranch_execz .LBB135_7
; %bb.9:                                ;   in Loop: Header=BB135_8 Depth=1
	v_mov_b32_e32 v4, v3
	global_store_b64 v[1:2], v[3:4], off offset:-4
	s_branch .LBB135_7
.LBB135_10:
	s_mov_b32 s2, 0
.LBB135_11:
	s_delay_alu instid0(SALU_CYCLE_1)
	s_and_not1_b32 vcc_lo, exec_lo, s2
	s_cbranch_vccnz .LBB135_17
; %bb.12:
	s_and_not1_b32 vcc_lo, exec_lo, s14
	s_cbranch_vccnz .LBB135_17
; %bb.13:
	v_mad_i64_i32 v[1:2], null, s20, v0, 0
	s_lshl_b64 s[16:17], s[10:11], 3
	s_ashr_i32 s21, s20, 31
	s_lshl_b64 s[2:3], s[22:23], 3
	s_add_u32 s14, s8, s16
	s_addc_u32 s16, s9, s17
	s_add_u32 s2, s14, s2
	s_delay_alu instid0(VALU_DEP_1) | instskip(SKIP_2) | instid1(VALU_DEP_1)
	v_lshlrev_b64 v[1:2], 3, v[1:2]
	s_addc_u32 s3, s16, s3
	s_mov_b32 s14, 0
	v_add_co_u32 v1, vcc_lo, s2, v1
	s_delay_alu instid0(VALU_DEP_2) | instskip(SKIP_1) | instid1(VALU_DEP_2)
	v_add_co_ci_u32_e32 v2, vcc_lo, s3, v2, vcc_lo
	s_lshl_b64 s[2:3], s[20:21], 11
	v_add_co_u32 v1, vcc_lo, v1, 4
	s_delay_alu instid0(VALU_DEP_2)
	v_add_co_ci_u32_e32 v2, vcc_lo, 0, v2, vcc_lo
	s_branch .LBB135_15
	.p2align	6
.LBB135_14:                             ;   in Loop: Header=BB135_15 Depth=1
	s_or_b32 exec_lo, exec_lo, s16
	v_add_co_u32 v1, vcc_lo, v1, s2
	v_add_co_ci_u32_e32 v2, vcc_lo, s3, v2, vcc_lo
	s_addk_i32 s14, 0x100
	s_delay_alu instid0(SALU_CYCLE_1)
	s_cmp_ge_i32 s14, s5
	s_cbranch_scc1 .LBB135_17
.LBB135_15:                             ; =>This Inner Loop Header: Depth=1
	v_add_nc_u32_e32 v3, s14, v0
	s_mov_b32 s16, exec_lo
	s_delay_alu instid0(VALU_DEP_1)
	v_cmpx_gt_i32_e64 s5, v3
	s_cbranch_execz .LBB135_14
; %bb.16:                               ;   in Loop: Header=BB135_15 Depth=1
	global_load_b64 v[3:4], v[1:2], off offset:-4
	s_waitcnt vmcnt(0)
	v_mul_f32_e32 v5, s12, v4
	s_delay_alu instid0(VALU_DEP_1) | instskip(NEXT) | instid1(VALU_DEP_1)
	v_dual_mul_f32 v6, s13, v4 :: v_dual_fmac_f32 v5, s13, v3
	v_fma_f32 v4, s12, v3, -v6
	global_store_b64 v[1:2], v[4:5], off offset:-4
	s_branch .LBB135_14
.LBB135_17:
	s_mov_b32 s2, 0
.LBB135_18:
	s_delay_alu instid0(SALU_CYCLE_1)
	s_and_not1_b32 vcc_lo, exec_lo, s2
	s_cbranch_vccnz .LBB135_36
; %bb.19:
	s_clause 0x1
	s_load_b128 s[16:19], s[0:1], 0x30
	s_load_b64 s[2:3], s[0:1], 0x40
	s_mov_b32 s14, exec_lo
	v_cmpx_gt_i32_e64 s4, v0
	s_cbranch_execz .LBB135_21
; %bb.20:
	s_clause 0x1
	s_load_b64 s[24:25], s[0:1], 0x50
	s_load_b32 s21, s[0:1], 0x48
	s_waitcnt lgkmcnt(0)
	s_mul_i32 s25, s15, s25
	v_mad_i64_i32 v[1:2], null, s21, v0, 0
	s_mul_hi_u32 s26, s15, s24
	s_mul_i32 s24, s15, s24
	s_add_i32 s25, s26, s25
	s_delay_alu instid0(SALU_CYCLE_1) | instskip(NEXT) | instid1(SALU_CYCLE_1)
	s_lshl_b64 s[24:25], s[24:25], 3
	s_add_u32 s18, s18, s24
	s_delay_alu instid0(VALU_DEP_1) | instskip(SKIP_2) | instid1(SALU_CYCLE_1)
	v_lshlrev_b64 v[1:2], 3, v[1:2]
	s_addc_u32 s19, s19, s25
	s_lshl_b64 s[2:3], s[2:3], 3
	s_add_u32 s2, s18, s2
	s_addc_u32 s3, s19, s3
	s_delay_alu instid0(VALU_DEP_1) | instskip(SKIP_4) | instid1(VALU_DEP_1)
	v_add_co_u32 v1, vcc_lo, s2, v1
	v_add_co_ci_u32_e32 v2, vcc_lo, s3, v2, vcc_lo
	global_load_b64 v[1:2], v[1:2], off
	s_waitcnt vmcnt(0)
	v_mul_f32_e32 v3, s6, v2
	v_dual_mul_f32 v4, s7, v2 :: v_dual_fmac_f32 v3, s7, v1
	s_delay_alu instid0(VALU_DEP_1)
	v_fma_f32 v2, v1, s6, -v4
	v_lshlrev_b32_e32 v1, 3, v0
	ds_store_b64 v1, v[2:3]
.LBB135_21:
	s_or_b32 exec_lo, exec_lo, s14
	s_cmp_lt_i32 s5, 1
	s_waitcnt lgkmcnt(0)
	s_waitcnt_vscnt null, 0x0
	s_barrier
	buffer_gl0_inv
	s_cbranch_scc1 .LBB135_36
; %bb.22:
	s_clause 0x1
	s_load_b32 s18, s[0:1], 0x28
	s_load_b128 s[0:3], s[0:1], 0x18
	s_lshl_b64 s[6:7], s[22:23], 3
	v_cmp_neq_f32_e64 s14, s12, 0
	v_cmp_neq_f32_e64 s19, s13, 0
	s_add_u32 s8, s8, s6
	s_addc_u32 s9, s9, s7
	s_lshl_b64 s[6:7], s[10:11], 3
	s_mul_i32 s17, s17, s15
	s_add_u32 s6, s8, s6
	s_addc_u32 s7, s9, s7
	s_ashr_i32 s8, s20, 31
	s_or_b32 s9, s14, s19
	s_mul_hi_u32 s21, s16, s15
	s_mul_i32 s16, s16, s15
	s_waitcnt lgkmcnt(0)
	s_ashr_i32 s19, s18, 31
	s_cmp_gt_i32 s4, 0
	v_mad_i64_i32 v[1:2], null, s18, v0, 0
	s_cselect_b32 s10, -1, 0
	s_and_b32 s11, s4, 7
	s_cmp_gt_u32 s4, 7
	s_cselect_b32 s14, -1, 0
	s_and_b32 s4, s4, 0x7ffffff8
	s_cmp_lg_u32 s11, 0
	s_delay_alu instid0(VALU_DEP_1)
	v_lshlrev_b64 v[1:2], 3, v[1:2]
	s_cselect_b32 s15, -1, 0
	s_add_i32 s17, s21, s17
	s_lshl_b64 s[2:3], s[2:3], 3
	s_lshl_b64 s[16:17], s[16:17], 3
	s_add_u32 s0, s0, s2
	s_addc_u32 s1, s1, s3
	s_add_u32 s0, s0, s16
	s_addc_u32 s1, s1, s17
	v_add_co_u32 v9, vcc_lo, s0, v1
	v_add_co_ci_u32_e32 v10, vcc_lo, s1, v2, vcc_lo
	s_mov_b32 s1, 0
	s_delay_alu instid0(VALU_DEP_2) | instskip(NEXT) | instid1(VALU_DEP_2)
	v_add_co_u32 v1, vcc_lo, v9, 60
	v_add_co_ci_u32_e32 v2, vcc_lo, 0, v10, vcc_lo
	s_lshl_b64 s[2:3], s[18:19], 11
	s_mov_b32 s16, 0
	s_branch .LBB135_25
.LBB135_23:                             ;   in Loop: Header=BB135_25 Depth=1
	s_delay_alu instid0(VALU_DEP_2)
	v_add_co_u32 v3, vcc_lo, s6, v3
	v_add_co_ci_u32_e32 v4, vcc_lo, s7, v4, vcc_lo
	global_store_b64 v[3:4], v[5:6], off
.LBB135_24:                             ;   in Loop: Header=BB135_25 Depth=1
	s_or_b32 exec_lo, exec_lo, s17
	v_add_co_u32 v1, vcc_lo, v1, s2
	v_add_co_ci_u32_e32 v2, vcc_lo, s3, v2, vcc_lo
	v_add_co_u32 v9, vcc_lo, v9, s2
	v_add_co_ci_u32_e32 v10, vcc_lo, s3, v10, vcc_lo
	s_addk_i32 s16, 0x100
	s_delay_alu instid0(SALU_CYCLE_1)
	s_cmp_ge_i32 s16, s5
	s_cbranch_scc1 .LBB135_36
.LBB135_25:                             ; =>This Loop Header: Depth=1
                                        ;     Child Loop BB135_31 Depth 2
                                        ;     Child Loop BB135_35 Depth 2
	v_add_nc_u32_e32 v3, s16, v0
	s_mov_b32 s17, exec_lo
	s_delay_alu instid0(VALU_DEP_1)
	v_cmpx_gt_i32_e64 s5, v3
	s_cbranch_execz .LBB135_24
; %bb.26:                               ;   in Loop: Header=BB135_25 Depth=1
	v_mad_u64_u32 v[6:7], null, v3, s20, 0
	s_and_not1_b32 vcc_lo, exec_lo, s9
	s_delay_alu instid0(VALU_DEP_1) | instskip(NEXT) | instid1(VALU_DEP_1)
	v_mov_b32_e32 v4, v7
	v_mad_u64_u32 v[7:8], null, v3, s8, v[4:5]
	v_mov_b32_e32 v5, 0
	s_delay_alu instid0(VALU_DEP_2)
	v_lshlrev_b64 v[3:4], 3, v[6:7]
	v_mov_b32_e32 v6, 0
	s_cbranch_vccnz .LBB135_28
; %bb.27:                               ;   in Loop: Header=BB135_25 Depth=1
	s_delay_alu instid0(VALU_DEP_2) | instskip(NEXT) | instid1(VALU_DEP_3)
	v_add_co_u32 v5, vcc_lo, s6, v3
	v_add_co_ci_u32_e32 v6, vcc_lo, s7, v4, vcc_lo
	global_load_b64 v[7:8], v[5:6], off
	s_waitcnt vmcnt(0)
	v_mul_f32_e32 v6, s12, v8
	s_delay_alu instid0(VALU_DEP_1) | instskip(NEXT) | instid1(VALU_DEP_1)
	v_dual_mul_f32 v5, s13, v8 :: v_dual_fmac_f32 v6, s13, v7
	v_fma_f32 v5, s12, v7, -v5
.LBB135_28:                             ;   in Loop: Header=BB135_25 Depth=1
	s_and_not1_b32 vcc_lo, exec_lo, s10
	s_cbranch_vccnz .LBB135_23
; %bb.29:                               ;   in Loop: Header=BB135_25 Depth=1
	s_and_not1_b32 vcc_lo, exec_lo, s14
	s_cbranch_vccnz .LBB135_33
; %bb.30:                               ;   in Loop: Header=BB135_25 Depth=1
	v_dual_mov_b32 v8, v2 :: v_dual_mov_b32 v7, v1
	s_mov_b32 s0, 0
	s_mov_b32 s18, 0
.LBB135_31:                             ;   Parent Loop BB135_25 Depth=1
                                        ; =>  This Inner Loop Header: Depth=2
	s_clause 0x3
	global_load_b128 v[11:14], v[7:8], off offset:-60
	global_load_b128 v[15:18], v[7:8], off offset:-44
	;; [unrolled: 1-line block ×4, first 2 shown]
	v_mov_b32_e32 v39, s0
	v_add_co_u32 v7, vcc_lo, v7, 64
	v_add_co_ci_u32_e32 v8, vcc_lo, 0, v8, vcc_lo
	ds_load_b128 v[27:30], v39
	ds_load_b128 v[31:34], v39 offset:16
	ds_load_b128 v[35:38], v39 offset:32
	;; [unrolled: 1-line block ×3, first 2 shown]
	s_add_i32 s18, s18, 8
	s_add_i32 s0, s0, 64
	s_cmp_eq_u32 s4, s18
	s_waitcnt vmcnt(3) lgkmcnt(3)
	v_dual_mul_f32 v43, v12, v28 :: v_dual_mul_f32 v44, v14, v30
	s_waitcnt vmcnt(1) lgkmcnt(1)
	v_mul_f32_e32 v48, v22, v38
	v_dual_mul_f32 v14, v14, v29 :: v_dual_mul_f32 v45, v16, v32
	s_delay_alu instid0(VALU_DEP_3) | instskip(SKIP_3) | instid1(VALU_DEP_3)
	v_dual_fmac_f32 v43, v11, v27 :: v_dual_mul_f32 v46, v18, v34
	v_dual_mul_f32 v47, v20, v36 :: v_dual_mul_f32 v18, v18, v33
	s_waitcnt vmcnt(0) lgkmcnt(0)
	v_dual_mul_f32 v49, v24, v40 :: v_dual_mul_f32 v22, v22, v37
	v_add_f32_e32 v5, v5, v43
	v_fmac_f32_e32 v44, v13, v29
	v_dual_mul_f32 v50, v26, v42 :: v_dual_fmac_f32 v45, v15, v31
	s_delay_alu instid0(VALU_DEP_4) | instskip(NEXT) | instid1(VALU_DEP_3)
	v_fmac_f32_e32 v49, v23, v39
	v_dual_mul_f32 v16, v16, v31 :: v_dual_add_f32 v5, v5, v44
	v_mul_f32_e32 v12, v12, v27
	v_mul_f32_e32 v20, v20, v35
	v_fmac_f32_e32 v46, v17, v33
	v_dual_mul_f32 v26, v26, v41 :: v_dual_fmac_f32 v47, v19, v35
	v_dual_add_f32 v5, v5, v45 :: v_dual_mul_f32 v24, v24, v39
	v_fma_f32 v11, v11, v28, -v12
	v_fma_f32 v12, v13, v30, -v14
	v_fmac_f32_e32 v48, v21, v37
	s_delay_alu instid0(VALU_DEP_4) | instskip(SKIP_1) | instid1(VALU_DEP_2)
	v_add_f32_e32 v5, v5, v46
	v_fmac_f32_e32 v50, v25, v41
	v_add_f32_e32 v5, v5, v47
	v_add_f32_e32 v6, v6, v11
	v_fma_f32 v11, v15, v32, -v16
	s_delay_alu instid0(VALU_DEP_3) | instskip(NEXT) | instid1(VALU_DEP_3)
	v_add_f32_e32 v5, v5, v48
	v_add_f32_e32 v6, v6, v12
	v_fma_f32 v12, v17, v34, -v18
	s_delay_alu instid0(VALU_DEP_2) | instskip(SKIP_1) | instid1(VALU_DEP_2)
	v_dual_add_f32 v5, v5, v49 :: v_dual_add_f32 v6, v6, v11
	v_fma_f32 v11, v19, v36, -v20
	v_dual_add_f32 v5, v5, v50 :: v_dual_add_f32 v6, v6, v12
	v_fma_f32 v12, v21, v38, -v22
	s_delay_alu instid0(VALU_DEP_2) | instskip(SKIP_1) | instid1(VALU_DEP_2)
	v_add_f32_e32 v6, v6, v11
	v_fma_f32 v11, v23, v40, -v24
	v_add_f32_e32 v6, v6, v12
	v_fma_f32 v12, v25, v42, -v26
	s_delay_alu instid0(VALU_DEP_2) | instskip(NEXT) | instid1(VALU_DEP_1)
	v_add_f32_e32 v6, v6, v11
	v_add_f32_e32 v6, v6, v12
	s_cbranch_scc0 .LBB135_31
; %bb.32:                               ;   in Loop: Header=BB135_25 Depth=1
	s_mov_b32 s0, s4
	s_and_not1_b32 vcc_lo, exec_lo, s15
	s_cbranch_vccz .LBB135_34
	s_branch .LBB135_23
.LBB135_33:                             ;   in Loop: Header=BB135_25 Depth=1
	s_mov_b32 s0, 0
	s_and_not1_b32 vcc_lo, exec_lo, s15
	s_cbranch_vccnz .LBB135_23
.LBB135_34:                             ;   in Loop: Header=BB135_25 Depth=1
	s_lshl_b64 s[18:19], s[0:1], 3
	s_lshl_b32 s0, s0, 3
	v_add_co_u32 v7, vcc_lo, v9, s18
	v_add_co_ci_u32_e32 v8, vcc_lo, s19, v10, vcc_lo
	s_mov_b32 s18, s11
	.p2align	6
.LBB135_35:                             ;   Parent Loop BB135_25 Depth=1
                                        ; =>  This Inner Loop Header: Depth=2
	global_load_b64 v[11:12], v[7:8], off
	v_mov_b32_e32 v13, s0
	v_add_co_u32 v7, vcc_lo, v7, 8
	v_add_co_ci_u32_e32 v8, vcc_lo, 0, v8, vcc_lo
	ds_load_b64 v[13:14], v13
	s_add_i32 s18, s18, -1
	s_add_i32 s0, s0, 8
	s_cmp_lg_u32 s18, 0
	s_waitcnt vmcnt(0) lgkmcnt(0)
	v_mul_f32_e32 v15, v12, v14
	s_delay_alu instid0(VALU_DEP_1) | instskip(NEXT) | instid1(VALU_DEP_1)
	v_fmac_f32_e32 v15, v11, v13
	v_dual_mul_f32 v12, v12, v13 :: v_dual_add_f32 v5, v5, v15
	s_delay_alu instid0(VALU_DEP_1) | instskip(NEXT) | instid1(VALU_DEP_1)
	v_fma_f32 v11, v11, v14, -v12
	v_add_f32_e32 v6, v6, v11
	s_cbranch_scc1 .LBB135_35
	s_branch .LBB135_23
.LBB135_36:
	s_nop 0
	s_sendmsg sendmsg(MSG_DEALLOC_VGPRS)
	s_endpgm
	.section	.rodata,"a",@progbits
	.p2align	6, 0x0
	.amdhsa_kernel _ZL22rocblas_gemvtsm_kernelILb1ELi256E19rocblas_complex_numIfES1_S1_EviiT2_lPKT1_lilS5_lilS2_lPT3_lil
		.amdhsa_group_segment_fixed_size 512
		.amdhsa_private_segment_fixed_size 0
		.amdhsa_kernarg_size 136
		.amdhsa_user_sgpr_count 15
		.amdhsa_user_sgpr_dispatch_ptr 0
		.amdhsa_user_sgpr_queue_ptr 0
		.amdhsa_user_sgpr_kernarg_segment_ptr 1
		.amdhsa_user_sgpr_dispatch_id 0
		.amdhsa_user_sgpr_private_segment_size 0
		.amdhsa_wavefront_size32 1
		.amdhsa_uses_dynamic_stack 0
		.amdhsa_enable_private_segment 0
		.amdhsa_system_sgpr_workgroup_id_x 1
		.amdhsa_system_sgpr_workgroup_id_y 0
		.amdhsa_system_sgpr_workgroup_id_z 0
		.amdhsa_system_sgpr_workgroup_info 0
		.amdhsa_system_vgpr_workitem_id 0
		.amdhsa_next_free_vgpr 51
		.amdhsa_next_free_sgpr 27
		.amdhsa_reserve_vcc 1
		.amdhsa_float_round_mode_32 0
		.amdhsa_float_round_mode_16_64 0
		.amdhsa_float_denorm_mode_32 3
		.amdhsa_float_denorm_mode_16_64 3
		.amdhsa_dx10_clamp 1
		.amdhsa_ieee_mode 1
		.amdhsa_fp16_overflow 0
		.amdhsa_workgroup_processor_mode 1
		.amdhsa_memory_ordered 1
		.amdhsa_forward_progress 0
		.amdhsa_shared_vgpr_count 0
		.amdhsa_exception_fp_ieee_invalid_op 0
		.amdhsa_exception_fp_denorm_src 0
		.amdhsa_exception_fp_ieee_div_zero 0
		.amdhsa_exception_fp_ieee_overflow 0
		.amdhsa_exception_fp_ieee_underflow 0
		.amdhsa_exception_fp_ieee_inexact 0
		.amdhsa_exception_int_div_zero 0
	.end_amdhsa_kernel
	.section	.text._ZL22rocblas_gemvtsm_kernelILb1ELi256E19rocblas_complex_numIfES1_S1_EviiT2_lPKT1_lilS5_lilS2_lPT3_lil,"axG",@progbits,_ZL22rocblas_gemvtsm_kernelILb1ELi256E19rocblas_complex_numIfES1_S1_EviiT2_lPKT1_lilS5_lilS2_lPT3_lil,comdat
.Lfunc_end135:
	.size	_ZL22rocblas_gemvtsm_kernelILb1ELi256E19rocblas_complex_numIfES1_S1_EviiT2_lPKT1_lilS5_lilS2_lPT3_lil, .Lfunc_end135-_ZL22rocblas_gemvtsm_kernelILb1ELi256E19rocblas_complex_numIfES1_S1_EviiT2_lPKT1_lilS5_lilS2_lPT3_lil
                                        ; -- End function
	.section	.AMDGPU.csdata,"",@progbits
; Kernel info:
; codeLenInByte = 1808
; NumSgprs: 29
; NumVgprs: 51
; ScratchSize: 0
; MemoryBound: 0
; FloatMode: 240
; IeeeMode: 1
; LDSByteSize: 512 bytes/workgroup (compile time only)
; SGPRBlocks: 3
; VGPRBlocks: 6
; NumSGPRsForWavesPerEU: 29
; NumVGPRsForWavesPerEU: 51
; Occupancy: 16
; WaveLimiterHint : 1
; COMPUTE_PGM_RSRC2:SCRATCH_EN: 0
; COMPUTE_PGM_RSRC2:USER_SGPR: 15
; COMPUTE_PGM_RSRC2:TRAP_HANDLER: 0
; COMPUTE_PGM_RSRC2:TGID_X_EN: 1
; COMPUTE_PGM_RSRC2:TGID_Y_EN: 0
; COMPUTE_PGM_RSRC2:TGID_Z_EN: 0
; COMPUTE_PGM_RSRC2:TIDIG_COMP_CNT: 0
	.section	.text._ZL23rocblas_gemvt_sn_kernelILb1ELi256ELi4Ei19rocblas_complex_numIfEPKS1_S1_EviiT4_lPKT3_lilS7_lilPT5_i,"axG",@progbits,_ZL23rocblas_gemvt_sn_kernelILb1ELi256ELi4Ei19rocblas_complex_numIfEPKS1_S1_EviiT4_lPKT3_lilS7_lilPT5_i,comdat
	.globl	_ZL23rocblas_gemvt_sn_kernelILb1ELi256ELi4Ei19rocblas_complex_numIfEPKS1_S1_EviiT4_lPKT3_lilS7_lilPT5_i ; -- Begin function _ZL23rocblas_gemvt_sn_kernelILb1ELi256ELi4Ei19rocblas_complex_numIfEPKS1_S1_EviiT4_lPKT3_lilS7_lilPT5_i
	.p2align	8
	.type	_ZL23rocblas_gemvt_sn_kernelILb1ELi256ELi4Ei19rocblas_complex_numIfEPKS1_S1_EviiT4_lPKT3_lilS7_lilPT5_i,@function
_ZL23rocblas_gemvt_sn_kernelILb1ELi256ELi4Ei19rocblas_complex_numIfEPKS1_S1_EviiT4_lPKT3_lilS7_lilPT5_i: ; @_ZL23rocblas_gemvt_sn_kernelILb1ELi256ELi4Ei19rocblas_complex_numIfEPKS1_S1_EviiT4_lPKT3_lilS7_lilPT5_i
; %bb.0:
	s_clause 0x2
	s_load_b256 s[4:11], s[0:1], 0x8
	s_load_b64 s[12:13], s[0:1], 0x0
	s_load_b32 s16, s[0:1], 0x68
	v_cmp_eq_u32_e32 vcc_lo, 0, v0
	s_mov_b32 s17, 0
	s_waitcnt lgkmcnt(0)
	s_mul_i32 s3, s15, s7
	s_mul_hi_u32 s7, s15, s6
	s_mul_i32 s2, s15, s6
	s_add_i32 s3, s7, s3
	s_mul_i32 s20, s13, s15
	s_lshl_b64 s[2:3], s[2:3], 3
	s_delay_alu instid0(SALU_CYCLE_1)
	s_add_u32 s2, s4, s2
	s_addc_u32 s3, s5, s3
	s_load_b64 s[18:19], s[2:3], 0x0
	s_load_b128 s[4:7], s[0:1], 0x50
	s_ashr_i32 s24, s13, 31
	s_mul_hi_u32 s2, s13, s15
	s_mul_i32 s3, s24, s15
	s_delay_alu instid0(SALU_CYCLE_1) | instskip(SKIP_2) | instid1(SALU_CYCLE_1)
	s_add_i32 s2, s2, s3
	s_mul_hi_u32 s3, s20, s16
	s_mul_i32 s2, s2, s16
	s_add_i32 s3, s3, s2
	s_mul_i32 s2, s20, s16
	s_mov_b32 s20, -1
	s_waitcnt lgkmcnt(0)
	s_or_b32 s21, s18, s19
	s_delay_alu instid0(SALU_CYCLE_1) | instskip(NEXT) | instid1(SALU_CYCLE_1)
	s_bitset0_b32 s21, 31
	s_cmp_lg_u32 s21, 0
	s_cbranch_scc1 .LBB136_5
; %bb.1:
	s_cmp_gt_i32 s13, 0
	s_cselect_b32 s20, -1, 0
	s_delay_alu instid0(SALU_CYCLE_1) | instskip(NEXT) | instid1(SALU_CYCLE_1)
	s_and_b32 s20, vcc_lo, s20
	s_and_saveexec_b32 s25, s20
	s_cbranch_execz .LBB136_4
; %bb.2:
	s_mov_b32 s20, s15
	s_mov_b32 s15, 0
	v_mov_b32_e32 v1, 0
	s_lshl_b64 s[22:23], s[2:3], 3
	s_lshl_b64 s[26:27], s[14:15], 3
	s_mov_b32 s15, s20
	s_add_u32 s20, s22, s26
	s_addc_u32 s21, s23, s27
	s_add_u32 s20, s20, s6
	v_mov_b32_e32 v2, v1
	s_addc_u32 s21, s21, s7
	s_add_u32 s20, s20, 4
	s_addc_u32 s21, s21, 0
	s_lshl_b64 s[22:23], s[16:17], 3
	s_mov_b32 s17, s13
.LBB136_3:                              ; =>This Inner Loop Header: Depth=1
	s_delay_alu instid0(SALU_CYCLE_1)
	s_add_i32 s17, s17, -1
	global_store_b64 v1, v[1:2], s[20:21] offset:-4
	s_add_u32 s20, s20, s22
	s_addc_u32 s21, s21, s23
	s_cmp_eq_u32 s17, 0
	s_cbranch_scc0 .LBB136_3
.LBB136_4:
	s_or_b32 exec_lo, exec_lo, s25
	s_mov_b32 s20, 0
.LBB136_5:
	s_delay_alu instid0(SALU_CYCLE_1)
	s_and_not1_b32 vcc_lo, exec_lo, s20
	s_cbranch_vccnz .LBB136_76
; %bb.6:
	s_clause 0x1
	s_load_b128 s[20:23], s[0:1], 0x30
	s_load_b64 s[26:27], s[0:1], 0x40
	s_mul_i32 s5, s15, s5
	s_mul_hi_u32 s17, s15, s4
	s_mul_i32 s4, s15, s4
	s_add_i32 s5, s17, s5
	s_clause 0x1
	s_load_b32 s17, s[0:1], 0x28
	s_load_b32 s30, s[0:1], 0x48
	s_lshl_b64 s[4:5], s[4:5], 3
	v_and_b32_e32 v27, 31, v0
	v_mbcnt_lo_u32_b32 v28, -1, 0
	v_lshrrev_b32_e32 v29, 2, v0
	v_or_b32_e64 v26, 0, 4
	s_waitcnt lgkmcnt(0)
	s_add_u32 s4, s22, s4
	s_addc_u32 s5, s23, s5
	s_lshl_b64 s[0:1], s[26:27], 3
	s_mul_i32 s21, s15, s21
	s_add_u32 s31, s4, s0
	s_addc_u32 s33, s5, s1
	s_lshl_b64 s[0:1], s[2:3], 3
	s_mul_hi_u32 s22, s15, s20
	s_add_u32 s36, s6, s0
	s_mul_i32 s2, s15, s20
	s_addc_u32 s37, s7, s1
	s_add_i32 s3, s22, s21
	v_cmp_gt_u32_e64 s0, 32, v0
	s_lshl_b64 s[6:7], s[2:3], 3
	s_delay_alu instid0(SALU_CYCLE_1) | instskip(SKIP_2) | instid1(SALU_CYCLE_1)
	s_add_u32 s1, s8, s6
	s_addc_u32 s2, s9, s7
	s_lshl_b64 s[10:11], s[10:11], 3
	s_add_u32 s3, s1, s10
	s_addc_u32 s2, s2, s11
	s_lshl_b32 s4, s14, 10
	s_lshr_b32 s5, s24, 30
	v_lshl_or_b32 v2, v0, 2, s4
	s_ashr_i32 s4, s12, 31
	s_add_i32 s5, s13, s5
	s_lshr_b32 s4, s4, 30
	v_cmp_gt_u32_e64 s1, 8, v0
	v_ashrrev_i32_e32 v3, 31, v2
	s_add_i32 s4, s12, s4
	v_mul_lo_u32 v1, v2, s30
	s_and_b32 s4, s4, -4
	v_add_nc_u32_e32 v30, 4, v2
	v_lshlrev_b64 v[3:4], 3, v[2:3]
	s_sub_i32 s34, s12, s4
	s_and_b32 s15, s5, -4
	v_add_nc_u32_e32 v31, s34, v2
	s_cmp_lt_i32 s15, 1
	s_delay_alu instid0(VALU_DEP_2)
	v_add_co_u32 v24, vcc_lo, s3, v3
	v_add_co_ci_u32_e32 v25, vcc_lo, s2, v4, vcc_lo
	s_cbranch_scc1 .LBB136_53
; %bb.7:
	v_cmp_gt_u32_e32 vcc_lo, 16, v28
	s_cmp_gt_i32 s34, 0
	v_cmp_ge_i32_e64 s2, s12, v30
	s_cselect_b32 s38, -1, 0
	s_lshl_b32 s39, s17, 2
	v_cndmask_b32_e64 v5, 0, 1, vcc_lo
	v_cmp_gt_u32_e32 vcc_lo, 24, v28
	s_lshl_b32 s40, s17, 1
	s_add_u32 s20, s6, s10
	s_addc_u32 s22, s7, s11
	v_lshlrev_b32_e32 v5, 4, v5
	v_cndmask_b32_e64 v6, 0, 1, vcc_lo
	v_cmp_gt_u32_e32 vcc_lo, 28, v28
	s_add_u32 s20, s8, s20
	s_addc_u32 s22, s9, s22
	v_add_lshl_u32 v32, v5, v28, 2
	v_mul_lo_u32 v5, v2, s30
	v_cndmask_b32_e64 v7, 0, 1, vcc_lo
	v_cmp_gt_u32_e32 vcc_lo, 30, v28
	v_lshlrev_b32_e32 v6, 3, v6
	v_cmp_ge_i32_e64 s3, s12, v31
	v_cmp_eq_u32_e64 s4, 0, v27
	v_lshlrev_b32_e32 v7, 2, v7
	v_cndmask_b32_e64 v8, 0, 1, vcc_lo
	v_cmp_ne_u32_e32 vcc_lo, 31, v28
	v_add_lshl_u32 v2, v6, v28, 2
	v_ashrrev_i32_e32 v6, 31, v5
	v_add_lshl_u32 v33, v7, v28, 2
	v_add_nc_u32_e32 v7, s30, v5
	v_add_co_ci_u32_e32 v9, vcc_lo, 0, v28, vcc_lo
	v_lshlrev_b32_e32 v8, 1, v8
	v_lshlrev_b64 v[11:12], 3, v[5:6]
	v_lshlrev_b32_e32 v36, 3, v27
	s_delay_alu instid0(VALU_DEP_4) | instskip(SKIP_4) | instid1(VALU_DEP_4)
	v_lshlrev_b32_e32 v35, 2, v9
	v_add_nc_u32_e32 v9, s30, v7
	v_add_lshl_u32 v34, v8, v28, 2
	v_ashrrev_i32_e32 v8, 31, v7
	v_add_co_u32 v6, vcc_lo, s31, v11
	v_add_nc_u32_e32 v15, s30, v9
	v_ashrrev_i32_e32 v10, 31, v9
	s_delay_alu instid0(VALU_DEP_4) | instskip(SKIP_1) | instid1(VALU_DEP_4)
	v_lshlrev_b64 v[13:14], 3, v[7:8]
	v_add_co_ci_u32_e32 v7, vcc_lo, s33, v12, vcc_lo
	v_ashrrev_i32_e32 v16, 31, v15
	s_delay_alu instid0(VALU_DEP_4) | instskip(SKIP_2) | instid1(VALU_DEP_4)
	v_lshlrev_b64 v[10:11], 3, v[9:10]
	v_and_b32_e32 v37, 56, v29
	v_add_co_u32 v8, vcc_lo, s31, v13
	v_lshlrev_b64 v[12:13], 3, v[15:16]
	v_add_co_ci_u32_e32 v9, vcc_lo, s33, v14, vcc_lo
	v_add_co_u32 v10, vcc_lo, s31, v10
	v_add_co_ci_u32_e32 v11, vcc_lo, s33, v11, vcc_lo
	s_delay_alu instid0(VALU_DEP_4) | instskip(SKIP_4) | instid1(VALU_DEP_3)
	v_add_co_u32 v12, vcc_lo, s31, v12
	v_add_co_ci_u32_e32 v13, vcc_lo, s33, v13, vcc_lo
	v_add_co_u32 v14, vcc_lo, s20, v3
	v_add_co_ci_u32_e32 v15, vcc_lo, s22, v4, vcc_lo
	v_cmp_eq_u32_e64 s5, 0, v0
	v_add_co_u32 v39, vcc_lo, v14, 4
	v_mov_b32_e32 v14, 0
	v_or_b32_e64 v38, 0, 4
	v_add_co_ci_u32_e32 v40, vcc_lo, 0, v15, vcc_lo
	s_mov_b32 s21, 0
	s_mul_i32 s41, s17, 3
	s_mov_b32 s22, s21
	s_mov_b32 s42, s17
	s_mov_b32 s35, 0
	s_branch .LBB136_9
.LBB136_8:                              ;   in Loop: Header=BB136_9 Depth=1
	s_or_b32 exec_lo, exec_lo, s23
	s_add_i32 s35, s35, 4
	s_add_i32 s42, s42, s39
	;; [unrolled: 1-line block ×5, first 2 shown]
	s_cmp_ge_i32 s35, s15
	s_cbranch_scc1 .LBB136_54
.LBB136_9:                              ; =>This Loop Header: Depth=1
                                        ;     Child Loop BB136_40 Depth 2
                                        ;     Child Loop BB136_42 Depth 2
                                        ; implicit-def: $vgpr17
                                        ; implicit-def: $vgpr41
                                        ; implicit-def: $vgpr18
                                        ; implicit-def: $vgpr19
                                        ; implicit-def: $vgpr20
                                        ; implicit-def: $vgpr21
                                        ; implicit-def: $vgpr23
                                        ; implicit-def: $vgpr22
	s_and_saveexec_b32 s20, s2
	s_delay_alu instid0(SALU_CYCLE_1)
	s_xor_b32 s20, exec_lo, s20
	s_cbranch_execnz .LBB136_36
; %bb.10:                               ;   in Loop: Header=BB136_9 Depth=1
	s_and_not1_saveexec_b32 s20, s20
	s_cbranch_execnz .LBB136_37
.LBB136_11:                             ;   in Loop: Header=BB136_9 Depth=1
	s_or_b32 exec_lo, exec_lo, s20
	s_and_saveexec_b32 s20, s0
	s_cbranch_execz .LBB136_13
.LBB136_12:                             ;   in Loop: Header=BB136_9 Depth=1
	v_mov_b32_e32 v15, v14
	ds_store_b64 v36, v[14:15]
.LBB136_13:                             ;   in Loop: Header=BB136_9 Depth=1
	s_or_b32 exec_lo, exec_lo, s20
	ds_bpermute_b32 v16, v32, v41
	ds_bpermute_b32 v15, v32, v17
	s_waitcnt lgkmcnt(0)
	s_waitcnt_vscnt null, 0x0
	s_barrier
	buffer_gl0_inv
	v_add_f32_e32 v16, v41, v16
	ds_bpermute_b32 v41, v2, v16
	s_waitcnt lgkmcnt(0)
	v_dual_add_f32 v15, v17, v15 :: v_dual_add_f32 v16, v16, v41
	ds_bpermute_b32 v17, v2, v15
	ds_bpermute_b32 v41, v33, v16
	s_waitcnt lgkmcnt(1)
	v_add_f32_e32 v15, v15, v17
	s_waitcnt lgkmcnt(0)
	v_add_f32_e32 v16, v16, v41
	ds_bpermute_b32 v17, v33, v15
	ds_bpermute_b32 v41, v34, v16
	s_waitcnt lgkmcnt(1)
	v_add_f32_e32 v15, v15, v17
	s_waitcnt lgkmcnt(0)
	v_add_f32_e32 v16, v16, v41
	ds_bpermute_b32 v17, v34, v15
	ds_bpermute_b32 v41, v35, v16
	s_waitcnt lgkmcnt(1)
	v_add_f32_e32 v15, v15, v17
	ds_bpermute_b32 v17, v35, v15
	s_and_saveexec_b32 s20, s4
	s_cbranch_execz .LBB136_15
; %bb.14:                               ;   in Loop: Header=BB136_9 Depth=1
	s_waitcnt lgkmcnt(1)
	v_add_f32_e32 v16, v16, v41
	s_waitcnt lgkmcnt(0)
	v_add_f32_e32 v15, v15, v17
	ds_store_b64 v37, v[15:16]
.LBB136_15:                             ;   in Loop: Header=BB136_9 Depth=1
	s_or_b32 exec_lo, exec_lo, s20
	s_waitcnt lgkmcnt(0)
	v_dual_mov_b32 v17, 0 :: v_dual_mov_b32 v16, 0
	s_barrier
	buffer_gl0_inv
	s_and_saveexec_b32 s20, s1
	s_cbranch_execnz .LBB136_44
; %bb.16:                               ;   in Loop: Header=BB136_9 Depth=1
	s_or_b32 exec_lo, exec_lo, s20
	s_and_saveexec_b32 s20, s0
	s_cbranch_execnz .LBB136_45
.LBB136_17:                             ;   in Loop: Header=BB136_9 Depth=1
	s_or_b32 exec_lo, exec_lo, s20
	s_and_saveexec_b32 s20, s0
	s_cbranch_execz .LBB136_19
.LBB136_18:                             ;   in Loop: Header=BB136_9 Depth=1
	v_mov_b32_e32 v15, v14
	ds_store_b64 v36, v[14:15]
.LBB136_19:                             ;   in Loop: Header=BB136_9 Depth=1
	s_or_b32 exec_lo, exec_lo, s20
	ds_bpermute_b32 v15, v32, v18
	ds_bpermute_b32 v41, v32, v19
	s_waitcnt lgkmcnt(0)
	s_barrier
	buffer_gl0_inv
	v_dual_add_f32 v15, v18, v15 :: v_dual_add_f32 v18, v19, v41
	ds_bpermute_b32 v19, v2, v15
	ds_bpermute_b32 v41, v2, v18
	s_waitcnt lgkmcnt(0)
	v_dual_add_f32 v15, v15, v19 :: v_dual_add_f32 v18, v18, v41
	ds_bpermute_b32 v19, v33, v15
	ds_bpermute_b32 v41, v33, v18
	s_waitcnt lgkmcnt(0)
	;; [unrolled: 4-line block ×3, first 2 shown]
	v_dual_add_f32 v15, v15, v19 :: v_dual_add_f32 v18, v18, v41
	ds_bpermute_b32 v19, v35, v15
	ds_bpermute_b32 v41, v35, v18
	s_and_saveexec_b32 s20, s4
	s_cbranch_execz .LBB136_21
; %bb.20:                               ;   in Loop: Header=BB136_9 Depth=1
	s_waitcnt lgkmcnt(0)
	v_dual_add_f32 v42, v18, v41 :: v_dual_add_f32 v41, v15, v19
	ds_store_b64 v37, v[41:42]
.LBB136_21:                             ;   in Loop: Header=BB136_9 Depth=1
	s_or_b32 exec_lo, exec_lo, s20
	s_waitcnt lgkmcnt(1)
	v_dual_mov_b32 v19, 0 :: v_dual_mov_b32 v18, 0
	s_waitcnt lgkmcnt(0)
	s_barrier
	buffer_gl0_inv
	s_and_saveexec_b32 s20, s1
	s_cbranch_execnz .LBB136_46
; %bb.22:                               ;   in Loop: Header=BB136_9 Depth=1
	s_or_b32 exec_lo, exec_lo, s20
	s_and_saveexec_b32 s20, s0
	s_cbranch_execnz .LBB136_47
.LBB136_23:                             ;   in Loop: Header=BB136_9 Depth=1
	s_or_b32 exec_lo, exec_lo, s20
	s_and_saveexec_b32 s20, s0
	s_cbranch_execz .LBB136_25
.LBB136_24:                             ;   in Loop: Header=BB136_9 Depth=1
	v_mov_b32_e32 v15, v14
	ds_store_b64 v36, v[14:15]
.LBB136_25:                             ;   in Loop: Header=BB136_9 Depth=1
	s_or_b32 exec_lo, exec_lo, s20
	ds_bpermute_b32 v15, v32, v20
	ds_bpermute_b32 v41, v32, v21
	s_waitcnt lgkmcnt(0)
	s_barrier
	buffer_gl0_inv
	v_dual_add_f32 v15, v20, v15 :: v_dual_add_f32 v20, v21, v41
	ds_bpermute_b32 v21, v2, v15
	ds_bpermute_b32 v41, v2, v20
	s_waitcnt lgkmcnt(1)
	v_add_f32_e32 v15, v15, v21
	s_waitcnt lgkmcnt(0)
	v_add_f32_e32 v20, v20, v41
	ds_bpermute_b32 v21, v33, v15
	ds_bpermute_b32 v41, v33, v20
	s_waitcnt lgkmcnt(1)
	v_add_f32_e32 v15, v15, v21
	s_waitcnt lgkmcnt(0)
	v_add_f32_e32 v20, v20, v41
	ds_bpermute_b32 v21, v34, v15
	ds_bpermute_b32 v41, v34, v20
	s_waitcnt lgkmcnt(1)
	v_add_f32_e32 v15, v15, v21
	s_waitcnt lgkmcnt(0)
	v_add_f32_e32 v20, v20, v41
	ds_bpermute_b32 v21, v35, v15
	ds_bpermute_b32 v41, v35, v20
	s_and_saveexec_b32 s20, s4
	s_cbranch_execz .LBB136_27
; %bb.26:                               ;   in Loop: Header=BB136_9 Depth=1
	s_waitcnt lgkmcnt(0)
	v_add_f32_e32 v42, v20, v41
	v_add_f32_e32 v41, v15, v21
	ds_store_b64 v37, v[41:42]
.LBB136_27:                             ;   in Loop: Header=BB136_9 Depth=1
	s_or_b32 exec_lo, exec_lo, s20
	s_waitcnt lgkmcnt(1)
	v_dual_mov_b32 v21, 0 :: v_dual_mov_b32 v20, 0
	s_waitcnt lgkmcnt(0)
	s_barrier
	buffer_gl0_inv
	s_and_saveexec_b32 s20, s1
	s_cbranch_execnz .LBB136_48
; %bb.28:                               ;   in Loop: Header=BB136_9 Depth=1
	s_or_b32 exec_lo, exec_lo, s20
	s_and_saveexec_b32 s20, s0
	s_cbranch_execnz .LBB136_49
.LBB136_29:                             ;   in Loop: Header=BB136_9 Depth=1
	s_or_b32 exec_lo, exec_lo, s20
	s_and_saveexec_b32 s20, s0
	s_cbranch_execz .LBB136_31
.LBB136_30:                             ;   in Loop: Header=BB136_9 Depth=1
	v_mov_b32_e32 v15, v14
	ds_store_b64 v36, v[14:15]
.LBB136_31:                             ;   in Loop: Header=BB136_9 Depth=1
	s_or_b32 exec_lo, exec_lo, s20
	ds_bpermute_b32 v15, v32, v23
	ds_bpermute_b32 v41, v32, v22
	s_waitcnt lgkmcnt(0)
	s_barrier
	buffer_gl0_inv
	v_dual_add_f32 v15, v23, v15 :: v_dual_add_f32 v22, v22, v41
	ds_bpermute_b32 v23, v2, v15
	ds_bpermute_b32 v41, v2, v22
	s_waitcnt lgkmcnt(0)
	v_dual_add_f32 v15, v15, v23 :: v_dual_add_f32 v22, v22, v41
	ds_bpermute_b32 v23, v33, v15
	ds_bpermute_b32 v41, v33, v22
	s_waitcnt lgkmcnt(0)
	;; [unrolled: 4-line block ×3, first 2 shown]
	v_dual_add_f32 v15, v15, v23 :: v_dual_add_f32 v22, v22, v41
	ds_bpermute_b32 v23, v35, v15
	ds_bpermute_b32 v41, v35, v22
	s_and_saveexec_b32 s20, s4
	s_cbranch_execz .LBB136_33
; %bb.32:                               ;   in Loop: Header=BB136_9 Depth=1
	s_waitcnt lgkmcnt(0)
	v_dual_add_f32 v42, v22, v41 :: v_dual_add_f32 v41, v15, v23
	ds_store_b64 v37, v[41:42]
.LBB136_33:                             ;   in Loop: Header=BB136_9 Depth=1
	s_or_b32 exec_lo, exec_lo, s20
	s_waitcnt lgkmcnt(1)
	v_dual_mov_b32 v23, 0 :: v_dual_mov_b32 v22, 0
	s_waitcnt lgkmcnt(0)
	s_barrier
	buffer_gl0_inv
	s_and_saveexec_b32 s20, s1
	s_cbranch_execnz .LBB136_50
; %bb.34:                               ;   in Loop: Header=BB136_9 Depth=1
	s_or_b32 exec_lo, exec_lo, s20
	s_and_saveexec_b32 s20, s0
	s_cbranch_execnz .LBB136_51
.LBB136_35:                             ;   in Loop: Header=BB136_9 Depth=1
	s_or_b32 exec_lo, exec_lo, s20
	s_and_saveexec_b32 s23, s5
	s_cbranch_execz .LBB136_8
	s_branch .LBB136_52
.LBB136_36:                             ;   in Loop: Header=BB136_9 Depth=1
	s_mul_i32 s24, s35, s17
	s_delay_alu instid0(SALU_CYCLE_1)
	s_ashr_i32 s25, s24, 31
	s_add_i32 s26, s24, s17
	s_lshl_b64 s[24:25], s[24:25], 3
	s_ashr_i32 s27, s26, 31
	v_add_co_u32 v19, vcc_lo, v24, s24
	v_add_co_ci_u32_e32 v20, vcc_lo, s25, v25, vcc_lo
	s_lshl_b64 s[24:25], s[26:27], 3
	global_load_b128 v[15:18], v[19:20], off offset:16
	s_waitcnt lgkmcnt(0)
	global_load_b128 v[19:22], v[19:20], off
	v_add_co_u32 v54, vcc_lo, v24, s24
	s_add_i32 s24, s26, s17
	v_add_co_ci_u32_e32 v55, vcc_lo, s25, v25, vcc_lo
	s_ashr_i32 s25, s24, 31
	global_load_b64 v[42:43], v[6:7], off
	s_lshl_b64 s[26:27], s[24:25], 3
	s_add_i32 s24, s24, s17
	v_add_co_u32 v62, vcc_lo, v24, s26
	s_ashr_i32 s25, s24, 31
	v_add_co_ci_u32_e32 v63, vcc_lo, s27, v25, vcc_lo
	s_lshl_b64 s[24:25], s[24:25], 3
	s_clause 0x2
	global_load_b64 v[44:45], v[8:9], off
	global_load_b64 v[46:47], v[10:11], off
	;; [unrolled: 1-line block ×3, first 2 shown]
	v_add_co_u32 v70, vcc_lo, v24, s24
	s_clause 0x2
	global_load_b128 v[50:53], v[54:55], off
	global_load_b128 v[54:57], v[54:55], off offset:16
	global_load_b128 v[58:61], v[62:63], off
	v_add_co_ci_u32_e32 v71, vcc_lo, s25, v25, vcc_lo
	s_clause 0x2
	global_load_b128 v[62:65], v[62:63], off offset:16
	global_load_b128 v[66:69], v[70:71], off
	global_load_b128 v[70:73], v[70:71], off offset:16
	s_waitcnt vmcnt(8)
	scratch_store_b128 off, v[42:45], off
	s_waitcnt vmcnt(6)
	scratch_store_b128 off, v[46:49], off offset:16
	v_dual_mul_f32 v23, v20, v43 :: v_dual_mul_f32 v74, v47, v16
	v_dual_mul_f32 v75, v49, v18 :: v_dual_mul_f32 v16, v46, v16
	s_waitcnt vmcnt(5)
	v_dual_mul_f32 v18, v48, v18 :: v_dual_mul_f32 v77, v53, v45
	v_dual_mul_f32 v76, v51, v43 :: v_dual_mul_f32 v53, v53, v44
	v_mul_f32_e32 v51, v51, v42
	s_waitcnt vmcnt(4)
	v_dual_mul_f32 v78, v47, v55 :: v_dual_mul_f32 v79, v49, v57
	s_waitcnt vmcnt(3)
	v_dual_mul_f32 v57, v48, v57 :: v_dual_mul_f32 v80, v59, v43
	v_dual_mul_f32 v20, v20, v42 :: v_dual_mul_f32 v41, v22, v45
	v_mul_f32_e32 v22, v22, v44
	v_mul_f32_e32 v55, v46, v55
	v_dual_mul_f32 v59, v59, v42 :: v_dual_fmac_f32 v74, v46, v15
	s_waitcnt vmcnt(2)
	v_dual_mul_f32 v81, v61, v45 :: v_dual_mul_f32 v82, v47, v63
	v_dual_mul_f32 v61, v61, v44 :: v_dual_fmac_f32 v76, v50, v42
	v_dual_mul_f32 v83, v49, v65 :: v_dual_fmac_f32 v78, v46, v54
	;; [unrolled: 1-line block ×3, first 2 shown]
	v_fmac_f32_e32 v23, v19, v42
	v_fma_f32 v15, v47, v15, -v16
	v_fma_f32 v16, v49, v17, -v18
	s_waitcnt vmcnt(1)
	v_mul_f32_e32 v18, v67, v42
	v_fma_f32 v50, v50, v43, -v51
	v_mul_f32_e32 v63, v46, v63
	v_fma_f32 v19, v19, v43, -v20
	v_dual_fmac_f32 v41, v21, v44 :: v_dual_fmac_f32 v82, v46, v62
	v_fma_f32 v20, v21, v45, -v22
	v_dual_fmac_f32 v75, v48, v17 :: v_dual_add_f32 v50, 0, v50
	v_mul_f32_e32 v22, v69, v44
	v_fmac_f32_e32 v77, v52, v44
	v_fma_f32 v51, v52, v45, -v53
	v_fma_f32 v52, v47, v54, -v55
	;; [unrolled: 1-line block ×3, first 2 shown]
	v_fmac_f32_e32 v81, v60, v44
	v_fma_f32 v55, v60, v45, -v61
	v_fma_f32 v18, v66, v43, -v18
	v_dual_add_f32 v60, 0, v76 :: v_dual_add_f32 v23, 0, v23
	v_add_f32_e32 v61, 0, v80
	v_dual_mul_f32 v17, v67, v43 :: v_dual_add_f32 v54, 0, v54
	s_delay_alu instid0(VALU_DEP_4)
	v_dual_mul_f32 v21, v69, v45 :: v_dual_add_f32 v18, 0, v18
	s_waitcnt vmcnt(0)
	v_mul_f32_e32 v69, v46, v71
	v_fma_f32 v22, v68, v45, -v22
	v_add_f32_e32 v23, v23, v41
	v_dual_add_f32 v41, v50, v51 :: v_dual_add_f32 v50, v61, v81
	v_mul_f32_e32 v67, v47, v71
	s_delay_alu instid0(VALU_DEP_4) | instskip(NEXT) | instid1(VALU_DEP_3)
	v_dual_mul_f32 v71, v49, v73 :: v_dual_add_f32 v18, v18, v22
	v_dual_mul_f32 v73, v48, v73 :: v_dual_add_f32 v22, v50, v82
	v_fma_f32 v53, v49, v56, -v57
	v_fmac_f32_e32 v83, v48, v64
	v_fmac_f32_e32 v79, v48, v56
	v_fma_f32 v56, v47, v62, -v63
	v_add_f32_e32 v51, v54, v55
	v_add_f32_e32 v19, 0, v19
	v_fmac_f32_e32 v17, v66, v42
	v_fmac_f32_e32 v21, v68, v44
	v_fma_f32 v58, v47, v70, -v69
	v_add_f32_e32 v50, v51, v56
	v_add_f32_e32 v19, v19, v20
	;; [unrolled: 1-line block ×3, first 2 shown]
	v_fma_f32 v59, v49, v72, -v73
	v_fma_f32 v57, v49, v64, -v65
	v_fmac_f32_e32 v71, v48, v72
	v_add_f32_e32 v15, v19, v15
	v_add_f32_e32 v19, v17, v21
	;; [unrolled: 1-line block ×4, first 2 shown]
	s_delay_alu instid0(VALU_DEP_4) | instskip(SKIP_1) | instid1(VALU_DEP_1)
	v_dual_add_f32 v41, v15, v16 :: v_dual_add_f32 v16, v18, v58
	v_dual_add_f32 v20, v60, v77 :: v_dual_fmac_f32 v67, v46, v70
	v_dual_add_f32 v17, v23, v75 :: v_dual_add_f32 v20, v20, v78
	s_delay_alu instid0(VALU_DEP_1)
	v_add_f32_e32 v18, v20, v79
	v_add_f32_e32 v20, v22, v83
	;; [unrolled: 1-line block ×6, first 2 shown]
	s_delay_alu instid0(VALU_DEP_3)
	v_add_f32_e32 v23, v15, v71
	s_and_not1_saveexec_b32 s20, s20
	s_cbranch_execz .LBB136_11
.LBB136_37:                             ;   in Loop: Header=BB136_9 Depth=1
	v_dual_mov_b32 v17, 0 :: v_dual_mov_b32 v18, 0
	v_dual_mov_b32 v41, 0 :: v_dual_mov_b32 v20, 0
	s_waitcnt lgkmcnt(0)
	v_dual_mov_b32 v19, 0 :: v_dual_mov_b32 v22, 0
	v_mov_b32_e32 v21, 0
	v_mov_b32_e32 v23, 0
	s_and_saveexec_b32 s43, s3
	s_cbranch_execz .LBB136_43
; %bb.38:                               ;   in Loop: Header=BB136_9 Depth=1
	v_dual_mov_b32 v17, 0 :: v_dual_mov_b32 v18, 0
	v_dual_mov_b32 v41, 0 :: v_dual_mov_b32 v20, 0
	;; [unrolled: 1-line block ×3, first 2 shown]
	v_mov_b32_e32 v21, 0
	v_mov_b32_e32 v23, 0
	s_and_not1_b32 vcc_lo, exec_lo, s38
	s_cbranch_vccnz .LBB136_43
; %bb.39:                               ;   in Loop: Header=BB136_9 Depth=1
	v_mov_b32_e32 v17, 0
	v_mov_b32_e32 v15, v5
	s_mov_b32 s23, s34
.LBB136_40:                             ;   Parent Loop BB136_9 Depth=1
                                        ; =>  This Inner Loop Header: Depth=2
	s_delay_alu instid0(VALU_DEP_1) | instskip(SKIP_1) | instid1(SALU_CYCLE_1)
	v_ashrrev_i32_e32 v16, 31, v15
	s_add_i32 s23, s23, -1
	s_cmp_eq_u32 s23, 0
	s_delay_alu instid0(VALU_DEP_1) | instskip(SKIP_1) | instid1(VALU_DEP_2)
	v_lshlrev_b64 v[18:19], 3, v[15:16]
	v_add_nc_u32_e32 v15, s30, v15
	v_add_co_u32 v18, vcc_lo, s31, v18
	s_delay_alu instid0(VALU_DEP_3)
	v_add_co_ci_u32_e32 v19, vcc_lo, s33, v19, vcc_lo
	global_load_b64 v[18:19], v[18:19], off
	s_waitcnt vmcnt(0)
	scratch_store_b64 v17, v[18:19], off
	v_add_nc_u32_e32 v17, 8, v17
	s_cbranch_scc0 .LBB136_40
; %bb.41:                               ;   in Loop: Header=BB136_9 Depth=1
	s_ashr_i32 s23, s22, 31
	v_dual_mov_b32 v22, 0 :: v_dual_mov_b32 v23, 0
	s_lshl_b64 s[24:25], s[22:23], 3
	v_dual_mov_b32 v42, v38 :: v_dual_mov_b32 v21, 0
	v_add_co_u32 v15, vcc_lo, v39, s24
	v_add_co_ci_u32_e32 v16, vcc_lo, s25, v40, vcc_lo
	v_dual_mov_b32 v20, 0 :: v_dual_mov_b32 v19, 0
	v_dual_mov_b32 v18, 0 :: v_dual_mov_b32 v41, 0
	v_mov_b32_e32 v17, 0
	s_mov_b32 s24, s41
	s_mov_b32 s26, s40
	;; [unrolled: 1-line block ×4, first 2 shown]
.LBB136_42:                             ;   Parent Loop BB136_9 Depth=1
                                        ; =>  This Inner Loop Header: Depth=2
	s_ashr_i32 s29, s28, 31
	s_ashr_i32 s27, s26, 31
	s_lshl_b64 s[44:45], s[28:29], 3
	s_lshl_b64 s[46:47], s[26:27], 3
	v_add_co_u32 v47, vcc_lo, v24, s44
	s_ashr_i32 s25, s24, 31
	v_add_co_ci_u32_e32 v48, vcc_lo, s45, v25, vcc_lo
	v_add_co_u32 v49, vcc_lo, v24, s46
	s_lshl_b64 s[48:49], s[24:25], 3
	v_add_co_ci_u32_e32 v50, vcc_lo, s47, v25, vcc_lo
	scratch_load_b64 v[43:44], v42, off offset:-4
	global_load_b64 v[45:46], v[15:16], off offset:-4
	v_add_co_u32 v51, vcc_lo, v24, s48
	v_add_co_ci_u32_e32 v52, vcc_lo, s49, v25, vcc_lo
	s_clause 0x2
	global_load_b64 v[47:48], v[47:48], off
	global_load_b64 v[49:50], v[49:50], off
	;; [unrolled: 1-line block ×3, first 2 shown]
	v_add_co_u32 v15, vcc_lo, v15, 8
	v_add_co_ci_u32_e32 v16, vcc_lo, 0, v16, vcc_lo
	s_add_i32 s23, s23, -1
	s_add_i32 s28, s28, 1
	s_add_i32 s26, s26, 1
	;; [unrolled: 1-line block ×3, first 2 shown]
	s_cmp_lg_u32 s23, 0
	s_waitcnt vmcnt(3)
	v_mul_f32_e32 v53, v44, v46
	v_mul_f32_e32 v46, v43, v46
	s_delay_alu instid0(VALU_DEP_2) | instskip(SKIP_2) | instid1(VALU_DEP_3)
	v_dual_fmac_f32 v53, v43, v45 :: v_dual_add_nc_u32 v42, 8, v42
	s_waitcnt vmcnt(0)
	v_mul_f32_e32 v55, v44, v52
	v_fma_f32 v45, v44, v45, -v46
	v_mul_f32_e32 v46, v44, v48
	v_dual_mul_f32 v48, v43, v48 :: v_dual_add_f32 v17, v17, v53
	s_delay_alu instid0(VALU_DEP_3)
	v_dual_mul_f32 v54, v44, v50 :: v_dual_add_f32 v41, v41, v45
	v_mul_f32_e32 v50, v43, v50
	v_mul_f32_e32 v52, v43, v52
	v_fmac_f32_e32 v46, v43, v47
	v_fma_f32 v45, v44, v47, -v48
	v_fmac_f32_e32 v54, v43, v49
	v_fma_f32 v47, v44, v49, -v50
	s_delay_alu instid0(VALU_DEP_4) | instskip(SKIP_1) | instid1(VALU_DEP_4)
	v_dual_fmac_f32 v55, v43, v51 :: v_dual_add_f32 v18, v18, v46
	v_fma_f32 v43, v44, v51, -v52
	v_dual_add_f32 v19, v19, v45 :: v_dual_add_f32 v20, v20, v54
	s_delay_alu instid0(VALU_DEP_4) | instskip(NEXT) | instid1(VALU_DEP_4)
	v_add_f32_e32 v21, v21, v47
	v_add_f32_e32 v23, v23, v55
	s_delay_alu instid0(VALU_DEP_4)
	v_add_f32_e32 v22, v22, v43
	s_cbranch_scc1 .LBB136_42
.LBB136_43:                             ;   in Loop: Header=BB136_9 Depth=1
	s_or_b32 exec_lo, exec_lo, s43
	s_delay_alu instid0(SALU_CYCLE_1)
	s_or_b32 exec_lo, exec_lo, s20
	s_and_saveexec_b32 s20, s0
	s_cbranch_execnz .LBB136_12
	s_branch .LBB136_13
.LBB136_44:                             ;   in Loop: Header=BB136_9 Depth=1
	ds_load_b64 v[16:17], v36
	s_or_b32 exec_lo, exec_lo, s20
	s_and_saveexec_b32 s20, s0
	s_cbranch_execz .LBB136_17
.LBB136_45:                             ;   in Loop: Header=BB136_9 Depth=1
	s_waitcnt lgkmcnt(0)
	ds_bpermute_b32 v15, v33, v16
	ds_bpermute_b32 v41, v33, v17
	s_waitcnt lgkmcnt(0)
	v_dual_add_f32 v15, v16, v15 :: v_dual_add_f32 v16, v17, v41
	ds_bpermute_b32 v17, v34, v15
	ds_bpermute_b32 v41, v34, v16
	s_waitcnt lgkmcnt(1)
	v_add_f32_e32 v15, v15, v17
	s_waitcnt lgkmcnt(0)
	v_add_f32_e32 v17, v16, v41
	ds_bpermute_b32 v16, v35, v15
	s_waitcnt lgkmcnt(0)
	v_add_f32_e32 v16, v15, v16
	ds_bpermute_b32 v41, v35, v17
	s_waitcnt lgkmcnt(0)
	v_add_f32_e32 v17, v17, v41
	s_or_b32 exec_lo, exec_lo, s20
	s_and_saveexec_b32 s20, s0
	s_cbranch_execnz .LBB136_18
	s_branch .LBB136_19
.LBB136_46:                             ;   in Loop: Header=BB136_9 Depth=1
	ds_load_b64 v[18:19], v36
	s_or_b32 exec_lo, exec_lo, s20
	s_and_saveexec_b32 s20, s0
	s_cbranch_execz .LBB136_23
.LBB136_47:                             ;   in Loop: Header=BB136_9 Depth=1
	s_waitcnt lgkmcnt(0)
	ds_bpermute_b32 v15, v33, v18
	ds_bpermute_b32 v41, v33, v19
	s_waitcnt lgkmcnt(0)
	v_dual_add_f32 v15, v18, v15 :: v_dual_add_f32 v18, v19, v41
	ds_bpermute_b32 v19, v34, v15
	ds_bpermute_b32 v41, v34, v18
	s_waitcnt lgkmcnt(1)
	v_add_f32_e32 v15, v15, v19
	s_waitcnt lgkmcnt(0)
	v_add_f32_e32 v19, v18, v41
	ds_bpermute_b32 v18, v35, v15
	s_waitcnt lgkmcnt(0)
	v_add_f32_e32 v18, v15, v18
	ds_bpermute_b32 v41, v35, v19
	s_waitcnt lgkmcnt(0)
	v_add_f32_e32 v19, v19, v41
	s_or_b32 exec_lo, exec_lo, s20
	s_and_saveexec_b32 s20, s0
	s_cbranch_execnz .LBB136_24
	s_branch .LBB136_25
.LBB136_48:                             ;   in Loop: Header=BB136_9 Depth=1
	ds_load_b64 v[20:21], v36
	s_or_b32 exec_lo, exec_lo, s20
	s_and_saveexec_b32 s20, s0
	s_cbranch_execz .LBB136_29
.LBB136_49:                             ;   in Loop: Header=BB136_9 Depth=1
	s_waitcnt lgkmcnt(0)
	ds_bpermute_b32 v15, v33, v20
	ds_bpermute_b32 v41, v33, v21
	s_waitcnt lgkmcnt(0)
	v_dual_add_f32 v15, v20, v15 :: v_dual_add_f32 v20, v21, v41
	ds_bpermute_b32 v21, v34, v15
	ds_bpermute_b32 v41, v34, v20
	s_waitcnt lgkmcnt(1)
	v_add_f32_e32 v15, v15, v21
	s_waitcnt lgkmcnt(0)
	v_add_f32_e32 v21, v20, v41
	ds_bpermute_b32 v20, v35, v15
	s_waitcnt lgkmcnt(0)
	v_add_f32_e32 v20, v15, v20
	ds_bpermute_b32 v41, v35, v21
	s_waitcnt lgkmcnt(0)
	v_add_f32_e32 v21, v21, v41
	s_or_b32 exec_lo, exec_lo, s20
	s_and_saveexec_b32 s20, s0
	s_cbranch_execnz .LBB136_30
	s_branch .LBB136_31
.LBB136_50:                             ;   in Loop: Header=BB136_9 Depth=1
	ds_load_b64 v[22:23], v36
	s_or_b32 exec_lo, exec_lo, s20
	s_and_saveexec_b32 s20, s0
	s_cbranch_execz .LBB136_35
.LBB136_51:                             ;   in Loop: Header=BB136_9 Depth=1
	s_waitcnt lgkmcnt(0)
	ds_bpermute_b32 v15, v33, v22
	ds_bpermute_b32 v41, v33, v23
	s_waitcnt lgkmcnt(0)
	v_dual_add_f32 v15, v22, v15 :: v_dual_add_f32 v22, v23, v41
	ds_bpermute_b32 v23, v34, v15
	ds_bpermute_b32 v41, v34, v22
	s_waitcnt lgkmcnt(1)
	v_add_f32_e32 v15, v15, v23
	s_waitcnt lgkmcnt(0)
	v_add_f32_e32 v23, v22, v41
	ds_bpermute_b32 v22, v35, v15
	s_waitcnt lgkmcnt(0)
	v_add_f32_e32 v22, v15, v22
	ds_bpermute_b32 v41, v35, v23
	s_waitcnt lgkmcnt(0)
	v_add_f32_e32 v23, v23, v41
	s_or_b32 exec_lo, exec_lo, s20
	s_and_saveexec_b32 s23, s5
	s_cbranch_execz .LBB136_8
.LBB136_52:                             ;   in Loop: Header=BB136_9 Depth=1
	v_mul_f32_e32 v42, s18, v17
	v_mul_f32_e32 v15, s19, v17
	s_mul_i32 s20, s35, s16
	v_mul_f32_e32 v17, s19, v21
	s_add_i32 s20, s20, s14
	v_fmac_f32_e32 v42, s19, v16
	s_lshl_b64 s[24:25], s[20:21], 3
	v_fma_f32 v41, v16, s18, -v15
	s_add_u32 s24, s36, s24
	s_addc_u32 s25, s37, s25
	s_add_i32 s20, s20, s16
	v_mul_f32_e32 v15, s19, v19
	global_store_b64 v14, v[41:42], s[24:25]
	v_mul_f32_e32 v16, s18, v19
	s_lshl_b64 s[24:25], s[20:21], 3
	v_mul_f32_e32 v19, s18, v21
	s_add_u32 s24, s36, s24
	s_addc_u32 s25, s37, s25
	v_fmac_f32_e32 v16, s19, v18
	s_add_i32 s20, s20, s16
	v_fma_f32 v15, v18, s18, -v15
	v_fma_f32 v18, v20, s18, -v17
	s_waitcnt lgkmcnt(0)
	v_mul_f32_e32 v17, s19, v23
	s_lshl_b64 s[26:27], s[20:21], 3
	v_mul_f32_e32 v21, s18, v23
	s_add_u32 s26, s36, s26
	s_addc_u32 s27, s37, s27
	s_add_i32 s20, s20, s16
	v_fmac_f32_e32 v19, s19, v20
	v_fma_f32 v20, v22, s18, -v17
	v_fmac_f32_e32 v21, s19, v22
	s_lshl_b64 s[28:29], s[20:21], 3
	global_store_b64 v14, v[15:16], s[24:25]
	s_add_u32 s24, s36, s28
	s_addc_u32 s25, s37, s29
	s_clause 0x1
	global_store_b64 v14, v[18:19], s[26:27]
	global_store_b64 v14, v[20:21], s[24:25]
	s_branch .LBB136_8
.LBB136_53:
	s_mov_b32 s35, 0
.LBB136_54:
	s_delay_alu instid0(SALU_CYCLE_1)
	s_cmp_ge_i32 s35, s13
	s_cbranch_scc1 .LBB136_76
; %bb.55:
	v_cmp_gt_u32_e64 s1, 16, v28
	v_cmp_ge_i32_e64 s4, s12, v31
	s_cmp_gt_i32 s34, 0
	s_mov_b32 s15, 0
	s_cselect_b32 s20, -1, 0
	v_cndmask_b32_e64 v2, 0, 1, s1
	v_cmp_gt_u32_e64 s1, 24, v28
	s_lshl_b64 s[14:15], s[14:15], 3
	v_cmp_ge_i32_e32 vcc_lo, s12, v30
	s_add_u32 s12, s36, s14
	v_lshlrev_b32_e32 v2, 4, v2
	v_cndmask_b32_e64 v5, 0, 1, s1
	v_cmp_gt_u32_e64 s1, 28, v28
	s_addc_u32 s14, s37, s15
	v_cmp_gt_u32_e64 s0, 32, v0
	v_add_lshl_u32 v15, v2, v28, 2
	v_lshlrev_b32_e32 v5, 3, v5
	v_cndmask_b32_e64 v6, 0, 1, s1
	v_cmp_gt_u32_e64 s1, 30, v28
	v_ashrrev_i32_e32 v2, 31, v1
	v_cmp_gt_u32_e64 s2, 8, v0
	v_add_lshl_u32 v16, v5, v28, 2
	v_add_nc_u32_e32 v5, s30, v1
	v_cndmask_b32_e64 v7, 0, 1, s1
	v_cmp_ne_u32_e64 s1, 31, v28
	v_lshlrev_b32_e32 v6, 2, v6
	v_lshlrev_b64 v[9:10], 3, v[1:2]
	v_cmp_eq_u32_e64 s3, 0, v0
	v_lshlrev_b32_e32 v7, 1, v7
	v_add_co_ci_u32_e64 v8, s1, 0, v28, s1
	v_add_lshl_u32 v17, v6, v28, 2
	v_ashrrev_i32_e32 v6, 31, v5
	s_delay_alu instid0(VALU_DEP_4)
	v_add_lshl_u32 v18, v7, v28, 2
	v_add_nc_u32_e32 v7, s30, v5
	v_lshlrev_b32_e32 v19, 2, v8
	v_lshlrev_b32_e32 v14, 3, v27
	v_lshlrev_b64 v[11:12], 3, v[5:6]
	v_add_co_u32 v5, s5, s31, v9
	v_ashrrev_i32_e32 v8, 31, v7
	v_add_co_ci_u32_e64 v6, s5, s33, v10, s5
	v_add_nc_u32_e32 v21, s30, v7
	v_cmp_eq_u32_e64 s1, 0, v27
	s_delay_alu instid0(VALU_DEP_4) | instskip(SKIP_1) | instid1(VALU_DEP_1)
	v_lshlrev_b64 v[9:10], 3, v[7:8]
	v_add_co_u32 v7, s5, s31, v11
	v_add_co_ci_u32_e64 v8, s5, s33, v12, s5
	s_waitcnt lgkmcnt(0)
	v_ashrrev_i32_e32 v22, 31, v21
	s_delay_alu instid0(VALU_DEP_4) | instskip(NEXT) | instid1(VALU_DEP_1)
	v_add_co_u32 v9, s5, s31, v9
	v_add_co_ci_u32_e64 v10, s5, s33, v10, s5
	s_and_b32 s5, s20, s4
	s_add_u32 s4, s6, s10
	v_lshlrev_b64 v[11:12], 3, v[21:22]
	s_addc_u32 s6, s7, s11
	s_add_u32 s4, s8, s4
	s_addc_u32 s6, s9, s6
	v_add_co_u32 v0, s4, s4, v3
	s_delay_alu instid0(VALU_DEP_1)
	v_add_co_ci_u32_e64 v4, s4, s6, v4, s4
	v_add_co_u32 v2, s4, s31, v11
	v_mov_b32_e32 v11, 0
	v_add_co_ci_u32_e64 v3, s4, s33, v12, s4
	v_add_co_u32 v0, s4, v0, 4
	v_and_b32_e32 v20, 56, v29
	v_add_co_ci_u32_e64 v4, s4, 0, v4, s4
	s_mul_i32 s6, s35, s17
	s_branch .LBB136_57
.LBB136_56:                             ;   in Loop: Header=BB136_57 Depth=1
	s_or_b32 exec_lo, exec_lo, s4
	s_add_i32 s35, s35, 1
	s_add_i32 s6, s6, s17
	s_cmp_lt_i32 s35, s13
	s_cbranch_scc0 .LBB136_76
.LBB136_57:                             ; =>This Loop Header: Depth=1
                                        ;     Child Loop BB136_69 Depth 2
                                        ;     Child Loop BB136_71 Depth 2
                                        ; implicit-def: $vgpr21
                                        ; implicit-def: $vgpr22
	s_and_saveexec_b32 s4, vcc_lo
	s_delay_alu instid0(SALU_CYCLE_1)
	s_xor_b32 s7, exec_lo, s4
	s_cbranch_execnz .LBB136_66
; %bb.58:                               ;   in Loop: Header=BB136_57 Depth=1
	s_and_not1_saveexec_b32 s8, s7
	s_cbranch_execnz .LBB136_67
.LBB136_59:                             ;   in Loop: Header=BB136_57 Depth=1
	s_or_b32 exec_lo, exec_lo, s8
	s_and_saveexec_b32 s4, s0
	s_cbranch_execz .LBB136_61
.LBB136_60:                             ;   in Loop: Header=BB136_57 Depth=1
	s_waitcnt lgkmcnt(0)
	v_mov_b32_e32 v12, v11
	ds_store_b64 v14, v[11:12]
.LBB136_61:                             ;   in Loop: Header=BB136_57 Depth=1
	s_or_b32 exec_lo, exec_lo, s4
	s_waitcnt lgkmcnt(0)
	ds_bpermute_b32 v12, v15, v21
	ds_bpermute_b32 v13, v15, v22
	s_waitcnt lgkmcnt(0)
	s_waitcnt_vscnt null, 0x0
	s_barrier
	buffer_gl0_inv
	v_dual_add_f32 v12, v21, v12 :: v_dual_add_f32 v13, v22, v13
	ds_bpermute_b32 v21, v16, v12
	ds_bpermute_b32 v22, v16, v13
	s_waitcnt lgkmcnt(0)
	v_dual_add_f32 v12, v12, v21 :: v_dual_add_f32 v13, v13, v22
	ds_bpermute_b32 v21, v17, v12
	ds_bpermute_b32 v22, v17, v13
	s_waitcnt lgkmcnt(0)
	;; [unrolled: 4-line block ×3, first 2 shown]
	v_dual_add_f32 v12, v12, v21 :: v_dual_add_f32 v13, v13, v22
	ds_bpermute_b32 v21, v19, v12
	ds_bpermute_b32 v22, v19, v13
	s_and_saveexec_b32 s4, s1
	s_cbranch_execz .LBB136_63
; %bb.62:                               ;   in Loop: Header=BB136_57 Depth=1
	s_waitcnt lgkmcnt(0)
	v_dual_add_f32 v13, v13, v22 :: v_dual_add_f32 v12, v12, v21
	ds_store_b64 v20, v[12:13]
.LBB136_63:                             ;   in Loop: Header=BB136_57 Depth=1
	s_or_b32 exec_lo, exec_lo, s4
	v_dual_mov_b32 v13, 0 :: v_dual_mov_b32 v12, 0
	s_waitcnt lgkmcnt(0)
	s_barrier
	buffer_gl0_inv
	s_and_saveexec_b32 s4, s2
	s_cbranch_execnz .LBB136_73
; %bb.64:                               ;   in Loop: Header=BB136_57 Depth=1
	s_or_b32 exec_lo, exec_lo, s4
	s_and_saveexec_b32 s4, s0
	s_cbranch_execnz .LBB136_74
.LBB136_65:                             ;   in Loop: Header=BB136_57 Depth=1
	s_or_b32 exec_lo, exec_lo, s4
	s_and_saveexec_b32 s4, s3
	s_cbranch_execz .LBB136_56
	s_branch .LBB136_75
.LBB136_66:                             ;   in Loop: Header=BB136_57 Depth=1
	s_mul_i32 s8, s35, s17
	s_delay_alu instid0(SALU_CYCLE_1) | instskip(NEXT) | instid1(SALU_CYCLE_1)
	s_ashr_i32 s9, s8, 31
	s_lshl_b64 s[8:9], s[8:9], 3
	s_waitcnt lgkmcnt(0)
	v_add_co_u32 v12, s4, v24, s8
	s_delay_alu instid0(VALU_DEP_1)
	v_add_co_ci_u32_e64 v13, s4, s9, v25, s4
	global_load_b128 v[27:30], v[12:13], off
	s_clause 0x1
	global_load_b64 v[31:32], v[5:6], off
	global_load_b64 v[33:34], v[7:8], off
	global_load_b128 v[35:38], v[12:13], off offset:16
	s_clause 0x1
	global_load_b64 v[39:40], v[9:10], off
	global_load_b64 v[41:42], v[2:3], off
	s_waitcnt vmcnt(3)
	scratch_store_b128 off, v[31:34], off
	s_waitcnt vmcnt(0)
	scratch_store_b128 off, v[39:42], off offset:16
	v_dual_mul_f32 v12, v28, v32 :: v_dual_mul_f32 v21, v30, v34
	v_dual_mul_f32 v13, v28, v31 :: v_dual_mul_f32 v22, v30, v33
	s_delay_alu instid0(VALU_DEP_2) | instskip(NEXT) | instid1(VALU_DEP_3)
	v_dual_mul_f32 v23, v36, v40 :: v_dual_fmac_f32 v12, v27, v31
	v_fmac_f32_e32 v21, v29, v33
	s_delay_alu instid0(VALU_DEP_3) | instskip(SKIP_1) | instid1(VALU_DEP_4)
	v_fma_f32 v13, v27, v32, -v13
	v_dual_mul_f32 v28, v36, v39 :: v_dual_mul_f32 v27, v38, v42
	v_add_f32_e32 v12, 0, v12
	v_fma_f32 v22, v29, v34, -v22
	v_fmac_f32_e32 v23, v35, v39
	s_delay_alu instid0(VALU_DEP_4) | instskip(SKIP_2) | instid1(VALU_DEP_1)
	v_fma_f32 v28, v35, v40, -v28
	v_fmac_f32_e32 v27, v37, v41
	v_add_f32_e32 v12, v12, v21
	v_dual_add_f32 v13, 0, v13 :: v_dual_add_f32 v12, v12, v23
	s_delay_alu instid0(VALU_DEP_1) | instskip(NEXT) | instid1(VALU_DEP_2)
	v_add_f32_e32 v13, v13, v22
	v_add_f32_e32 v21, v12, v27
	s_delay_alu instid0(VALU_DEP_2) | instskip(SKIP_1) | instid1(VALU_DEP_1)
	v_add_f32_e32 v13, v13, v28
	v_mul_f32_e32 v29, v38, v41
	v_fma_f32 v22, v37, v42, -v29
	s_delay_alu instid0(VALU_DEP_1)
	v_add_f32_e32 v22, v13, v22
	s_and_not1_saveexec_b32 s8, s7
	s_cbranch_execz .LBB136_59
.LBB136_67:                             ;   in Loop: Header=BB136_57 Depth=1
	v_dual_mov_b32 v21, 0 :: v_dual_mov_b32 v22, 0
	s_and_saveexec_b32 s9, s5
	s_cbranch_execz .LBB136_72
; %bb.68:                               ;   in Loop: Header=BB136_57 Depth=1
	s_waitcnt lgkmcnt(0)
	v_dual_mov_b32 v21, 0 :: v_dual_mov_b32 v12, v1
	s_mov_b32 s7, s34
.LBB136_69:                             ;   Parent Loop BB136_57 Depth=1
                                        ; =>  This Inner Loop Header: Depth=2
	s_delay_alu instid0(VALU_DEP_1) | instskip(SKIP_1) | instid1(SALU_CYCLE_1)
	v_ashrrev_i32_e32 v13, 31, v12
	s_add_i32 s7, s7, -1
	s_cmp_eq_u32 s7, 0
	s_delay_alu instid0(VALU_DEP_1) | instskip(SKIP_1) | instid1(VALU_DEP_2)
	v_lshlrev_b64 v[22:23], 3, v[12:13]
	v_add_nc_u32_e32 v12, s30, v12
	v_add_co_u32 v22, s4, s31, v22
	s_delay_alu instid0(VALU_DEP_1)
	v_add_co_ci_u32_e64 v23, s4, s33, v23, s4
	global_load_b64 v[22:23], v[22:23], off
	s_waitcnt vmcnt(0)
	scratch_store_b64 v21, v[22:23], off
	v_add_nc_u32_e32 v21, 8, v21
	s_cbranch_scc0 .LBB136_69
; %bb.70:                               ;   in Loop: Header=BB136_57 Depth=1
	s_ashr_i32 s7, s6, 31
	v_dual_mov_b32 v21, 0 :: v_dual_mov_b32 v22, 0
	s_lshl_b64 s[10:11], s[6:7], 3
	v_mov_b32_e32 v23, v26
	v_add_co_u32 v12, s4, v0, s10
	s_delay_alu instid0(VALU_DEP_1)
	v_add_co_ci_u32_e64 v13, s4, s11, v4, s4
	s_mov_b32 s7, s34
	.p2align	6
.LBB136_71:                             ;   Parent Loop BB136_57 Depth=1
                                        ; =>  This Inner Loop Header: Depth=2
	global_load_b64 v[27:28], v[12:13], off offset:-4
	scratch_load_b64 v[29:30], v23, off offset:-4
	v_add_co_u32 v12, s4, v12, 8
	s_delay_alu instid0(VALU_DEP_1)
	v_add_co_ci_u32_e64 v13, s4, 0, v13, s4
	s_add_i32 s7, s7, -1
	v_add_nc_u32_e32 v23, 8, v23
	s_cmp_lg_u32 s7, 0
	s_waitcnt vmcnt(0)
	v_mul_f32_e32 v31, v28, v30
	v_mul_f32_e32 v28, v28, v29
	s_delay_alu instid0(VALU_DEP_2) | instskip(NEXT) | instid1(VALU_DEP_2)
	v_fmac_f32_e32 v31, v27, v29
	v_fma_f32 v27, v27, v30, -v28
	s_delay_alu instid0(VALU_DEP_2) | instskip(NEXT) | instid1(VALU_DEP_2)
	v_add_f32_e32 v21, v21, v31
	v_add_f32_e32 v22, v22, v27
	s_cbranch_scc1 .LBB136_71
.LBB136_72:                             ;   in Loop: Header=BB136_57 Depth=1
	s_or_b32 exec_lo, exec_lo, s9
	s_delay_alu instid0(SALU_CYCLE_1)
	s_or_b32 exec_lo, exec_lo, s8
	s_and_saveexec_b32 s4, s0
	s_cbranch_execnz .LBB136_60
	s_branch .LBB136_61
.LBB136_73:                             ;   in Loop: Header=BB136_57 Depth=1
	ds_load_b64 v[12:13], v14
	s_or_b32 exec_lo, exec_lo, s4
	s_and_saveexec_b32 s4, s0
	s_cbranch_execz .LBB136_65
.LBB136_74:                             ;   in Loop: Header=BB136_57 Depth=1
	s_waitcnt lgkmcnt(0)
	ds_bpermute_b32 v21, v17, v12
	ds_bpermute_b32 v22, v17, v13
	s_waitcnt lgkmcnt(0)
	v_dual_add_f32 v12, v12, v21 :: v_dual_add_f32 v13, v13, v22
	ds_bpermute_b32 v21, v18, v12
	ds_bpermute_b32 v22, v18, v13
	s_waitcnt lgkmcnt(0)
	v_dual_add_f32 v12, v12, v21 :: v_dual_add_f32 v13, v13, v22
	;; [unrolled: 4-line block ×3, first 2 shown]
	s_or_b32 exec_lo, exec_lo, s4
	s_and_saveexec_b32 s4, s3
	s_cbranch_execz .LBB136_56
.LBB136_75:                             ;   in Loop: Header=BB136_57 Depth=1
	s_waitcnt lgkmcnt(0)
	v_mul_f32_e32 v22, s18, v13
	v_mul_f32_e32 v21, s19, v13
	s_mul_hi_u32 s9, s35, s16
	s_mul_i32 s8, s35, s16
	s_delay_alu instid0(VALU_DEP_2) | instskip(NEXT) | instid1(VALU_DEP_2)
	v_fmac_f32_e32 v22, s19, v12
	v_fma_f32 v21, v12, s18, -v21
	s_lshl_b64 s[8:9], s[8:9], 3
	s_delay_alu instid0(SALU_CYCLE_1)
	s_add_u32 s8, s12, s8
	s_addc_u32 s9, s14, s9
	global_store_b64 v11, v[21:22], s[8:9]
	s_branch .LBB136_56
.LBB136_76:
	s_nop 0
	s_sendmsg sendmsg(MSG_DEALLOC_VGPRS)
	s_endpgm
	.section	.rodata,"a",@progbits
	.p2align	6, 0x0
	.amdhsa_kernel _ZL23rocblas_gemvt_sn_kernelILb1ELi256ELi4Ei19rocblas_complex_numIfEPKS1_S1_EviiT4_lPKT3_lilS7_lilPT5_i
		.amdhsa_group_segment_fixed_size 256
		.amdhsa_private_segment_fixed_size 48
		.amdhsa_kernarg_size 360
		.amdhsa_user_sgpr_count 14
		.amdhsa_user_sgpr_dispatch_ptr 0
		.amdhsa_user_sgpr_queue_ptr 0
		.amdhsa_user_sgpr_kernarg_segment_ptr 1
		.amdhsa_user_sgpr_dispatch_id 0
		.amdhsa_user_sgpr_private_segment_size 0
		.amdhsa_wavefront_size32 1
		.amdhsa_uses_dynamic_stack 0
		.amdhsa_enable_private_segment 1
		.amdhsa_system_sgpr_workgroup_id_x 1
		.amdhsa_system_sgpr_workgroup_id_y 0
		.amdhsa_system_sgpr_workgroup_id_z 1
		.amdhsa_system_sgpr_workgroup_info 0
		.amdhsa_system_vgpr_workitem_id 0
		.amdhsa_next_free_vgpr 84
		.amdhsa_next_free_sgpr 50
		.amdhsa_reserve_vcc 1
		.amdhsa_float_round_mode_32 0
		.amdhsa_float_round_mode_16_64 0
		.amdhsa_float_denorm_mode_32 3
		.amdhsa_float_denorm_mode_16_64 3
		.amdhsa_dx10_clamp 1
		.amdhsa_ieee_mode 1
		.amdhsa_fp16_overflow 0
		.amdhsa_workgroup_processor_mode 1
		.amdhsa_memory_ordered 1
		.amdhsa_forward_progress 0
		.amdhsa_shared_vgpr_count 0
		.amdhsa_exception_fp_ieee_invalid_op 0
		.amdhsa_exception_fp_denorm_src 0
		.amdhsa_exception_fp_ieee_div_zero 0
		.amdhsa_exception_fp_ieee_overflow 0
		.amdhsa_exception_fp_ieee_underflow 0
		.amdhsa_exception_fp_ieee_inexact 0
		.amdhsa_exception_int_div_zero 0
	.end_amdhsa_kernel
	.section	.text._ZL23rocblas_gemvt_sn_kernelILb1ELi256ELi4Ei19rocblas_complex_numIfEPKS1_S1_EviiT4_lPKT3_lilS7_lilPT5_i,"axG",@progbits,_ZL23rocblas_gemvt_sn_kernelILb1ELi256ELi4Ei19rocblas_complex_numIfEPKS1_S1_EviiT4_lPKT3_lilS7_lilPT5_i,comdat
.Lfunc_end136:
	.size	_ZL23rocblas_gemvt_sn_kernelILb1ELi256ELi4Ei19rocblas_complex_numIfEPKS1_S1_EviiT4_lPKT3_lilS7_lilPT5_i, .Lfunc_end136-_ZL23rocblas_gemvt_sn_kernelILb1ELi256ELi4Ei19rocblas_complex_numIfEPKS1_S1_EviiT4_lPKT3_lilS7_lilPT5_i
                                        ; -- End function
	.section	.AMDGPU.csdata,"",@progbits
; Kernel info:
; codeLenInByte = 5516
; NumSgprs: 52
; NumVgprs: 84
; ScratchSize: 48
; MemoryBound: 0
; FloatMode: 240
; IeeeMode: 1
; LDSByteSize: 256 bytes/workgroup (compile time only)
; SGPRBlocks: 6
; VGPRBlocks: 10
; NumSGPRsForWavesPerEU: 52
; NumVGPRsForWavesPerEU: 84
; Occupancy: 16
; WaveLimiterHint : 1
; COMPUTE_PGM_RSRC2:SCRATCH_EN: 1
; COMPUTE_PGM_RSRC2:USER_SGPR: 14
; COMPUTE_PGM_RSRC2:TRAP_HANDLER: 0
; COMPUTE_PGM_RSRC2:TGID_X_EN: 1
; COMPUTE_PGM_RSRC2:TGID_Y_EN: 0
; COMPUTE_PGM_RSRC2:TGID_Z_EN: 1
; COMPUTE_PGM_RSRC2:TIDIG_COMP_CNT: 0
	.section	.text._ZL23rocblas_gemvt_sn_kernelILb1ELi256ELi4El19rocblas_complex_numIfEPKS1_S1_EviiT4_lPKT3_lilS7_lilPT5_i,"axG",@progbits,_ZL23rocblas_gemvt_sn_kernelILb1ELi256ELi4El19rocblas_complex_numIfEPKS1_S1_EviiT4_lPKT3_lilS7_lilPT5_i,comdat
	.globl	_ZL23rocblas_gemvt_sn_kernelILb1ELi256ELi4El19rocblas_complex_numIfEPKS1_S1_EviiT4_lPKT3_lilS7_lilPT5_i ; -- Begin function _ZL23rocblas_gemvt_sn_kernelILb1ELi256ELi4El19rocblas_complex_numIfEPKS1_S1_EviiT4_lPKT3_lilS7_lilPT5_i
	.p2align	8
	.type	_ZL23rocblas_gemvt_sn_kernelILb1ELi256ELi4El19rocblas_complex_numIfEPKS1_S1_EviiT4_lPKT3_lilS7_lilPT5_i,@function
_ZL23rocblas_gemvt_sn_kernelILb1ELi256ELi4El19rocblas_complex_numIfEPKS1_S1_EviiT4_lPKT3_lilS7_lilPT5_i: ; @_ZL23rocblas_gemvt_sn_kernelILb1ELi256ELi4El19rocblas_complex_numIfEPKS1_S1_EviiT4_lPKT3_lilS7_lilPT5_i
; %bb.0:
	s_clause 0x2
	s_load_b256 s[4:11], s[0:1], 0x8
	s_load_b64 s[12:13], s[0:1], 0x0
	s_load_b32 s20, s[0:1], 0x68
	v_cmp_eq_u32_e32 vcc_lo, 0, v0
	s_mov_b32 s21, 0
	s_waitcnt lgkmcnt(0)
	s_mul_i32 s3, s15, s7
	s_mul_hi_u32 s7, s15, s6
	s_mul_i32 s2, s15, s6
	s_add_i32 s3, s7, s3
	s_delay_alu instid0(SALU_CYCLE_1) | instskip(NEXT) | instid1(SALU_CYCLE_1)
	s_lshl_b64 s[2:3], s[2:3], 3
	s_add_u32 s2, s4, s2
	s_addc_u32 s3, s5, s3
	s_load_b64 s[22:23], s[2:3], 0x0
	s_load_b128 s[16:19], s[0:1], 0x50
	s_ashr_i32 s30, s13, 31
	s_mul_hi_u32 s2, s13, s15
	s_mul_i32 s3, s30, s15
	s_mul_i32 s4, s13, s15
	s_add_i32 s2, s2, s3
	s_mul_hi_u32 s3, s4, s20
	s_mul_i32 s2, s2, s20
	s_delay_alu instid0(SALU_CYCLE_1) | instskip(SKIP_4) | instid1(SALU_CYCLE_1)
	s_add_i32 s3, s3, s2
	s_mul_i32 s2, s4, s20
	s_mov_b32 s4, -1
	s_waitcnt lgkmcnt(0)
	s_or_b32 s5, s22, s23
	s_bitset0_b32 s5, 31
	s_delay_alu instid0(SALU_CYCLE_1)
	s_cmp_lg_u32 s5, 0
	s_cbranch_scc1 .LBB137_5
; %bb.1:
	s_cmp_gt_i32 s13, 0
	s_cselect_b32 s4, -1, 0
	s_delay_alu instid0(SALU_CYCLE_1) | instskip(NEXT) | instid1(SALU_CYCLE_1)
	s_and_b32 s4, vcc_lo, s4
	s_and_saveexec_b32 s24, s4
	s_cbranch_execz .LBB137_4
; %bb.2:
	s_mov_b32 s4, s15
	s_mov_b32 s15, 0
	v_mov_b32_e32 v1, 0
	s_lshl_b64 s[6:7], s[2:3], 3
	s_lshl_b64 s[26:27], s[14:15], 3
	s_mov_b32 s15, s4
	s_add_u32 s4, s6, s26
	s_addc_u32 s5, s7, s27
	s_add_u32 s4, s4, s18
	v_mov_b32_e32 v2, v1
	s_addc_u32 s5, s5, s19
	s_add_u32 s4, s4, 4
	s_addc_u32 s5, s5, 0
	s_lshl_b64 s[6:7], s[20:21], 3
	s_mov_b32 s21, s13
.LBB137_3:                              ; =>This Inner Loop Header: Depth=1
	s_delay_alu instid0(SALU_CYCLE_1)
	s_add_i32 s21, s21, -1
	global_store_b64 v1, v[1:2], s[4:5] offset:-4
	s_add_u32 s4, s4, s6
	s_addc_u32 s5, s5, s7
	s_cmp_eq_u32 s21, 0
	s_cbranch_scc0 .LBB137_3
.LBB137_4:
	s_or_b32 exec_lo, exec_lo, s24
	s_mov_b32 s4, 0
.LBB137_5:
	s_delay_alu instid0(SALU_CYCLE_1)
	s_and_not1_b32 vcc_lo, exec_lo, s4
	s_cbranch_vccnz .LBB137_76
; %bb.6:
	s_clause 0x3
	s_load_b32 s24, s[0:1], 0x28
	s_load_b32 s26, s[0:1], 0x48
	s_load_b128 s[4:7], s[0:1], 0x30
	s_load_b64 s[28:29], s[0:1], 0x40
	s_mul_i32 s0, s15, s17
	s_mul_hi_u32 s1, s15, s16
	s_mul_i32 s16, s15, s16
	s_add_i32 s17, s1, s0
	v_and_b32_e32 v30, 31, v0
	s_lshl_b64 s[16:17], s[16:17], 3
	v_cmp_gt_u32_e64 s0, 32, v0
	v_mbcnt_lo_u32_b32 v34, -1, 0
	v_lshrrev_b32_e32 v32, 2, v0
	v_or_b32_e64 v28, 0, 4
	s_waitcnt lgkmcnt(0)
	s_ashr_i32 s25, s24, 31
	s_ashr_i32 s27, s26, 31
	s_mul_i32 s1, s15, s5
	s_add_u32 s5, s6, s16
	s_addc_u32 s21, s7, s17
	s_lshl_b64 s[28:29], s[28:29], 3
	s_mul_hi_u32 s31, s15, s4
	s_add_u32 s33, s5, s28
	s_addc_u32 s38, s21, s29
	s_lshl_b64 s[2:3], s[2:3], 3
	s_mul_i32 s4, s15, s4
	s_add_u32 s39, s18, s2
	s_addc_u32 s40, s19, s3
	s_add_i32 s5, s31, s1
	v_cmp_gt_u32_e64 s1, 8, v0
	s_lshl_b64 s[18:19], s[4:5], 3
	s_delay_alu instid0(SALU_CYCLE_1) | instskip(SKIP_2) | instid1(SALU_CYCLE_1)
	s_add_u32 s2, s8, s18
	s_addc_u32 s3, s9, s19
	s_lshl_b64 s[10:11], s[10:11], 3
	s_add_u32 s2, s2, s10
	s_addc_u32 s3, s3, s11
	s_lshl_b32 s4, s14, 10
	s_ashr_i32 s5, s12, 31
	v_lshl_or_b32 v5, v0, 2, s4
	s_lshr_b32 s4, s30, 30
	s_lshr_b32 s5, s5, 30
	s_add_i32 s4, s13, s4
	s_add_i32 s5, s12, s5
	v_ashrrev_i32_e32 v6, 31, v5
	s_and_b32 s41, s4, -4
	s_and_b32 s4, s5, -4
	v_add_nc_u32_e32 v35, 4, v5
	s_sub_i32 s21, s12, s4
	v_lshlrev_b64 v[3:4], 3, v[5:6]
	v_or_b32_e32 v33, 1, v5
	v_or_b32_e32 v31, 2, v5
	;; [unrolled: 1-line block ×3, first 2 shown]
	v_add_nc_u32_e32 v36, s21, v5
	s_cmp_lt_i32 s41, 1
	v_add_co_u32 v1, vcc_lo, s2, v3
	v_add_co_ci_u32_e32 v2, vcc_lo, s3, v4, vcc_lo
	s_cbranch_scc1 .LBB137_53
; %bb.7:
	v_cmp_gt_u32_e32 vcc_lo, 16, v34
	v_mad_i64_i32 v[12:13], null, s26, v29, 0
	s_mov_b32 s15, 0
	s_cmp_gt_i32 s21, 0
	v_cndmask_b32_e64 v6, 0, 1, vcc_lo
	v_cmp_gt_u32_e32 vcc_lo, 24, v34
	s_cselect_b32 s42, -1, 0
	s_lshl_b64 s[30:31], s[14:15], 3
	s_delay_alu instid0(VALU_DEP_3) | instskip(SKIP_4) | instid1(VALU_DEP_3)
	v_lshlrev_b64 v[12:13], 3, v[12:13]
	v_dual_mov_b32 v19, v2 :: v_dual_lshlrev_b32 v6, 4, v6
	v_cndmask_b32_e64 v7, 0, 1, vcc_lo
	v_cmp_gt_u32_e32 vcc_lo, 28, v34
	s_add_u32 s43, s39, s30
	v_add_lshl_u32 v37, v6, v34, 2
	s_delay_alu instid0(VALU_DEP_3)
	v_dual_mov_b32 v16, 0 :: v_dual_lshlrev_b32 v7, 3, v7
	v_cndmask_b32_e64 v8, 0, 1, vcc_lo
	v_cmp_gt_u32_e32 vcc_lo, 30, v34
	s_addc_u32 s44, s40, s31
	s_add_u32 s30, s6, s28
	v_add_lshl_u32 v38, v7, v34, 2
	v_lshlrev_b32_e32 v8, 2, v8
	v_cndmask_b32_e64 v9, 0, 1, vcc_lo
	v_cmp_ne_u32_e32 vcc_lo, 31, v34
	v_mad_i64_i32 v[6:7], null, s26, v5, 0
	s_delay_alu instid0(VALU_DEP_4) | instskip(NEXT) | instid1(VALU_DEP_4)
	v_add_lshl_u32 v39, v8, v34, 2
	v_dual_mov_b32 v18, v1 :: v_dual_lshlrev_b32 v9, 1, v9
	v_add_co_ci_u32_e32 v10, vcc_lo, 0, v34, vcc_lo
	s_addc_u32 s31, s7, s29
	s_delay_alu instid0(VALU_DEP_2) | instskip(SKIP_1) | instid1(VALU_DEP_3)
	v_add_lshl_u32 v40, v9, v34, 2
	v_mad_i64_i32 v[8:9], null, s26, v33, 0
	v_lshlrev_b32_e32 v41, 2, v10
	v_mad_i64_i32 v[10:11], null, s26, v31, 0
	v_lshlrev_b64 v[14:15], 3, v[6:7]
	s_add_u32 s30, s30, s16
	s_addc_u32 s31, s31, s17
	s_delay_alu instid0(VALU_DEP_4)
	v_lshlrev_b64 v[8:9], 3, v[8:9]
	v_cmp_ge_i32_e64 s2, s12, v35
	v_cmp_ge_i32_e64 s3, s12, v36
	v_add_co_u32 v6, vcc_lo, s33, v14
	v_lshlrev_b64 v[10:11], 3, v[10:11]
	v_add_co_ci_u32_e32 v7, vcc_lo, s38, v15, vcc_lo
	v_add_co_u32 v8, vcc_lo, s33, v8
	v_add_co_ci_u32_e32 v9, vcc_lo, s38, v9, vcc_lo
	s_delay_alu instid0(VALU_DEP_4)
	v_add_co_u32 v10, vcc_lo, s33, v10
	v_add_co_ci_u32_e32 v11, vcc_lo, s38, v11, vcc_lo
	v_add_co_u32 v12, vcc_lo, s33, v12
	v_add_co_ci_u32_e32 v13, vcc_lo, s38, v13, vcc_lo
	v_add_co_u32 v14, vcc_lo, s30, v14
	v_cmp_eq_u32_e64 s4, 0, v30
	v_lshlrev_b32_e32 v42, 3, v30
	v_and_b32_e32 v43, 56, v32
	v_cmp_eq_u32_e64 s5, 0, v0
	v_add_co_ci_u32_e32 v15, vcc_lo, s31, v15, vcc_lo
	v_or_b32_e64 v44, 0, 4
	s_lshl_b64 s[30:31], s[26:27], 3
	s_lshl_b64 s[34:35], s[24:25], 5
	;; [unrolled: 1-line block ×3, first 2 shown]
	s_branch .LBB137_9
.LBB137_8:                              ;   in Loop: Header=BB137_9 Depth=1
	s_or_b32 exec_lo, exec_lo, s45
	v_add_co_u32 v18, vcc_lo, v18, s34
	v_add_co_ci_u32_e32 v19, vcc_lo, s35, v19, vcc_lo
	s_add_i32 s15, s15, 4
	s_delay_alu instid0(SALU_CYCLE_1)
	s_cmp_ge_i32 s15, s41
	s_cbranch_scc1 .LBB137_54
.LBB137_9:                              ; =>This Loop Header: Depth=1
                                        ;     Child Loop BB137_40 Depth 2
                                        ;     Child Loop BB137_42 Depth 2
                                        ; implicit-def: $vgpr45
                                        ; implicit-def: $vgpr46
                                        ; implicit-def: $vgpr22
                                        ; implicit-def: $vgpr23
                                        ; implicit-def: $vgpr24
                                        ; implicit-def: $vgpr25
                                        ; implicit-def: $vgpr27
                                        ; implicit-def: $vgpr26
	s_and_saveexec_b32 s45, s2
	s_delay_alu instid0(SALU_CYCLE_1)
	s_xor_b32 s45, exec_lo, s45
	s_cbranch_execnz .LBB137_36
; %bb.10:                               ;   in Loop: Header=BB137_9 Depth=1
	s_and_not1_saveexec_b32 s45, s45
	s_cbranch_execnz .LBB137_37
.LBB137_11:                             ;   in Loop: Header=BB137_9 Depth=1
	s_or_b32 exec_lo, exec_lo, s45
	s_and_saveexec_b32 s45, s0
	s_cbranch_execz .LBB137_13
.LBB137_12:                             ;   in Loop: Header=BB137_9 Depth=1
	v_mov_b32_e32 v17, v16
	ds_store_b64 v42, v[16:17]
.LBB137_13:                             ;   in Loop: Header=BB137_9 Depth=1
	s_or_b32 exec_lo, exec_lo, s45
	ds_bpermute_b32 v17, v37, v45
	ds_bpermute_b32 v20, v37, v46
	s_waitcnt lgkmcnt(0)
	s_waitcnt_vscnt null, 0x0
	s_barrier
	buffer_gl0_inv
	v_dual_add_f32 v17, v45, v17 :: v_dual_add_f32 v20, v46, v20
	ds_bpermute_b32 v21, v38, v17
	ds_bpermute_b32 v45, v38, v20
	s_waitcnt lgkmcnt(1)
	v_add_f32_e32 v17, v17, v21
	s_waitcnt lgkmcnt(0)
	v_add_f32_e32 v20, v20, v45
	ds_bpermute_b32 v21, v39, v17
	ds_bpermute_b32 v45, v39, v20
	s_waitcnt lgkmcnt(1)
	v_add_f32_e32 v17, v17, v21
	s_waitcnt lgkmcnt(0)
	v_add_f32_e32 v20, v20, v45
	;; [unrolled: 6-line block ×3, first 2 shown]
	ds_bpermute_b32 v21, v41, v17
	ds_bpermute_b32 v45, v41, v20
	s_and_saveexec_b32 s45, s4
	s_cbranch_execz .LBB137_15
; %bb.14:                               ;   in Loop: Header=BB137_9 Depth=1
	s_waitcnt lgkmcnt(0)
	v_add_f32_e32 v46, v20, v45
	v_add_f32_e32 v45, v17, v21
	ds_store_b64 v43, v[45:46]
.LBB137_15:                             ;   in Loop: Header=BB137_9 Depth=1
	s_or_b32 exec_lo, exec_lo, s45
	s_waitcnt lgkmcnt(1)
	v_dual_mov_b32 v21, 0 :: v_dual_mov_b32 v20, 0
	s_waitcnt lgkmcnt(0)
	s_barrier
	buffer_gl0_inv
	s_and_saveexec_b32 s45, s1
	s_cbranch_execnz .LBB137_44
; %bb.16:                               ;   in Loop: Header=BB137_9 Depth=1
	s_or_b32 exec_lo, exec_lo, s45
	s_and_saveexec_b32 s45, s0
	s_cbranch_execnz .LBB137_45
.LBB137_17:                             ;   in Loop: Header=BB137_9 Depth=1
	s_or_b32 exec_lo, exec_lo, s45
	s_and_saveexec_b32 s45, s0
	s_cbranch_execz .LBB137_19
.LBB137_18:                             ;   in Loop: Header=BB137_9 Depth=1
	v_mov_b32_e32 v17, v16
	ds_store_b64 v42, v[16:17]
.LBB137_19:                             ;   in Loop: Header=BB137_9 Depth=1
	s_or_b32 exec_lo, exec_lo, s45
	ds_bpermute_b32 v17, v37, v22
	ds_bpermute_b32 v45, v37, v23
	s_waitcnt lgkmcnt(0)
	s_barrier
	buffer_gl0_inv
	v_add_f32_e32 v17, v22, v17
	v_add_f32_e32 v22, v23, v45
	ds_bpermute_b32 v23, v38, v17
	s_waitcnt lgkmcnt(0)
	v_add_f32_e32 v17, v17, v23
	ds_bpermute_b32 v45, v38, v22
	ds_bpermute_b32 v23, v39, v17
	s_waitcnt lgkmcnt(0)
	v_dual_add_f32 v22, v22, v45 :: v_dual_add_f32 v17, v17, v23
	ds_bpermute_b32 v45, v39, v22
	ds_bpermute_b32 v23, v40, v17
	s_waitcnt lgkmcnt(0)
	v_dual_add_f32 v22, v22, v45 :: v_dual_add_f32 v17, v17, v23
	ds_bpermute_b32 v45, v40, v22
	ds_bpermute_b32 v23, v41, v17
	s_waitcnt lgkmcnt(1)
	v_add_f32_e32 v22, v22, v45
	ds_bpermute_b32 v45, v41, v22
	s_and_saveexec_b32 s45, s4
	s_cbranch_execz .LBB137_21
; %bb.20:                               ;   in Loop: Header=BB137_9 Depth=1
	s_waitcnt lgkmcnt(0)
	v_dual_add_f32 v46, v22, v45 :: v_dual_add_f32 v45, v17, v23
	ds_store_b64 v43, v[45:46]
.LBB137_21:                             ;   in Loop: Header=BB137_9 Depth=1
	s_or_b32 exec_lo, exec_lo, s45
	s_waitcnt lgkmcnt(1)
	v_dual_mov_b32 v23, 0 :: v_dual_mov_b32 v22, 0
	s_waitcnt lgkmcnt(0)
	s_barrier
	buffer_gl0_inv
	s_and_saveexec_b32 s45, s1
	s_cbranch_execnz .LBB137_46
; %bb.22:                               ;   in Loop: Header=BB137_9 Depth=1
	s_or_b32 exec_lo, exec_lo, s45
	s_and_saveexec_b32 s45, s0
	s_cbranch_execnz .LBB137_47
.LBB137_23:                             ;   in Loop: Header=BB137_9 Depth=1
	s_or_b32 exec_lo, exec_lo, s45
	s_and_saveexec_b32 s45, s0
	s_cbranch_execz .LBB137_25
.LBB137_24:                             ;   in Loop: Header=BB137_9 Depth=1
	v_mov_b32_e32 v17, v16
	ds_store_b64 v42, v[16:17]
.LBB137_25:                             ;   in Loop: Header=BB137_9 Depth=1
	s_or_b32 exec_lo, exec_lo, s45
	ds_bpermute_b32 v17, v37, v24
	ds_bpermute_b32 v45, v37, v25
	s_waitcnt lgkmcnt(0)
	s_barrier
	buffer_gl0_inv
	v_add_f32_e32 v17, v24, v17
	v_add_f32_e32 v24, v25, v45
	ds_bpermute_b32 v25, v38, v17
	ds_bpermute_b32 v45, v38, v24
	s_waitcnt lgkmcnt(1)
	v_add_f32_e32 v17, v17, v25
	s_waitcnt lgkmcnt(0)
	v_add_f32_e32 v24, v24, v45
	ds_bpermute_b32 v25, v39, v17
	ds_bpermute_b32 v45, v39, v24
	s_waitcnt lgkmcnt(1)
	v_add_f32_e32 v17, v17, v25
	s_waitcnt lgkmcnt(0)
	;; [unrolled: 6-line block ×3, first 2 shown]
	v_add_f32_e32 v24, v24, v45
	ds_bpermute_b32 v25, v41, v17
	ds_bpermute_b32 v45, v41, v24
	s_and_saveexec_b32 s45, s4
	s_cbranch_execz .LBB137_27
; %bb.26:                               ;   in Loop: Header=BB137_9 Depth=1
	s_waitcnt lgkmcnt(0)
	v_add_f32_e32 v46, v24, v45
	v_add_f32_e32 v45, v17, v25
	ds_store_b64 v43, v[45:46]
.LBB137_27:                             ;   in Loop: Header=BB137_9 Depth=1
	s_or_b32 exec_lo, exec_lo, s45
	s_waitcnt lgkmcnt(1)
	v_dual_mov_b32 v25, 0 :: v_dual_mov_b32 v24, 0
	s_waitcnt lgkmcnt(0)
	s_barrier
	buffer_gl0_inv
	s_and_saveexec_b32 s45, s1
	s_cbranch_execnz .LBB137_48
; %bb.28:                               ;   in Loop: Header=BB137_9 Depth=1
	s_or_b32 exec_lo, exec_lo, s45
	s_and_saveexec_b32 s45, s0
	s_cbranch_execnz .LBB137_49
.LBB137_29:                             ;   in Loop: Header=BB137_9 Depth=1
	s_or_b32 exec_lo, exec_lo, s45
	s_and_saveexec_b32 s45, s0
	s_cbranch_execz .LBB137_31
.LBB137_30:                             ;   in Loop: Header=BB137_9 Depth=1
	v_mov_b32_e32 v17, v16
	ds_store_b64 v42, v[16:17]
.LBB137_31:                             ;   in Loop: Header=BB137_9 Depth=1
	s_or_b32 exec_lo, exec_lo, s45
	ds_bpermute_b32 v17, v37, v27
	ds_bpermute_b32 v45, v37, v26
	s_waitcnt lgkmcnt(0)
	s_barrier
	buffer_gl0_inv
	v_add_f32_e32 v17, v27, v17
	ds_bpermute_b32 v27, v38, v17
	s_waitcnt lgkmcnt(0)
	v_dual_add_f32 v26, v26, v45 :: v_dual_add_f32 v17, v17, v27
	ds_bpermute_b32 v45, v38, v26
	ds_bpermute_b32 v27, v39, v17
	s_waitcnt lgkmcnt(0)
	v_dual_add_f32 v26, v26, v45 :: v_dual_add_f32 v17, v17, v27
	ds_bpermute_b32 v45, v39, v26
	;; [unrolled: 4-line block ×3, first 2 shown]
	ds_bpermute_b32 v27, v41, v17
	s_waitcnt lgkmcnt(1)
	v_add_f32_e32 v26, v26, v45
	ds_bpermute_b32 v45, v41, v26
	s_and_saveexec_b32 s45, s4
	s_cbranch_execz .LBB137_33
; %bb.32:                               ;   in Loop: Header=BB137_9 Depth=1
	s_waitcnt lgkmcnt(0)
	v_dual_add_f32 v46, v26, v45 :: v_dual_add_f32 v45, v17, v27
	ds_store_b64 v43, v[45:46]
.LBB137_33:                             ;   in Loop: Header=BB137_9 Depth=1
	s_or_b32 exec_lo, exec_lo, s45
	s_waitcnt lgkmcnt(1)
	v_dual_mov_b32 v27, 0 :: v_dual_mov_b32 v26, 0
	s_waitcnt lgkmcnt(0)
	s_barrier
	buffer_gl0_inv
	s_and_saveexec_b32 s45, s1
	s_cbranch_execnz .LBB137_50
; %bb.34:                               ;   in Loop: Header=BB137_9 Depth=1
	s_or_b32 exec_lo, exec_lo, s45
	s_and_saveexec_b32 s45, s0
	s_cbranch_execnz .LBB137_51
.LBB137_35:                             ;   in Loop: Header=BB137_9 Depth=1
	s_or_b32 exec_lo, exec_lo, s45
	s_and_saveexec_b32 s45, s5
	s_cbranch_execz .LBB137_8
	s_branch .LBB137_52
.LBB137_36:                             ;   in Loop: Header=BB137_9 Depth=1
	s_mul_i32 s47, s15, s25
	s_mul_hi_u32 s48, s15, s24
	s_mul_i32 s46, s15, s24
	s_add_i32 s47, s48, s47
	s_clause 0x3
	global_load_b64 v[47:48], v[6:7], off
	global_load_b64 v[49:50], v[8:9], off
	;; [unrolled: 1-line block ×4, first 2 shown]
	s_lshl_b64 s[46:47], s[46:47], 3
	s_delay_alu instid0(SALU_CYCLE_1)
	v_add_co_u32 v24, vcc_lo, v1, s46
	s_or_b32 s46, s15, 1
	v_add_co_ci_u32_e32 v25, vcc_lo, s47, v2, vcc_lo
	s_mul_i32 s47, s46, s25
	s_mul_hi_u32 s48, s46, s24
	s_mul_i32 s46, s46, s24
	s_add_i32 s47, s48, s47
	s_or_b32 s48, s15, 2
	s_lshl_b64 s[46:47], s[46:47], 3
	s_mul_i32 s49, s48, s25
	s_mul_hi_u32 s50, s48, s24
	v_add_co_u32 v45, vcc_lo, v1, s46
	v_add_co_ci_u32_e32 v46, vcc_lo, s47, v2, vcc_lo
	s_add_i32 s47, s50, s49
	s_or_b32 s50, s15, 3
	s_mul_i32 s46, s48, s24
	s_mul_i32 s48, s50, s25
	s_mul_hi_u32 s49, s50, s24
	s_lshl_b64 s[46:47], s[46:47], 3
	s_add_i32 s49, s49, s48
	s_mul_i32 s48, s50, s24
	v_add_co_u32 v71, vcc_lo, v1, s46
	v_add_co_ci_u32_e32 v72, vcc_lo, s47, v2, vcc_lo
	s_lshl_b64 s[46:47], s[48:49], 3
	global_load_b128 v[20:23], v[24:25], off offset:16
	s_waitcnt lgkmcnt(0)
	global_load_b128 v[24:27], v[24:25], off
	v_add_co_u32 v75, vcc_lo, v1, s46
	v_add_co_ci_u32_e32 v76, vcc_lo, s47, v2, vcc_lo
	s_clause 0x5
	global_load_b128 v[55:58], v[45:46], off
	global_load_b128 v[59:62], v[71:72], off
	;; [unrolled: 1-line block ×3, first 2 shown]
	global_load_b128 v[67:70], v[45:46], off offset:16
	global_load_b128 v[71:74], v[71:72], off offset:16
	;; [unrolled: 1-line block ×3, first 2 shown]
	s_waitcnt vmcnt(10)
	scratch_store_b128 off, v[47:50], off
	s_waitcnt vmcnt(8)
	scratch_store_b128 off, v[51:54], off offset:16
	s_waitcnt vmcnt(7)
	v_mul_f32_e32 v79, v54, v23
	s_waitcnt vmcnt(6)
	v_dual_mul_f32 v17, v25, v48 :: v_dual_mul_f32 v46, v52, v21
	v_mul_f32_e32 v45, v27, v50
	v_mul_f32_e32 v27, v27, v49
	s_waitcnt vmcnt(3)
	v_dual_mul_f32 v21, v51, v21 :: v_dual_mul_f32 v82, v64, v48
	v_mul_f32_e32 v23, v53, v23
	v_dual_mul_f32 v81, v60, v48 :: v_dual_mul_f32 v84, v62, v50
	v_mul_f32_e32 v60, v60, v47
	;; [unrolled: 2-line block ×4, first 2 shown]
	s_waitcnt vmcnt(1)
	v_dual_mul_f32 v62, v62, v49 :: v_dual_mul_f32 v87, v52, v72
	v_mul_f32_e32 v86, v52, v68
	v_dual_mul_f32 v90, v54, v74 :: v_dual_fmac_f32 v83, v57, v49
	v_dual_fmac_f32 v46, v51, v20 :: v_dual_fmac_f32 v79, v53, v22
	v_fma_f32 v20, v52, v20, -v21
	v_fma_f32 v21, v54, v22, -v23
	v_fma_f32 v23, v59, v48, -v60
	v_dual_mul_f32 v85, v66, v50 :: v_dual_mul_f32 v68, v51, v68
	v_dual_mul_f32 v66, v66, v49 :: v_dual_fmac_f32 v17, v24, v47
	v_dual_mul_f32 v72, v51, v72 :: v_dual_mul_f32 v89, v54, v70
	s_waitcnt vmcnt(0)
	v_dual_mul_f32 v88, v52, v76 :: v_dual_mul_f32 v91, v54, v78
	v_dual_mul_f32 v76, v51, v76 :: v_dual_fmac_f32 v45, v26, v49
	v_dual_mul_f32 v70, v53, v70 :: v_dual_fmac_f32 v81, v59, v47
	v_fma_f32 v24, v24, v48, -v25
	v_fma_f32 v25, v26, v50, -v27
	v_dual_fmac_f32 v80, v55, v47 :: v_dual_fmac_f32 v85, v65, v49
	v_fma_f32 v22, v55, v48, -v56
	v_dual_fmac_f32 v82, v63, v47 :: v_dual_fmac_f32 v89, v53, v69
	v_fma_f32 v26, v63, v48, -v64
	v_fma_f32 v55, v61, v50, -v62
	v_dual_fmac_f32 v90, v53, v73 :: v_dual_add_f32 v23, 0, v23
	v_dual_mul_f32 v78, v53, v78 :: v_dual_add_f32 v17, 0, v17
	v_fma_f32 v27, v57, v50, -v58
	v_dual_fmac_f32 v84, v61, v49 :: v_dual_add_f32 v63, 0, v80
	v_fma_f32 v56, v65, v50, -v66
	v_dual_fmac_f32 v88, v51, v75 :: v_dual_add_f32 v65, 0, v82
	v_dual_add_f32 v24, 0, v24 :: v_dual_add_f32 v17, v17, v45
	v_add_f32_e32 v22, 0, v22
	v_dual_add_f32 v64, 0, v81 :: v_dual_add_f32 v23, v23, v55
	v_add_f32_e32 v26, 0, v26
	v_dual_mul_f32 v74, v53, v74 :: v_dual_fmac_f32 v87, v51, v71
	v_dual_fmac_f32 v86, v51, v67 :: v_dual_fmac_f32 v91, v53, v77
	v_fma_f32 v57, v52, v67, -v68
	v_fma_f32 v58, v52, v71, -v72
	;; [unrolled: 1-line block ×3, first 2 shown]
	v_dual_add_f32 v24, v24, v25 :: v_dual_add_f32 v17, v17, v46
	v_add_f32_e32 v25, v63, v83
	v_dual_add_f32 v22, v22, v27 :: v_dual_add_f32 v45, v65, v85
	v_add_f32_e32 v27, v64, v84
	v_add_f32_e32 v26, v26, v56
	v_fma_f32 v60, v54, v69, -v70
	v_fma_f32 v61, v54, v73, -v74
	;; [unrolled: 1-line block ×3, first 2 shown]
	v_dual_add_f32 v27, v27, v87 :: v_dual_add_f32 v20, v24, v20
	v_dual_add_f32 v55, v23, v58 :: v_dual_add_f32 v56, v45, v88
	;; [unrolled: 1-line block ×3, first 2 shown]
	v_add_f32_e32 v26, v26, v59
	s_delay_alu instid0(VALU_DEP_4) | instskip(NEXT) | instid1(VALU_DEP_3)
	v_dual_add_f32 v45, v17, v79 :: v_dual_add_f32 v46, v20, v21
	v_add_f32_e32 v23, v25, v60
	v_add_f32_e32 v25, v55, v61
	;; [unrolled: 1-line block ×3, first 2 shown]
	v_dual_add_f32 v24, v27, v90 :: v_dual_add_f32 v27, v56, v91
	v_add_f32_e32 v26, v26, v62
	s_and_not1_saveexec_b32 s45, s45
	s_cbranch_execz .LBB137_11
.LBB137_37:                             ;   in Loop: Header=BB137_9 Depth=1
	v_dual_mov_b32 v45, 0 :: v_dual_mov_b32 v46, 0
	v_dual_mov_b32 v22, 0 :: v_dual_mov_b32 v23, 0
	;; [unrolled: 1-line block ×3, first 2 shown]
	s_waitcnt lgkmcnt(0)
	v_dual_mov_b32 v27, 0 :: v_dual_mov_b32 v26, 0
	s_and_saveexec_b32 s46, s3
	s_cbranch_execz .LBB137_43
; %bb.38:                               ;   in Loop: Header=BB137_9 Depth=1
	v_dual_mov_b32 v45, 0 :: v_dual_mov_b32 v46, 0
	v_dual_mov_b32 v22, 0 :: v_dual_mov_b32 v23, 0
	;; [unrolled: 1-line block ×4, first 2 shown]
	s_and_not1_b32 vcc_lo, exec_lo, s42
	s_cbranch_vccnz .LBB137_43
; %bb.39:                               ;   in Loop: Header=BB137_9 Depth=1
	v_mov_b32_e32 v21, v15
	v_dual_mov_b32 v17, 0 :: v_dual_mov_b32 v20, v14
	s_mov_b32 s47, s21
.LBB137_40:                             ;   Parent Loop BB137_9 Depth=1
                                        ; =>  This Inner Loop Header: Depth=2
	global_load_b64 v[22:23], v[20:21], off
	v_add_co_u32 v20, vcc_lo, v20, s30
	v_add_co_ci_u32_e32 v21, vcc_lo, s31, v21, vcc_lo
	s_add_i32 s47, s47, -1
	s_delay_alu instid0(SALU_CYCLE_1)
	s_cmp_eq_u32 s47, 0
	s_waitcnt vmcnt(0)
	scratch_store_b64 v17, v[22:23], off
	v_add_nc_u32_e32 v17, 8, v17
	s_cbranch_scc0 .LBB137_40
; %bb.41:                               ;   in Loop: Header=BB137_9 Depth=1
	v_dual_mov_b32 v26, 0 :: v_dual_mov_b32 v21, v19
	v_dual_mov_b32 v20, v18 :: v_dual_mov_b32 v17, v44
	;; [unrolled: 1-line block ×5, first 2 shown]
	v_mov_b32_e32 v45, 0
	s_mov_b32 s47, s21
.LBB137_42:                             ;   Parent Loop BB137_9 Depth=1
                                        ; =>  This Inner Loop Header: Depth=2
	v_add_co_u32 v49, vcc_lo, v20, s36
	v_add_co_ci_u32_e32 v50, vcc_lo, s37, v21, vcc_lo
	scratch_load_b64 v[47:48], v17, off offset:-4
	global_load_b64 v[51:52], v[20:21], off
	v_add_co_u32 v53, vcc_lo, v49, s36
	v_add_co_ci_u32_e32 v54, vcc_lo, s37, v50, vcc_lo
	v_add_nc_u32_e32 v17, 8, v17
	s_delay_alu instid0(VALU_DEP_3) | instskip(NEXT) | instid1(VALU_DEP_3)
	v_add_co_u32 v55, vcc_lo, v53, s36
	v_add_co_ci_u32_e32 v56, vcc_lo, s37, v54, vcc_lo
	s_clause 0x2
	global_load_b64 v[49:50], v[49:50], off
	global_load_b64 v[53:54], v[53:54], off
	;; [unrolled: 1-line block ×3, first 2 shown]
	v_add_co_u32 v20, vcc_lo, v20, 8
	v_add_co_ci_u32_e32 v21, vcc_lo, 0, v21, vcc_lo
	s_add_i32 s47, s47, -1
	s_delay_alu instid0(SALU_CYCLE_1) | instskip(SKIP_3) | instid1(VALU_DEP_2)
	s_cmp_lg_u32 s47, 0
	s_waitcnt vmcnt(3)
	v_mul_f32_e32 v57, v48, v52
	v_mul_f32_e32 v52, v47, v52
	v_fmac_f32_e32 v57, v47, v51
	s_delay_alu instid0(VALU_DEP_2) | instskip(SKIP_2) | instid1(VALU_DEP_3)
	v_fma_f32 v51, v48, v51, -v52
	s_waitcnt vmcnt(2)
	v_mul_f32_e32 v52, v48, v50
	v_dual_mul_f32 v50, v47, v50 :: v_dual_add_f32 v45, v45, v57
	s_waitcnt vmcnt(1)
	v_dual_add_f32 v46, v46, v51 :: v_dual_mul_f32 v51, v47, v54
	s_delay_alu instid0(VALU_DEP_1)
	v_fma_f32 v51, v48, v53, -v51
	v_fmac_f32_e32 v52, v47, v49
	v_fma_f32 v49, v48, v49, -v50
	v_mul_f32_e32 v50, v48, v54
	s_waitcnt vmcnt(0)
	v_mul_f32_e32 v54, v48, v56
	v_dual_mul_f32 v56, v47, v56 :: v_dual_add_f32 v25, v25, v51
	v_add_f32_e32 v23, v23, v49
	v_fmac_f32_e32 v50, v47, v53
	s_delay_alu instid0(VALU_DEP_4) | instskip(NEXT) | instid1(VALU_DEP_4)
	v_fmac_f32_e32 v54, v47, v55
	v_fma_f32 v47, v48, v55, -v56
	v_add_f32_e32 v22, v22, v52
	s_delay_alu instid0(VALU_DEP_4) | instskip(NEXT) | instid1(VALU_DEP_3)
	v_add_f32_e32 v24, v24, v50
	v_dual_add_f32 v27, v27, v54 :: v_dual_add_f32 v26, v26, v47
	s_cbranch_scc1 .LBB137_42
.LBB137_43:                             ;   in Loop: Header=BB137_9 Depth=1
	s_or_b32 exec_lo, exec_lo, s46
	s_delay_alu instid0(SALU_CYCLE_1)
	s_or_b32 exec_lo, exec_lo, s45
	s_and_saveexec_b32 s45, s0
	s_cbranch_execnz .LBB137_12
	s_branch .LBB137_13
.LBB137_44:                             ;   in Loop: Header=BB137_9 Depth=1
	ds_load_b64 v[20:21], v42
	s_or_b32 exec_lo, exec_lo, s45
	s_and_saveexec_b32 s45, s0
	s_cbranch_execz .LBB137_17
.LBB137_45:                             ;   in Loop: Header=BB137_9 Depth=1
	s_waitcnt lgkmcnt(0)
	ds_bpermute_b32 v17, v39, v20
	ds_bpermute_b32 v45, v39, v21
	s_waitcnt lgkmcnt(1)
	v_add_f32_e32 v17, v20, v17
	s_waitcnt lgkmcnt(0)
	v_add_f32_e32 v20, v21, v45
	ds_bpermute_b32 v21, v40, v17
	ds_bpermute_b32 v45, v40, v20
	s_waitcnt lgkmcnt(1)
	v_add_f32_e32 v17, v17, v21
	s_waitcnt lgkmcnt(0)
	v_add_f32_e32 v21, v20, v45
	ds_bpermute_b32 v20, v41, v17
	s_waitcnt lgkmcnt(0)
	v_add_f32_e32 v20, v17, v20
	ds_bpermute_b32 v45, v41, v21
	s_waitcnt lgkmcnt(0)
	v_add_f32_e32 v21, v21, v45
	s_or_b32 exec_lo, exec_lo, s45
	s_and_saveexec_b32 s45, s0
	s_cbranch_execnz .LBB137_18
	s_branch .LBB137_19
.LBB137_46:                             ;   in Loop: Header=BB137_9 Depth=1
	ds_load_b64 v[22:23], v42
	s_or_b32 exec_lo, exec_lo, s45
	s_and_saveexec_b32 s45, s0
	s_cbranch_execz .LBB137_23
.LBB137_47:                             ;   in Loop: Header=BB137_9 Depth=1
	s_waitcnt lgkmcnt(0)
	ds_bpermute_b32 v17, v39, v22
	ds_bpermute_b32 v45, v39, v23
	s_waitcnt lgkmcnt(1)
	v_add_f32_e32 v17, v22, v17
	s_waitcnt lgkmcnt(0)
	v_add_f32_e32 v22, v23, v45
	ds_bpermute_b32 v23, v40, v17
	s_waitcnt lgkmcnt(0)
	v_add_f32_e32 v17, v17, v23
	ds_bpermute_b32 v45, v40, v22
	;; [unrolled: 3-line block ×4, first 2 shown]
	s_waitcnt lgkmcnt(0)
	v_add_f32_e32 v23, v23, v45
	s_or_b32 exec_lo, exec_lo, s45
	s_and_saveexec_b32 s45, s0
	s_cbranch_execnz .LBB137_24
	s_branch .LBB137_25
.LBB137_48:                             ;   in Loop: Header=BB137_9 Depth=1
	ds_load_b64 v[24:25], v42
	s_or_b32 exec_lo, exec_lo, s45
	s_and_saveexec_b32 s45, s0
	s_cbranch_execz .LBB137_29
.LBB137_49:                             ;   in Loop: Header=BB137_9 Depth=1
	s_waitcnt lgkmcnt(0)
	ds_bpermute_b32 v17, v39, v24
	ds_bpermute_b32 v45, v39, v25
	s_waitcnt lgkmcnt(1)
	v_add_f32_e32 v17, v24, v17
	s_waitcnt lgkmcnt(0)
	v_add_f32_e32 v24, v25, v45
	ds_bpermute_b32 v25, v40, v17
	ds_bpermute_b32 v45, v40, v24
	s_waitcnt lgkmcnt(1)
	v_add_f32_e32 v17, v17, v25
	s_waitcnt lgkmcnt(0)
	v_add_f32_e32 v25, v24, v45
	ds_bpermute_b32 v24, v41, v17
	s_waitcnt lgkmcnt(0)
	v_add_f32_e32 v24, v17, v24
	ds_bpermute_b32 v45, v41, v25
	s_waitcnt lgkmcnt(0)
	v_add_f32_e32 v25, v25, v45
	s_or_b32 exec_lo, exec_lo, s45
	s_and_saveexec_b32 s45, s0
	s_cbranch_execnz .LBB137_30
	s_branch .LBB137_31
.LBB137_50:                             ;   in Loop: Header=BB137_9 Depth=1
	ds_load_b64 v[26:27], v42
	s_or_b32 exec_lo, exec_lo, s45
	s_and_saveexec_b32 s45, s0
	s_cbranch_execz .LBB137_35
.LBB137_51:                             ;   in Loop: Header=BB137_9 Depth=1
	s_waitcnt lgkmcnt(0)
	ds_bpermute_b32 v17, v39, v26
	ds_bpermute_b32 v45, v39, v27
	s_waitcnt lgkmcnt(1)
	v_add_f32_e32 v17, v26, v17
	s_waitcnt lgkmcnt(0)
	v_add_f32_e32 v26, v27, v45
	ds_bpermute_b32 v27, v40, v17
	s_waitcnt lgkmcnt(0)
	v_add_f32_e32 v17, v17, v27
	ds_bpermute_b32 v45, v40, v26
	;; [unrolled: 3-line block ×4, first 2 shown]
	s_waitcnt lgkmcnt(0)
	v_add_f32_e32 v27, v27, v45
	s_or_b32 exec_lo, exec_lo, s45
	s_and_saveexec_b32 s45, s5
	s_cbranch_execz .LBB137_8
.LBB137_52:                             ;   in Loop: Header=BB137_9 Depth=1
	v_mul_f32_e32 v46, s22, v21
	v_mul_f32_e32 v17, s23, v21
	s_mul_hi_u32 s47, s15, s20
	s_mul_i32 s46, s15, s20
	s_delay_alu instid0(VALU_DEP_2)
	v_dual_mul_f32 v21, s22, v23 :: v_dual_fmac_f32 v46, s23, v20
	s_lshl_b64 s[46:47], s[46:47], 3
	v_fma_f32 v45, v20, s22, -v17
	s_add_u32 s46, s43, s46
	s_addc_u32 s47, s44, s47
	v_mul_f32_e32 v17, s23, v23
	v_mul_f32_e32 v23, s22, v25
	global_store_b64 v16, v[45:46], s[46:47]
	s_or_b32 s46, s15, 1
	v_fmac_f32_e32 v21, s23, v22
	s_mul_hi_u32 s47, s46, s20
	s_mul_i32 s46, s46, s20
	v_fma_f32 v20, v22, s22, -v17
	s_lshl_b64 s[46:47], s[46:47], 3
	v_mul_f32_e32 v17, s23, v25
	s_add_u32 s46, s43, s46
	s_addc_u32 s47, s44, s47
	s_or_b32 s48, s15, 2
	s_waitcnt lgkmcnt(0)
	v_mul_f32_e32 v25, s22, v27
	s_mul_hi_u32 s49, s48, s20
	s_mul_i32 s48, s48, s20
	v_fma_f32 v22, v24, s22, -v17
	s_lshl_b64 s[48:49], s[48:49], 3
	v_mul_f32_e32 v17, s23, v27
	s_add_u32 s48, s43, s48
	s_addc_u32 s49, s44, s49
	s_or_b32 s50, s15, 3
	v_fmac_f32_e32 v23, s23, v24
	s_mul_hi_u32 s51, s50, s20
	s_mul_i32 s50, s50, s20
	v_fma_f32 v24, v26, s22, -v17
	v_fmac_f32_e32 v25, s23, v26
	s_lshl_b64 s[50:51], s[50:51], 3
	global_store_b64 v16, v[20:21], s[46:47]
	s_add_u32 s46, s43, s50
	s_addc_u32 s47, s44, s51
	s_clause 0x1
	global_store_b64 v16, v[22:23], s[48:49]
	global_store_b64 v16, v[24:25], s[46:47]
	s_branch .LBB137_8
.LBB137_53:
	s_mov_b32 s15, 0
.LBB137_54:
	s_delay_alu instid0(SALU_CYCLE_1)
	s_cmp_ge_i32 s15, s13
	s_cbranch_scc1 .LBB137_76
; %bb.55:
	v_cmp_gt_u32_e64 s1, 16, v34
	v_cmp_ge_i32_e64 s4, s12, v36
	s_cmp_gt_i32 s21, 0
	s_mov_b32 s31, 0
	s_mov_b32 s30, s14
	v_cndmask_b32_e64 v6, 0, 1, s1
	v_cmp_gt_u32_e64 s1, 24, v34
	s_cselect_b32 s34, -1, 0
	s_lshl_b64 s[30:31], s[30:31], 3
	v_cmp_ge_i32_e32 vcc_lo, s12, v35
	v_lshlrev_b32_e32 v6, 4, v6
	v_cndmask_b32_e64 v7, 0, 1, s1
	v_cmp_gt_u32_e64 s1, 28, v34
	s_add_u32 s12, s39, s30
	s_addc_u32 s14, s40, s31
	v_add_lshl_u32 v19, v6, v34, 2
	v_lshlrev_b32_e32 v7, 3, v7
	v_cndmask_b32_e64 v8, 0, 1, s1
	v_cmp_gt_u32_e64 s1, 30, v34
	v_cmp_gt_u32_e64 s0, 32, v0
	v_cmp_gt_u32_e64 s2, 8, v0
	v_add_lshl_u32 v20, v7, v34, 2
	v_lshlrev_b32_e32 v8, 2, v8
	v_cndmask_b32_e64 v9, 0, 1, s1
	v_cmp_ne_u32_e64 s1, 31, v34
	v_mad_i64_i32 v[6:7], null, s26, v5, 0
	s_delay_alu instid0(VALU_DEP_4) | instskip(NEXT) | instid1(VALU_DEP_4)
	v_add_lshl_u32 v21, v8, v34, 2
	v_lshlrev_b32_e32 v9, 1, v9
	s_delay_alu instid0(VALU_DEP_4) | instskip(SKIP_2) | instid1(VALU_DEP_4)
	v_add_co_ci_u32_e64 v10, s1, 0, v34, s1
	v_cmp_eq_u32_e64 s3, 0, v0
	v_lshlrev_b32_e32 v18, 3, v30
	v_add_lshl_u32 v22, v9, v34, 2
	v_mad_i64_i32 v[8:9], null, s26, v33, 0
	v_lshlrev_b32_e32 v23, 2, v10
	v_mad_i64_i32 v[10:11], null, s26, v31, 0
	v_lshlrev_b64 v[13:14], 3, v[6:7]
	v_cmp_eq_u32_e64 s1, 0, v30
	v_and_b32_e32 v24, 56, v32
	v_lshlrev_b64 v[7:8], 3, v[8:9]
	s_delay_alu instid0(VALU_DEP_4) | instskip(SKIP_4) | instid1(VALU_DEP_1)
	v_add_co_u32 v5, s5, s33, v13
	v_lshlrev_b64 v[9:10], 3, v[10:11]
	v_mad_i64_i32 v[11:12], null, s26, v29, 0
	v_add_co_ci_u32_e64 v6, s5, s38, v14, s5
	v_add_co_u32 v7, s5, s33, v7
	v_add_co_ci_u32_e64 v8, s5, s38, v8, s5
	v_add_co_u32 v9, s5, s33, v9
	s_delay_alu instid0(VALU_DEP_1)
	v_add_co_ci_u32_e64 v10, s5, s38, v10, s5
	v_lshlrev_b64 v[11:12], 3, v[11:12]
	s_and_b32 s5, s34, s4
	s_add_u32 s4, s6, s28
	s_addc_u32 s6, s7, s29
	s_add_u32 s28, s4, s16
	s_mul_i32 s4, s25, s15
	s_mul_hi_u32 s7, s24, s15
	s_addc_u32 s29, s6, s17
	s_add_i32 s7, s7, s4
	s_mul_i32 s6, s24, s15
	v_add_co_u32 v11, s4, s33, v11
	s_lshl_b64 s[16:17], s[6:7], 3
	v_add_co_ci_u32_e64 v12, s4, s38, v12, s4
	s_lshl_b64 s[6:7], s[26:27], 3
	s_add_u32 s4, s18, s16
	s_addc_u32 s16, s19, s17
	s_add_u32 s4, s4, s10
	s_addc_u32 s10, s16, s11
	;; [unrolled: 2-line block ×3, first 2 shown]
	v_add_co_u32 v0, s4, s4, v3
	s_delay_alu instid0(VALU_DEP_1) | instskip(SKIP_1) | instid1(VALU_DEP_1)
	v_add_co_ci_u32_e64 v15, s4, s8, v4, s4
	v_add_co_u32 v3, s4, s28, v13
	v_add_co_ci_u32_e64 v4, s4, s29, v14, s4
	s_delay_alu instid0(VALU_DEP_4) | instskip(NEXT) | instid1(VALU_DEP_1)
	v_add_co_u32 v13, s4, v0, 4
	v_add_co_ci_u32_e64 v14, s4, 0, v15, s4
	v_mov_b32_e32 v15, 0
	s_lshl_b64 s[8:9], s[24:25], 3
	s_branch .LBB137_57
.LBB137_56:                             ;   in Loop: Header=BB137_57 Depth=1
	s_or_b32 exec_lo, exec_lo, s4
	v_add_co_u32 v13, s4, v13, s8
	s_delay_alu instid0(VALU_DEP_1) | instskip(SKIP_1) | instid1(SALU_CYCLE_1)
	v_add_co_ci_u32_e64 v14, s4, s9, v14, s4
	s_add_i32 s15, s15, 1
	s_cmp_lt_i32 s15, s13
	s_cbranch_scc0 .LBB137_76
.LBB137_57:                             ; =>This Loop Header: Depth=1
                                        ;     Child Loop BB137_69 Depth 2
                                        ;     Child Loop BB137_71 Depth 2
                                        ; implicit-def: $vgpr0
                                        ; implicit-def: $vgpr25
	s_and_saveexec_b32 s4, vcc_lo
	s_delay_alu instid0(SALU_CYCLE_1)
	s_xor_b32 s10, exec_lo, s4
	s_cbranch_execnz .LBB137_66
; %bb.58:                               ;   in Loop: Header=BB137_57 Depth=1
	s_and_not1_saveexec_b32 s10, s10
	s_cbranch_execnz .LBB137_67
.LBB137_59:                             ;   in Loop: Header=BB137_57 Depth=1
	s_or_b32 exec_lo, exec_lo, s10
	s_and_saveexec_b32 s4, s0
	s_cbranch_execz .LBB137_61
.LBB137_60:                             ;   in Loop: Header=BB137_57 Depth=1
	s_waitcnt lgkmcnt(0)
	v_mov_b32_e32 v16, v15
	ds_store_b64 v18, v[15:16]
.LBB137_61:                             ;   in Loop: Header=BB137_57 Depth=1
	s_or_b32 exec_lo, exec_lo, s4
	s_waitcnt lgkmcnt(0)
	ds_bpermute_b32 v16, v19, v0
	ds_bpermute_b32 v17, v19, v25
	s_waitcnt lgkmcnt(0)
	s_waitcnt_vscnt null, 0x0
	s_barrier
	buffer_gl0_inv
	v_add_f32_e32 v0, v0, v16
	v_add_f32_e32 v16, v25, v17
	ds_bpermute_b32 v17, v20, v0
	ds_bpermute_b32 v25, v20, v16
	s_waitcnt lgkmcnt(1)
	v_add_f32_e32 v0, v0, v17
	s_waitcnt lgkmcnt(0)
	v_add_f32_e32 v16, v16, v25
	ds_bpermute_b32 v17, v21, v0
	ds_bpermute_b32 v25, v21, v16
	s_waitcnt lgkmcnt(1)
	v_add_f32_e32 v0, v0, v17
	s_waitcnt lgkmcnt(0)
	;; [unrolled: 6-line block ×3, first 2 shown]
	v_add_f32_e32 v16, v16, v25
	ds_bpermute_b32 v17, v23, v0
	ds_bpermute_b32 v25, v23, v16
	s_and_saveexec_b32 s4, s1
	s_cbranch_execz .LBB137_63
; %bb.62:                               ;   in Loop: Header=BB137_57 Depth=1
	s_waitcnt lgkmcnt(0)
	v_add_f32_e32 v26, v16, v25
	v_add_f32_e32 v25, v0, v17
	ds_store_b64 v24, v[25:26]
.LBB137_63:                             ;   in Loop: Header=BB137_57 Depth=1
	s_or_b32 exec_lo, exec_lo, s4
	s_waitcnt lgkmcnt(1)
	v_dual_mov_b32 v17, 0 :: v_dual_mov_b32 v16, 0
	s_waitcnt lgkmcnt(0)
	s_barrier
	buffer_gl0_inv
	s_and_saveexec_b32 s4, s2
	s_cbranch_execnz .LBB137_73
; %bb.64:                               ;   in Loop: Header=BB137_57 Depth=1
	s_or_b32 exec_lo, exec_lo, s4
	s_and_saveexec_b32 s4, s0
	s_cbranch_execnz .LBB137_74
.LBB137_65:                             ;   in Loop: Header=BB137_57 Depth=1
	s_or_b32 exec_lo, exec_lo, s4
	s_and_saveexec_b32 s4, s3
	s_cbranch_execz .LBB137_56
	s_branch .LBB137_75
.LBB137_66:                             ;   in Loop: Header=BB137_57 Depth=1
	s_mul_i32 s4, s15, s25
	s_mul_hi_u32 s11, s15, s24
	s_mul_i32 s16, s15, s24
	s_add_i32 s17, s11, s4
	s_delay_alu instid0(SALU_CYCLE_1) | instskip(SKIP_2) | instid1(VALU_DEP_1)
	s_lshl_b64 s[16:17], s[16:17], 3
	s_waitcnt lgkmcnt(0)
	v_add_co_u32 v16, s4, v1, s16
	v_add_co_ci_u32_e64 v17, s4, s17, v2, s4
	global_load_b128 v[29:32], v[16:17], off
	s_clause 0x1
	global_load_b64 v[33:34], v[5:6], off
	global_load_b64 v[35:36], v[7:8], off
	global_load_b128 v[37:40], v[16:17], off offset:16
	s_clause 0x1
	global_load_b64 v[41:42], v[9:10], off
	global_load_b64 v[43:44], v[11:12], off
	s_waitcnt vmcnt(3)
	scratch_store_b128 off, v[33:36], off
	s_waitcnt vmcnt(0)
	scratch_store_b128 off, v[41:44], off offset:16
	v_dual_mul_f32 v0, v30, v34 :: v_dual_mul_f32 v17, v32, v36
	v_dual_mul_f32 v16, v30, v33 :: v_dual_mul_f32 v25, v32, v35
	s_waitcnt lgkmcnt(0)
	v_mul_f32_e32 v26, v38, v42
	s_delay_alu instid0(VALU_DEP_3) | instskip(NEXT) | instid1(VALU_DEP_3)
	v_dual_fmac_f32 v0, v29, v33 :: v_dual_fmac_f32 v17, v31, v35
	v_fma_f32 v16, v29, v34, -v16
	v_mul_f32_e32 v27, v38, v41
	v_mul_f32_e32 v29, v40, v44
	s_delay_alu instid0(VALU_DEP_4)
	v_add_f32_e32 v0, 0, v0
	v_fma_f32 v25, v31, v36, -v25
	v_add_f32_e32 v16, 0, v16
	v_mul_f32_e32 v30, v40, v43
	v_dual_fmac_f32 v29, v39, v43 :: v_dual_fmac_f32 v26, v37, v41
	v_fma_f32 v27, v37, v42, -v27
	v_add_f32_e32 v0, v0, v17
	v_add_f32_e32 v16, v16, v25
	v_fma_f32 v17, v39, v44, -v30
	s_delay_alu instid0(VALU_DEP_3) | instskip(NEXT) | instid1(VALU_DEP_3)
	v_add_f32_e32 v0, v0, v26
	v_add_f32_e32 v16, v16, v27
	s_delay_alu instid0(VALU_DEP_2) | instskip(NEXT) | instid1(VALU_DEP_2)
	v_add_f32_e32 v0, v0, v29
	v_add_f32_e32 v25, v16, v17
	s_and_not1_saveexec_b32 s10, s10
	s_cbranch_execz .LBB137_59
.LBB137_67:                             ;   in Loop: Header=BB137_57 Depth=1
	v_dual_mov_b32 v0, 0 :: v_dual_mov_b32 v25, 0
	s_and_saveexec_b32 s11, s5
	s_cbranch_execz .LBB137_72
; %bb.68:                               ;   in Loop: Header=BB137_57 Depth=1
	s_waitcnt lgkmcnt(0)
	v_dual_mov_b32 v0, 0 :: v_dual_mov_b32 v17, v4
	v_mov_b32_e32 v16, v3
	s_mov_b32 s16, s21
.LBB137_69:                             ;   Parent Loop BB137_57 Depth=1
                                        ; =>  This Inner Loop Header: Depth=2
	s_waitcnt lgkmcnt(0)
	global_load_b64 v[25:26], v[16:17], off
	v_add_co_u32 v16, s4, v16, s6
	s_delay_alu instid0(VALU_DEP_1) | instskip(SKIP_1) | instid1(SALU_CYCLE_1)
	v_add_co_ci_u32_e64 v17, s4, s7, v17, s4
	s_add_i32 s16, s16, -1
	s_cmp_eq_u32 s16, 0
	s_waitcnt vmcnt(0)
	scratch_store_b64 v0, v[25:26], off
	v_add_nc_u32_e32 v0, 8, v0
	s_cbranch_scc0 .LBB137_69
; %bb.70:                               ;   in Loop: Header=BB137_57 Depth=1
	v_dual_mov_b32 v0, 0 :: v_dual_mov_b32 v17, v14
	v_dual_mov_b32 v16, v13 :: v_dual_mov_b32 v25, 0
	v_mov_b32_e32 v26, v28
	s_mov_b32 s16, s21
	.p2align	6
.LBB137_71:                             ;   Parent Loop BB137_57 Depth=1
                                        ; =>  This Inner Loop Header: Depth=2
	global_load_b64 v[29:30], v[16:17], off offset:-4
	scratch_load_b64 v[31:32], v26, off offset:-4
	v_add_co_u32 v16, s4, v16, 8
	s_delay_alu instid0(VALU_DEP_1)
	v_add_co_ci_u32_e64 v17, s4, 0, v17, s4
	s_add_i32 s16, s16, -1
	v_add_nc_u32_e32 v26, 8, v26
	s_cmp_lg_u32 s16, 0
	s_waitcnt vmcnt(0)
	v_mul_f32_e32 v27, v30, v32
	v_mul_f32_e32 v30, v30, v31
	s_delay_alu instid0(VALU_DEP_2) | instskip(NEXT) | instid1(VALU_DEP_2)
	v_fmac_f32_e32 v27, v29, v31
	v_fma_f32 v29, v29, v32, -v30
	s_delay_alu instid0(VALU_DEP_1)
	v_dual_add_f32 v0, v0, v27 :: v_dual_add_f32 v25, v25, v29
	s_cbranch_scc1 .LBB137_71
.LBB137_72:                             ;   in Loop: Header=BB137_57 Depth=1
	s_or_b32 exec_lo, exec_lo, s11
	s_delay_alu instid0(SALU_CYCLE_1)
	s_or_b32 exec_lo, exec_lo, s10
	s_and_saveexec_b32 s4, s0
	s_cbranch_execnz .LBB137_60
	s_branch .LBB137_61
.LBB137_73:                             ;   in Loop: Header=BB137_57 Depth=1
	ds_load_b64 v[16:17], v18
	s_or_b32 exec_lo, exec_lo, s4
	s_and_saveexec_b32 s4, s0
	s_cbranch_execz .LBB137_65
.LBB137_74:                             ;   in Loop: Header=BB137_57 Depth=1
	s_waitcnt lgkmcnt(0)
	ds_bpermute_b32 v0, v21, v16
	ds_bpermute_b32 v25, v21, v17
	s_waitcnt lgkmcnt(1)
	v_add_f32_e32 v0, v16, v0
	s_waitcnt lgkmcnt(0)
	v_add_f32_e32 v16, v17, v25
	ds_bpermute_b32 v17, v22, v0
	ds_bpermute_b32 v25, v22, v16
	s_waitcnt lgkmcnt(1)
	v_add_f32_e32 v0, v0, v17
	s_waitcnt lgkmcnt(0)
	v_add_f32_e32 v17, v16, v25
	ds_bpermute_b32 v16, v23, v0
	ds_bpermute_b32 v25, v23, v17
	s_waitcnt lgkmcnt(0)
	v_dual_add_f32 v16, v0, v16 :: v_dual_add_f32 v17, v17, v25
	s_or_b32 exec_lo, exec_lo, s4
	s_and_saveexec_b32 s4, s3
	s_cbranch_execz .LBB137_56
.LBB137_75:                             ;   in Loop: Header=BB137_57 Depth=1
	s_waitcnt lgkmcnt(0)
	v_mul_f32_e32 v0, s23, v17
	v_mul_f32_e32 v26, s22, v17
	s_mul_hi_u32 s11, s15, s20
	s_mul_i32 s10, s15, s20
	s_delay_alu instid0(SALU_CYCLE_1)
	s_lshl_b64 s[10:11], s[10:11], 3
	v_fma_f32 v25, v16, s22, -v0
	v_fmac_f32_e32 v26, s23, v16
	s_add_u32 s10, s12, s10
	s_addc_u32 s11, s14, s11
	global_store_b64 v15, v[25:26], s[10:11]
	s_branch .LBB137_56
.LBB137_76:
	s_nop 0
	s_sendmsg sendmsg(MSG_DEALLOC_VGPRS)
	s_endpgm
	.section	.rodata,"a",@progbits
	.p2align	6, 0x0
	.amdhsa_kernel _ZL23rocblas_gemvt_sn_kernelILb1ELi256ELi4El19rocblas_complex_numIfEPKS1_S1_EviiT4_lPKT3_lilS7_lilPT5_i
		.amdhsa_group_segment_fixed_size 256
		.amdhsa_private_segment_fixed_size 48
		.amdhsa_kernarg_size 360
		.amdhsa_user_sgpr_count 14
		.amdhsa_user_sgpr_dispatch_ptr 0
		.amdhsa_user_sgpr_queue_ptr 0
		.amdhsa_user_sgpr_kernarg_segment_ptr 1
		.amdhsa_user_sgpr_dispatch_id 0
		.amdhsa_user_sgpr_private_segment_size 0
		.amdhsa_wavefront_size32 1
		.amdhsa_uses_dynamic_stack 0
		.amdhsa_enable_private_segment 1
		.amdhsa_system_sgpr_workgroup_id_x 1
		.amdhsa_system_sgpr_workgroup_id_y 0
		.amdhsa_system_sgpr_workgroup_id_z 1
		.amdhsa_system_sgpr_workgroup_info 0
		.amdhsa_system_vgpr_workitem_id 0
		.amdhsa_next_free_vgpr 92
		.amdhsa_next_free_sgpr 52
		.amdhsa_reserve_vcc 1
		.amdhsa_float_round_mode_32 0
		.amdhsa_float_round_mode_16_64 0
		.amdhsa_float_denorm_mode_32 3
		.amdhsa_float_denorm_mode_16_64 3
		.amdhsa_dx10_clamp 1
		.amdhsa_ieee_mode 1
		.amdhsa_fp16_overflow 0
		.amdhsa_workgroup_processor_mode 1
		.amdhsa_memory_ordered 1
		.amdhsa_forward_progress 0
		.amdhsa_shared_vgpr_count 0
		.amdhsa_exception_fp_ieee_invalid_op 0
		.amdhsa_exception_fp_denorm_src 0
		.amdhsa_exception_fp_ieee_div_zero 0
		.amdhsa_exception_fp_ieee_overflow 0
		.amdhsa_exception_fp_ieee_underflow 0
		.amdhsa_exception_fp_ieee_inexact 0
		.amdhsa_exception_int_div_zero 0
	.end_amdhsa_kernel
	.section	.text._ZL23rocblas_gemvt_sn_kernelILb1ELi256ELi4El19rocblas_complex_numIfEPKS1_S1_EviiT4_lPKT3_lilS7_lilPT5_i,"axG",@progbits,_ZL23rocblas_gemvt_sn_kernelILb1ELi256ELi4El19rocblas_complex_numIfEPKS1_S1_EviiT4_lPKT3_lilS7_lilPT5_i,comdat
.Lfunc_end137:
	.size	_ZL23rocblas_gemvt_sn_kernelILb1ELi256ELi4El19rocblas_complex_numIfEPKS1_S1_EviiT4_lPKT3_lilS7_lilPT5_i, .Lfunc_end137-_ZL23rocblas_gemvt_sn_kernelILb1ELi256ELi4El19rocblas_complex_numIfEPKS1_S1_EviiT4_lPKT3_lilS7_lilPT5_i
                                        ; -- End function
	.section	.AMDGPU.csdata,"",@progbits
; Kernel info:
; codeLenInByte = 5600
; NumSgprs: 54
; NumVgprs: 92
; ScratchSize: 48
; MemoryBound: 0
; FloatMode: 240
; IeeeMode: 1
; LDSByteSize: 256 bytes/workgroup (compile time only)
; SGPRBlocks: 6
; VGPRBlocks: 11
; NumSGPRsForWavesPerEU: 54
; NumVGPRsForWavesPerEU: 92
; Occupancy: 16
; WaveLimiterHint : 1
; COMPUTE_PGM_RSRC2:SCRATCH_EN: 1
; COMPUTE_PGM_RSRC2:USER_SGPR: 14
; COMPUTE_PGM_RSRC2:TRAP_HANDLER: 0
; COMPUTE_PGM_RSRC2:TGID_X_EN: 1
; COMPUTE_PGM_RSRC2:TGID_Y_EN: 0
; COMPUTE_PGM_RSRC2:TGID_Z_EN: 1
; COMPUTE_PGM_RSRC2:TIDIG_COMP_CNT: 0
	.section	.text._ZL23rocblas_gemvt_sn_kernelILb1ELi256ELi4Ei19rocblas_complex_numIfES1_S1_EviiT4_lPKT3_lilS5_lilPT5_i,"axG",@progbits,_ZL23rocblas_gemvt_sn_kernelILb1ELi256ELi4Ei19rocblas_complex_numIfES1_S1_EviiT4_lPKT3_lilS5_lilPT5_i,comdat
	.globl	_ZL23rocblas_gemvt_sn_kernelILb1ELi256ELi4Ei19rocblas_complex_numIfES1_S1_EviiT4_lPKT3_lilS5_lilPT5_i ; -- Begin function _ZL23rocblas_gemvt_sn_kernelILb1ELi256ELi4Ei19rocblas_complex_numIfES1_S1_EviiT4_lPKT3_lilS5_lilPT5_i
	.p2align	8
	.type	_ZL23rocblas_gemvt_sn_kernelILb1ELi256ELi4Ei19rocblas_complex_numIfES1_S1_EviiT4_lPKT3_lilS5_lilPT5_i,@function
_ZL23rocblas_gemvt_sn_kernelILb1ELi256ELi4Ei19rocblas_complex_numIfES1_S1_EviiT4_lPKT3_lilS5_lilPT5_i: ; @_ZL23rocblas_gemvt_sn_kernelILb1ELi256ELi4Ei19rocblas_complex_numIfES1_S1_EviiT4_lPKT3_lilS5_lilPT5_i
; %bb.0:
	s_clause 0x2
	s_load_b128 s[8:11], s[0:1], 0x0
	s_load_b32 s12, s[0:1], 0x68
	s_load_b128 s[4:7], s[0:1], 0x50
	v_cmp_eq_u32_e32 vcc_lo, 0, v0
	s_mov_b32 s13, 0
	s_waitcnt lgkmcnt(0)
	s_ashr_i32 s20, s9, 31
	s_mul_hi_u32 s2, s9, s15
	s_mul_i32 s3, s20, s15
	s_mul_i32 s16, s9, s15
	s_add_i32 s2, s2, s3
	s_or_b32 s17, s10, s11
	s_mul_hi_u32 s3, s16, s12
	s_mul_i32 s2, s2, s12
	s_bitset0_b32 s17, 31
	s_add_i32 s3, s3, s2
	s_mul_i32 s2, s16, s12
	s_cmp_lg_u32 s17, 0
	s_mov_b32 s16, -1
	s_cbranch_scc1 .LBB138_5
; %bb.1:
	s_cmp_gt_i32 s9, 0
	s_cselect_b32 s16, -1, 0
	s_delay_alu instid0(SALU_CYCLE_1) | instskip(NEXT) | instid1(SALU_CYCLE_1)
	s_and_b32 s16, vcc_lo, s16
	s_and_saveexec_b32 s21, s16
	s_cbranch_execz .LBB138_4
; %bb.2:
	s_mov_b32 s16, s15
	s_mov_b32 s15, 0
	v_mov_b32_e32 v1, 0
	s_lshl_b64 s[18:19], s[2:3], 3
	s_lshl_b64 s[22:23], s[14:15], 3
	s_mov_b32 s15, s16
	s_add_u32 s16, s18, s22
	s_addc_u32 s17, s19, s23
	s_add_u32 s16, s16, s6
	v_mov_b32_e32 v2, v1
	s_addc_u32 s17, s17, s7
	s_add_u32 s16, s16, 4
	s_addc_u32 s17, s17, 0
	s_lshl_b64 s[18:19], s[12:13], 3
	s_mov_b32 s13, s9
.LBB138_3:                              ; =>This Inner Loop Header: Depth=1
	s_delay_alu instid0(SALU_CYCLE_1)
	s_add_i32 s13, s13, -1
	global_store_b64 v1, v[1:2], s[16:17] offset:-4
	s_add_u32 s16, s16, s18
	s_addc_u32 s17, s17, s19
	s_cmp_eq_u32 s13, 0
	s_cbranch_scc0 .LBB138_3
.LBB138_4:
	s_or_b32 exec_lo, exec_lo, s21
	s_mov_b32 s16, 0
.LBB138_5:
	s_delay_alu instid0(SALU_CYCLE_1)
	s_and_not1_b32 vcc_lo, exec_lo, s16
	s_cbranch_vccnz .LBB138_76
; %bb.6:
	s_clause 0x2
	s_load_b128 s[24:27], s[0:1], 0x30
	s_load_b64 s[22:23], s[0:1], 0x40
	s_load_b128 s[16:19], s[0:1], 0x18
	s_mul_i32 s5, s15, s5
	s_mul_hi_u32 s13, s15, s4
	s_mul_i32 s4, s15, s4
	s_add_i32 s5, s13, s5
	s_clause 0x1
	s_load_b32 s13, s[0:1], 0x28
	s_load_b32 s30, s[0:1], 0x48
	s_lshl_b64 s[4:5], s[4:5], 3
	v_and_b32_e32 v27, 31, v0
	v_mbcnt_lo_u32_b32 v28, -1, 0
	v_lshrrev_b32_e32 v29, 2, v0
	v_or_b32_e64 v26, 0, 4
	s_waitcnt lgkmcnt(0)
	s_add_u32 s4, s26, s4
	s_addc_u32 s5, s27, s5
	s_lshl_b64 s[0:1], s[22:23], 3
	s_mul_i32 s21, s15, s25
	s_add_u32 s31, s4, s0
	s_addc_u32 s33, s5, s1
	s_lshl_b64 s[0:1], s[2:3], 3
	s_mul_hi_u32 s22, s15, s24
	s_add_u32 s36, s6, s0
	s_mul_i32 s2, s15, s24
	s_addc_u32 s37, s7, s1
	s_add_i32 s3, s22, s21
	v_cmp_gt_u32_e64 s0, 32, v0
	s_lshl_b64 s[6:7], s[2:3], 3
	s_delay_alu instid0(SALU_CYCLE_1) | instskip(SKIP_2) | instid1(SALU_CYCLE_1)
	s_add_u32 s1, s16, s6
	s_addc_u32 s2, s17, s7
	s_lshl_b64 s[18:19], s[18:19], 3
	s_add_u32 s3, s1, s18
	s_addc_u32 s2, s2, s19
	s_lshl_b32 s4, s14, 10
	s_lshr_b32 s5, s20, 30
	v_lshl_or_b32 v2, v0, 2, s4
	s_ashr_i32 s4, s8, 31
	s_add_i32 s5, s9, s5
	s_lshr_b32 s4, s4, 30
	v_cmp_gt_u32_e64 s1, 8, v0
	v_ashrrev_i32_e32 v3, 31, v2
	s_add_i32 s4, s8, s4
	v_mul_lo_u32 v1, v2, s30
	s_and_b32 s4, s4, -4
	v_add_nc_u32_e32 v30, 4, v2
	v_lshlrev_b64 v[3:4], 3, v[2:3]
	s_sub_i32 s34, s8, s4
	s_and_b32 s15, s5, -4
	v_add_nc_u32_e32 v31, s34, v2
	s_cmp_lt_i32 s15, 1
	s_delay_alu instid0(VALU_DEP_2)
	v_add_co_u32 v24, vcc_lo, s3, v3
	v_add_co_ci_u32_e32 v25, vcc_lo, s2, v4, vcc_lo
	s_cbranch_scc1 .LBB138_53
; %bb.7:
	v_cmp_gt_u32_e32 vcc_lo, 16, v28
	s_cmp_gt_i32 s34, 0
	v_cmp_ge_i32_e64 s2, s8, v30
	s_cselect_b32 s38, -1, 0
	s_lshl_b32 s39, s13, 2
	v_cndmask_b32_e64 v5, 0, 1, vcc_lo
	v_cmp_gt_u32_e32 vcc_lo, 24, v28
	s_lshl_b32 s40, s13, 1
	s_add_u32 s20, s6, s18
	s_addc_u32 s22, s7, s19
	v_lshlrev_b32_e32 v5, 4, v5
	v_cndmask_b32_e64 v6, 0, 1, vcc_lo
	v_cmp_gt_u32_e32 vcc_lo, 28, v28
	s_add_u32 s20, s16, s20
	s_addc_u32 s22, s17, s22
	v_add_lshl_u32 v32, v5, v28, 2
	v_mul_lo_u32 v5, v2, s30
	v_cndmask_b32_e64 v7, 0, 1, vcc_lo
	v_cmp_gt_u32_e32 vcc_lo, 30, v28
	v_lshlrev_b32_e32 v6, 3, v6
	v_cmp_ge_i32_e64 s3, s8, v31
	v_cmp_eq_u32_e64 s4, 0, v27
	v_lshlrev_b32_e32 v7, 2, v7
	v_cndmask_b32_e64 v8, 0, 1, vcc_lo
	v_cmp_ne_u32_e32 vcc_lo, 31, v28
	v_add_lshl_u32 v2, v6, v28, 2
	v_ashrrev_i32_e32 v6, 31, v5
	v_add_lshl_u32 v33, v7, v28, 2
	v_add_nc_u32_e32 v7, s30, v5
	v_add_co_ci_u32_e32 v9, vcc_lo, 0, v28, vcc_lo
	v_lshlrev_b32_e32 v8, 1, v8
	v_lshlrev_b64 v[11:12], 3, v[5:6]
	v_lshlrev_b32_e32 v36, 3, v27
	s_delay_alu instid0(VALU_DEP_4) | instskip(SKIP_4) | instid1(VALU_DEP_4)
	v_lshlrev_b32_e32 v35, 2, v9
	v_add_nc_u32_e32 v9, s30, v7
	v_add_lshl_u32 v34, v8, v28, 2
	v_ashrrev_i32_e32 v8, 31, v7
	v_add_co_u32 v6, vcc_lo, s31, v11
	v_add_nc_u32_e32 v15, s30, v9
	v_ashrrev_i32_e32 v10, 31, v9
	s_delay_alu instid0(VALU_DEP_4) | instskip(SKIP_1) | instid1(VALU_DEP_4)
	v_lshlrev_b64 v[13:14], 3, v[7:8]
	v_add_co_ci_u32_e32 v7, vcc_lo, s33, v12, vcc_lo
	v_ashrrev_i32_e32 v16, 31, v15
	s_delay_alu instid0(VALU_DEP_4) | instskip(SKIP_2) | instid1(VALU_DEP_4)
	v_lshlrev_b64 v[10:11], 3, v[9:10]
	v_and_b32_e32 v37, 56, v29
	v_add_co_u32 v8, vcc_lo, s31, v13
	v_lshlrev_b64 v[12:13], 3, v[15:16]
	v_add_co_ci_u32_e32 v9, vcc_lo, s33, v14, vcc_lo
	v_add_co_u32 v10, vcc_lo, s31, v10
	v_add_co_ci_u32_e32 v11, vcc_lo, s33, v11, vcc_lo
	s_delay_alu instid0(VALU_DEP_4) | instskip(SKIP_4) | instid1(VALU_DEP_3)
	v_add_co_u32 v12, vcc_lo, s31, v12
	v_add_co_ci_u32_e32 v13, vcc_lo, s33, v13, vcc_lo
	v_add_co_u32 v14, vcc_lo, s20, v3
	v_add_co_ci_u32_e32 v15, vcc_lo, s22, v4, vcc_lo
	v_cmp_eq_u32_e64 s5, 0, v0
	v_add_co_u32 v39, vcc_lo, v14, 4
	v_mov_b32_e32 v14, 0
	v_or_b32_e64 v38, 0, 4
	v_add_co_ci_u32_e32 v40, vcc_lo, 0, v15, vcc_lo
	s_mov_b32 s21, 0
	s_mul_i32 s41, s13, 3
	s_mov_b32 s22, s21
	s_mov_b32 s42, s13
	;; [unrolled: 1-line block ×3, first 2 shown]
	s_branch .LBB138_9
.LBB138_8:                              ;   in Loop: Header=BB138_9 Depth=1
	s_or_b32 exec_lo, exec_lo, s23
	s_add_i32 s35, s35, 4
	s_add_i32 s42, s42, s39
	;; [unrolled: 1-line block ×5, first 2 shown]
	s_cmp_ge_i32 s35, s15
	s_cbranch_scc1 .LBB138_54
.LBB138_9:                              ; =>This Loop Header: Depth=1
                                        ;     Child Loop BB138_40 Depth 2
                                        ;     Child Loop BB138_42 Depth 2
                                        ; implicit-def: $vgpr17
                                        ; implicit-def: $vgpr41
                                        ; implicit-def: $vgpr18
                                        ; implicit-def: $vgpr19
                                        ; implicit-def: $vgpr20
                                        ; implicit-def: $vgpr21
                                        ; implicit-def: $vgpr23
                                        ; implicit-def: $vgpr22
	s_and_saveexec_b32 s20, s2
	s_delay_alu instid0(SALU_CYCLE_1)
	s_xor_b32 s20, exec_lo, s20
	s_cbranch_execnz .LBB138_36
; %bb.10:                               ;   in Loop: Header=BB138_9 Depth=1
	s_and_not1_saveexec_b32 s20, s20
	s_cbranch_execnz .LBB138_37
.LBB138_11:                             ;   in Loop: Header=BB138_9 Depth=1
	s_or_b32 exec_lo, exec_lo, s20
	s_and_saveexec_b32 s20, s0
	s_cbranch_execz .LBB138_13
.LBB138_12:                             ;   in Loop: Header=BB138_9 Depth=1
	v_mov_b32_e32 v15, v14
	ds_store_b64 v36, v[14:15]
.LBB138_13:                             ;   in Loop: Header=BB138_9 Depth=1
	s_or_b32 exec_lo, exec_lo, s20
	ds_bpermute_b32 v16, v32, v41
	ds_bpermute_b32 v15, v32, v17
	s_waitcnt lgkmcnt(0)
	s_waitcnt_vscnt null, 0x0
	s_barrier
	buffer_gl0_inv
	v_add_f32_e32 v16, v41, v16
	ds_bpermute_b32 v41, v2, v16
	s_waitcnt lgkmcnt(0)
	v_dual_add_f32 v15, v17, v15 :: v_dual_add_f32 v16, v16, v41
	ds_bpermute_b32 v17, v2, v15
	ds_bpermute_b32 v41, v33, v16
	s_waitcnt lgkmcnt(1)
	v_add_f32_e32 v15, v15, v17
	s_waitcnt lgkmcnt(0)
	v_add_f32_e32 v16, v16, v41
	ds_bpermute_b32 v17, v33, v15
	ds_bpermute_b32 v41, v34, v16
	s_waitcnt lgkmcnt(1)
	v_add_f32_e32 v15, v15, v17
	s_waitcnt lgkmcnt(0)
	v_add_f32_e32 v16, v16, v41
	ds_bpermute_b32 v17, v34, v15
	ds_bpermute_b32 v41, v35, v16
	s_waitcnt lgkmcnt(1)
	v_add_f32_e32 v15, v15, v17
	ds_bpermute_b32 v17, v35, v15
	s_and_saveexec_b32 s20, s4
	s_cbranch_execz .LBB138_15
; %bb.14:                               ;   in Loop: Header=BB138_9 Depth=1
	s_waitcnt lgkmcnt(1)
	v_add_f32_e32 v16, v16, v41
	s_waitcnt lgkmcnt(0)
	v_add_f32_e32 v15, v15, v17
	ds_store_b64 v37, v[15:16]
.LBB138_15:                             ;   in Loop: Header=BB138_9 Depth=1
	s_or_b32 exec_lo, exec_lo, s20
	s_waitcnt lgkmcnt(0)
	v_dual_mov_b32 v17, 0 :: v_dual_mov_b32 v16, 0
	s_barrier
	buffer_gl0_inv
	s_and_saveexec_b32 s20, s1
	s_cbranch_execnz .LBB138_44
; %bb.16:                               ;   in Loop: Header=BB138_9 Depth=1
	s_or_b32 exec_lo, exec_lo, s20
	s_and_saveexec_b32 s20, s0
	s_cbranch_execnz .LBB138_45
.LBB138_17:                             ;   in Loop: Header=BB138_9 Depth=1
	s_or_b32 exec_lo, exec_lo, s20
	s_and_saveexec_b32 s20, s0
	s_cbranch_execz .LBB138_19
.LBB138_18:                             ;   in Loop: Header=BB138_9 Depth=1
	v_mov_b32_e32 v15, v14
	ds_store_b64 v36, v[14:15]
.LBB138_19:                             ;   in Loop: Header=BB138_9 Depth=1
	s_or_b32 exec_lo, exec_lo, s20
	ds_bpermute_b32 v15, v32, v18
	ds_bpermute_b32 v41, v32, v19
	s_waitcnt lgkmcnt(0)
	s_barrier
	buffer_gl0_inv
	v_dual_add_f32 v15, v18, v15 :: v_dual_add_f32 v18, v19, v41
	ds_bpermute_b32 v19, v2, v15
	ds_bpermute_b32 v41, v2, v18
	s_waitcnt lgkmcnt(0)
	v_dual_add_f32 v15, v15, v19 :: v_dual_add_f32 v18, v18, v41
	ds_bpermute_b32 v19, v33, v15
	ds_bpermute_b32 v41, v33, v18
	s_waitcnt lgkmcnt(0)
	;; [unrolled: 4-line block ×3, first 2 shown]
	v_dual_add_f32 v15, v15, v19 :: v_dual_add_f32 v18, v18, v41
	ds_bpermute_b32 v19, v35, v15
	ds_bpermute_b32 v41, v35, v18
	s_and_saveexec_b32 s20, s4
	s_cbranch_execz .LBB138_21
; %bb.20:                               ;   in Loop: Header=BB138_9 Depth=1
	s_waitcnt lgkmcnt(0)
	v_dual_add_f32 v42, v18, v41 :: v_dual_add_f32 v41, v15, v19
	ds_store_b64 v37, v[41:42]
.LBB138_21:                             ;   in Loop: Header=BB138_9 Depth=1
	s_or_b32 exec_lo, exec_lo, s20
	s_waitcnt lgkmcnt(1)
	v_dual_mov_b32 v19, 0 :: v_dual_mov_b32 v18, 0
	s_waitcnt lgkmcnt(0)
	s_barrier
	buffer_gl0_inv
	s_and_saveexec_b32 s20, s1
	s_cbranch_execnz .LBB138_46
; %bb.22:                               ;   in Loop: Header=BB138_9 Depth=1
	s_or_b32 exec_lo, exec_lo, s20
	s_and_saveexec_b32 s20, s0
	s_cbranch_execnz .LBB138_47
.LBB138_23:                             ;   in Loop: Header=BB138_9 Depth=1
	s_or_b32 exec_lo, exec_lo, s20
	s_and_saveexec_b32 s20, s0
	s_cbranch_execz .LBB138_25
.LBB138_24:                             ;   in Loop: Header=BB138_9 Depth=1
	v_mov_b32_e32 v15, v14
	ds_store_b64 v36, v[14:15]
.LBB138_25:                             ;   in Loop: Header=BB138_9 Depth=1
	s_or_b32 exec_lo, exec_lo, s20
	ds_bpermute_b32 v15, v32, v20
	ds_bpermute_b32 v41, v32, v21
	s_waitcnt lgkmcnt(0)
	s_barrier
	buffer_gl0_inv
	v_dual_add_f32 v15, v20, v15 :: v_dual_add_f32 v20, v21, v41
	ds_bpermute_b32 v21, v2, v15
	ds_bpermute_b32 v41, v2, v20
	s_waitcnt lgkmcnt(1)
	v_add_f32_e32 v15, v15, v21
	s_waitcnt lgkmcnt(0)
	v_add_f32_e32 v20, v20, v41
	ds_bpermute_b32 v21, v33, v15
	ds_bpermute_b32 v41, v33, v20
	s_waitcnt lgkmcnt(1)
	v_add_f32_e32 v15, v15, v21
	s_waitcnt lgkmcnt(0)
	v_add_f32_e32 v20, v20, v41
	ds_bpermute_b32 v21, v34, v15
	ds_bpermute_b32 v41, v34, v20
	s_waitcnt lgkmcnt(1)
	v_add_f32_e32 v15, v15, v21
	s_waitcnt lgkmcnt(0)
	v_add_f32_e32 v20, v20, v41
	ds_bpermute_b32 v21, v35, v15
	ds_bpermute_b32 v41, v35, v20
	s_and_saveexec_b32 s20, s4
	s_cbranch_execz .LBB138_27
; %bb.26:                               ;   in Loop: Header=BB138_9 Depth=1
	s_waitcnt lgkmcnt(0)
	v_add_f32_e32 v42, v20, v41
	v_add_f32_e32 v41, v15, v21
	ds_store_b64 v37, v[41:42]
.LBB138_27:                             ;   in Loop: Header=BB138_9 Depth=1
	s_or_b32 exec_lo, exec_lo, s20
	s_waitcnt lgkmcnt(1)
	v_dual_mov_b32 v21, 0 :: v_dual_mov_b32 v20, 0
	s_waitcnt lgkmcnt(0)
	s_barrier
	buffer_gl0_inv
	s_and_saveexec_b32 s20, s1
	s_cbranch_execnz .LBB138_48
; %bb.28:                               ;   in Loop: Header=BB138_9 Depth=1
	s_or_b32 exec_lo, exec_lo, s20
	s_and_saveexec_b32 s20, s0
	s_cbranch_execnz .LBB138_49
.LBB138_29:                             ;   in Loop: Header=BB138_9 Depth=1
	s_or_b32 exec_lo, exec_lo, s20
	s_and_saveexec_b32 s20, s0
	s_cbranch_execz .LBB138_31
.LBB138_30:                             ;   in Loop: Header=BB138_9 Depth=1
	v_mov_b32_e32 v15, v14
	ds_store_b64 v36, v[14:15]
.LBB138_31:                             ;   in Loop: Header=BB138_9 Depth=1
	s_or_b32 exec_lo, exec_lo, s20
	ds_bpermute_b32 v15, v32, v23
	ds_bpermute_b32 v41, v32, v22
	s_waitcnt lgkmcnt(0)
	s_barrier
	buffer_gl0_inv
	v_dual_add_f32 v15, v23, v15 :: v_dual_add_f32 v22, v22, v41
	ds_bpermute_b32 v23, v2, v15
	ds_bpermute_b32 v41, v2, v22
	s_waitcnt lgkmcnt(0)
	v_dual_add_f32 v15, v15, v23 :: v_dual_add_f32 v22, v22, v41
	ds_bpermute_b32 v23, v33, v15
	ds_bpermute_b32 v41, v33, v22
	s_waitcnt lgkmcnt(0)
	;; [unrolled: 4-line block ×3, first 2 shown]
	v_dual_add_f32 v15, v15, v23 :: v_dual_add_f32 v22, v22, v41
	ds_bpermute_b32 v23, v35, v15
	ds_bpermute_b32 v41, v35, v22
	s_and_saveexec_b32 s20, s4
	s_cbranch_execz .LBB138_33
; %bb.32:                               ;   in Loop: Header=BB138_9 Depth=1
	s_waitcnt lgkmcnt(0)
	v_dual_add_f32 v42, v22, v41 :: v_dual_add_f32 v41, v15, v23
	ds_store_b64 v37, v[41:42]
.LBB138_33:                             ;   in Loop: Header=BB138_9 Depth=1
	s_or_b32 exec_lo, exec_lo, s20
	s_waitcnt lgkmcnt(1)
	v_dual_mov_b32 v23, 0 :: v_dual_mov_b32 v22, 0
	s_waitcnt lgkmcnt(0)
	s_barrier
	buffer_gl0_inv
	s_and_saveexec_b32 s20, s1
	s_cbranch_execnz .LBB138_50
; %bb.34:                               ;   in Loop: Header=BB138_9 Depth=1
	s_or_b32 exec_lo, exec_lo, s20
	s_and_saveexec_b32 s20, s0
	s_cbranch_execnz .LBB138_51
.LBB138_35:                             ;   in Loop: Header=BB138_9 Depth=1
	s_or_b32 exec_lo, exec_lo, s20
	s_and_saveexec_b32 s23, s5
	s_cbranch_execz .LBB138_8
	s_branch .LBB138_52
.LBB138_36:                             ;   in Loop: Header=BB138_9 Depth=1
	s_mul_i32 s24, s35, s13
	s_delay_alu instid0(SALU_CYCLE_1)
	s_ashr_i32 s25, s24, 31
	s_add_i32 s26, s24, s13
	s_lshl_b64 s[24:25], s[24:25], 3
	s_ashr_i32 s27, s26, 31
	v_add_co_u32 v19, vcc_lo, v24, s24
	v_add_co_ci_u32_e32 v20, vcc_lo, s25, v25, vcc_lo
	s_lshl_b64 s[24:25], s[26:27], 3
	global_load_b128 v[15:18], v[19:20], off offset:16
	s_waitcnt lgkmcnt(0)
	global_load_b128 v[19:22], v[19:20], off
	v_add_co_u32 v54, vcc_lo, v24, s24
	s_add_i32 s24, s26, s13
	v_add_co_ci_u32_e32 v55, vcc_lo, s25, v25, vcc_lo
	s_ashr_i32 s25, s24, 31
	global_load_b64 v[42:43], v[6:7], off
	s_lshl_b64 s[26:27], s[24:25], 3
	s_add_i32 s24, s24, s13
	v_add_co_u32 v62, vcc_lo, v24, s26
	s_ashr_i32 s25, s24, 31
	v_add_co_ci_u32_e32 v63, vcc_lo, s27, v25, vcc_lo
	s_lshl_b64 s[24:25], s[24:25], 3
	s_clause 0x2
	global_load_b64 v[44:45], v[8:9], off
	global_load_b64 v[46:47], v[10:11], off
	;; [unrolled: 1-line block ×3, first 2 shown]
	v_add_co_u32 v70, vcc_lo, v24, s24
	s_clause 0x2
	global_load_b128 v[50:53], v[54:55], off
	global_load_b128 v[54:57], v[54:55], off offset:16
	global_load_b128 v[58:61], v[62:63], off
	v_add_co_ci_u32_e32 v71, vcc_lo, s25, v25, vcc_lo
	s_clause 0x2
	global_load_b128 v[62:65], v[62:63], off offset:16
	global_load_b128 v[66:69], v[70:71], off
	global_load_b128 v[70:73], v[70:71], off offset:16
	s_waitcnt vmcnt(8)
	scratch_store_b128 off, v[42:45], off
	s_waitcnt vmcnt(6)
	scratch_store_b128 off, v[46:49], off offset:16
	v_dual_mul_f32 v23, v20, v43 :: v_dual_mul_f32 v74, v47, v16
	v_dual_mul_f32 v75, v49, v18 :: v_dual_mul_f32 v16, v46, v16
	s_waitcnt vmcnt(5)
	v_dual_mul_f32 v18, v48, v18 :: v_dual_mul_f32 v77, v53, v45
	v_dual_mul_f32 v76, v51, v43 :: v_dual_mul_f32 v53, v53, v44
	v_mul_f32_e32 v51, v51, v42
	s_waitcnt vmcnt(4)
	v_dual_mul_f32 v78, v47, v55 :: v_dual_mul_f32 v79, v49, v57
	s_waitcnt vmcnt(3)
	v_dual_mul_f32 v57, v48, v57 :: v_dual_mul_f32 v80, v59, v43
	v_dual_mul_f32 v20, v20, v42 :: v_dual_mul_f32 v41, v22, v45
	v_mul_f32_e32 v22, v22, v44
	v_mul_f32_e32 v55, v46, v55
	v_dual_mul_f32 v59, v59, v42 :: v_dual_fmac_f32 v74, v46, v15
	s_waitcnt vmcnt(2)
	v_dual_mul_f32 v81, v61, v45 :: v_dual_mul_f32 v82, v47, v63
	v_dual_mul_f32 v61, v61, v44 :: v_dual_fmac_f32 v76, v50, v42
	v_dual_mul_f32 v83, v49, v65 :: v_dual_fmac_f32 v78, v46, v54
	;; [unrolled: 1-line block ×3, first 2 shown]
	v_fmac_f32_e32 v23, v19, v42
	v_fma_f32 v15, v47, v15, -v16
	v_fma_f32 v16, v49, v17, -v18
	s_waitcnt vmcnt(1)
	v_mul_f32_e32 v18, v67, v42
	v_fma_f32 v50, v50, v43, -v51
	v_mul_f32_e32 v63, v46, v63
	v_fma_f32 v19, v19, v43, -v20
	v_dual_fmac_f32 v41, v21, v44 :: v_dual_fmac_f32 v82, v46, v62
	v_fma_f32 v20, v21, v45, -v22
	v_dual_fmac_f32 v75, v48, v17 :: v_dual_add_f32 v50, 0, v50
	v_mul_f32_e32 v22, v69, v44
	v_fmac_f32_e32 v77, v52, v44
	v_fma_f32 v51, v52, v45, -v53
	v_fma_f32 v52, v47, v54, -v55
	;; [unrolled: 1-line block ×3, first 2 shown]
	v_fmac_f32_e32 v81, v60, v44
	v_fma_f32 v55, v60, v45, -v61
	v_fma_f32 v18, v66, v43, -v18
	v_dual_add_f32 v60, 0, v76 :: v_dual_add_f32 v23, 0, v23
	v_add_f32_e32 v61, 0, v80
	v_dual_mul_f32 v17, v67, v43 :: v_dual_add_f32 v54, 0, v54
	s_delay_alu instid0(VALU_DEP_4)
	v_dual_mul_f32 v21, v69, v45 :: v_dual_add_f32 v18, 0, v18
	s_waitcnt vmcnt(0)
	v_mul_f32_e32 v69, v46, v71
	v_fma_f32 v22, v68, v45, -v22
	v_add_f32_e32 v23, v23, v41
	v_dual_add_f32 v41, v50, v51 :: v_dual_add_f32 v50, v61, v81
	v_mul_f32_e32 v67, v47, v71
	s_delay_alu instid0(VALU_DEP_4) | instskip(NEXT) | instid1(VALU_DEP_3)
	v_dual_mul_f32 v71, v49, v73 :: v_dual_add_f32 v18, v18, v22
	v_dual_mul_f32 v73, v48, v73 :: v_dual_add_f32 v22, v50, v82
	v_fma_f32 v53, v49, v56, -v57
	v_fmac_f32_e32 v83, v48, v64
	v_fmac_f32_e32 v79, v48, v56
	v_fma_f32 v56, v47, v62, -v63
	v_add_f32_e32 v51, v54, v55
	v_add_f32_e32 v19, 0, v19
	v_fmac_f32_e32 v17, v66, v42
	v_fmac_f32_e32 v21, v68, v44
	v_fma_f32 v58, v47, v70, -v69
	v_add_f32_e32 v50, v51, v56
	v_add_f32_e32 v19, v19, v20
	;; [unrolled: 1-line block ×3, first 2 shown]
	v_fma_f32 v59, v49, v72, -v73
	v_fma_f32 v57, v49, v64, -v65
	v_fmac_f32_e32 v71, v48, v72
	v_add_f32_e32 v15, v19, v15
	v_add_f32_e32 v19, v17, v21
	;; [unrolled: 1-line block ×4, first 2 shown]
	s_delay_alu instid0(VALU_DEP_4) | instskip(SKIP_1) | instid1(VALU_DEP_1)
	v_dual_add_f32 v41, v15, v16 :: v_dual_add_f32 v16, v18, v58
	v_dual_add_f32 v20, v60, v77 :: v_dual_fmac_f32 v67, v46, v70
	v_dual_add_f32 v17, v23, v75 :: v_dual_add_f32 v20, v20, v78
	s_delay_alu instid0(VALU_DEP_1)
	v_add_f32_e32 v18, v20, v79
	v_add_f32_e32 v20, v22, v83
	v_add_f32_e32 v22, v16, v59
	v_add_f32_e32 v15, v19, v67
	v_add_f32_e32 v19, v21, v53
	v_add_f32_e32 v21, v50, v57
	s_delay_alu instid0(VALU_DEP_3)
	v_add_f32_e32 v23, v15, v71
	s_and_not1_saveexec_b32 s20, s20
	s_cbranch_execz .LBB138_11
.LBB138_37:                             ;   in Loop: Header=BB138_9 Depth=1
	v_dual_mov_b32 v17, 0 :: v_dual_mov_b32 v18, 0
	v_dual_mov_b32 v41, 0 :: v_dual_mov_b32 v20, 0
	s_waitcnt lgkmcnt(0)
	v_dual_mov_b32 v19, 0 :: v_dual_mov_b32 v22, 0
	v_mov_b32_e32 v21, 0
	v_mov_b32_e32 v23, 0
	s_and_saveexec_b32 s43, s3
	s_cbranch_execz .LBB138_43
; %bb.38:                               ;   in Loop: Header=BB138_9 Depth=1
	v_dual_mov_b32 v17, 0 :: v_dual_mov_b32 v18, 0
	v_dual_mov_b32 v41, 0 :: v_dual_mov_b32 v20, 0
	v_dual_mov_b32 v19, 0 :: v_dual_mov_b32 v22, 0
	v_mov_b32_e32 v21, 0
	v_mov_b32_e32 v23, 0
	s_and_not1_b32 vcc_lo, exec_lo, s38
	s_cbranch_vccnz .LBB138_43
; %bb.39:                               ;   in Loop: Header=BB138_9 Depth=1
	v_mov_b32_e32 v17, 0
	v_mov_b32_e32 v15, v5
	s_mov_b32 s23, s34
.LBB138_40:                             ;   Parent Loop BB138_9 Depth=1
                                        ; =>  This Inner Loop Header: Depth=2
	s_delay_alu instid0(VALU_DEP_1) | instskip(SKIP_1) | instid1(SALU_CYCLE_1)
	v_ashrrev_i32_e32 v16, 31, v15
	s_add_i32 s23, s23, -1
	s_cmp_eq_u32 s23, 0
	s_delay_alu instid0(VALU_DEP_1) | instskip(SKIP_1) | instid1(VALU_DEP_2)
	v_lshlrev_b64 v[18:19], 3, v[15:16]
	v_add_nc_u32_e32 v15, s30, v15
	v_add_co_u32 v18, vcc_lo, s31, v18
	s_delay_alu instid0(VALU_DEP_3)
	v_add_co_ci_u32_e32 v19, vcc_lo, s33, v19, vcc_lo
	global_load_b64 v[18:19], v[18:19], off
	s_waitcnt vmcnt(0)
	scratch_store_b64 v17, v[18:19], off
	v_add_nc_u32_e32 v17, 8, v17
	s_cbranch_scc0 .LBB138_40
; %bb.41:                               ;   in Loop: Header=BB138_9 Depth=1
	s_ashr_i32 s23, s22, 31
	v_dual_mov_b32 v22, 0 :: v_dual_mov_b32 v23, 0
	s_lshl_b64 s[24:25], s[22:23], 3
	v_dual_mov_b32 v42, v38 :: v_dual_mov_b32 v21, 0
	v_add_co_u32 v15, vcc_lo, v39, s24
	v_add_co_ci_u32_e32 v16, vcc_lo, s25, v40, vcc_lo
	v_dual_mov_b32 v20, 0 :: v_dual_mov_b32 v19, 0
	v_dual_mov_b32 v18, 0 :: v_dual_mov_b32 v41, 0
	v_mov_b32_e32 v17, 0
	s_mov_b32 s24, s41
	s_mov_b32 s26, s40
	;; [unrolled: 1-line block ×4, first 2 shown]
.LBB138_42:                             ;   Parent Loop BB138_9 Depth=1
                                        ; =>  This Inner Loop Header: Depth=2
	s_ashr_i32 s29, s28, 31
	s_ashr_i32 s27, s26, 31
	s_lshl_b64 s[44:45], s[28:29], 3
	s_lshl_b64 s[46:47], s[26:27], 3
	v_add_co_u32 v47, vcc_lo, v24, s44
	s_ashr_i32 s25, s24, 31
	v_add_co_ci_u32_e32 v48, vcc_lo, s45, v25, vcc_lo
	v_add_co_u32 v49, vcc_lo, v24, s46
	s_lshl_b64 s[48:49], s[24:25], 3
	v_add_co_ci_u32_e32 v50, vcc_lo, s47, v25, vcc_lo
	scratch_load_b64 v[43:44], v42, off offset:-4
	global_load_b64 v[45:46], v[15:16], off offset:-4
	v_add_co_u32 v51, vcc_lo, v24, s48
	v_add_co_ci_u32_e32 v52, vcc_lo, s49, v25, vcc_lo
	s_clause 0x2
	global_load_b64 v[47:48], v[47:48], off
	global_load_b64 v[49:50], v[49:50], off
	global_load_b64 v[51:52], v[51:52], off
	v_add_co_u32 v15, vcc_lo, v15, 8
	v_add_co_ci_u32_e32 v16, vcc_lo, 0, v16, vcc_lo
	s_add_i32 s23, s23, -1
	s_add_i32 s28, s28, 1
	s_add_i32 s26, s26, 1
	;; [unrolled: 1-line block ×3, first 2 shown]
	s_cmp_lg_u32 s23, 0
	s_waitcnt vmcnt(3)
	v_mul_f32_e32 v53, v44, v46
	v_mul_f32_e32 v46, v43, v46
	s_delay_alu instid0(VALU_DEP_2) | instskip(SKIP_2) | instid1(VALU_DEP_3)
	v_dual_fmac_f32 v53, v43, v45 :: v_dual_add_nc_u32 v42, 8, v42
	s_waitcnt vmcnt(0)
	v_mul_f32_e32 v55, v44, v52
	v_fma_f32 v45, v44, v45, -v46
	v_mul_f32_e32 v46, v44, v48
	v_dual_mul_f32 v48, v43, v48 :: v_dual_add_f32 v17, v17, v53
	s_delay_alu instid0(VALU_DEP_3)
	v_dual_mul_f32 v54, v44, v50 :: v_dual_add_f32 v41, v41, v45
	v_mul_f32_e32 v50, v43, v50
	v_mul_f32_e32 v52, v43, v52
	v_fmac_f32_e32 v46, v43, v47
	v_fma_f32 v45, v44, v47, -v48
	v_fmac_f32_e32 v54, v43, v49
	v_fma_f32 v47, v44, v49, -v50
	s_delay_alu instid0(VALU_DEP_4) | instskip(SKIP_1) | instid1(VALU_DEP_4)
	v_dual_fmac_f32 v55, v43, v51 :: v_dual_add_f32 v18, v18, v46
	v_fma_f32 v43, v44, v51, -v52
	v_dual_add_f32 v19, v19, v45 :: v_dual_add_f32 v20, v20, v54
	s_delay_alu instid0(VALU_DEP_4) | instskip(NEXT) | instid1(VALU_DEP_4)
	v_add_f32_e32 v21, v21, v47
	v_add_f32_e32 v23, v23, v55
	s_delay_alu instid0(VALU_DEP_4)
	v_add_f32_e32 v22, v22, v43
	s_cbranch_scc1 .LBB138_42
.LBB138_43:                             ;   in Loop: Header=BB138_9 Depth=1
	s_or_b32 exec_lo, exec_lo, s43
	s_delay_alu instid0(SALU_CYCLE_1)
	s_or_b32 exec_lo, exec_lo, s20
	s_and_saveexec_b32 s20, s0
	s_cbranch_execnz .LBB138_12
	s_branch .LBB138_13
.LBB138_44:                             ;   in Loop: Header=BB138_9 Depth=1
	ds_load_b64 v[16:17], v36
	s_or_b32 exec_lo, exec_lo, s20
	s_and_saveexec_b32 s20, s0
	s_cbranch_execz .LBB138_17
.LBB138_45:                             ;   in Loop: Header=BB138_9 Depth=1
	s_waitcnt lgkmcnt(0)
	ds_bpermute_b32 v15, v33, v16
	ds_bpermute_b32 v41, v33, v17
	s_waitcnt lgkmcnt(0)
	v_dual_add_f32 v15, v16, v15 :: v_dual_add_f32 v16, v17, v41
	ds_bpermute_b32 v17, v34, v15
	ds_bpermute_b32 v41, v34, v16
	s_waitcnt lgkmcnt(1)
	v_add_f32_e32 v15, v15, v17
	s_waitcnt lgkmcnt(0)
	v_add_f32_e32 v17, v16, v41
	ds_bpermute_b32 v16, v35, v15
	s_waitcnt lgkmcnt(0)
	v_add_f32_e32 v16, v15, v16
	ds_bpermute_b32 v41, v35, v17
	s_waitcnt lgkmcnt(0)
	v_add_f32_e32 v17, v17, v41
	s_or_b32 exec_lo, exec_lo, s20
	s_and_saveexec_b32 s20, s0
	s_cbranch_execnz .LBB138_18
	s_branch .LBB138_19
.LBB138_46:                             ;   in Loop: Header=BB138_9 Depth=1
	ds_load_b64 v[18:19], v36
	s_or_b32 exec_lo, exec_lo, s20
	s_and_saveexec_b32 s20, s0
	s_cbranch_execz .LBB138_23
.LBB138_47:                             ;   in Loop: Header=BB138_9 Depth=1
	s_waitcnt lgkmcnt(0)
	ds_bpermute_b32 v15, v33, v18
	ds_bpermute_b32 v41, v33, v19
	s_waitcnt lgkmcnt(0)
	v_dual_add_f32 v15, v18, v15 :: v_dual_add_f32 v18, v19, v41
	ds_bpermute_b32 v19, v34, v15
	ds_bpermute_b32 v41, v34, v18
	s_waitcnt lgkmcnt(1)
	v_add_f32_e32 v15, v15, v19
	s_waitcnt lgkmcnt(0)
	v_add_f32_e32 v19, v18, v41
	ds_bpermute_b32 v18, v35, v15
	s_waitcnt lgkmcnt(0)
	v_add_f32_e32 v18, v15, v18
	ds_bpermute_b32 v41, v35, v19
	s_waitcnt lgkmcnt(0)
	v_add_f32_e32 v19, v19, v41
	s_or_b32 exec_lo, exec_lo, s20
	s_and_saveexec_b32 s20, s0
	s_cbranch_execnz .LBB138_24
	s_branch .LBB138_25
.LBB138_48:                             ;   in Loop: Header=BB138_9 Depth=1
	ds_load_b64 v[20:21], v36
	s_or_b32 exec_lo, exec_lo, s20
	s_and_saveexec_b32 s20, s0
	s_cbranch_execz .LBB138_29
.LBB138_49:                             ;   in Loop: Header=BB138_9 Depth=1
	s_waitcnt lgkmcnt(0)
	ds_bpermute_b32 v15, v33, v20
	ds_bpermute_b32 v41, v33, v21
	s_waitcnt lgkmcnt(0)
	v_dual_add_f32 v15, v20, v15 :: v_dual_add_f32 v20, v21, v41
	ds_bpermute_b32 v21, v34, v15
	ds_bpermute_b32 v41, v34, v20
	s_waitcnt lgkmcnt(1)
	v_add_f32_e32 v15, v15, v21
	s_waitcnt lgkmcnt(0)
	v_add_f32_e32 v21, v20, v41
	ds_bpermute_b32 v20, v35, v15
	s_waitcnt lgkmcnt(0)
	v_add_f32_e32 v20, v15, v20
	ds_bpermute_b32 v41, v35, v21
	s_waitcnt lgkmcnt(0)
	v_add_f32_e32 v21, v21, v41
	s_or_b32 exec_lo, exec_lo, s20
	s_and_saveexec_b32 s20, s0
	s_cbranch_execnz .LBB138_30
	s_branch .LBB138_31
.LBB138_50:                             ;   in Loop: Header=BB138_9 Depth=1
	ds_load_b64 v[22:23], v36
	s_or_b32 exec_lo, exec_lo, s20
	s_and_saveexec_b32 s20, s0
	s_cbranch_execz .LBB138_35
.LBB138_51:                             ;   in Loop: Header=BB138_9 Depth=1
	s_waitcnt lgkmcnt(0)
	ds_bpermute_b32 v15, v33, v22
	ds_bpermute_b32 v41, v33, v23
	s_waitcnt lgkmcnt(0)
	v_dual_add_f32 v15, v22, v15 :: v_dual_add_f32 v22, v23, v41
	ds_bpermute_b32 v23, v34, v15
	ds_bpermute_b32 v41, v34, v22
	s_waitcnt lgkmcnt(1)
	v_add_f32_e32 v15, v15, v23
	s_waitcnt lgkmcnt(0)
	v_add_f32_e32 v23, v22, v41
	ds_bpermute_b32 v22, v35, v15
	s_waitcnt lgkmcnt(0)
	v_add_f32_e32 v22, v15, v22
	ds_bpermute_b32 v41, v35, v23
	s_waitcnt lgkmcnt(0)
	v_add_f32_e32 v23, v23, v41
	s_or_b32 exec_lo, exec_lo, s20
	s_and_saveexec_b32 s23, s5
	s_cbranch_execz .LBB138_8
.LBB138_52:                             ;   in Loop: Header=BB138_9 Depth=1
	v_mul_f32_e32 v42, s10, v17
	v_mul_f32_e32 v15, s11, v17
	s_mul_i32 s20, s35, s12
	v_mul_f32_e32 v17, s11, v21
	s_add_i32 s20, s20, s14
	v_fmac_f32_e32 v42, s11, v16
	s_lshl_b64 s[24:25], s[20:21], 3
	v_fma_f32 v41, v16, s10, -v15
	s_add_u32 s24, s36, s24
	s_addc_u32 s25, s37, s25
	s_add_i32 s20, s20, s12
	v_mul_f32_e32 v15, s11, v19
	global_store_b64 v14, v[41:42], s[24:25]
	v_mul_f32_e32 v16, s10, v19
	s_lshl_b64 s[24:25], s[20:21], 3
	v_mul_f32_e32 v19, s10, v21
	s_add_u32 s24, s36, s24
	s_addc_u32 s25, s37, s25
	v_fmac_f32_e32 v16, s11, v18
	s_add_i32 s20, s20, s12
	v_fma_f32 v15, v18, s10, -v15
	v_fma_f32 v18, v20, s10, -v17
	s_waitcnt lgkmcnt(0)
	v_mul_f32_e32 v17, s11, v23
	s_lshl_b64 s[26:27], s[20:21], 3
	v_mul_f32_e32 v21, s10, v23
	s_add_u32 s26, s36, s26
	s_addc_u32 s27, s37, s27
	s_add_i32 s20, s20, s12
	v_fmac_f32_e32 v19, s11, v20
	v_fma_f32 v20, v22, s10, -v17
	v_fmac_f32_e32 v21, s11, v22
	s_lshl_b64 s[28:29], s[20:21], 3
	global_store_b64 v14, v[15:16], s[24:25]
	s_add_u32 s24, s36, s28
	s_addc_u32 s25, s37, s29
	s_clause 0x1
	global_store_b64 v14, v[18:19], s[26:27]
	global_store_b64 v14, v[20:21], s[24:25]
	s_branch .LBB138_8
.LBB138_53:
	s_mov_b32 s35, 0
.LBB138_54:
	s_delay_alu instid0(SALU_CYCLE_1)
	s_cmp_ge_i32 s35, s9
	s_cbranch_scc1 .LBB138_76
; %bb.55:
	v_cmp_gt_u32_e64 s1, 16, v28
	v_cmp_ge_i32_e64 s4, s8, v31
	s_cmp_gt_i32 s34, 0
	s_mov_b32 s15, 0
	s_cselect_b32 s20, -1, 0
	v_cndmask_b32_e64 v2, 0, 1, s1
	v_cmp_gt_u32_e64 s1, 24, v28
	s_lshl_b64 s[14:15], s[14:15], 3
	v_cmp_ge_i32_e32 vcc_lo, s8, v30
	s_add_u32 s8, s36, s14
	v_lshlrev_b32_e32 v2, 4, v2
	v_cndmask_b32_e64 v5, 0, 1, s1
	v_cmp_gt_u32_e64 s1, 28, v28
	s_addc_u32 s14, s37, s15
	v_cmp_gt_u32_e64 s0, 32, v0
	v_add_lshl_u32 v15, v2, v28, 2
	v_lshlrev_b32_e32 v5, 3, v5
	v_cndmask_b32_e64 v6, 0, 1, s1
	v_cmp_gt_u32_e64 s1, 30, v28
	v_ashrrev_i32_e32 v2, 31, v1
	v_cmp_gt_u32_e64 s2, 8, v0
	v_add_lshl_u32 v16, v5, v28, 2
	v_add_nc_u32_e32 v5, s30, v1
	v_cndmask_b32_e64 v7, 0, 1, s1
	v_cmp_ne_u32_e64 s1, 31, v28
	v_lshlrev_b32_e32 v6, 2, v6
	v_lshlrev_b64 v[9:10], 3, v[1:2]
	v_cmp_eq_u32_e64 s3, 0, v0
	v_lshlrev_b32_e32 v7, 1, v7
	v_add_co_ci_u32_e64 v8, s1, 0, v28, s1
	v_add_lshl_u32 v17, v6, v28, 2
	v_ashrrev_i32_e32 v6, 31, v5
	s_delay_alu instid0(VALU_DEP_4)
	v_add_lshl_u32 v18, v7, v28, 2
	v_add_nc_u32_e32 v7, s30, v5
	v_lshlrev_b32_e32 v19, 2, v8
	v_lshlrev_b32_e32 v14, 3, v27
	v_lshlrev_b64 v[11:12], 3, v[5:6]
	v_add_co_u32 v5, s5, s31, v9
	v_ashrrev_i32_e32 v8, 31, v7
	v_add_co_ci_u32_e64 v6, s5, s33, v10, s5
	v_add_nc_u32_e32 v21, s30, v7
	v_cmp_eq_u32_e64 s1, 0, v27
	s_delay_alu instid0(VALU_DEP_4) | instskip(SKIP_1) | instid1(VALU_DEP_1)
	v_lshlrev_b64 v[9:10], 3, v[7:8]
	v_add_co_u32 v7, s5, s31, v11
	v_add_co_ci_u32_e64 v8, s5, s33, v12, s5
	s_waitcnt lgkmcnt(0)
	v_ashrrev_i32_e32 v22, 31, v21
	s_delay_alu instid0(VALU_DEP_4) | instskip(NEXT) | instid1(VALU_DEP_1)
	v_add_co_u32 v9, s5, s31, v9
	v_add_co_ci_u32_e64 v10, s5, s33, v10, s5
	s_and_b32 s5, s20, s4
	s_add_u32 s4, s6, s18
	v_lshlrev_b64 v[11:12], 3, v[21:22]
	s_addc_u32 s6, s7, s19
	s_add_u32 s4, s16, s4
	s_addc_u32 s6, s17, s6
	v_add_co_u32 v0, s4, s4, v3
	s_delay_alu instid0(VALU_DEP_1)
	v_add_co_ci_u32_e64 v4, s4, s6, v4, s4
	v_add_co_u32 v2, s4, s31, v11
	v_mov_b32_e32 v11, 0
	v_add_co_ci_u32_e64 v3, s4, s33, v12, s4
	v_add_co_u32 v0, s4, v0, 4
	v_and_b32_e32 v20, 56, v29
	v_add_co_ci_u32_e64 v4, s4, 0, v4, s4
	s_mul_i32 s6, s35, s13
	s_branch .LBB138_57
.LBB138_56:                             ;   in Loop: Header=BB138_57 Depth=1
	s_or_b32 exec_lo, exec_lo, s4
	s_add_i32 s35, s35, 1
	s_add_i32 s6, s6, s13
	s_cmp_lt_i32 s35, s9
	s_cbranch_scc0 .LBB138_76
.LBB138_57:                             ; =>This Loop Header: Depth=1
                                        ;     Child Loop BB138_69 Depth 2
                                        ;     Child Loop BB138_71 Depth 2
                                        ; implicit-def: $vgpr21
                                        ; implicit-def: $vgpr22
	s_and_saveexec_b32 s4, vcc_lo
	s_delay_alu instid0(SALU_CYCLE_1)
	s_xor_b32 s7, exec_lo, s4
	s_cbranch_execnz .LBB138_66
; %bb.58:                               ;   in Loop: Header=BB138_57 Depth=1
	s_and_not1_saveexec_b32 s15, s7
	s_cbranch_execnz .LBB138_67
.LBB138_59:                             ;   in Loop: Header=BB138_57 Depth=1
	s_or_b32 exec_lo, exec_lo, s15
	s_and_saveexec_b32 s4, s0
	s_cbranch_execz .LBB138_61
.LBB138_60:                             ;   in Loop: Header=BB138_57 Depth=1
	s_waitcnt lgkmcnt(0)
	v_mov_b32_e32 v12, v11
	ds_store_b64 v14, v[11:12]
.LBB138_61:                             ;   in Loop: Header=BB138_57 Depth=1
	s_or_b32 exec_lo, exec_lo, s4
	s_waitcnt lgkmcnt(0)
	ds_bpermute_b32 v12, v15, v21
	ds_bpermute_b32 v13, v15, v22
	s_waitcnt lgkmcnt(0)
	s_waitcnt_vscnt null, 0x0
	s_barrier
	buffer_gl0_inv
	v_dual_add_f32 v12, v21, v12 :: v_dual_add_f32 v13, v22, v13
	ds_bpermute_b32 v21, v16, v12
	ds_bpermute_b32 v22, v16, v13
	s_waitcnt lgkmcnt(0)
	v_dual_add_f32 v12, v12, v21 :: v_dual_add_f32 v13, v13, v22
	ds_bpermute_b32 v21, v17, v12
	ds_bpermute_b32 v22, v17, v13
	s_waitcnt lgkmcnt(0)
	;; [unrolled: 4-line block ×3, first 2 shown]
	v_dual_add_f32 v12, v12, v21 :: v_dual_add_f32 v13, v13, v22
	ds_bpermute_b32 v21, v19, v12
	ds_bpermute_b32 v22, v19, v13
	s_and_saveexec_b32 s4, s1
	s_cbranch_execz .LBB138_63
; %bb.62:                               ;   in Loop: Header=BB138_57 Depth=1
	s_waitcnt lgkmcnt(0)
	v_dual_add_f32 v13, v13, v22 :: v_dual_add_f32 v12, v12, v21
	ds_store_b64 v20, v[12:13]
.LBB138_63:                             ;   in Loop: Header=BB138_57 Depth=1
	s_or_b32 exec_lo, exec_lo, s4
	v_dual_mov_b32 v13, 0 :: v_dual_mov_b32 v12, 0
	s_waitcnt lgkmcnt(0)
	s_barrier
	buffer_gl0_inv
	s_and_saveexec_b32 s4, s2
	s_cbranch_execnz .LBB138_73
; %bb.64:                               ;   in Loop: Header=BB138_57 Depth=1
	s_or_b32 exec_lo, exec_lo, s4
	s_and_saveexec_b32 s4, s0
	s_cbranch_execnz .LBB138_74
.LBB138_65:                             ;   in Loop: Header=BB138_57 Depth=1
	s_or_b32 exec_lo, exec_lo, s4
	s_and_saveexec_b32 s4, s3
	s_cbranch_execz .LBB138_56
	s_branch .LBB138_75
.LBB138_66:                             ;   in Loop: Header=BB138_57 Depth=1
	s_mul_i32 s16, s35, s13
	s_delay_alu instid0(SALU_CYCLE_1) | instskip(NEXT) | instid1(SALU_CYCLE_1)
	s_ashr_i32 s17, s16, 31
	s_lshl_b64 s[16:17], s[16:17], 3
	s_waitcnt lgkmcnt(0)
	v_add_co_u32 v12, s4, v24, s16
	s_delay_alu instid0(VALU_DEP_1)
	v_add_co_ci_u32_e64 v13, s4, s17, v25, s4
	global_load_b128 v[27:30], v[12:13], off
	s_clause 0x1
	global_load_b64 v[31:32], v[5:6], off
	global_load_b64 v[33:34], v[7:8], off
	global_load_b128 v[35:38], v[12:13], off offset:16
	s_clause 0x1
	global_load_b64 v[39:40], v[9:10], off
	global_load_b64 v[41:42], v[2:3], off
	s_waitcnt vmcnt(3)
	scratch_store_b128 off, v[31:34], off
	s_waitcnt vmcnt(0)
	scratch_store_b128 off, v[39:42], off offset:16
	v_dual_mul_f32 v12, v28, v32 :: v_dual_mul_f32 v21, v30, v34
	v_dual_mul_f32 v13, v28, v31 :: v_dual_mul_f32 v22, v30, v33
	s_delay_alu instid0(VALU_DEP_2) | instskip(NEXT) | instid1(VALU_DEP_3)
	v_dual_mul_f32 v23, v36, v40 :: v_dual_fmac_f32 v12, v27, v31
	v_fmac_f32_e32 v21, v29, v33
	s_delay_alu instid0(VALU_DEP_3) | instskip(SKIP_1) | instid1(VALU_DEP_4)
	v_fma_f32 v13, v27, v32, -v13
	v_dual_mul_f32 v28, v36, v39 :: v_dual_mul_f32 v27, v38, v42
	v_add_f32_e32 v12, 0, v12
	v_fma_f32 v22, v29, v34, -v22
	v_fmac_f32_e32 v23, v35, v39
	s_delay_alu instid0(VALU_DEP_4) | instskip(SKIP_2) | instid1(VALU_DEP_1)
	v_fma_f32 v28, v35, v40, -v28
	v_fmac_f32_e32 v27, v37, v41
	v_add_f32_e32 v12, v12, v21
	v_dual_add_f32 v13, 0, v13 :: v_dual_add_f32 v12, v12, v23
	s_delay_alu instid0(VALU_DEP_1) | instskip(NEXT) | instid1(VALU_DEP_2)
	v_add_f32_e32 v13, v13, v22
	v_add_f32_e32 v21, v12, v27
	s_delay_alu instid0(VALU_DEP_2) | instskip(SKIP_1) | instid1(VALU_DEP_1)
	v_add_f32_e32 v13, v13, v28
	v_mul_f32_e32 v29, v38, v41
	v_fma_f32 v22, v37, v42, -v29
	s_delay_alu instid0(VALU_DEP_1)
	v_add_f32_e32 v22, v13, v22
	s_and_not1_saveexec_b32 s15, s7
	s_cbranch_execz .LBB138_59
.LBB138_67:                             ;   in Loop: Header=BB138_57 Depth=1
	v_dual_mov_b32 v21, 0 :: v_dual_mov_b32 v22, 0
	s_and_saveexec_b32 s16, s5
	s_cbranch_execz .LBB138_72
; %bb.68:                               ;   in Loop: Header=BB138_57 Depth=1
	s_waitcnt lgkmcnt(0)
	v_dual_mov_b32 v21, 0 :: v_dual_mov_b32 v12, v1
	s_mov_b32 s7, s34
.LBB138_69:                             ;   Parent Loop BB138_57 Depth=1
                                        ; =>  This Inner Loop Header: Depth=2
	s_delay_alu instid0(VALU_DEP_1) | instskip(SKIP_1) | instid1(SALU_CYCLE_1)
	v_ashrrev_i32_e32 v13, 31, v12
	s_add_i32 s7, s7, -1
	s_cmp_eq_u32 s7, 0
	s_delay_alu instid0(VALU_DEP_1) | instskip(SKIP_1) | instid1(VALU_DEP_2)
	v_lshlrev_b64 v[22:23], 3, v[12:13]
	v_add_nc_u32_e32 v12, s30, v12
	v_add_co_u32 v22, s4, s31, v22
	s_delay_alu instid0(VALU_DEP_1)
	v_add_co_ci_u32_e64 v23, s4, s33, v23, s4
	global_load_b64 v[22:23], v[22:23], off
	s_waitcnt vmcnt(0)
	scratch_store_b64 v21, v[22:23], off
	v_add_nc_u32_e32 v21, 8, v21
	s_cbranch_scc0 .LBB138_69
; %bb.70:                               ;   in Loop: Header=BB138_57 Depth=1
	s_ashr_i32 s7, s6, 31
	v_dual_mov_b32 v21, 0 :: v_dual_mov_b32 v22, 0
	s_lshl_b64 s[18:19], s[6:7], 3
	v_mov_b32_e32 v23, v26
	v_add_co_u32 v12, s4, v0, s18
	s_delay_alu instid0(VALU_DEP_1)
	v_add_co_ci_u32_e64 v13, s4, s19, v4, s4
	s_mov_b32 s7, s34
	.p2align	6
.LBB138_71:                             ;   Parent Loop BB138_57 Depth=1
                                        ; =>  This Inner Loop Header: Depth=2
	global_load_b64 v[27:28], v[12:13], off offset:-4
	scratch_load_b64 v[29:30], v23, off offset:-4
	v_add_co_u32 v12, s4, v12, 8
	s_delay_alu instid0(VALU_DEP_1)
	v_add_co_ci_u32_e64 v13, s4, 0, v13, s4
	s_add_i32 s7, s7, -1
	v_add_nc_u32_e32 v23, 8, v23
	s_cmp_lg_u32 s7, 0
	s_waitcnt vmcnt(0)
	v_mul_f32_e32 v31, v28, v30
	v_mul_f32_e32 v28, v28, v29
	s_delay_alu instid0(VALU_DEP_2) | instskip(NEXT) | instid1(VALU_DEP_2)
	v_fmac_f32_e32 v31, v27, v29
	v_fma_f32 v27, v27, v30, -v28
	s_delay_alu instid0(VALU_DEP_2) | instskip(NEXT) | instid1(VALU_DEP_2)
	v_add_f32_e32 v21, v21, v31
	v_add_f32_e32 v22, v22, v27
	s_cbranch_scc1 .LBB138_71
.LBB138_72:                             ;   in Loop: Header=BB138_57 Depth=1
	s_or_b32 exec_lo, exec_lo, s16
	s_delay_alu instid0(SALU_CYCLE_1)
	s_or_b32 exec_lo, exec_lo, s15
	s_and_saveexec_b32 s4, s0
	s_cbranch_execnz .LBB138_60
	s_branch .LBB138_61
.LBB138_73:                             ;   in Loop: Header=BB138_57 Depth=1
	ds_load_b64 v[12:13], v14
	s_or_b32 exec_lo, exec_lo, s4
	s_and_saveexec_b32 s4, s0
	s_cbranch_execz .LBB138_65
.LBB138_74:                             ;   in Loop: Header=BB138_57 Depth=1
	s_waitcnt lgkmcnt(0)
	ds_bpermute_b32 v21, v17, v12
	ds_bpermute_b32 v22, v17, v13
	s_waitcnt lgkmcnt(0)
	v_dual_add_f32 v12, v12, v21 :: v_dual_add_f32 v13, v13, v22
	ds_bpermute_b32 v21, v18, v12
	ds_bpermute_b32 v22, v18, v13
	s_waitcnt lgkmcnt(0)
	v_dual_add_f32 v12, v12, v21 :: v_dual_add_f32 v13, v13, v22
	;; [unrolled: 4-line block ×3, first 2 shown]
	s_or_b32 exec_lo, exec_lo, s4
	s_and_saveexec_b32 s4, s3
	s_cbranch_execz .LBB138_56
.LBB138_75:                             ;   in Loop: Header=BB138_57 Depth=1
	s_waitcnt lgkmcnt(0)
	v_mul_f32_e32 v22, s10, v13
	v_mul_f32_e32 v21, s11, v13
	s_mul_hi_u32 s17, s35, s12
	s_mul_i32 s16, s35, s12
	s_delay_alu instid0(VALU_DEP_2) | instskip(NEXT) | instid1(VALU_DEP_2)
	v_fmac_f32_e32 v22, s11, v12
	v_fma_f32 v21, v12, s10, -v21
	s_lshl_b64 s[16:17], s[16:17], 3
	s_delay_alu instid0(SALU_CYCLE_1)
	s_add_u32 s16, s8, s16
	s_addc_u32 s17, s14, s17
	global_store_b64 v11, v[21:22], s[16:17]
	s_branch .LBB138_56
.LBB138_76:
	s_nop 0
	s_sendmsg sendmsg(MSG_DEALLOC_VGPRS)
	s_endpgm
	.section	.rodata,"a",@progbits
	.p2align	6, 0x0
	.amdhsa_kernel _ZL23rocblas_gemvt_sn_kernelILb1ELi256ELi4Ei19rocblas_complex_numIfES1_S1_EviiT4_lPKT3_lilS5_lilPT5_i
		.amdhsa_group_segment_fixed_size 256
		.amdhsa_private_segment_fixed_size 48
		.amdhsa_kernarg_size 360
		.amdhsa_user_sgpr_count 14
		.amdhsa_user_sgpr_dispatch_ptr 0
		.amdhsa_user_sgpr_queue_ptr 0
		.amdhsa_user_sgpr_kernarg_segment_ptr 1
		.amdhsa_user_sgpr_dispatch_id 0
		.amdhsa_user_sgpr_private_segment_size 0
		.amdhsa_wavefront_size32 1
		.amdhsa_uses_dynamic_stack 0
		.amdhsa_enable_private_segment 1
		.amdhsa_system_sgpr_workgroup_id_x 1
		.amdhsa_system_sgpr_workgroup_id_y 0
		.amdhsa_system_sgpr_workgroup_id_z 1
		.amdhsa_system_sgpr_workgroup_info 0
		.amdhsa_system_vgpr_workitem_id 0
		.amdhsa_next_free_vgpr 84
		.amdhsa_next_free_sgpr 50
		.amdhsa_reserve_vcc 1
		.amdhsa_float_round_mode_32 0
		.amdhsa_float_round_mode_16_64 0
		.amdhsa_float_denorm_mode_32 3
		.amdhsa_float_denorm_mode_16_64 3
		.amdhsa_dx10_clamp 1
		.amdhsa_ieee_mode 1
		.amdhsa_fp16_overflow 0
		.amdhsa_workgroup_processor_mode 1
		.amdhsa_memory_ordered 1
		.amdhsa_forward_progress 0
		.amdhsa_shared_vgpr_count 0
		.amdhsa_exception_fp_ieee_invalid_op 0
		.amdhsa_exception_fp_denorm_src 0
		.amdhsa_exception_fp_ieee_div_zero 0
		.amdhsa_exception_fp_ieee_overflow 0
		.amdhsa_exception_fp_ieee_underflow 0
		.amdhsa_exception_fp_ieee_inexact 0
		.amdhsa_exception_int_div_zero 0
	.end_amdhsa_kernel
	.section	.text._ZL23rocblas_gemvt_sn_kernelILb1ELi256ELi4Ei19rocblas_complex_numIfES1_S1_EviiT4_lPKT3_lilS5_lilPT5_i,"axG",@progbits,_ZL23rocblas_gemvt_sn_kernelILb1ELi256ELi4Ei19rocblas_complex_numIfES1_S1_EviiT4_lPKT3_lilS5_lilPT5_i,comdat
.Lfunc_end138:
	.size	_ZL23rocblas_gemvt_sn_kernelILb1ELi256ELi4Ei19rocblas_complex_numIfES1_S1_EviiT4_lPKT3_lilS5_lilPT5_i, .Lfunc_end138-_ZL23rocblas_gemvt_sn_kernelILb1ELi256ELi4Ei19rocblas_complex_numIfES1_S1_EviiT4_lPKT3_lilS5_lilPT5_i
                                        ; -- End function
	.section	.AMDGPU.csdata,"",@progbits
; Kernel info:
; codeLenInByte = 5464
; NumSgprs: 52
; NumVgprs: 84
; ScratchSize: 48
; MemoryBound: 0
; FloatMode: 240
; IeeeMode: 1
; LDSByteSize: 256 bytes/workgroup (compile time only)
; SGPRBlocks: 6
; VGPRBlocks: 10
; NumSGPRsForWavesPerEU: 52
; NumVGPRsForWavesPerEU: 84
; Occupancy: 16
; WaveLimiterHint : 1
; COMPUTE_PGM_RSRC2:SCRATCH_EN: 1
; COMPUTE_PGM_RSRC2:USER_SGPR: 14
; COMPUTE_PGM_RSRC2:TRAP_HANDLER: 0
; COMPUTE_PGM_RSRC2:TGID_X_EN: 1
; COMPUTE_PGM_RSRC2:TGID_Y_EN: 0
; COMPUTE_PGM_RSRC2:TGID_Z_EN: 1
; COMPUTE_PGM_RSRC2:TIDIG_COMP_CNT: 0
	.section	.text._ZL23rocblas_gemvt_sn_kernelILb1ELi256ELi4El19rocblas_complex_numIfES1_S1_EviiT4_lPKT3_lilS5_lilPT5_i,"axG",@progbits,_ZL23rocblas_gemvt_sn_kernelILb1ELi256ELi4El19rocblas_complex_numIfES1_S1_EviiT4_lPKT3_lilS5_lilPT5_i,comdat
	.globl	_ZL23rocblas_gemvt_sn_kernelILb1ELi256ELi4El19rocblas_complex_numIfES1_S1_EviiT4_lPKT3_lilS5_lilPT5_i ; -- Begin function _ZL23rocblas_gemvt_sn_kernelILb1ELi256ELi4El19rocblas_complex_numIfES1_S1_EviiT4_lPKT3_lilS5_lilPT5_i
	.p2align	8
	.type	_ZL23rocblas_gemvt_sn_kernelILb1ELi256ELi4El19rocblas_complex_numIfES1_S1_EviiT4_lPKT3_lilS5_lilPT5_i,@function
_ZL23rocblas_gemvt_sn_kernelILb1ELi256ELi4El19rocblas_complex_numIfES1_S1_EviiT4_lPKT3_lilS5_lilPT5_i: ; @_ZL23rocblas_gemvt_sn_kernelILb1ELi256ELi4El19rocblas_complex_numIfES1_S1_EviiT4_lPKT3_lilS5_lilPT5_i
; %bb.0:
	s_clause 0x2
	s_load_b128 s[8:11], s[0:1], 0x0
	s_load_b32 s12, s[0:1], 0x68
	s_load_b128 s[20:23], s[0:1], 0x50
	v_cmp_eq_u32_e32 vcc_lo, 0, v0
	s_mov_b32 s13, 0
	s_waitcnt lgkmcnt(0)
	s_ashr_i32 s30, s9, 31
	s_mul_hi_u32 s2, s9, s15
	s_mul_i32 s3, s30, s15
	s_mul_i32 s4, s9, s15
	s_add_i32 s2, s2, s3
	s_or_b32 s5, s10, s11
	s_mul_hi_u32 s3, s4, s12
	s_mul_i32 s2, s2, s12
	s_bitset0_b32 s5, 31
	s_add_i32 s3, s3, s2
	s_mul_i32 s2, s4, s12
	s_cmp_lg_u32 s5, 0
	s_mov_b32 s4, -1
	s_cbranch_scc1 .LBB139_5
; %bb.1:
	s_cmp_gt_i32 s9, 0
	s_cselect_b32 s4, -1, 0
	s_delay_alu instid0(SALU_CYCLE_1) | instskip(NEXT) | instid1(SALU_CYCLE_1)
	s_and_b32 s4, vcc_lo, s4
	s_and_saveexec_b32 s16, s4
	s_cbranch_execz .LBB139_4
; %bb.2:
	s_mov_b32 s4, s15
	s_mov_b32 s15, 0
	v_mov_b32_e32 v1, 0
	s_lshl_b64 s[6:7], s[2:3], 3
	s_lshl_b64 s[18:19], s[14:15], 3
	s_mov_b32 s15, s4
	s_add_u32 s4, s6, s18
	s_addc_u32 s5, s7, s19
	s_add_u32 s4, s4, s22
	v_mov_b32_e32 v2, v1
	s_addc_u32 s5, s5, s23
	s_add_u32 s4, s4, 4
	s_addc_u32 s5, s5, 0
	s_lshl_b64 s[6:7], s[12:13], 3
	s_mov_b32 s13, s9
.LBB139_3:                              ; =>This Inner Loop Header: Depth=1
	s_delay_alu instid0(SALU_CYCLE_1)
	s_add_i32 s13, s13, -1
	global_store_b64 v1, v[1:2], s[4:5] offset:-4
	s_add_u32 s4, s4, s6
	s_addc_u32 s5, s5, s7
	s_cmp_eq_u32 s13, 0
	s_cbranch_scc0 .LBB139_3
.LBB139_4:
	s_or_b32 exec_lo, exec_lo, s16
	s_mov_b32 s4, 0
.LBB139_5:
	s_delay_alu instid0(SALU_CYCLE_1)
	s_and_not1_b32 vcc_lo, exec_lo, s4
	s_cbranch_vccnz .LBB139_76
; %bb.6:
	s_clause 0x4
	s_load_b32 s24, s[0:1], 0x28
	s_load_b32 s26, s[0:1], 0x48
	s_load_b128 s[4:7], s[0:1], 0x30
	s_load_b64 s[28:29], s[0:1], 0x40
	s_load_b128 s[16:19], s[0:1], 0x18
	s_mul_i32 s1, s15, s21
	s_mul_hi_u32 s13, s15, s20
	s_mul_i32 s0, s15, s20
	s_add_i32 s1, s13, s1
	v_and_b32_e32 v29, 31, v0
	s_lshl_b64 s[20:21], s[0:1], 3
	v_mbcnt_lo_u32_b32 v34, -1, 0
	v_lshrrev_b32_e32 v32, 2, v0
	v_or_b32_e64 v28, 0, 4
	s_waitcnt lgkmcnt(0)
	s_ashr_i32 s25, s24, 31
	s_ashr_i32 s27, s26, 31
	s_add_u32 s0, s6, s20
	s_addc_u32 s1, s7, s21
	s_lshl_b64 s[28:29], s[28:29], 3
	s_mul_i32 s5, s15, s5
	s_add_u32 s33, s0, s28
	s_addc_u32 s38, s1, s29
	s_lshl_b64 s[0:1], s[2:3], 3
	s_mul_hi_u32 s13, s15, s4
	s_add_u32 s39, s22, s0
	s_mul_i32 s2, s15, s4
	s_addc_u32 s40, s23, s1
	s_add_i32 s3, s13, s5
	v_cmp_gt_u32_e64 s0, 32, v0
	s_lshl_b64 s[22:23], s[2:3], 3
	v_cmp_gt_u32_e64 s1, 8, v0
	s_add_u32 s2, s16, s22
	s_addc_u32 s3, s17, s23
	s_lshl_b64 s[18:19], s[18:19], 3
	s_delay_alu instid0(SALU_CYCLE_1)
	s_add_u32 s2, s2, s18
	s_addc_u32 s3, s3, s19
	s_lshl_b32 s4, s14, 10
	s_ashr_i32 s5, s8, 31
	v_lshl_or_b32 v5, v0, 2, s4
	s_lshr_b32 s4, s30, 30
	s_lshr_b32 s5, s5, 30
	s_add_i32 s4, s9, s4
	s_add_i32 s5, s8, s5
	v_ashrrev_i32_e32 v6, 31, v5
	s_and_b32 s41, s4, -4
	s_and_b32 s4, s5, -4
	v_add_nc_u32_e32 v35, 4, v5
	s_sub_i32 s13, s8, s4
	v_lshlrev_b64 v[3:4], 3, v[5:6]
	v_or_b32_e32 v33, 1, v5
	v_or_b32_e32 v31, 2, v5
	v_add_nc_u32_e32 v36, s13, v5
	v_or_b32_e32 v30, 3, v5
	s_cmp_lt_i32 s41, 1
	v_add_co_u32 v1, vcc_lo, s2, v3
	v_add_co_ci_u32_e32 v2, vcc_lo, s3, v4, vcc_lo
	s_cbranch_scc1 .LBB139_53
; %bb.7:
	v_cmp_gt_u32_e32 vcc_lo, 16, v34
	v_mad_i64_i32 v[12:13], null, s26, v30, 0
	s_mov_b32 s15, 0
	s_cmp_gt_i32 s13, 0
	v_cndmask_b32_e64 v6, 0, 1, vcc_lo
	v_cmp_gt_u32_e32 vcc_lo, 24, v34
	s_cselect_b32 s42, -1, 0
	s_lshl_b64 s[30:31], s[14:15], 3
	s_delay_alu instid0(VALU_DEP_3) | instskip(SKIP_4) | instid1(VALU_DEP_3)
	v_lshlrev_b64 v[12:13], 3, v[12:13]
	v_dual_mov_b32 v19, v2 :: v_dual_lshlrev_b32 v6, 4, v6
	v_cndmask_b32_e64 v7, 0, 1, vcc_lo
	v_cmp_gt_u32_e32 vcc_lo, 28, v34
	s_add_u32 s43, s39, s30
	v_add_lshl_u32 v37, v6, v34, 2
	s_delay_alu instid0(VALU_DEP_3)
	v_dual_mov_b32 v16, 0 :: v_dual_lshlrev_b32 v7, 3, v7
	v_cndmask_b32_e64 v8, 0, 1, vcc_lo
	v_cmp_gt_u32_e32 vcc_lo, 30, v34
	s_addc_u32 s44, s40, s31
	s_add_u32 s30, s6, s28
	v_add_lshl_u32 v38, v7, v34, 2
	v_lshlrev_b32_e32 v8, 2, v8
	v_cndmask_b32_e64 v9, 0, 1, vcc_lo
	v_cmp_ne_u32_e32 vcc_lo, 31, v34
	v_mad_i64_i32 v[6:7], null, s26, v5, 0
	s_delay_alu instid0(VALU_DEP_4) | instskip(NEXT) | instid1(VALU_DEP_4)
	v_add_lshl_u32 v39, v8, v34, 2
	v_dual_mov_b32 v18, v1 :: v_dual_lshlrev_b32 v9, 1, v9
	v_add_co_ci_u32_e32 v10, vcc_lo, 0, v34, vcc_lo
	s_addc_u32 s31, s7, s29
	s_delay_alu instid0(VALU_DEP_2) | instskip(SKIP_1) | instid1(VALU_DEP_3)
	v_add_lshl_u32 v40, v9, v34, 2
	v_mad_i64_i32 v[8:9], null, s26, v33, 0
	v_lshlrev_b32_e32 v41, 2, v10
	v_mad_i64_i32 v[10:11], null, s26, v31, 0
	v_lshlrev_b64 v[14:15], 3, v[6:7]
	s_add_u32 s30, s30, s20
	s_addc_u32 s31, s31, s21
	s_delay_alu instid0(VALU_DEP_4)
	v_lshlrev_b64 v[8:9], 3, v[8:9]
	v_cmp_ge_i32_e64 s2, s8, v35
	v_cmp_ge_i32_e64 s3, s8, v36
	v_add_co_u32 v6, vcc_lo, s33, v14
	v_lshlrev_b64 v[10:11], 3, v[10:11]
	v_add_co_ci_u32_e32 v7, vcc_lo, s38, v15, vcc_lo
	v_add_co_u32 v8, vcc_lo, s33, v8
	v_add_co_ci_u32_e32 v9, vcc_lo, s38, v9, vcc_lo
	s_delay_alu instid0(VALU_DEP_4)
	v_add_co_u32 v10, vcc_lo, s33, v10
	v_add_co_ci_u32_e32 v11, vcc_lo, s38, v11, vcc_lo
	v_add_co_u32 v12, vcc_lo, s33, v12
	v_add_co_ci_u32_e32 v13, vcc_lo, s38, v13, vcc_lo
	v_add_co_u32 v14, vcc_lo, s30, v14
	v_cmp_eq_u32_e64 s4, 0, v29
	v_lshlrev_b32_e32 v42, 3, v29
	v_and_b32_e32 v43, 56, v32
	v_cmp_eq_u32_e64 s5, 0, v0
	v_add_co_ci_u32_e32 v15, vcc_lo, s31, v15, vcc_lo
	v_or_b32_e64 v44, 0, 4
	s_lshl_b64 s[30:31], s[26:27], 3
	s_lshl_b64 s[34:35], s[24:25], 5
	;; [unrolled: 1-line block ×3, first 2 shown]
	s_branch .LBB139_9
.LBB139_8:                              ;   in Loop: Header=BB139_9 Depth=1
	s_or_b32 exec_lo, exec_lo, s45
	v_add_co_u32 v18, vcc_lo, v18, s34
	v_add_co_ci_u32_e32 v19, vcc_lo, s35, v19, vcc_lo
	s_add_i32 s15, s15, 4
	s_delay_alu instid0(SALU_CYCLE_1)
	s_cmp_ge_i32 s15, s41
	s_cbranch_scc1 .LBB139_54
.LBB139_9:                              ; =>This Loop Header: Depth=1
                                        ;     Child Loop BB139_40 Depth 2
                                        ;     Child Loop BB139_42 Depth 2
                                        ; implicit-def: $vgpr45
                                        ; implicit-def: $vgpr46
                                        ; implicit-def: $vgpr22
                                        ; implicit-def: $vgpr23
                                        ; implicit-def: $vgpr24
                                        ; implicit-def: $vgpr25
                                        ; implicit-def: $vgpr27
                                        ; implicit-def: $vgpr26
	s_and_saveexec_b32 s45, s2
	s_delay_alu instid0(SALU_CYCLE_1)
	s_xor_b32 s45, exec_lo, s45
	s_cbranch_execnz .LBB139_36
; %bb.10:                               ;   in Loop: Header=BB139_9 Depth=1
	s_and_not1_saveexec_b32 s45, s45
	s_cbranch_execnz .LBB139_37
.LBB139_11:                             ;   in Loop: Header=BB139_9 Depth=1
	s_or_b32 exec_lo, exec_lo, s45
	s_and_saveexec_b32 s45, s0
	s_cbranch_execz .LBB139_13
.LBB139_12:                             ;   in Loop: Header=BB139_9 Depth=1
	v_mov_b32_e32 v17, v16
	ds_store_b64 v42, v[16:17]
.LBB139_13:                             ;   in Loop: Header=BB139_9 Depth=1
	s_or_b32 exec_lo, exec_lo, s45
	ds_bpermute_b32 v17, v37, v45
	ds_bpermute_b32 v20, v37, v46
	s_waitcnt lgkmcnt(0)
	s_waitcnt_vscnt null, 0x0
	s_barrier
	buffer_gl0_inv
	v_dual_add_f32 v17, v45, v17 :: v_dual_add_f32 v20, v46, v20
	ds_bpermute_b32 v21, v38, v17
	ds_bpermute_b32 v45, v38, v20
	s_waitcnt lgkmcnt(1)
	v_add_f32_e32 v17, v17, v21
	s_waitcnt lgkmcnt(0)
	v_add_f32_e32 v20, v20, v45
	ds_bpermute_b32 v21, v39, v17
	ds_bpermute_b32 v45, v39, v20
	s_waitcnt lgkmcnt(1)
	v_add_f32_e32 v17, v17, v21
	s_waitcnt lgkmcnt(0)
	v_add_f32_e32 v20, v20, v45
	;; [unrolled: 6-line block ×3, first 2 shown]
	ds_bpermute_b32 v21, v41, v17
	ds_bpermute_b32 v45, v41, v20
	s_and_saveexec_b32 s45, s4
	s_cbranch_execz .LBB139_15
; %bb.14:                               ;   in Loop: Header=BB139_9 Depth=1
	s_waitcnt lgkmcnt(0)
	v_add_f32_e32 v46, v20, v45
	v_add_f32_e32 v45, v17, v21
	ds_store_b64 v43, v[45:46]
.LBB139_15:                             ;   in Loop: Header=BB139_9 Depth=1
	s_or_b32 exec_lo, exec_lo, s45
	s_waitcnt lgkmcnt(1)
	v_dual_mov_b32 v21, 0 :: v_dual_mov_b32 v20, 0
	s_waitcnt lgkmcnt(0)
	s_barrier
	buffer_gl0_inv
	s_and_saveexec_b32 s45, s1
	s_cbranch_execnz .LBB139_44
; %bb.16:                               ;   in Loop: Header=BB139_9 Depth=1
	s_or_b32 exec_lo, exec_lo, s45
	s_and_saveexec_b32 s45, s0
	s_cbranch_execnz .LBB139_45
.LBB139_17:                             ;   in Loop: Header=BB139_9 Depth=1
	s_or_b32 exec_lo, exec_lo, s45
	s_and_saveexec_b32 s45, s0
	s_cbranch_execz .LBB139_19
.LBB139_18:                             ;   in Loop: Header=BB139_9 Depth=1
	v_mov_b32_e32 v17, v16
	ds_store_b64 v42, v[16:17]
.LBB139_19:                             ;   in Loop: Header=BB139_9 Depth=1
	s_or_b32 exec_lo, exec_lo, s45
	ds_bpermute_b32 v17, v37, v22
	ds_bpermute_b32 v45, v37, v23
	s_waitcnt lgkmcnt(0)
	s_barrier
	buffer_gl0_inv
	v_add_f32_e32 v17, v22, v17
	v_add_f32_e32 v22, v23, v45
	ds_bpermute_b32 v23, v38, v17
	s_waitcnt lgkmcnt(0)
	v_add_f32_e32 v17, v17, v23
	ds_bpermute_b32 v45, v38, v22
	ds_bpermute_b32 v23, v39, v17
	s_waitcnt lgkmcnt(0)
	v_dual_add_f32 v22, v22, v45 :: v_dual_add_f32 v17, v17, v23
	ds_bpermute_b32 v45, v39, v22
	ds_bpermute_b32 v23, v40, v17
	s_waitcnt lgkmcnt(0)
	v_dual_add_f32 v22, v22, v45 :: v_dual_add_f32 v17, v17, v23
	ds_bpermute_b32 v45, v40, v22
	ds_bpermute_b32 v23, v41, v17
	s_waitcnt lgkmcnt(1)
	v_add_f32_e32 v22, v22, v45
	ds_bpermute_b32 v45, v41, v22
	s_and_saveexec_b32 s45, s4
	s_cbranch_execz .LBB139_21
; %bb.20:                               ;   in Loop: Header=BB139_9 Depth=1
	s_waitcnt lgkmcnt(0)
	v_dual_add_f32 v46, v22, v45 :: v_dual_add_f32 v45, v17, v23
	ds_store_b64 v43, v[45:46]
.LBB139_21:                             ;   in Loop: Header=BB139_9 Depth=1
	s_or_b32 exec_lo, exec_lo, s45
	s_waitcnt lgkmcnt(1)
	v_dual_mov_b32 v23, 0 :: v_dual_mov_b32 v22, 0
	s_waitcnt lgkmcnt(0)
	s_barrier
	buffer_gl0_inv
	s_and_saveexec_b32 s45, s1
	s_cbranch_execnz .LBB139_46
; %bb.22:                               ;   in Loop: Header=BB139_9 Depth=1
	s_or_b32 exec_lo, exec_lo, s45
	s_and_saveexec_b32 s45, s0
	s_cbranch_execnz .LBB139_47
.LBB139_23:                             ;   in Loop: Header=BB139_9 Depth=1
	s_or_b32 exec_lo, exec_lo, s45
	s_and_saveexec_b32 s45, s0
	s_cbranch_execz .LBB139_25
.LBB139_24:                             ;   in Loop: Header=BB139_9 Depth=1
	v_mov_b32_e32 v17, v16
	ds_store_b64 v42, v[16:17]
.LBB139_25:                             ;   in Loop: Header=BB139_9 Depth=1
	s_or_b32 exec_lo, exec_lo, s45
	ds_bpermute_b32 v17, v37, v24
	ds_bpermute_b32 v45, v37, v25
	s_waitcnt lgkmcnt(0)
	s_barrier
	buffer_gl0_inv
	v_add_f32_e32 v17, v24, v17
	v_add_f32_e32 v24, v25, v45
	ds_bpermute_b32 v25, v38, v17
	ds_bpermute_b32 v45, v38, v24
	s_waitcnt lgkmcnt(1)
	v_add_f32_e32 v17, v17, v25
	s_waitcnt lgkmcnt(0)
	v_add_f32_e32 v24, v24, v45
	ds_bpermute_b32 v25, v39, v17
	ds_bpermute_b32 v45, v39, v24
	s_waitcnt lgkmcnt(1)
	v_add_f32_e32 v17, v17, v25
	s_waitcnt lgkmcnt(0)
	;; [unrolled: 6-line block ×3, first 2 shown]
	v_add_f32_e32 v24, v24, v45
	ds_bpermute_b32 v25, v41, v17
	ds_bpermute_b32 v45, v41, v24
	s_and_saveexec_b32 s45, s4
	s_cbranch_execz .LBB139_27
; %bb.26:                               ;   in Loop: Header=BB139_9 Depth=1
	s_waitcnt lgkmcnt(0)
	v_add_f32_e32 v46, v24, v45
	v_add_f32_e32 v45, v17, v25
	ds_store_b64 v43, v[45:46]
.LBB139_27:                             ;   in Loop: Header=BB139_9 Depth=1
	s_or_b32 exec_lo, exec_lo, s45
	s_waitcnt lgkmcnt(1)
	v_dual_mov_b32 v25, 0 :: v_dual_mov_b32 v24, 0
	s_waitcnt lgkmcnt(0)
	s_barrier
	buffer_gl0_inv
	s_and_saveexec_b32 s45, s1
	s_cbranch_execnz .LBB139_48
; %bb.28:                               ;   in Loop: Header=BB139_9 Depth=1
	s_or_b32 exec_lo, exec_lo, s45
	s_and_saveexec_b32 s45, s0
	s_cbranch_execnz .LBB139_49
.LBB139_29:                             ;   in Loop: Header=BB139_9 Depth=1
	s_or_b32 exec_lo, exec_lo, s45
	s_and_saveexec_b32 s45, s0
	s_cbranch_execz .LBB139_31
.LBB139_30:                             ;   in Loop: Header=BB139_9 Depth=1
	v_mov_b32_e32 v17, v16
	ds_store_b64 v42, v[16:17]
.LBB139_31:                             ;   in Loop: Header=BB139_9 Depth=1
	s_or_b32 exec_lo, exec_lo, s45
	ds_bpermute_b32 v17, v37, v27
	ds_bpermute_b32 v45, v37, v26
	s_waitcnt lgkmcnt(0)
	s_barrier
	buffer_gl0_inv
	v_add_f32_e32 v17, v27, v17
	ds_bpermute_b32 v27, v38, v17
	s_waitcnt lgkmcnt(0)
	v_dual_add_f32 v26, v26, v45 :: v_dual_add_f32 v17, v17, v27
	ds_bpermute_b32 v45, v38, v26
	ds_bpermute_b32 v27, v39, v17
	s_waitcnt lgkmcnt(0)
	v_dual_add_f32 v26, v26, v45 :: v_dual_add_f32 v17, v17, v27
	ds_bpermute_b32 v45, v39, v26
	;; [unrolled: 4-line block ×3, first 2 shown]
	ds_bpermute_b32 v27, v41, v17
	s_waitcnt lgkmcnt(1)
	v_add_f32_e32 v26, v26, v45
	ds_bpermute_b32 v45, v41, v26
	s_and_saveexec_b32 s45, s4
	s_cbranch_execz .LBB139_33
; %bb.32:                               ;   in Loop: Header=BB139_9 Depth=1
	s_waitcnt lgkmcnt(0)
	v_dual_add_f32 v46, v26, v45 :: v_dual_add_f32 v45, v17, v27
	ds_store_b64 v43, v[45:46]
.LBB139_33:                             ;   in Loop: Header=BB139_9 Depth=1
	s_or_b32 exec_lo, exec_lo, s45
	s_waitcnt lgkmcnt(1)
	v_dual_mov_b32 v27, 0 :: v_dual_mov_b32 v26, 0
	s_waitcnt lgkmcnt(0)
	s_barrier
	buffer_gl0_inv
	s_and_saveexec_b32 s45, s1
	s_cbranch_execnz .LBB139_50
; %bb.34:                               ;   in Loop: Header=BB139_9 Depth=1
	s_or_b32 exec_lo, exec_lo, s45
	s_and_saveexec_b32 s45, s0
	s_cbranch_execnz .LBB139_51
.LBB139_35:                             ;   in Loop: Header=BB139_9 Depth=1
	s_or_b32 exec_lo, exec_lo, s45
	s_and_saveexec_b32 s45, s5
	s_cbranch_execz .LBB139_8
	s_branch .LBB139_52
.LBB139_36:                             ;   in Loop: Header=BB139_9 Depth=1
	s_mul_i32 s47, s15, s25
	s_mul_hi_u32 s48, s15, s24
	s_mul_i32 s46, s15, s24
	s_add_i32 s47, s48, s47
	s_clause 0x3
	global_load_b64 v[47:48], v[6:7], off
	global_load_b64 v[49:50], v[8:9], off
	;; [unrolled: 1-line block ×4, first 2 shown]
	s_lshl_b64 s[46:47], s[46:47], 3
	s_delay_alu instid0(SALU_CYCLE_1)
	v_add_co_u32 v24, vcc_lo, v1, s46
	s_or_b32 s46, s15, 1
	v_add_co_ci_u32_e32 v25, vcc_lo, s47, v2, vcc_lo
	s_mul_i32 s47, s46, s25
	s_mul_hi_u32 s48, s46, s24
	s_mul_i32 s46, s46, s24
	s_add_i32 s47, s48, s47
	s_or_b32 s48, s15, 2
	s_lshl_b64 s[46:47], s[46:47], 3
	s_mul_i32 s49, s48, s25
	s_mul_hi_u32 s50, s48, s24
	v_add_co_u32 v45, vcc_lo, v1, s46
	v_add_co_ci_u32_e32 v46, vcc_lo, s47, v2, vcc_lo
	s_add_i32 s47, s50, s49
	s_or_b32 s50, s15, 3
	s_mul_i32 s46, s48, s24
	s_mul_i32 s48, s50, s25
	s_mul_hi_u32 s49, s50, s24
	s_lshl_b64 s[46:47], s[46:47], 3
	s_add_i32 s49, s49, s48
	s_mul_i32 s48, s50, s24
	v_add_co_u32 v71, vcc_lo, v1, s46
	v_add_co_ci_u32_e32 v72, vcc_lo, s47, v2, vcc_lo
	s_lshl_b64 s[46:47], s[48:49], 3
	global_load_b128 v[20:23], v[24:25], off offset:16
	s_waitcnt lgkmcnt(0)
	global_load_b128 v[24:27], v[24:25], off
	v_add_co_u32 v75, vcc_lo, v1, s46
	v_add_co_ci_u32_e32 v76, vcc_lo, s47, v2, vcc_lo
	s_clause 0x5
	global_load_b128 v[55:58], v[45:46], off
	global_load_b128 v[59:62], v[71:72], off
	;; [unrolled: 1-line block ×3, first 2 shown]
	global_load_b128 v[67:70], v[45:46], off offset:16
	global_load_b128 v[71:74], v[71:72], off offset:16
	;; [unrolled: 1-line block ×3, first 2 shown]
	s_waitcnt vmcnt(10)
	scratch_store_b128 off, v[47:50], off
	s_waitcnt vmcnt(8)
	scratch_store_b128 off, v[51:54], off offset:16
	s_waitcnt vmcnt(7)
	v_mul_f32_e32 v79, v54, v23
	s_waitcnt vmcnt(6)
	v_dual_mul_f32 v17, v25, v48 :: v_dual_mul_f32 v46, v52, v21
	v_mul_f32_e32 v45, v27, v50
	v_mul_f32_e32 v27, v27, v49
	s_waitcnt vmcnt(3)
	v_dual_mul_f32 v21, v51, v21 :: v_dual_mul_f32 v82, v64, v48
	v_mul_f32_e32 v23, v53, v23
	v_dual_mul_f32 v81, v60, v48 :: v_dual_mul_f32 v84, v62, v50
	v_mul_f32_e32 v60, v60, v47
	;; [unrolled: 2-line block ×4, first 2 shown]
	s_waitcnt vmcnt(1)
	v_dual_mul_f32 v62, v62, v49 :: v_dual_mul_f32 v87, v52, v72
	v_mul_f32_e32 v86, v52, v68
	v_dual_mul_f32 v90, v54, v74 :: v_dual_fmac_f32 v83, v57, v49
	v_dual_fmac_f32 v46, v51, v20 :: v_dual_fmac_f32 v79, v53, v22
	v_fma_f32 v20, v52, v20, -v21
	v_fma_f32 v21, v54, v22, -v23
	;; [unrolled: 1-line block ×3, first 2 shown]
	v_dual_mul_f32 v85, v66, v50 :: v_dual_mul_f32 v68, v51, v68
	v_dual_mul_f32 v66, v66, v49 :: v_dual_fmac_f32 v17, v24, v47
	v_dual_mul_f32 v72, v51, v72 :: v_dual_mul_f32 v89, v54, v70
	s_waitcnt vmcnt(0)
	v_dual_mul_f32 v88, v52, v76 :: v_dual_mul_f32 v91, v54, v78
	v_dual_mul_f32 v76, v51, v76 :: v_dual_fmac_f32 v45, v26, v49
	v_dual_mul_f32 v70, v53, v70 :: v_dual_fmac_f32 v81, v59, v47
	v_fma_f32 v24, v24, v48, -v25
	v_fma_f32 v25, v26, v50, -v27
	v_dual_fmac_f32 v80, v55, v47 :: v_dual_fmac_f32 v85, v65, v49
	v_fma_f32 v22, v55, v48, -v56
	v_dual_fmac_f32 v82, v63, v47 :: v_dual_fmac_f32 v89, v53, v69
	v_fma_f32 v26, v63, v48, -v64
	v_fma_f32 v55, v61, v50, -v62
	v_dual_fmac_f32 v90, v53, v73 :: v_dual_add_f32 v23, 0, v23
	v_dual_mul_f32 v78, v53, v78 :: v_dual_add_f32 v17, 0, v17
	v_fma_f32 v27, v57, v50, -v58
	v_dual_fmac_f32 v84, v61, v49 :: v_dual_add_f32 v63, 0, v80
	v_fma_f32 v56, v65, v50, -v66
	v_dual_fmac_f32 v88, v51, v75 :: v_dual_add_f32 v65, 0, v82
	v_dual_add_f32 v24, 0, v24 :: v_dual_add_f32 v17, v17, v45
	v_add_f32_e32 v22, 0, v22
	v_dual_add_f32 v64, 0, v81 :: v_dual_add_f32 v23, v23, v55
	v_add_f32_e32 v26, 0, v26
	v_dual_mul_f32 v74, v53, v74 :: v_dual_fmac_f32 v87, v51, v71
	v_dual_fmac_f32 v86, v51, v67 :: v_dual_fmac_f32 v91, v53, v77
	v_fma_f32 v57, v52, v67, -v68
	v_fma_f32 v58, v52, v71, -v72
	;; [unrolled: 1-line block ×3, first 2 shown]
	v_dual_add_f32 v24, v24, v25 :: v_dual_add_f32 v17, v17, v46
	v_add_f32_e32 v25, v63, v83
	v_dual_add_f32 v22, v22, v27 :: v_dual_add_f32 v45, v65, v85
	v_add_f32_e32 v27, v64, v84
	v_add_f32_e32 v26, v26, v56
	v_fma_f32 v60, v54, v69, -v70
	v_fma_f32 v61, v54, v73, -v74
	;; [unrolled: 1-line block ×3, first 2 shown]
	v_dual_add_f32 v27, v27, v87 :: v_dual_add_f32 v20, v24, v20
	v_dual_add_f32 v55, v23, v58 :: v_dual_add_f32 v56, v45, v88
	;; [unrolled: 1-line block ×3, first 2 shown]
	v_add_f32_e32 v26, v26, v59
	s_delay_alu instid0(VALU_DEP_4) | instskip(NEXT) | instid1(VALU_DEP_3)
	v_dual_add_f32 v45, v17, v79 :: v_dual_add_f32 v46, v20, v21
	v_add_f32_e32 v23, v25, v60
	v_add_f32_e32 v25, v55, v61
	;; [unrolled: 1-line block ×3, first 2 shown]
	v_dual_add_f32 v24, v27, v90 :: v_dual_add_f32 v27, v56, v91
	v_add_f32_e32 v26, v26, v62
	s_and_not1_saveexec_b32 s45, s45
	s_cbranch_execz .LBB139_11
.LBB139_37:                             ;   in Loop: Header=BB139_9 Depth=1
	v_dual_mov_b32 v45, 0 :: v_dual_mov_b32 v46, 0
	v_dual_mov_b32 v22, 0 :: v_dual_mov_b32 v23, 0
	;; [unrolled: 1-line block ×3, first 2 shown]
	s_waitcnt lgkmcnt(0)
	v_dual_mov_b32 v27, 0 :: v_dual_mov_b32 v26, 0
	s_and_saveexec_b32 s46, s3
	s_cbranch_execz .LBB139_43
; %bb.38:                               ;   in Loop: Header=BB139_9 Depth=1
	v_dual_mov_b32 v45, 0 :: v_dual_mov_b32 v46, 0
	v_dual_mov_b32 v22, 0 :: v_dual_mov_b32 v23, 0
	;; [unrolled: 1-line block ×4, first 2 shown]
	s_and_not1_b32 vcc_lo, exec_lo, s42
	s_cbranch_vccnz .LBB139_43
; %bb.39:                               ;   in Loop: Header=BB139_9 Depth=1
	v_mov_b32_e32 v21, v15
	v_dual_mov_b32 v17, 0 :: v_dual_mov_b32 v20, v14
	s_mov_b32 s47, s13
.LBB139_40:                             ;   Parent Loop BB139_9 Depth=1
                                        ; =>  This Inner Loop Header: Depth=2
	global_load_b64 v[22:23], v[20:21], off
	v_add_co_u32 v20, vcc_lo, v20, s30
	v_add_co_ci_u32_e32 v21, vcc_lo, s31, v21, vcc_lo
	s_add_i32 s47, s47, -1
	s_delay_alu instid0(SALU_CYCLE_1)
	s_cmp_eq_u32 s47, 0
	s_waitcnt vmcnt(0)
	scratch_store_b64 v17, v[22:23], off
	v_add_nc_u32_e32 v17, 8, v17
	s_cbranch_scc0 .LBB139_40
; %bb.41:                               ;   in Loop: Header=BB139_9 Depth=1
	v_dual_mov_b32 v26, 0 :: v_dual_mov_b32 v21, v19
	v_dual_mov_b32 v20, v18 :: v_dual_mov_b32 v17, v44
	;; [unrolled: 1-line block ×5, first 2 shown]
	v_mov_b32_e32 v45, 0
	s_mov_b32 s47, s13
.LBB139_42:                             ;   Parent Loop BB139_9 Depth=1
                                        ; =>  This Inner Loop Header: Depth=2
	v_add_co_u32 v49, vcc_lo, v20, s36
	v_add_co_ci_u32_e32 v50, vcc_lo, s37, v21, vcc_lo
	scratch_load_b64 v[47:48], v17, off offset:-4
	global_load_b64 v[51:52], v[20:21], off
	v_add_co_u32 v53, vcc_lo, v49, s36
	v_add_co_ci_u32_e32 v54, vcc_lo, s37, v50, vcc_lo
	v_add_nc_u32_e32 v17, 8, v17
	s_delay_alu instid0(VALU_DEP_3) | instskip(NEXT) | instid1(VALU_DEP_3)
	v_add_co_u32 v55, vcc_lo, v53, s36
	v_add_co_ci_u32_e32 v56, vcc_lo, s37, v54, vcc_lo
	s_clause 0x2
	global_load_b64 v[49:50], v[49:50], off
	global_load_b64 v[53:54], v[53:54], off
	;; [unrolled: 1-line block ×3, first 2 shown]
	v_add_co_u32 v20, vcc_lo, v20, 8
	v_add_co_ci_u32_e32 v21, vcc_lo, 0, v21, vcc_lo
	s_add_i32 s47, s47, -1
	s_delay_alu instid0(SALU_CYCLE_1) | instskip(SKIP_3) | instid1(VALU_DEP_2)
	s_cmp_lg_u32 s47, 0
	s_waitcnt vmcnt(3)
	v_mul_f32_e32 v57, v48, v52
	v_mul_f32_e32 v52, v47, v52
	v_fmac_f32_e32 v57, v47, v51
	s_delay_alu instid0(VALU_DEP_2) | instskip(SKIP_2) | instid1(VALU_DEP_3)
	v_fma_f32 v51, v48, v51, -v52
	s_waitcnt vmcnt(2)
	v_mul_f32_e32 v52, v48, v50
	v_dual_mul_f32 v50, v47, v50 :: v_dual_add_f32 v45, v45, v57
	s_waitcnt vmcnt(1)
	v_dual_add_f32 v46, v46, v51 :: v_dual_mul_f32 v51, v47, v54
	s_delay_alu instid0(VALU_DEP_1)
	v_fma_f32 v51, v48, v53, -v51
	v_fmac_f32_e32 v52, v47, v49
	v_fma_f32 v49, v48, v49, -v50
	v_mul_f32_e32 v50, v48, v54
	s_waitcnt vmcnt(0)
	v_mul_f32_e32 v54, v48, v56
	v_dual_mul_f32 v56, v47, v56 :: v_dual_add_f32 v25, v25, v51
	v_add_f32_e32 v23, v23, v49
	v_fmac_f32_e32 v50, v47, v53
	s_delay_alu instid0(VALU_DEP_4) | instskip(NEXT) | instid1(VALU_DEP_4)
	v_fmac_f32_e32 v54, v47, v55
	v_fma_f32 v47, v48, v55, -v56
	v_add_f32_e32 v22, v22, v52
	s_delay_alu instid0(VALU_DEP_4) | instskip(NEXT) | instid1(VALU_DEP_3)
	v_add_f32_e32 v24, v24, v50
	v_dual_add_f32 v27, v27, v54 :: v_dual_add_f32 v26, v26, v47
	s_cbranch_scc1 .LBB139_42
.LBB139_43:                             ;   in Loop: Header=BB139_9 Depth=1
	s_or_b32 exec_lo, exec_lo, s46
	s_delay_alu instid0(SALU_CYCLE_1)
	s_or_b32 exec_lo, exec_lo, s45
	s_and_saveexec_b32 s45, s0
	s_cbranch_execnz .LBB139_12
	s_branch .LBB139_13
.LBB139_44:                             ;   in Loop: Header=BB139_9 Depth=1
	ds_load_b64 v[20:21], v42
	s_or_b32 exec_lo, exec_lo, s45
	s_and_saveexec_b32 s45, s0
	s_cbranch_execz .LBB139_17
.LBB139_45:                             ;   in Loop: Header=BB139_9 Depth=1
	s_waitcnt lgkmcnt(0)
	ds_bpermute_b32 v17, v39, v20
	ds_bpermute_b32 v45, v39, v21
	s_waitcnt lgkmcnt(1)
	v_add_f32_e32 v17, v20, v17
	s_waitcnt lgkmcnt(0)
	v_add_f32_e32 v20, v21, v45
	ds_bpermute_b32 v21, v40, v17
	ds_bpermute_b32 v45, v40, v20
	s_waitcnt lgkmcnt(1)
	v_add_f32_e32 v17, v17, v21
	s_waitcnt lgkmcnt(0)
	v_add_f32_e32 v21, v20, v45
	ds_bpermute_b32 v20, v41, v17
	s_waitcnt lgkmcnt(0)
	v_add_f32_e32 v20, v17, v20
	ds_bpermute_b32 v45, v41, v21
	s_waitcnt lgkmcnt(0)
	v_add_f32_e32 v21, v21, v45
	s_or_b32 exec_lo, exec_lo, s45
	s_and_saveexec_b32 s45, s0
	s_cbranch_execnz .LBB139_18
	s_branch .LBB139_19
.LBB139_46:                             ;   in Loop: Header=BB139_9 Depth=1
	ds_load_b64 v[22:23], v42
	s_or_b32 exec_lo, exec_lo, s45
	s_and_saveexec_b32 s45, s0
	s_cbranch_execz .LBB139_23
.LBB139_47:                             ;   in Loop: Header=BB139_9 Depth=1
	s_waitcnt lgkmcnt(0)
	ds_bpermute_b32 v17, v39, v22
	ds_bpermute_b32 v45, v39, v23
	s_waitcnt lgkmcnt(1)
	v_add_f32_e32 v17, v22, v17
	s_waitcnt lgkmcnt(0)
	v_add_f32_e32 v22, v23, v45
	ds_bpermute_b32 v23, v40, v17
	s_waitcnt lgkmcnt(0)
	v_add_f32_e32 v17, v17, v23
	ds_bpermute_b32 v45, v40, v22
	s_waitcnt lgkmcnt(0)
	v_add_f32_e32 v23, v22, v45
	ds_bpermute_b32 v22, v41, v17
	s_waitcnt lgkmcnt(0)
	v_add_f32_e32 v22, v17, v22
	ds_bpermute_b32 v45, v41, v23
	s_waitcnt lgkmcnt(0)
	v_add_f32_e32 v23, v23, v45
	s_or_b32 exec_lo, exec_lo, s45
	s_and_saveexec_b32 s45, s0
	s_cbranch_execnz .LBB139_24
	s_branch .LBB139_25
.LBB139_48:                             ;   in Loop: Header=BB139_9 Depth=1
	ds_load_b64 v[24:25], v42
	s_or_b32 exec_lo, exec_lo, s45
	s_and_saveexec_b32 s45, s0
	s_cbranch_execz .LBB139_29
.LBB139_49:                             ;   in Loop: Header=BB139_9 Depth=1
	s_waitcnt lgkmcnt(0)
	ds_bpermute_b32 v17, v39, v24
	ds_bpermute_b32 v45, v39, v25
	s_waitcnt lgkmcnt(1)
	v_add_f32_e32 v17, v24, v17
	s_waitcnt lgkmcnt(0)
	v_add_f32_e32 v24, v25, v45
	ds_bpermute_b32 v25, v40, v17
	ds_bpermute_b32 v45, v40, v24
	s_waitcnt lgkmcnt(1)
	v_add_f32_e32 v17, v17, v25
	s_waitcnt lgkmcnt(0)
	v_add_f32_e32 v25, v24, v45
	ds_bpermute_b32 v24, v41, v17
	s_waitcnt lgkmcnt(0)
	v_add_f32_e32 v24, v17, v24
	ds_bpermute_b32 v45, v41, v25
	s_waitcnt lgkmcnt(0)
	v_add_f32_e32 v25, v25, v45
	s_or_b32 exec_lo, exec_lo, s45
	s_and_saveexec_b32 s45, s0
	s_cbranch_execnz .LBB139_30
	s_branch .LBB139_31
.LBB139_50:                             ;   in Loop: Header=BB139_9 Depth=1
	ds_load_b64 v[26:27], v42
	s_or_b32 exec_lo, exec_lo, s45
	s_and_saveexec_b32 s45, s0
	s_cbranch_execz .LBB139_35
.LBB139_51:                             ;   in Loop: Header=BB139_9 Depth=1
	s_waitcnt lgkmcnt(0)
	ds_bpermute_b32 v17, v39, v26
	ds_bpermute_b32 v45, v39, v27
	s_waitcnt lgkmcnt(1)
	v_add_f32_e32 v17, v26, v17
	s_waitcnt lgkmcnt(0)
	v_add_f32_e32 v26, v27, v45
	ds_bpermute_b32 v27, v40, v17
	s_waitcnt lgkmcnt(0)
	v_add_f32_e32 v17, v17, v27
	ds_bpermute_b32 v45, v40, v26
	;; [unrolled: 3-line block ×4, first 2 shown]
	s_waitcnt lgkmcnt(0)
	v_add_f32_e32 v27, v27, v45
	s_or_b32 exec_lo, exec_lo, s45
	s_and_saveexec_b32 s45, s5
	s_cbranch_execz .LBB139_8
.LBB139_52:                             ;   in Loop: Header=BB139_9 Depth=1
	v_mul_f32_e32 v46, s10, v21
	v_mul_f32_e32 v17, s11, v21
	s_mul_hi_u32 s47, s15, s12
	s_mul_i32 s46, s15, s12
	s_delay_alu instid0(VALU_DEP_2)
	v_dual_mul_f32 v21, s10, v23 :: v_dual_fmac_f32 v46, s11, v20
	s_lshl_b64 s[46:47], s[46:47], 3
	v_fma_f32 v45, v20, s10, -v17
	s_add_u32 s46, s43, s46
	s_addc_u32 s47, s44, s47
	v_mul_f32_e32 v17, s11, v23
	v_mul_f32_e32 v23, s10, v25
	global_store_b64 v16, v[45:46], s[46:47]
	s_or_b32 s46, s15, 1
	v_fmac_f32_e32 v21, s11, v22
	s_mul_hi_u32 s47, s46, s12
	s_mul_i32 s46, s46, s12
	v_fma_f32 v20, v22, s10, -v17
	s_lshl_b64 s[46:47], s[46:47], 3
	v_mul_f32_e32 v17, s11, v25
	s_add_u32 s46, s43, s46
	s_addc_u32 s47, s44, s47
	s_or_b32 s48, s15, 2
	s_waitcnt lgkmcnt(0)
	v_mul_f32_e32 v25, s10, v27
	s_mul_hi_u32 s49, s48, s12
	s_mul_i32 s48, s48, s12
	v_fma_f32 v22, v24, s10, -v17
	s_lshl_b64 s[48:49], s[48:49], 3
	v_mul_f32_e32 v17, s11, v27
	s_add_u32 s48, s43, s48
	s_addc_u32 s49, s44, s49
	s_or_b32 s50, s15, 3
	v_fmac_f32_e32 v23, s11, v24
	s_mul_hi_u32 s51, s50, s12
	s_mul_i32 s50, s50, s12
	v_fma_f32 v24, v26, s10, -v17
	v_fmac_f32_e32 v25, s11, v26
	s_lshl_b64 s[50:51], s[50:51], 3
	global_store_b64 v16, v[20:21], s[46:47]
	s_add_u32 s46, s43, s50
	s_addc_u32 s47, s44, s51
	s_clause 0x1
	global_store_b64 v16, v[22:23], s[48:49]
	global_store_b64 v16, v[24:25], s[46:47]
	s_branch .LBB139_8
.LBB139_53:
	s_mov_b32 s15, 0
.LBB139_54:
	s_delay_alu instid0(SALU_CYCLE_1)
	s_cmp_ge_i32 s15, s9
	s_cbranch_scc1 .LBB139_76
; %bb.55:
	v_cmp_gt_u32_e64 s1, 16, v34
	v_cmp_ge_i32_e64 s4, s8, v36
	s_cmp_gt_i32 s13, 0
	s_mov_b32 s31, 0
	s_mov_b32 s30, s14
	v_cndmask_b32_e64 v6, 0, 1, s1
	v_cmp_gt_u32_e64 s1, 24, v34
	s_cselect_b32 s34, -1, 0
	s_lshl_b64 s[30:31], s[30:31], 3
	v_cmp_ge_i32_e32 vcc_lo, s8, v35
	v_lshlrev_b32_e32 v6, 4, v6
	v_cndmask_b32_e64 v7, 0, 1, s1
	v_cmp_gt_u32_e64 s1, 28, v34
	s_add_u32 s8, s39, s30
	s_addc_u32 s14, s40, s31
	v_add_lshl_u32 v19, v6, v34, 2
	v_lshlrev_b32_e32 v7, 3, v7
	v_cndmask_b32_e64 v8, 0, 1, s1
	v_cmp_gt_u32_e64 s1, 30, v34
	v_cmp_gt_u32_e64 s0, 32, v0
	;; [unrolled: 1-line block ×3, first 2 shown]
	v_add_lshl_u32 v20, v7, v34, 2
	v_lshlrev_b32_e32 v8, 2, v8
	v_cndmask_b32_e64 v9, 0, 1, s1
	v_cmp_ne_u32_e64 s1, 31, v34
	v_mad_i64_i32 v[6:7], null, s26, v5, 0
	s_delay_alu instid0(VALU_DEP_4) | instskip(NEXT) | instid1(VALU_DEP_4)
	v_add_lshl_u32 v21, v8, v34, 2
	v_lshlrev_b32_e32 v9, 1, v9
	s_delay_alu instid0(VALU_DEP_4) | instskip(SKIP_2) | instid1(VALU_DEP_4)
	v_add_co_ci_u32_e64 v10, s1, 0, v34, s1
	v_cmp_eq_u32_e64 s3, 0, v0
	v_lshlrev_b32_e32 v18, 3, v29
	v_add_lshl_u32 v22, v9, v34, 2
	v_mad_i64_i32 v[8:9], null, s26, v33, 0
	v_lshlrev_b32_e32 v23, 2, v10
	v_mad_i64_i32 v[10:11], null, s26, v31, 0
	v_lshlrev_b64 v[13:14], 3, v[6:7]
	v_cmp_eq_u32_e64 s1, 0, v29
	v_and_b32_e32 v24, 56, v32
	v_lshlrev_b64 v[7:8], 3, v[8:9]
	s_delay_alu instid0(VALU_DEP_4) | instskip(SKIP_4) | instid1(VALU_DEP_1)
	v_add_co_u32 v5, s5, s33, v13
	v_lshlrev_b64 v[9:10], 3, v[10:11]
	v_mad_i64_i32 v[11:12], null, s26, v30, 0
	v_add_co_ci_u32_e64 v6, s5, s38, v14, s5
	v_add_co_u32 v7, s5, s33, v7
	v_add_co_ci_u32_e64 v8, s5, s38, v8, s5
	v_add_co_u32 v9, s5, s33, v9
	s_delay_alu instid0(VALU_DEP_1)
	v_add_co_ci_u32_e64 v10, s5, s38, v10, s5
	v_lshlrev_b64 v[11:12], 3, v[11:12]
	s_and_b32 s5, s34, s4
	s_add_u32 s4, s6, s28
	s_addc_u32 s6, s7, s29
	s_add_u32 s28, s4, s20
	s_mul_i32 s4, s25, s15
	s_mul_hi_u32 s7, s24, s15
	s_addc_u32 s29, s6, s21
	s_add_i32 s7, s7, s4
	s_mul_i32 s6, s24, s15
	v_add_co_u32 v11, s4, s33, v11
	s_lshl_b64 s[20:21], s[6:7], 3
	v_add_co_ci_u32_e64 v12, s4, s38, v12, s4
	s_lshl_b64 s[6:7], s[26:27], 3
	s_add_u32 s4, s22, s20
	s_addc_u32 s20, s23, s21
	s_add_u32 s4, s4, s18
	s_addc_u32 s18, s20, s19
	;; [unrolled: 2-line block ×3, first 2 shown]
	v_add_co_u32 v0, s4, s4, v3
	s_delay_alu instid0(VALU_DEP_1) | instskip(SKIP_1) | instid1(VALU_DEP_1)
	v_add_co_ci_u32_e64 v15, s4, s16, v4, s4
	v_add_co_u32 v3, s4, s28, v13
	v_add_co_ci_u32_e64 v4, s4, s29, v14, s4
	s_delay_alu instid0(VALU_DEP_4) | instskip(NEXT) | instid1(VALU_DEP_1)
	v_add_co_u32 v13, s4, v0, 4
	v_add_co_ci_u32_e64 v14, s4, 0, v15, s4
	v_mov_b32_e32 v15, 0
	s_lshl_b64 s[16:17], s[24:25], 3
	s_branch .LBB139_57
.LBB139_56:                             ;   in Loop: Header=BB139_57 Depth=1
	s_or_b32 exec_lo, exec_lo, s4
	v_add_co_u32 v13, s4, v13, s16
	s_delay_alu instid0(VALU_DEP_1) | instskip(SKIP_1) | instid1(SALU_CYCLE_1)
	v_add_co_ci_u32_e64 v14, s4, s17, v14, s4
	s_add_i32 s15, s15, 1
	s_cmp_lt_i32 s15, s9
	s_cbranch_scc0 .LBB139_76
.LBB139_57:                             ; =>This Loop Header: Depth=1
                                        ;     Child Loop BB139_69 Depth 2
                                        ;     Child Loop BB139_71 Depth 2
                                        ; implicit-def: $vgpr0
                                        ; implicit-def: $vgpr25
	s_and_saveexec_b32 s4, vcc_lo
	s_delay_alu instid0(SALU_CYCLE_1)
	s_xor_b32 s18, exec_lo, s4
	s_cbranch_execnz .LBB139_66
; %bb.58:                               ;   in Loop: Header=BB139_57 Depth=1
	s_and_not1_saveexec_b32 s18, s18
	s_cbranch_execnz .LBB139_67
.LBB139_59:                             ;   in Loop: Header=BB139_57 Depth=1
	s_or_b32 exec_lo, exec_lo, s18
	s_and_saveexec_b32 s4, s0
	s_cbranch_execz .LBB139_61
.LBB139_60:                             ;   in Loop: Header=BB139_57 Depth=1
	s_waitcnt lgkmcnt(0)
	v_mov_b32_e32 v16, v15
	ds_store_b64 v18, v[15:16]
.LBB139_61:                             ;   in Loop: Header=BB139_57 Depth=1
	s_or_b32 exec_lo, exec_lo, s4
	s_waitcnt lgkmcnt(0)
	ds_bpermute_b32 v16, v19, v0
	ds_bpermute_b32 v17, v19, v25
	s_waitcnt lgkmcnt(0)
	s_waitcnt_vscnt null, 0x0
	s_barrier
	buffer_gl0_inv
	v_add_f32_e32 v0, v0, v16
	v_add_f32_e32 v16, v25, v17
	ds_bpermute_b32 v17, v20, v0
	ds_bpermute_b32 v25, v20, v16
	s_waitcnt lgkmcnt(1)
	v_add_f32_e32 v0, v0, v17
	s_waitcnt lgkmcnt(0)
	v_add_f32_e32 v16, v16, v25
	ds_bpermute_b32 v17, v21, v0
	ds_bpermute_b32 v25, v21, v16
	s_waitcnt lgkmcnt(1)
	v_add_f32_e32 v0, v0, v17
	s_waitcnt lgkmcnt(0)
	;; [unrolled: 6-line block ×3, first 2 shown]
	v_add_f32_e32 v16, v16, v25
	ds_bpermute_b32 v17, v23, v0
	ds_bpermute_b32 v25, v23, v16
	s_and_saveexec_b32 s4, s1
	s_cbranch_execz .LBB139_63
; %bb.62:                               ;   in Loop: Header=BB139_57 Depth=1
	s_waitcnt lgkmcnt(0)
	v_add_f32_e32 v26, v16, v25
	v_add_f32_e32 v25, v0, v17
	ds_store_b64 v24, v[25:26]
.LBB139_63:                             ;   in Loop: Header=BB139_57 Depth=1
	s_or_b32 exec_lo, exec_lo, s4
	s_waitcnt lgkmcnt(1)
	v_dual_mov_b32 v17, 0 :: v_dual_mov_b32 v16, 0
	s_waitcnt lgkmcnt(0)
	s_barrier
	buffer_gl0_inv
	s_and_saveexec_b32 s4, s2
	s_cbranch_execnz .LBB139_73
; %bb.64:                               ;   in Loop: Header=BB139_57 Depth=1
	s_or_b32 exec_lo, exec_lo, s4
	s_and_saveexec_b32 s4, s0
	s_cbranch_execnz .LBB139_74
.LBB139_65:                             ;   in Loop: Header=BB139_57 Depth=1
	s_or_b32 exec_lo, exec_lo, s4
	s_and_saveexec_b32 s4, s3
	s_cbranch_execz .LBB139_56
	s_branch .LBB139_75
.LBB139_66:                             ;   in Loop: Header=BB139_57 Depth=1
	s_mul_i32 s4, s15, s25
	s_mul_hi_u32 s19, s15, s24
	s_mul_i32 s20, s15, s24
	s_add_i32 s21, s19, s4
	s_delay_alu instid0(SALU_CYCLE_1) | instskip(SKIP_2) | instid1(VALU_DEP_1)
	s_lshl_b64 s[20:21], s[20:21], 3
	s_waitcnt lgkmcnt(0)
	v_add_co_u32 v16, s4, v1, s20
	v_add_co_ci_u32_e64 v17, s4, s21, v2, s4
	global_load_b128 v[29:32], v[16:17], off
	s_clause 0x1
	global_load_b64 v[33:34], v[5:6], off
	global_load_b64 v[35:36], v[7:8], off
	global_load_b128 v[37:40], v[16:17], off offset:16
	s_clause 0x1
	global_load_b64 v[41:42], v[9:10], off
	global_load_b64 v[43:44], v[11:12], off
	s_waitcnt vmcnt(3)
	scratch_store_b128 off, v[33:36], off
	s_waitcnt vmcnt(0)
	scratch_store_b128 off, v[41:44], off offset:16
	v_dual_mul_f32 v0, v30, v34 :: v_dual_mul_f32 v17, v32, v36
	v_dual_mul_f32 v16, v30, v33 :: v_dual_mul_f32 v25, v32, v35
	s_waitcnt lgkmcnt(0)
	v_mul_f32_e32 v26, v38, v42
	s_delay_alu instid0(VALU_DEP_3) | instskip(NEXT) | instid1(VALU_DEP_3)
	v_dual_fmac_f32 v0, v29, v33 :: v_dual_fmac_f32 v17, v31, v35
	v_fma_f32 v16, v29, v34, -v16
	v_mul_f32_e32 v27, v38, v41
	v_mul_f32_e32 v29, v40, v44
	s_delay_alu instid0(VALU_DEP_4)
	v_add_f32_e32 v0, 0, v0
	v_fma_f32 v25, v31, v36, -v25
	v_add_f32_e32 v16, 0, v16
	v_mul_f32_e32 v30, v40, v43
	v_dual_fmac_f32 v29, v39, v43 :: v_dual_fmac_f32 v26, v37, v41
	v_fma_f32 v27, v37, v42, -v27
	v_add_f32_e32 v0, v0, v17
	v_add_f32_e32 v16, v16, v25
	v_fma_f32 v17, v39, v44, -v30
	s_delay_alu instid0(VALU_DEP_3) | instskip(NEXT) | instid1(VALU_DEP_3)
	v_add_f32_e32 v0, v0, v26
	v_add_f32_e32 v16, v16, v27
	s_delay_alu instid0(VALU_DEP_2) | instskip(NEXT) | instid1(VALU_DEP_2)
	v_add_f32_e32 v0, v0, v29
	v_add_f32_e32 v25, v16, v17
	s_and_not1_saveexec_b32 s18, s18
	s_cbranch_execz .LBB139_59
.LBB139_67:                             ;   in Loop: Header=BB139_57 Depth=1
	v_dual_mov_b32 v0, 0 :: v_dual_mov_b32 v25, 0
	s_and_saveexec_b32 s19, s5
	s_cbranch_execz .LBB139_72
; %bb.68:                               ;   in Loop: Header=BB139_57 Depth=1
	s_waitcnt lgkmcnt(0)
	v_dual_mov_b32 v0, 0 :: v_dual_mov_b32 v17, v4
	v_mov_b32_e32 v16, v3
	s_mov_b32 s20, s13
.LBB139_69:                             ;   Parent Loop BB139_57 Depth=1
                                        ; =>  This Inner Loop Header: Depth=2
	s_waitcnt lgkmcnt(0)
	global_load_b64 v[25:26], v[16:17], off
	v_add_co_u32 v16, s4, v16, s6
	s_delay_alu instid0(VALU_DEP_1) | instskip(SKIP_1) | instid1(SALU_CYCLE_1)
	v_add_co_ci_u32_e64 v17, s4, s7, v17, s4
	s_add_i32 s20, s20, -1
	s_cmp_eq_u32 s20, 0
	s_waitcnt vmcnt(0)
	scratch_store_b64 v0, v[25:26], off
	v_add_nc_u32_e32 v0, 8, v0
	s_cbranch_scc0 .LBB139_69
; %bb.70:                               ;   in Loop: Header=BB139_57 Depth=1
	v_dual_mov_b32 v0, 0 :: v_dual_mov_b32 v17, v14
	v_dual_mov_b32 v16, v13 :: v_dual_mov_b32 v25, 0
	v_mov_b32_e32 v26, v28
	s_mov_b32 s20, s13
	.p2align	6
.LBB139_71:                             ;   Parent Loop BB139_57 Depth=1
                                        ; =>  This Inner Loop Header: Depth=2
	global_load_b64 v[29:30], v[16:17], off offset:-4
	scratch_load_b64 v[31:32], v26, off offset:-4
	v_add_co_u32 v16, s4, v16, 8
	s_delay_alu instid0(VALU_DEP_1)
	v_add_co_ci_u32_e64 v17, s4, 0, v17, s4
	s_add_i32 s20, s20, -1
	v_add_nc_u32_e32 v26, 8, v26
	s_cmp_lg_u32 s20, 0
	s_waitcnt vmcnt(0)
	v_mul_f32_e32 v27, v30, v32
	v_mul_f32_e32 v30, v30, v31
	s_delay_alu instid0(VALU_DEP_2) | instskip(NEXT) | instid1(VALU_DEP_2)
	v_fmac_f32_e32 v27, v29, v31
	v_fma_f32 v29, v29, v32, -v30
	s_delay_alu instid0(VALU_DEP_1)
	v_dual_add_f32 v0, v0, v27 :: v_dual_add_f32 v25, v25, v29
	s_cbranch_scc1 .LBB139_71
.LBB139_72:                             ;   in Loop: Header=BB139_57 Depth=1
	s_or_b32 exec_lo, exec_lo, s19
	s_delay_alu instid0(SALU_CYCLE_1)
	s_or_b32 exec_lo, exec_lo, s18
	s_and_saveexec_b32 s4, s0
	s_cbranch_execnz .LBB139_60
	s_branch .LBB139_61
.LBB139_73:                             ;   in Loop: Header=BB139_57 Depth=1
	ds_load_b64 v[16:17], v18
	s_or_b32 exec_lo, exec_lo, s4
	s_and_saveexec_b32 s4, s0
	s_cbranch_execz .LBB139_65
.LBB139_74:                             ;   in Loop: Header=BB139_57 Depth=1
	s_waitcnt lgkmcnt(0)
	ds_bpermute_b32 v0, v21, v16
	ds_bpermute_b32 v25, v21, v17
	s_waitcnt lgkmcnt(1)
	v_add_f32_e32 v0, v16, v0
	s_waitcnt lgkmcnt(0)
	v_add_f32_e32 v16, v17, v25
	ds_bpermute_b32 v17, v22, v0
	ds_bpermute_b32 v25, v22, v16
	s_waitcnt lgkmcnt(1)
	v_add_f32_e32 v0, v0, v17
	s_waitcnt lgkmcnt(0)
	v_add_f32_e32 v17, v16, v25
	ds_bpermute_b32 v16, v23, v0
	ds_bpermute_b32 v25, v23, v17
	s_waitcnt lgkmcnt(0)
	v_dual_add_f32 v16, v0, v16 :: v_dual_add_f32 v17, v17, v25
	s_or_b32 exec_lo, exec_lo, s4
	s_and_saveexec_b32 s4, s3
	s_cbranch_execz .LBB139_56
.LBB139_75:                             ;   in Loop: Header=BB139_57 Depth=1
	s_waitcnt lgkmcnt(0)
	v_mul_f32_e32 v0, s11, v17
	v_mul_f32_e32 v26, s10, v17
	s_mul_hi_u32 s19, s15, s12
	s_mul_i32 s18, s15, s12
	s_delay_alu instid0(SALU_CYCLE_1)
	s_lshl_b64 s[18:19], s[18:19], 3
	v_fma_f32 v25, v16, s10, -v0
	v_fmac_f32_e32 v26, s11, v16
	s_add_u32 s18, s8, s18
	s_addc_u32 s19, s14, s19
	global_store_b64 v15, v[25:26], s[18:19]
	s_branch .LBB139_56
.LBB139_76:
	s_nop 0
	s_sendmsg sendmsg(MSG_DEALLOC_VGPRS)
	s_endpgm
	.section	.rodata,"a",@progbits
	.p2align	6, 0x0
	.amdhsa_kernel _ZL23rocblas_gemvt_sn_kernelILb1ELi256ELi4El19rocblas_complex_numIfES1_S1_EviiT4_lPKT3_lilS5_lilPT5_i
		.amdhsa_group_segment_fixed_size 256
		.amdhsa_private_segment_fixed_size 48
		.amdhsa_kernarg_size 360
		.amdhsa_user_sgpr_count 14
		.amdhsa_user_sgpr_dispatch_ptr 0
		.amdhsa_user_sgpr_queue_ptr 0
		.amdhsa_user_sgpr_kernarg_segment_ptr 1
		.amdhsa_user_sgpr_dispatch_id 0
		.amdhsa_user_sgpr_private_segment_size 0
		.amdhsa_wavefront_size32 1
		.amdhsa_uses_dynamic_stack 0
		.amdhsa_enable_private_segment 1
		.amdhsa_system_sgpr_workgroup_id_x 1
		.amdhsa_system_sgpr_workgroup_id_y 0
		.amdhsa_system_sgpr_workgroup_id_z 1
		.amdhsa_system_sgpr_workgroup_info 0
		.amdhsa_system_vgpr_workitem_id 0
		.amdhsa_next_free_vgpr 92
		.amdhsa_next_free_sgpr 52
		.amdhsa_reserve_vcc 1
		.amdhsa_float_round_mode_32 0
		.amdhsa_float_round_mode_16_64 0
		.amdhsa_float_denorm_mode_32 3
		.amdhsa_float_denorm_mode_16_64 3
		.amdhsa_dx10_clamp 1
		.amdhsa_ieee_mode 1
		.amdhsa_fp16_overflow 0
		.amdhsa_workgroup_processor_mode 1
		.amdhsa_memory_ordered 1
		.amdhsa_forward_progress 0
		.amdhsa_shared_vgpr_count 0
		.amdhsa_exception_fp_ieee_invalid_op 0
		.amdhsa_exception_fp_denorm_src 0
		.amdhsa_exception_fp_ieee_div_zero 0
		.amdhsa_exception_fp_ieee_overflow 0
		.amdhsa_exception_fp_ieee_underflow 0
		.amdhsa_exception_fp_ieee_inexact 0
		.amdhsa_exception_int_div_zero 0
	.end_amdhsa_kernel
	.section	.text._ZL23rocblas_gemvt_sn_kernelILb1ELi256ELi4El19rocblas_complex_numIfES1_S1_EviiT4_lPKT3_lilS5_lilPT5_i,"axG",@progbits,_ZL23rocblas_gemvt_sn_kernelILb1ELi256ELi4El19rocblas_complex_numIfES1_S1_EviiT4_lPKT3_lilS5_lilPT5_i,comdat
.Lfunc_end139:
	.size	_ZL23rocblas_gemvt_sn_kernelILb1ELi256ELi4El19rocblas_complex_numIfES1_S1_EviiT4_lPKT3_lilS5_lilPT5_i, .Lfunc_end139-_ZL23rocblas_gemvt_sn_kernelILb1ELi256ELi4El19rocblas_complex_numIfES1_S1_EviiT4_lPKT3_lilS5_lilPT5_i
                                        ; -- End function
	.section	.AMDGPU.csdata,"",@progbits
; Kernel info:
; codeLenInByte = 5548
; NumSgprs: 54
; NumVgprs: 92
; ScratchSize: 48
; MemoryBound: 0
; FloatMode: 240
; IeeeMode: 1
; LDSByteSize: 256 bytes/workgroup (compile time only)
; SGPRBlocks: 6
; VGPRBlocks: 11
; NumSGPRsForWavesPerEU: 54
; NumVGPRsForWavesPerEU: 92
; Occupancy: 16
; WaveLimiterHint : 1
; COMPUTE_PGM_RSRC2:SCRATCH_EN: 1
; COMPUTE_PGM_RSRC2:USER_SGPR: 14
; COMPUTE_PGM_RSRC2:TRAP_HANDLER: 0
; COMPUTE_PGM_RSRC2:TGID_X_EN: 1
; COMPUTE_PGM_RSRC2:TGID_Y_EN: 0
; COMPUTE_PGM_RSRC2:TGID_Z_EN: 1
; COMPUTE_PGM_RSRC2:TIDIG_COMP_CNT: 0
	.section	.text._ZL20rocblas_gemvt_kernelILb1ELi256E19rocblas_complex_numIfEPKS1_S1_EviiT2_lPKT1_lilS7_lilS4_lPT3_lili,"axG",@progbits,_ZL20rocblas_gemvt_kernelILb1ELi256E19rocblas_complex_numIfEPKS1_S1_EviiT2_lPKT1_lilS7_lilS4_lPT3_lili,comdat
	.globl	_ZL20rocblas_gemvt_kernelILb1ELi256E19rocblas_complex_numIfEPKS1_S1_EviiT2_lPKT1_lilS7_lilS4_lPT3_lili ; -- Begin function _ZL20rocblas_gemvt_kernelILb1ELi256E19rocblas_complex_numIfEPKS1_S1_EviiT2_lPKT1_lilS7_lilS4_lPT3_lili
	.p2align	8
	.type	_ZL20rocblas_gemvt_kernelILb1ELi256E19rocblas_complex_numIfEPKS1_S1_EviiT2_lPKT1_lilS7_lilS4_lPT3_lili,@function
_ZL20rocblas_gemvt_kernelILb1ELi256E19rocblas_complex_numIfEPKS1_S1_EviiT2_lPKT1_lilS7_lilS4_lPT3_lili: ; @_ZL20rocblas_gemvt_kernelILb1ELi256E19rocblas_complex_numIfEPKS1_S1_EviiT2_lPKT1_lilS7_lilS4_lPT3_lili
; %bb.0:
	s_clause 0x1
	s_load_b256 s[4:11], s[0:1], 0x8
	s_load_b256 s[16:23], s[0:1], 0x50
	s_waitcnt lgkmcnt(0)
	s_mul_i32 s3, s15, s7
	s_mul_hi_u32 s7, s15, s6
	s_mul_i32 s2, s15, s6
	s_add_i32 s3, s7, s3
	s_delay_alu instid0(SALU_CYCLE_1) | instskip(NEXT) | instid1(SALU_CYCLE_1)
	s_lshl_b64 s[2:3], s[2:3], 3
	s_add_u32 s2, s4, s2
	s_addc_u32 s3, s5, s3
	s_mul_hi_u32 s4, s15, s20
	s_load_b64 s[12:13], s[2:3], 0x0
	s_mul_i32 s3, s15, s21
	s_mul_i32 s2, s15, s20
	s_add_i32 s3, s4, s3
	s_delay_alu instid0(SALU_CYCLE_1) | instskip(NEXT) | instid1(SALU_CYCLE_1)
	s_lshl_b64 s[2:3], s[2:3], 3
	s_add_u32 s2, s18, s2
	s_addc_u32 s3, s19, s3
	s_load_b64 s[2:3], s[2:3], 0x0
	s_waitcnt lgkmcnt(0)
	v_cmp_neq_f32_e64 s4, s12, 0
	v_cmp_neq_f32_e64 s5, s13, 0
	s_delay_alu instid0(VALU_DEP_1) | instskip(NEXT) | instid1(SALU_CYCLE_1)
	s_or_b32 s4, s4, s5
	s_and_b32 vcc_lo, exec_lo, s4
	s_mov_b32 s4, -1
	s_cbranch_vccnz .LBB140_2
; %bb.1:
	v_cmp_neq_f32_e64 s4, s2, 1.0
	v_cmp_neq_f32_e64 s5, s3, 0
	s_delay_alu instid0(VALU_DEP_1)
	s_or_b32 s4, s4, s5
.LBB140_2:
	s_delay_alu instid0(SALU_CYCLE_1)
	s_and_not1_b32 vcc_lo, exec_lo, s4
	s_cbranch_vccnz .LBB140_35
; %bb.3:
	s_clause 0x2
	s_load_b64 s[4:5], s[0:1], 0x80
	s_load_b64 s[6:7], s[0:1], 0x70
	s_load_b32 s28, s[0:1], 0x78
	v_cmp_eq_u32_e32 vcc_lo, 0, v0
	s_waitcnt lgkmcnt(0)
	s_mul_i32 s5, s15, s5
	s_mul_hi_u32 s18, s15, s4
	s_mul_i32 s4, s15, s4
	s_add_i32 s5, s18, s5
	s_delay_alu instid0(SALU_CYCLE_1) | instskip(NEXT) | instid1(SALU_CYCLE_1)
	s_lshl_b64 s[4:5], s[4:5], 3
	s_add_u32 s18, s22, s4
	s_addc_u32 s19, s23, s5
	s_lshl_b64 s[4:5], s[6:7], 3
	s_delay_alu instid0(SALU_CYCLE_1) | instskip(SKIP_2) | instid1(SALU_CYCLE_1)
	s_add_u32 s26, s18, s4
	s_addc_u32 s27, s19, s5
	s_or_b32 s4, s12, s13
	s_bitset0_b32 s4, 31
	s_delay_alu instid0(SALU_CYCLE_1)
	s_cmp_lg_u32 s4, 0
	s_mov_b32 s4, -1
	s_cbranch_scc1 .LBB140_9
; %bb.4:
	s_and_saveexec_b32 s6, vcc_lo
	s_cbranch_execz .LBB140_8
; %bb.5:
	v_cmp_neq_f32_e64 s4, s2, 0
	v_cmp_neq_f32_e64 s5, s3, 0
	v_dual_mov_b32 v3, 0 :: v_dual_mov_b32 v2, 0
	v_mov_b32_e32 v1, 0
	s_delay_alu instid0(VALU_DEP_3)
	s_or_b32 s4, s4, s5
	s_mul_hi_i32 s5, s28, s14
	s_and_not1_b32 vcc_lo, exec_lo, s4
	s_mul_i32 s4, s28, s14
	s_cbranch_vccnz .LBB140_7
; %bb.6:
	s_lshl_b64 s[18:19], s[4:5], 3
	s_delay_alu instid0(SALU_CYCLE_1)
	s_add_u32 s18, s26, s18
	s_addc_u32 s19, s27, s19
	s_load_b64 s[18:19], s[18:19], 0x0
	s_waitcnt lgkmcnt(0)
	v_mul_f32_e64 v1, s3, s19
	v_mul_f32_e64 v2, s2, s19
	s_delay_alu instid0(VALU_DEP_2) | instskip(NEXT) | instid1(VALU_DEP_2)
	v_fma_f32 v1, s2, s18, -v1
	v_fmac_f32_e64 v2, s3, s18
.LBB140_7:
	s_lshl_b64 s[4:5], s[4:5], 3
	s_delay_alu instid0(SALU_CYCLE_1)
	s_add_u32 s4, s26, s4
	s_addc_u32 s5, s27, s5
	global_store_b64 v3, v[1:2], s[4:5]
.LBB140_8:
	s_or_b32 exec_lo, exec_lo, s6
	s_mov_b32 s4, 0
.LBB140_9:
	s_delay_alu instid0(SALU_CYCLE_1)
	s_and_not1_b32 vcc_lo, exec_lo, s4
	s_cbranch_vccnz .LBB140_35
; %bb.10:
	s_clause 0x4
	s_load_b128 s[4:7], s[0:1], 0x30
	s_load_b32 s29, s[0:1], 0x0
	s_load_b32 s21, s[0:1], 0x28
	s_load_b64 s[18:19], s[0:1], 0x40
	s_load_b32 s20, s[0:1], 0x48
	s_mul_i32 s17, s15, s17
	s_mul_hi_u32 s22, s15, s16
	s_mul_i32 s0, s15, s16
	s_add_i32 s1, s22, s17
	s_waitcnt lgkmcnt(0)
	s_mul_hi_u32 s16, s15, s4
	v_cmp_gt_i32_e32 vcc_lo, s29, v0
	v_mov_b32_e32 v2, 0
	s_mul_i32 s22, s15, s4
	s_ashr_i32 s4, s29, 31
	s_mul_i32 s5, s15, s5
	v_cndmask_b32_e32 v1, 0, v0, vcc_lo
	s_lshr_b32 s4, s4, 24
	s_add_i32 s23, s16, s5
	s_add_i32 s4, s29, s4
	s_mul_hi_i32 s17, s21, s14
	v_lshlrev_b32_e32 v7, 3, v1
	v_mov_b32_e32 v1, v2
	s_and_b32 s4, s4, 0xffffff00
	s_cmpk_lt_i32 s29, 0x100
	s_mul_i32 s16, s21, s14
	s_cbranch_scc1 .LBB140_13
; %bb.11:
	s_lshl_b64 s[24:25], s[16:17], 3
	s_lshl_b64 s[30:31], s[22:23], 3
	s_ashr_i32 s21, s20, 31
	s_add_u32 s5, s24, s30
	s_addc_u32 s15, s25, s31
	s_lshl_b64 s[24:25], s[10:11], 3
	v_mad_i64_i32 v[1:2], null, s20, v0, 0
	s_add_u32 s5, s5, s24
	s_addc_u32 s15, s15, s25
	s_add_u32 s5, s8, s5
	s_addc_u32 s15, s9, s15
	v_add_co_u32 v3, s5, s5, v7
	s_delay_alu instid0(VALU_DEP_1)
	v_add_co_ci_u32_e64 v4, null, s15, 0, s5
	s_lshl_b64 s[30:31], s[18:19], 3
	v_lshlrev_b64 v[1:2], 3, v[1:2]
	s_lshl_b64 s[24:25], s[0:1], 3
	s_add_u32 s5, s6, s30
	v_add_co_u32 v3, vcc_lo, v3, 4
	s_addc_u32 s15, s7, s31
	s_add_u32 s5, s5, s24
	v_add_co_ci_u32_e32 v4, vcc_lo, 0, v4, vcc_lo
	s_addc_u32 s15, s15, s25
	v_add_co_u32 v1, vcc_lo, s5, v1
	v_add_co_ci_u32_e32 v6, vcc_lo, s15, v2, vcc_lo
	v_mov_b32_e32 v2, 0
	s_delay_alu instid0(VALU_DEP_3) | instskip(NEXT) | instid1(VALU_DEP_3)
	v_add_co_u32 v5, vcc_lo, v1, 4
	v_add_co_ci_u32_e32 v6, vcc_lo, 0, v6, vcc_lo
	s_delay_alu instid0(VALU_DEP_3)
	v_mov_b32_e32 v1, v2
	s_lshl_b64 s[24:25], s[20:21], 11
	s_mov_b32 s5, 0
	.p2align	6
.LBB140_12:                             ; =>This Inner Loop Header: Depth=1
	global_load_b64 v[8:9], v[3:4], off offset:-4
	global_load_b64 v[10:11], v[5:6], off offset:-4
	v_add_co_u32 v3, vcc_lo, 0x800, v3
	v_add_co_ci_u32_e32 v4, vcc_lo, 0, v4, vcc_lo
	v_add_co_u32 v5, vcc_lo, v5, s24
	v_add_co_ci_u32_e32 v6, vcc_lo, s25, v6, vcc_lo
	s_addk_i32 s5, 0x100
	s_delay_alu instid0(SALU_CYCLE_1) | instskip(SKIP_3) | instid1(VALU_DEP_2)
	s_cmp_ge_i32 s5, s4
	s_waitcnt vmcnt(0)
	v_mul_f32_e32 v12, v9, v11
	v_mul_f32_e32 v9, v9, v10
	v_fmac_f32_e32 v12, v8, v10
	s_delay_alu instid0(VALU_DEP_2) | instskip(NEXT) | instid1(VALU_DEP_2)
	v_fma_f32 v8, v8, v11, -v9
	v_add_f32_e32 v1, v1, v12
	s_delay_alu instid0(VALU_DEP_2)
	v_add_f32_e32 v2, v2, v8
	s_cbranch_scc0 .LBB140_12
.LBB140_13:
	v_add_nc_u32_e32 v3, s4, v0
	s_mov_b32 s15, exec_lo
	s_delay_alu instid0(VALU_DEP_1)
	v_cmpx_gt_i32_e64 s29, v3
	s_cbranch_execz .LBB140_15
; %bb.14:
	v_mad_i64_i32 v[4:5], null, s20, v3, 0
	s_lshl_b64 s[22:23], s[22:23], 3
	s_delay_alu instid0(SALU_CYCLE_1) | instskip(SKIP_2) | instid1(SALU_CYCLE_1)
	s_add_u32 s5, s8, s22
	s_addc_u32 s21, s9, s23
	s_lshl_b64 s[8:9], s[10:11], 3
	s_add_u32 s10, s5, s8
	s_addc_u32 s11, s21, s9
	s_lshl_b64 s[0:1], s[0:1], 3
	s_lshl_b64 s[8:9], s[16:17], 3
	v_lshlrev_b64 v[3:4], 3, v[4:5]
	s_add_u32 s5, s6, s0
	s_addc_u32 s6, s7, s1
	s_lshl_b64 s[0:1], s[18:19], 3
	s_delay_alu instid0(SALU_CYCLE_1)
	s_add_u32 s7, s5, s0
	s_addc_u32 s6, s6, s1
	s_ashr_i32 s5, s4, 31
	v_add_co_u32 v3, vcc_lo, s7, v3
	s_lshl_b64 s[0:1], s[4:5], 3
	v_add_co_ci_u32_e32 v4, vcc_lo, s6, v4, vcc_lo
	s_add_u32 s0, s0, s8
	s_addc_u32 s1, s1, s9
	s_add_u32 s0, s0, s10
	s_addc_u32 s1, s1, s11
	global_load_b64 v[3:4], v[3:4], off
	global_load_b64 v[5:6], v7, s[0:1]
	s_waitcnt vmcnt(0)
	v_mul_f32_e32 v7, v6, v4
	v_mul_f32_e32 v6, v6, v3
	s_delay_alu instid0(VALU_DEP_2) | instskip(NEXT) | instid1(VALU_DEP_2)
	v_fmac_f32_e32 v7, v5, v3
	v_fma_f32 v3, v5, v4, -v6
	s_delay_alu instid0(VALU_DEP_2) | instskip(NEXT) | instid1(VALU_DEP_2)
	v_add_f32_e32 v1, v1, v7
	v_add_f32_e32 v2, v2, v3
.LBB140_15:
	s_or_b32 exec_lo, exec_lo, s15
	v_lshlrev_b32_e32 v3, 3, v0
	s_mov_b32 s0, exec_lo
	ds_store_b64 v3, v[1:2]
	s_waitcnt lgkmcnt(0)
	s_waitcnt_vscnt null, 0x0
	s_barrier
	buffer_gl0_inv
	v_cmpx_gt_u32_e32 0x80, v0
	s_cbranch_execz .LBB140_17
; %bb.16:
	ds_load_2addr_stride64_b64 v[4:7], v3 offset1:2
	s_waitcnt lgkmcnt(0)
	v_dual_add_f32 v1, v6, v4 :: v_dual_add_f32 v2, v7, v5
	ds_store_b64 v3, v[1:2]
.LBB140_17:
	s_or_b32 exec_lo, exec_lo, s0
	s_delay_alu instid0(SALU_CYCLE_1)
	s_mov_b32 s0, exec_lo
	s_waitcnt lgkmcnt(0)
	s_barrier
	buffer_gl0_inv
	v_cmpx_gt_u32_e32 64, v0
	s_cbranch_execz .LBB140_19
; %bb.18:
	ds_load_2addr_stride64_b64 v[4:7], v3 offset1:1
	s_waitcnt lgkmcnt(0)
	v_dual_add_f32 v1, v6, v4 :: v_dual_add_f32 v2, v7, v5
	ds_store_b64 v3, v[1:2]
.LBB140_19:
	s_or_b32 exec_lo, exec_lo, s0
	s_delay_alu instid0(SALU_CYCLE_1)
	s_mov_b32 s0, exec_lo
	s_waitcnt lgkmcnt(0)
	s_barrier
	buffer_gl0_inv
	v_cmpx_gt_u32_e32 32, v0
	s_cbranch_execz .LBB140_21
; %bb.20:
	ds_load_2addr_b64 v[4:7], v3 offset1:32
	s_waitcnt lgkmcnt(0)
	v_dual_add_f32 v1, v6, v4 :: v_dual_add_f32 v2, v7, v5
	ds_store_b64 v3, v[1:2]
.LBB140_21:
	s_or_b32 exec_lo, exec_lo, s0
	s_delay_alu instid0(SALU_CYCLE_1)
	s_mov_b32 s0, exec_lo
	s_waitcnt lgkmcnt(0)
	s_barrier
	buffer_gl0_inv
	v_cmpx_gt_u32_e32 16, v0
	s_cbranch_execz .LBB140_23
; %bb.22:
	ds_load_2addr_b64 v[4:7], v3 offset1:16
	s_waitcnt lgkmcnt(0)
	v_dual_add_f32 v1, v6, v4 :: v_dual_add_f32 v2, v7, v5
	ds_store_b64 v3, v[1:2]
.LBB140_23:
	;; [unrolled: 14-line block ×5, first 2 shown]
	s_or_b32 exec_lo, exec_lo, s0
	v_cmp_eq_u32_e32 vcc_lo, 0, v0
	s_waitcnt lgkmcnt(0)
	s_barrier
	buffer_gl0_inv
	s_and_saveexec_b32 s0, vcc_lo
	s_cbranch_execz .LBB140_31
; %bb.30:
	v_mov_b32_e32 v4, 0
	ds_load_b128 v[0:3], v4
	s_waitcnt lgkmcnt(0)
	v_dual_add_f32 v1, v3, v1 :: v_dual_add_f32 v0, v2, v0
	ds_store_b64 v4, v[0:1]
.LBB140_31:
	s_or_b32 exec_lo, exec_lo, s0
	s_waitcnt lgkmcnt(0)
	s_barrier
	buffer_gl0_inv
	s_and_saveexec_b32 s0, vcc_lo
	s_cbranch_execz .LBB140_35
; %bb.32:
	v_mov_b32_e32 v2, 0
	v_cmp_neq_f32_e64 s0, s2, 0
	v_cmp_neq_f32_e64 s1, s3, 0
	ds_load_b64 v[3:4], v2
	s_or_b32 s0, s0, s1
	s_mul_hi_i32 s1, s28, s14
	s_and_not1_b32 vcc_lo, exec_lo, s0
	s_mul_i32 s0, s28, s14
	s_waitcnt lgkmcnt(0)
	v_mul_f32_e32 v1, s12, v4
	s_delay_alu instid0(VALU_DEP_1) | instskip(NEXT) | instid1(VALU_DEP_1)
	v_dual_mul_f32 v0, s13, v4 :: v_dual_fmac_f32 v1, s13, v3
	v_fma_f32 v0, v3, s12, -v0
	s_cbranch_vccnz .LBB140_34
; %bb.33:
	s_lshl_b64 s[4:5], s[0:1], 3
	s_delay_alu instid0(SALU_CYCLE_1)
	s_add_u32 s4, s26, s4
	s_addc_u32 s5, s27, s5
	global_load_b64 v[3:4], v2, s[4:5]
	s_waitcnt vmcnt(0)
	v_mul_f32_e32 v5, s3, v4
	v_mul_f32_e32 v4, s2, v4
	s_delay_alu instid0(VALU_DEP_1) | instskip(NEXT) | instid1(VALU_DEP_3)
	v_fmac_f32_e32 v4, s3, v3
	v_fma_f32 v5, s2, v3, -v5
	s_delay_alu instid0(VALU_DEP_1)
	v_dual_add_f32 v1, v1, v4 :: v_dual_add_f32 v0, v0, v5
.LBB140_34:
	s_lshl_b64 s[0:1], s[0:1], 3
	s_delay_alu instid0(SALU_CYCLE_1)
	s_add_u32 s0, s26, s0
	s_addc_u32 s1, s27, s1
	global_store_b64 v2, v[0:1], s[0:1]
.LBB140_35:
	s_nop 0
	s_sendmsg sendmsg(MSG_DEALLOC_VGPRS)
	s_endpgm
	.section	.rodata,"a",@progbits
	.p2align	6, 0x0
	.amdhsa_kernel _ZL20rocblas_gemvt_kernelILb1ELi256E19rocblas_complex_numIfEPKS1_S1_EviiT2_lPKT1_lilS7_lilS4_lPT3_lili
		.amdhsa_group_segment_fixed_size 2048
		.amdhsa_private_segment_fixed_size 0
		.amdhsa_kernarg_size 140
		.amdhsa_user_sgpr_count 14
		.amdhsa_user_sgpr_dispatch_ptr 0
		.amdhsa_user_sgpr_queue_ptr 0
		.amdhsa_user_sgpr_kernarg_segment_ptr 1
		.amdhsa_user_sgpr_dispatch_id 0
		.amdhsa_user_sgpr_private_segment_size 0
		.amdhsa_wavefront_size32 1
		.amdhsa_uses_dynamic_stack 0
		.amdhsa_enable_private_segment 0
		.amdhsa_system_sgpr_workgroup_id_x 1
		.amdhsa_system_sgpr_workgroup_id_y 0
		.amdhsa_system_sgpr_workgroup_id_z 1
		.amdhsa_system_sgpr_workgroup_info 0
		.amdhsa_system_vgpr_workitem_id 0
		.amdhsa_next_free_vgpr 13
		.amdhsa_next_free_sgpr 32
		.amdhsa_reserve_vcc 1
		.amdhsa_float_round_mode_32 0
		.amdhsa_float_round_mode_16_64 0
		.amdhsa_float_denorm_mode_32 3
		.amdhsa_float_denorm_mode_16_64 3
		.amdhsa_dx10_clamp 1
		.amdhsa_ieee_mode 1
		.amdhsa_fp16_overflow 0
		.amdhsa_workgroup_processor_mode 1
		.amdhsa_memory_ordered 1
		.amdhsa_forward_progress 0
		.amdhsa_shared_vgpr_count 0
		.amdhsa_exception_fp_ieee_invalid_op 0
		.amdhsa_exception_fp_denorm_src 0
		.amdhsa_exception_fp_ieee_div_zero 0
		.amdhsa_exception_fp_ieee_overflow 0
		.amdhsa_exception_fp_ieee_underflow 0
		.amdhsa_exception_fp_ieee_inexact 0
		.amdhsa_exception_int_div_zero 0
	.end_amdhsa_kernel
	.section	.text._ZL20rocblas_gemvt_kernelILb1ELi256E19rocblas_complex_numIfEPKS1_S1_EviiT2_lPKT1_lilS7_lilS4_lPT3_lili,"axG",@progbits,_ZL20rocblas_gemvt_kernelILb1ELi256E19rocblas_complex_numIfEPKS1_S1_EviiT2_lPKT1_lilS7_lilS4_lPT3_lili,comdat
.Lfunc_end140:
	.size	_ZL20rocblas_gemvt_kernelILb1ELi256E19rocblas_complex_numIfEPKS1_S1_EviiT2_lPKT1_lilS7_lilS4_lPT3_lili, .Lfunc_end140-_ZL20rocblas_gemvt_kernelILb1ELi256E19rocblas_complex_numIfEPKS1_S1_EviiT2_lPKT1_lilS7_lilS4_lPT3_lili
                                        ; -- End function
	.section	.AMDGPU.csdata,"",@progbits
; Kernel info:
; codeLenInByte = 1776
; NumSgprs: 34
; NumVgprs: 13
; ScratchSize: 0
; MemoryBound: 0
; FloatMode: 240
; IeeeMode: 1
; LDSByteSize: 2048 bytes/workgroup (compile time only)
; SGPRBlocks: 4
; VGPRBlocks: 1
; NumSGPRsForWavesPerEU: 34
; NumVGPRsForWavesPerEU: 13
; Occupancy: 16
; WaveLimiterHint : 1
; COMPUTE_PGM_RSRC2:SCRATCH_EN: 0
; COMPUTE_PGM_RSRC2:USER_SGPR: 14
; COMPUTE_PGM_RSRC2:TRAP_HANDLER: 0
; COMPUTE_PGM_RSRC2:TGID_X_EN: 1
; COMPUTE_PGM_RSRC2:TGID_Y_EN: 0
; COMPUTE_PGM_RSRC2:TGID_Z_EN: 1
; COMPUTE_PGM_RSRC2:TIDIG_COMP_CNT: 0
	.section	.text._ZL20rocblas_gemvt_kernelILb1ELi256E19rocblas_complex_numIfES1_S1_EviiT2_lPKT1_lilS5_lilS2_lPT3_lili,"axG",@progbits,_ZL20rocblas_gemvt_kernelILb1ELi256E19rocblas_complex_numIfES1_S1_EviiT2_lPKT1_lilS5_lilS2_lPT3_lili,comdat
	.globl	_ZL20rocblas_gemvt_kernelILb1ELi256E19rocblas_complex_numIfES1_S1_EviiT2_lPKT1_lilS5_lilS2_lPT3_lili ; -- Begin function _ZL20rocblas_gemvt_kernelILb1ELi256E19rocblas_complex_numIfES1_S1_EviiT2_lPKT1_lilS5_lilS2_lPT3_lili
	.p2align	8
	.type	_ZL20rocblas_gemvt_kernelILb1ELi256E19rocblas_complex_numIfES1_S1_EviiT2_lPKT1_lilS5_lilS2_lPT3_lili,@function
_ZL20rocblas_gemvt_kernelILb1ELi256E19rocblas_complex_numIfES1_S1_EviiT2_lPKT1_lilS5_lilS2_lPT3_lili: ; @_ZL20rocblas_gemvt_kernelILb1ELi256E19rocblas_complex_numIfES1_S1_EviiT2_lPKT1_lilS5_lilS2_lPT3_lili
; %bb.0:
	s_clause 0x1
	s_load_b64 s[12:13], s[0:1], 0x8
	s_load_b64 s[2:3], s[0:1], 0x58
	s_waitcnt lgkmcnt(0)
	v_cmp_neq_f32_e64 s4, s12, 0
	v_cmp_neq_f32_e64 s5, s13, 0
	s_delay_alu instid0(VALU_DEP_1) | instskip(NEXT) | instid1(SALU_CYCLE_1)
	s_or_b32 s4, s4, s5
	s_and_b32 vcc_lo, exec_lo, s4
	s_mov_b32 s4, -1
	s_cbranch_vccnz .LBB141_2
; %bb.1:
	v_cmp_neq_f32_e64 s4, s2, 1.0
	v_cmp_neq_f32_e64 s5, s3, 0
	s_delay_alu instid0(VALU_DEP_1)
	s_or_b32 s4, s4, s5
.LBB141_2:
	s_delay_alu instid0(SALU_CYCLE_1)
	s_and_not1_b32 vcc_lo, exec_lo, s4
	s_cbranch_vccnz .LBB141_35
; %bb.3:
	s_clause 0x2
	s_load_b64 s[8:9], s[0:1], 0x80
	s_load_b128 s[4:7], s[0:1], 0x68
	s_load_b32 s28, s[0:1], 0x78
	v_cmp_eq_u32_e32 vcc_lo, 0, v0
	s_waitcnt lgkmcnt(0)
	s_mul_i32 s9, s15, s9
	s_mul_hi_u32 s10, s15, s8
	s_mul_i32 s8, s15, s8
	s_add_i32 s9, s10, s9
	s_delay_alu instid0(SALU_CYCLE_1) | instskip(NEXT) | instid1(SALU_CYCLE_1)
	s_lshl_b64 s[8:9], s[8:9], 3
	s_add_u32 s8, s4, s8
	s_addc_u32 s9, s5, s9
	s_lshl_b64 s[4:5], s[6:7], 3
	s_delay_alu instid0(SALU_CYCLE_1) | instskip(SKIP_2) | instid1(SALU_CYCLE_1)
	s_add_u32 s26, s8, s4
	s_addc_u32 s27, s9, s5
	s_or_b32 s4, s12, s13
	s_bitset0_b32 s4, 31
	s_delay_alu instid0(SALU_CYCLE_1)
	s_cmp_lg_u32 s4, 0
	s_mov_b32 s4, -1
	s_cbranch_scc1 .LBB141_9
; %bb.4:
	s_and_saveexec_b32 s6, vcc_lo
	s_cbranch_execz .LBB141_8
; %bb.5:
	v_cmp_neq_f32_e64 s4, s2, 0
	v_cmp_neq_f32_e64 s5, s3, 0
	v_dual_mov_b32 v3, 0 :: v_dual_mov_b32 v2, 0
	v_mov_b32_e32 v1, 0
	s_delay_alu instid0(VALU_DEP_3)
	s_or_b32 s4, s4, s5
	s_mul_hi_i32 s5, s28, s14
	s_and_not1_b32 vcc_lo, exec_lo, s4
	s_mul_i32 s4, s28, s14
	s_cbranch_vccnz .LBB141_7
; %bb.6:
	s_lshl_b64 s[8:9], s[4:5], 3
	s_delay_alu instid0(SALU_CYCLE_1)
	s_add_u32 s8, s26, s8
	s_addc_u32 s9, s27, s9
	s_load_b64 s[8:9], s[8:9], 0x0
	s_waitcnt lgkmcnt(0)
	v_mul_f32_e64 v1, s3, s9
	v_mul_f32_e64 v2, s2, s9
	s_delay_alu instid0(VALU_DEP_2) | instskip(NEXT) | instid1(VALU_DEP_2)
	v_fma_f32 v1, s2, s8, -v1
	v_fmac_f32_e64 v2, s3, s8
.LBB141_7:
	s_lshl_b64 s[4:5], s[4:5], 3
	s_delay_alu instid0(SALU_CYCLE_1)
	s_add_u32 s4, s26, s4
	s_addc_u32 s5, s27, s5
	global_store_b64 v3, v[1:2], s[4:5]
.LBB141_8:
	s_or_b32 exec_lo, exec_lo, s6
	s_mov_b32 s4, 0
.LBB141_9:
	s_delay_alu instid0(SALU_CYCLE_1)
	s_and_not1_b32 vcc_lo, exec_lo, s4
	s_cbranch_vccnz .LBB141_35
; %bb.10:
	s_clause 0x6
	s_load_b64 s[18:19], s[0:1], 0x50
	s_load_b128 s[4:7], s[0:1], 0x30
	s_load_b32 s29, s[0:1], 0x0
	s_load_b32 s20, s[0:1], 0x28
	s_load_b128 s[8:11], s[0:1], 0x18
	s_load_b64 s[16:17], s[0:1], 0x40
	s_load_b32 s0, s[0:1], 0x48
	s_waitcnt lgkmcnt(0)
	s_mul_i32 s1, s15, s19
	s_mul_hi_u32 s19, s15, s18
	v_cmp_gt_i32_e32 vcc_lo, s29, v0
	v_mov_b32_e32 v2, 0
	s_mul_hi_u32 s23, s15, s4
	s_mul_i32 s22, s15, s4
	s_ashr_i32 s4, s29, 31
	v_cndmask_b32_e32 v1, 0, v0, vcc_lo
	s_add_i32 s19, s19, s1
	s_lshr_b32 s1, s4, 24
	s_mul_i32 s5, s15, s5
	s_add_i32 s1, s29, s1
	v_lshlrev_b32_e32 v7, 3, v1
	v_mov_b32_e32 v1, v2
	s_add_i32 s23, s23, s5
	s_and_b32 s4, s1, 0xffffff00
	s_mul_i32 s18, s15, s18
	s_mul_hi_i32 s21, s20, s14
	s_cmpk_lt_i32 s29, 0x100
	s_mul_i32 s20, s20, s14
	s_cbranch_scc1 .LBB141_13
; %bb.11:
	s_lshl_b64 s[24:25], s[20:21], 3
	s_lshl_b64 s[30:31], s[22:23], 3
	s_ashr_i32 s1, s0, 31
	s_add_u32 s5, s24, s30
	s_addc_u32 s15, s25, s31
	s_lshl_b64 s[24:25], s[10:11], 3
	v_mad_i64_i32 v[1:2], null, s0, v0, 0
	s_add_u32 s5, s5, s24
	s_addc_u32 s15, s15, s25
	s_add_u32 s5, s8, s5
	s_addc_u32 s15, s9, s15
	v_add_co_u32 v3, s5, s5, v7
	s_delay_alu instid0(VALU_DEP_1)
	v_add_co_ci_u32_e64 v4, null, s15, 0, s5
	s_lshl_b64 s[30:31], s[16:17], 3
	v_lshlrev_b64 v[1:2], 3, v[1:2]
	s_lshl_b64 s[24:25], s[18:19], 3
	s_add_u32 s5, s6, s30
	v_add_co_u32 v3, vcc_lo, v3, 4
	s_addc_u32 s15, s7, s31
	s_add_u32 s5, s5, s24
	v_add_co_ci_u32_e32 v4, vcc_lo, 0, v4, vcc_lo
	s_addc_u32 s15, s15, s25
	v_add_co_u32 v1, vcc_lo, s5, v1
	v_add_co_ci_u32_e32 v6, vcc_lo, s15, v2, vcc_lo
	v_mov_b32_e32 v2, 0
	s_delay_alu instid0(VALU_DEP_3) | instskip(NEXT) | instid1(VALU_DEP_3)
	v_add_co_u32 v5, vcc_lo, v1, 4
	v_add_co_ci_u32_e32 v6, vcc_lo, 0, v6, vcc_lo
	s_delay_alu instid0(VALU_DEP_3)
	v_mov_b32_e32 v1, v2
	s_lshl_b64 s[24:25], s[0:1], 11
	s_mov_b32 s1, 0
	.p2align	6
.LBB141_12:                             ; =>This Inner Loop Header: Depth=1
	global_load_b64 v[8:9], v[3:4], off offset:-4
	global_load_b64 v[10:11], v[5:6], off offset:-4
	v_add_co_u32 v3, vcc_lo, 0x800, v3
	v_add_co_ci_u32_e32 v4, vcc_lo, 0, v4, vcc_lo
	v_add_co_u32 v5, vcc_lo, v5, s24
	v_add_co_ci_u32_e32 v6, vcc_lo, s25, v6, vcc_lo
	s_addk_i32 s1, 0x100
	s_delay_alu instid0(SALU_CYCLE_1) | instskip(SKIP_3) | instid1(VALU_DEP_2)
	s_cmp_ge_i32 s1, s4
	s_waitcnt vmcnt(0)
	v_mul_f32_e32 v12, v9, v11
	v_mul_f32_e32 v9, v9, v10
	v_fmac_f32_e32 v12, v8, v10
	s_delay_alu instid0(VALU_DEP_2) | instskip(NEXT) | instid1(VALU_DEP_2)
	v_fma_f32 v8, v8, v11, -v9
	v_add_f32_e32 v1, v1, v12
	s_delay_alu instid0(VALU_DEP_2)
	v_add_f32_e32 v2, v2, v8
	s_cbranch_scc0 .LBB141_12
.LBB141_13:
	v_add_nc_u32_e32 v3, s4, v0
	s_mov_b32 s1, exec_lo
	s_delay_alu instid0(VALU_DEP_1)
	v_cmpx_gt_i32_e64 s29, v3
	s_cbranch_execz .LBB141_15
; %bb.14:
	v_mad_i64_i32 v[4:5], null, s0, v3, 0
	s_lshl_b64 s[22:23], s[22:23], 3
	s_delay_alu instid0(SALU_CYCLE_1) | instskip(SKIP_2) | instid1(SALU_CYCLE_1)
	s_add_u32 s5, s8, s22
	s_addc_u32 s15, s9, s23
	s_lshl_b64 s[8:9], s[10:11], 3
	s_add_u32 s22, s5, s8
	s_addc_u32 s15, s15, s9
	s_lshl_b64 s[8:9], s[18:19], 3
	s_lshl_b64 s[10:11], s[20:21], 3
	v_lshlrev_b64 v[3:4], 3, v[4:5]
	s_add_u32 s0, s6, s8
	s_addc_u32 s5, s7, s9
	s_lshl_b64 s[6:7], s[16:17], 3
	s_delay_alu instid0(SALU_CYCLE_1)
	s_add_u32 s0, s0, s6
	s_addc_u32 s6, s5, s7
	s_ashr_i32 s5, s4, 31
	v_add_co_u32 v3, vcc_lo, s0, v3
	s_lshl_b64 s[4:5], s[4:5], 3
	v_add_co_ci_u32_e32 v4, vcc_lo, s6, v4, vcc_lo
	s_add_u32 s0, s4, s10
	s_addc_u32 s5, s5, s11
	s_add_u32 s4, s0, s22
	s_addc_u32 s5, s5, s15
	global_load_b64 v[3:4], v[3:4], off
	global_load_b64 v[5:6], v7, s[4:5]
	s_waitcnt vmcnt(0)
	v_mul_f32_e32 v7, v6, v4
	v_mul_f32_e32 v6, v6, v3
	s_delay_alu instid0(VALU_DEP_2) | instskip(NEXT) | instid1(VALU_DEP_2)
	v_fmac_f32_e32 v7, v5, v3
	v_fma_f32 v3, v5, v4, -v6
	s_delay_alu instid0(VALU_DEP_2) | instskip(NEXT) | instid1(VALU_DEP_2)
	v_add_f32_e32 v1, v1, v7
	v_add_f32_e32 v2, v2, v3
.LBB141_15:
	s_or_b32 exec_lo, exec_lo, s1
	v_lshlrev_b32_e32 v3, 3, v0
	s_mov_b32 s0, exec_lo
	ds_store_b64 v3, v[1:2]
	s_waitcnt lgkmcnt(0)
	s_waitcnt_vscnt null, 0x0
	s_barrier
	buffer_gl0_inv
	v_cmpx_gt_u32_e32 0x80, v0
	s_cbranch_execz .LBB141_17
; %bb.16:
	ds_load_2addr_stride64_b64 v[4:7], v3 offset1:2
	s_waitcnt lgkmcnt(0)
	v_dual_add_f32 v1, v6, v4 :: v_dual_add_f32 v2, v7, v5
	ds_store_b64 v3, v[1:2]
.LBB141_17:
	s_or_b32 exec_lo, exec_lo, s0
	s_delay_alu instid0(SALU_CYCLE_1)
	s_mov_b32 s0, exec_lo
	s_waitcnt lgkmcnt(0)
	s_barrier
	buffer_gl0_inv
	v_cmpx_gt_u32_e32 64, v0
	s_cbranch_execz .LBB141_19
; %bb.18:
	ds_load_2addr_stride64_b64 v[4:7], v3 offset1:1
	s_waitcnt lgkmcnt(0)
	v_dual_add_f32 v1, v6, v4 :: v_dual_add_f32 v2, v7, v5
	ds_store_b64 v3, v[1:2]
.LBB141_19:
	s_or_b32 exec_lo, exec_lo, s0
	s_delay_alu instid0(SALU_CYCLE_1)
	s_mov_b32 s0, exec_lo
	s_waitcnt lgkmcnt(0)
	s_barrier
	buffer_gl0_inv
	v_cmpx_gt_u32_e32 32, v0
	s_cbranch_execz .LBB141_21
; %bb.20:
	ds_load_2addr_b64 v[4:7], v3 offset1:32
	s_waitcnt lgkmcnt(0)
	v_dual_add_f32 v1, v6, v4 :: v_dual_add_f32 v2, v7, v5
	ds_store_b64 v3, v[1:2]
.LBB141_21:
	s_or_b32 exec_lo, exec_lo, s0
	s_delay_alu instid0(SALU_CYCLE_1)
	s_mov_b32 s0, exec_lo
	s_waitcnt lgkmcnt(0)
	s_barrier
	buffer_gl0_inv
	v_cmpx_gt_u32_e32 16, v0
	s_cbranch_execz .LBB141_23
; %bb.22:
	ds_load_2addr_b64 v[4:7], v3 offset1:16
	s_waitcnt lgkmcnt(0)
	v_dual_add_f32 v1, v6, v4 :: v_dual_add_f32 v2, v7, v5
	ds_store_b64 v3, v[1:2]
.LBB141_23:
	;; [unrolled: 14-line block ×5, first 2 shown]
	s_or_b32 exec_lo, exec_lo, s0
	v_cmp_eq_u32_e32 vcc_lo, 0, v0
	s_waitcnt lgkmcnt(0)
	s_barrier
	buffer_gl0_inv
	s_and_saveexec_b32 s0, vcc_lo
	s_cbranch_execz .LBB141_31
; %bb.30:
	v_mov_b32_e32 v4, 0
	ds_load_b128 v[0:3], v4
	s_waitcnt lgkmcnt(0)
	v_dual_add_f32 v1, v3, v1 :: v_dual_add_f32 v0, v2, v0
	ds_store_b64 v4, v[0:1]
.LBB141_31:
	s_or_b32 exec_lo, exec_lo, s0
	s_waitcnt lgkmcnt(0)
	s_barrier
	buffer_gl0_inv
	s_and_saveexec_b32 s0, vcc_lo
	s_cbranch_execz .LBB141_35
; %bb.32:
	v_mov_b32_e32 v2, 0
	v_cmp_neq_f32_e64 s0, s2, 0
	v_cmp_neq_f32_e64 s1, s3, 0
	ds_load_b64 v[3:4], v2
	s_or_b32 s0, s0, s1
	s_mul_hi_i32 s1, s28, s14
	s_and_not1_b32 vcc_lo, exec_lo, s0
	s_mul_i32 s0, s28, s14
	s_waitcnt lgkmcnt(0)
	v_mul_f32_e32 v1, s12, v4
	s_delay_alu instid0(VALU_DEP_1) | instskip(NEXT) | instid1(VALU_DEP_1)
	v_dual_mul_f32 v0, s13, v4 :: v_dual_fmac_f32 v1, s13, v3
	v_fma_f32 v0, v3, s12, -v0
	s_cbranch_vccnz .LBB141_34
; %bb.33:
	s_lshl_b64 s[4:5], s[0:1], 3
	s_delay_alu instid0(SALU_CYCLE_1)
	s_add_u32 s4, s26, s4
	s_addc_u32 s5, s27, s5
	global_load_b64 v[3:4], v2, s[4:5]
	s_waitcnt vmcnt(0)
	v_mul_f32_e32 v5, s3, v4
	v_mul_f32_e32 v4, s2, v4
	s_delay_alu instid0(VALU_DEP_1) | instskip(NEXT) | instid1(VALU_DEP_3)
	v_fmac_f32_e32 v4, s3, v3
	v_fma_f32 v5, s2, v3, -v5
	s_delay_alu instid0(VALU_DEP_1)
	v_dual_add_f32 v1, v1, v4 :: v_dual_add_f32 v0, v0, v5
.LBB141_34:
	s_lshl_b64 s[0:1], s[0:1], 3
	s_delay_alu instid0(SALU_CYCLE_1)
	s_add_u32 s0, s26, s0
	s_addc_u32 s1, s27, s1
	global_store_b64 v2, v[0:1], s[0:1]
.LBB141_35:
	s_nop 0
	s_sendmsg sendmsg(MSG_DEALLOC_VGPRS)
	s_endpgm
	.section	.rodata,"a",@progbits
	.p2align	6, 0x0
	.amdhsa_kernel _ZL20rocblas_gemvt_kernelILb1ELi256E19rocblas_complex_numIfES1_S1_EviiT2_lPKT1_lilS5_lilS2_lPT3_lili
		.amdhsa_group_segment_fixed_size 2048
		.amdhsa_private_segment_fixed_size 0
		.amdhsa_kernarg_size 140
		.amdhsa_user_sgpr_count 14
		.amdhsa_user_sgpr_dispatch_ptr 0
		.amdhsa_user_sgpr_queue_ptr 0
		.amdhsa_user_sgpr_kernarg_segment_ptr 1
		.amdhsa_user_sgpr_dispatch_id 0
		.amdhsa_user_sgpr_private_segment_size 0
		.amdhsa_wavefront_size32 1
		.amdhsa_uses_dynamic_stack 0
		.amdhsa_enable_private_segment 0
		.amdhsa_system_sgpr_workgroup_id_x 1
		.amdhsa_system_sgpr_workgroup_id_y 0
		.amdhsa_system_sgpr_workgroup_id_z 1
		.amdhsa_system_sgpr_workgroup_info 0
		.amdhsa_system_vgpr_workitem_id 0
		.amdhsa_next_free_vgpr 13
		.amdhsa_next_free_sgpr 32
		.amdhsa_reserve_vcc 1
		.amdhsa_float_round_mode_32 0
		.amdhsa_float_round_mode_16_64 0
		.amdhsa_float_denorm_mode_32 3
		.amdhsa_float_denorm_mode_16_64 3
		.amdhsa_dx10_clamp 1
		.amdhsa_ieee_mode 1
		.amdhsa_fp16_overflow 0
		.amdhsa_workgroup_processor_mode 1
		.amdhsa_memory_ordered 1
		.amdhsa_forward_progress 0
		.amdhsa_shared_vgpr_count 0
		.amdhsa_exception_fp_ieee_invalid_op 0
		.amdhsa_exception_fp_denorm_src 0
		.amdhsa_exception_fp_ieee_div_zero 0
		.amdhsa_exception_fp_ieee_overflow 0
		.amdhsa_exception_fp_ieee_underflow 0
		.amdhsa_exception_fp_ieee_inexact 0
		.amdhsa_exception_int_div_zero 0
	.end_amdhsa_kernel
	.section	.text._ZL20rocblas_gemvt_kernelILb1ELi256E19rocblas_complex_numIfES1_S1_EviiT2_lPKT1_lilS5_lilS2_lPT3_lili,"axG",@progbits,_ZL20rocblas_gemvt_kernelILb1ELi256E19rocblas_complex_numIfES1_S1_EviiT2_lPKT1_lilS5_lilS2_lPT3_lili,comdat
.Lfunc_end141:
	.size	_ZL20rocblas_gemvt_kernelILb1ELi256E19rocblas_complex_numIfES1_S1_EviiT2_lPKT1_lilS5_lilS2_lPT3_lili, .Lfunc_end141-_ZL20rocblas_gemvt_kernelILb1ELi256E19rocblas_complex_numIfES1_S1_EviiT2_lPKT1_lilS5_lilS2_lPT3_lili
                                        ; -- End function
	.section	.AMDGPU.csdata,"",@progbits
; Kernel info:
; codeLenInByte = 1708
; NumSgprs: 34
; NumVgprs: 13
; ScratchSize: 0
; MemoryBound: 0
; FloatMode: 240
; IeeeMode: 1
; LDSByteSize: 2048 bytes/workgroup (compile time only)
; SGPRBlocks: 4
; VGPRBlocks: 1
; NumSGPRsForWavesPerEU: 34
; NumVGPRsForWavesPerEU: 13
; Occupancy: 16
; WaveLimiterHint : 1
; COMPUTE_PGM_RSRC2:SCRATCH_EN: 0
; COMPUTE_PGM_RSRC2:USER_SGPR: 14
; COMPUTE_PGM_RSRC2:TRAP_HANDLER: 0
; COMPUTE_PGM_RSRC2:TGID_X_EN: 1
; COMPUTE_PGM_RSRC2:TGID_Y_EN: 0
; COMPUTE_PGM_RSRC2:TGID_Z_EN: 1
; COMPUTE_PGM_RSRC2:TIDIG_COMP_CNT: 0
	.section	.text._ZL32rocblas_gemvt_warp_reduce_kernelILb1ELi1024Ei19rocblas_complex_numIfEPKS1_S1_EviiT3_lPKT2_lT1_lS7_lS8_lS4_lPT4_lS8_li,"axG",@progbits,_ZL32rocblas_gemvt_warp_reduce_kernelILb1ELi1024Ei19rocblas_complex_numIfEPKS1_S1_EviiT3_lPKT2_lT1_lS7_lS8_lS4_lPT4_lS8_li,comdat
	.globl	_ZL32rocblas_gemvt_warp_reduce_kernelILb1ELi1024Ei19rocblas_complex_numIfEPKS1_S1_EviiT3_lPKT2_lT1_lS7_lS8_lS4_lPT4_lS8_li ; -- Begin function _ZL32rocblas_gemvt_warp_reduce_kernelILb1ELi1024Ei19rocblas_complex_numIfEPKS1_S1_EviiT3_lPKT2_lT1_lS7_lS8_lS4_lPT4_lS8_li
	.p2align	8
	.type	_ZL32rocblas_gemvt_warp_reduce_kernelILb1ELi1024Ei19rocblas_complex_numIfEPKS1_S1_EviiT3_lPKT2_lT1_lS7_lS8_lS4_lPT4_lS8_li,@function
_ZL32rocblas_gemvt_warp_reduce_kernelILb1ELi1024Ei19rocblas_complex_numIfEPKS1_S1_EviiT3_lPKT2_lT1_lS7_lS8_lS4_lPT4_lS8_li: ; @_ZL32rocblas_gemvt_warp_reduce_kernelILb1ELi1024Ei19rocblas_complex_numIfEPKS1_S1_EviiT3_lPKT2_lT1_lS7_lS8_lS4_lPT4_lS8_li
; %bb.0:
	s_clause 0x1
	s_load_b256 s[4:11], s[0:1], 0x8
	s_load_b256 s[16:23], s[0:1], 0x50
	s_waitcnt lgkmcnt(0)
	s_mul_i32 s3, s15, s7
	s_mul_hi_u32 s7, s15, s6
	s_mul_i32 s2, s15, s6
	s_add_i32 s3, s7, s3
	s_delay_alu instid0(SALU_CYCLE_1) | instskip(NEXT) | instid1(SALU_CYCLE_1)
	s_lshl_b64 s[2:3], s[2:3], 3
	s_add_u32 s2, s4, s2
	s_addc_u32 s3, s5, s3
	s_mul_hi_u32 s4, s15, s20
	s_load_b64 s[12:13], s[2:3], 0x0
	s_mul_i32 s3, s15, s21
	s_mul_i32 s2, s15, s20
	s_add_i32 s3, s4, s3
	s_delay_alu instid0(SALU_CYCLE_1) | instskip(NEXT) | instid1(SALU_CYCLE_1)
	s_lshl_b64 s[2:3], s[2:3], 3
	s_add_u32 s2, s18, s2
	s_addc_u32 s3, s19, s3
	s_load_b64 s[2:3], s[2:3], 0x0
	s_waitcnt lgkmcnt(0)
	v_cmp_neq_f32_e64 s4, s12, 0
	v_cmp_neq_f32_e64 s5, s13, 0
	s_delay_alu instid0(VALU_DEP_1) | instskip(NEXT) | instid1(SALU_CYCLE_1)
	s_or_b32 s4, s4, s5
	s_and_b32 vcc_lo, exec_lo, s4
	s_mov_b32 s4, -1
	s_cbranch_vccnz .LBB142_2
; %bb.1:
	v_cmp_neq_f32_e64 s4, s2, 1.0
	v_cmp_neq_f32_e64 s5, s3, 0
	s_delay_alu instid0(VALU_DEP_1)
	s_or_b32 s4, s4, s5
.LBB142_2:
	s_delay_alu instid0(SALU_CYCLE_1)
	s_and_not1_b32 vcc_lo, exec_lo, s4
	s_cbranch_vccnz .LBB142_28
; %bb.3:
	s_clause 0x2
	s_load_b64 s[4:5], s[0:1], 0x80
	s_load_b64 s[6:7], s[0:1], 0x70
	s_load_b32 s20, s[0:1], 0x78
	v_cmp_eq_u32_e32 vcc_lo, 0, v0
	s_waitcnt lgkmcnt(0)
	s_mul_i32 s5, s15, s5
	s_mul_hi_u32 s18, s15, s4
	s_mul_i32 s4, s15, s4
	s_add_i32 s5, s18, s5
	s_delay_alu instid0(SALU_CYCLE_1) | instskip(NEXT) | instid1(SALU_CYCLE_1)
	s_lshl_b64 s[4:5], s[4:5], 3
	s_add_u32 s18, s22, s4
	s_addc_u32 s19, s23, s5
	s_lshl_b64 s[4:5], s[6:7], 3
	s_delay_alu instid0(SALU_CYCLE_1) | instskip(SKIP_2) | instid1(SALU_CYCLE_1)
	s_add_u32 s18, s18, s4
	s_addc_u32 s19, s19, s5
	s_or_b32 s4, s12, s13
	s_bitset0_b32 s4, 31
	s_delay_alu instid0(SALU_CYCLE_1)
	s_cmp_lg_u32 s4, 0
	s_mov_b32 s4, -1
	s_cbranch_scc1 .LBB142_9
; %bb.4:
	s_and_saveexec_b32 s6, vcc_lo
	s_cbranch_execz .LBB142_8
; %bb.5:
	v_cmp_neq_f32_e64 s4, s2, 0
	v_cmp_neq_f32_e64 s5, s3, 0
	v_dual_mov_b32 v3, 0 :: v_dual_mov_b32 v2, 0
	v_mov_b32_e32 v1, 0
	s_delay_alu instid0(VALU_DEP_3)
	s_or_b32 s5, s4, s5
	s_mul_i32 s4, s14, s20
	s_and_not1_b32 vcc_lo, exec_lo, s5
	s_ashr_i32 s5, s4, 31
	s_cbranch_vccnz .LBB142_7
; %bb.6:
	s_lshl_b64 s[22:23], s[4:5], 3
	s_delay_alu instid0(SALU_CYCLE_1)
	s_add_u32 s22, s18, s22
	s_addc_u32 s23, s19, s23
	s_load_b64 s[22:23], s[22:23], 0x0
	s_waitcnt lgkmcnt(0)
	v_mul_f32_e64 v1, s3, s23
	v_mul_f32_e64 v2, s2, s23
	s_delay_alu instid0(VALU_DEP_2) | instskip(NEXT) | instid1(VALU_DEP_2)
	v_fma_f32 v1, s2, s22, -v1
	v_fmac_f32_e64 v2, s3, s22
.LBB142_7:
	s_lshl_b64 s[4:5], s[4:5], 3
	s_delay_alu instid0(SALU_CYCLE_1)
	s_add_u32 s4, s18, s4
	s_addc_u32 s5, s19, s5
	global_store_b64 v3, v[1:2], s[4:5]
.LBB142_8:
	s_or_b32 exec_lo, exec_lo, s6
	s_mov_b32 s4, 0
.LBB142_9:
	s_delay_alu instid0(SALU_CYCLE_1)
	s_and_not1_b32 vcc_lo, exec_lo, s4
	s_cbranch_vccnz .LBB142_28
; %bb.10:
	s_clause 0x4
	s_load_b128 s[4:7], s[0:1], 0x30
	s_load_b64 s[22:23], s[0:1], 0x40
	s_load_b32 s21, s[0:1], 0x0
	s_load_b32 s24, s[0:1], 0x28
	;; [unrolled: 1-line block ×3, first 2 shown]
	s_mul_i32 s17, s15, s17
	s_mul_hi_u32 s25, s15, s16
	s_mul_i32 s16, s15, s16
	s_add_i32 s17, s25, s17
	v_dual_mov_b32 v5, 0 :: v_dual_mov_b32 v6, 0
	s_lshl_b64 s[16:17], s[16:17], 3
	s_waitcnt lgkmcnt(0)
	s_add_u32 s0, s6, s16
	s_addc_u32 s17, s7, s17
	v_cmp_gt_i32_e32 vcc_lo, s21, v0
	s_lshl_b64 s[6:7], s[22:23], 3
	s_mul_i32 s5, s15, s5
	s_add_u32 s16, s0, s6
	s_addc_u32 s17, s17, s7
	v_cndmask_b32_e32 v1, 0, v0, vcc_lo
	s_ashr_i32 s0, s21, 31
	s_mul_hi_u32 s6, s15, s4
	s_lshr_b32 s0, s0, 22
	s_add_i32 s5, s6, s5
	v_lshlrev_b32_e32 v7, 3, v1
	s_add_i32 s0, s21, s0
	s_mul_i32 s6, s14, s24
	s_and_b32 s0, s0, 0xfffffc00
	s_mul_i32 s4, s15, s4
	s_ashr_i32 s7, s6, 31
	s_mov_b32 s15, exec_lo
	v_cmpx_gt_i32_e64 s0, v0
	s_cbranch_execz .LBB142_14
; %bb.11:
	s_lshl_b64 s[24:25], s[4:5], 3
	s_lshl_b64 s[26:27], s[10:11], 3
	s_lshl_b32 s22, s1, 10
	s_add_u32 s23, s24, s26
	s_addc_u32 s26, s25, s27
	s_lshl_b64 s[24:25], s[6:7], 3
	v_mul_lo_u32 v1, v0, s1
	s_add_u32 s23, s23, s24
	s_addc_u32 s24, s26, s25
	s_add_u32 s23, s8, s23
	s_addc_u32 s24, s9, s24
	v_add_co_u32 v2, s23, s23, v7
	s_delay_alu instid0(VALU_DEP_1) | instskip(SKIP_1) | instid1(VALU_DEP_3)
	v_add_co_ci_u32_e64 v4, null, s24, 0, s23
	v_dual_mov_b32 v5, 0 :: v_dual_mov_b32 v8, v0
	v_add_co_u32 v3, vcc_lo, v2, 4
	s_delay_alu instid0(VALU_DEP_3)
	v_add_co_ci_u32_e32 v4, vcc_lo, 0, v4, vcc_lo
	v_mov_b32_e32 v6, 0
	s_mov_b32 s23, 0
	.p2align	6
.LBB142_12:                             ; =>This Inner Loop Header: Depth=1
	v_ashrrev_i32_e32 v2, 31, v1
	s_delay_alu instid0(VALU_DEP_1) | instskip(SKIP_1) | instid1(VALU_DEP_2)
	v_lshlrev_b64 v[9:10], 3, v[1:2]
	v_add_nc_u32_e32 v1, s22, v1
	v_add_co_u32 v9, vcc_lo, s16, v9
	s_delay_alu instid0(VALU_DEP_3)
	v_add_co_ci_u32_e32 v10, vcc_lo, s17, v10, vcc_lo
	global_load_b64 v[11:12], v[3:4], off offset:-4
	global_load_b64 v[9:10], v[9:10], off
	v_add_co_u32 v3, vcc_lo, 0x2000, v3
	v_add_co_ci_u32_e32 v4, vcc_lo, 0, v4, vcc_lo
	s_waitcnt vmcnt(0)
	v_mul_f32_e32 v2, v12, v10
	v_mul_f32_e32 v12, v12, v9
	s_delay_alu instid0(VALU_DEP_2) | instskip(NEXT) | instid1(VALU_DEP_2)
	v_fmac_f32_e32 v2, v11, v9
	v_fma_f32 v9, v11, v10, -v12
	v_add_nc_u32_e32 v8, 0x400, v8
	s_delay_alu instid0(VALU_DEP_2) | instskip(NEXT) | instid1(VALU_DEP_2)
	v_dual_add_f32 v6, v6, v2 :: v_dual_add_f32 v5, v5, v9
	v_cmp_le_i32_e32 vcc_lo, s0, v8
	s_or_b32 s23, vcc_lo, s23
	s_delay_alu instid0(SALU_CYCLE_1)
	s_and_not1_b32 exec_lo, exec_lo, s23
	s_cbranch_execnz .LBB142_12
; %bb.13:
	s_or_b32 exec_lo, exec_lo, s23
.LBB142_14:
	s_delay_alu instid0(SALU_CYCLE_1) | instskip(SKIP_2) | instid1(VALU_DEP_1)
	s_or_b32 exec_lo, exec_lo, s15
	v_or_b32_e32 v1, s0, v0
	s_mov_b32 s15, exec_lo
	v_cmpx_gt_i32_e64 s21, v1
	s_cbranch_execz .LBB142_16
; %bb.15:
	v_mul_lo_u32 v1, v1, s1
	s_lshl_b64 s[4:5], s[4:5], 3
	s_delay_alu instid0(SALU_CYCLE_1) | instskip(SKIP_2) | instid1(SALU_CYCLE_1)
	s_add_u32 s1, s8, s4
	s_addc_u32 s8, s9, s5
	s_lshl_b64 s[4:5], s[10:11], 3
	s_add_u32 s9, s1, s4
	s_delay_alu instid0(VALU_DEP_1)
	v_ashrrev_i32_e32 v2, 31, v1
	s_addc_u32 s8, s8, s5
	s_ashr_i32 s1, s0, 31
	s_lshl_b64 s[4:5], s[6:7], 3
	s_lshl_b64 s[0:1], s[0:1], 3
	v_lshlrev_b64 v[1:2], 3, v[1:2]
	s_add_u32 s0, s0, s4
	s_addc_u32 s1, s1, s5
	s_add_u32 s0, s0, s9
	s_addc_u32 s1, s1, s8
	s_delay_alu instid0(VALU_DEP_1)
	v_add_co_u32 v1, vcc_lo, s16, v1
	v_add_co_ci_u32_e32 v2, vcc_lo, s17, v2, vcc_lo
	global_load_b64 v[3:4], v7, s[0:1]
	global_load_b64 v[1:2], v[1:2], off
	s_waitcnt vmcnt(0)
	v_mul_f32_e32 v7, v4, v2
	v_mul_f32_e32 v4, v4, v1
	s_delay_alu instid0(VALU_DEP_2) | instskip(NEXT) | instid1(VALU_DEP_2)
	v_fmac_f32_e32 v7, v3, v1
	v_fma_f32 v1, v3, v2, -v4
	s_delay_alu instid0(VALU_DEP_1)
	v_dual_add_f32 v6, v6, v7 :: v_dual_add_f32 v5, v5, v1
.LBB142_16:
	s_or_b32 exec_lo, exec_lo, s15
	v_and_b32_e32 v1, 31, v0
	v_cmp_gt_u32_e32 vcc_lo, 32, v0
	s_delay_alu instid0(VALU_DEP_2)
	v_lshlrev_b32_e32 v3, 3, v1
	s_and_saveexec_b32 s0, vcc_lo
	s_cbranch_execz .LBB142_18
; %bb.17:
	v_mov_b32_e32 v7, 0
	s_delay_alu instid0(VALU_DEP_1)
	v_mov_b32_e32 v8, v7
	ds_store_b64 v3, v[7:8]
.LBB142_18:
	s_or_b32 exec_lo, exec_lo, s0
	v_mbcnt_lo_u32_b32 v2, -1, 0
	s_mov_b32 s1, exec_lo
	s_waitcnt lgkmcnt(0)
	s_waitcnt_vscnt null, 0x0
	s_barrier
	buffer_gl0_inv
	v_cmp_gt_u32_e64 s0, 16, v2
	s_delay_alu instid0(VALU_DEP_1) | instskip(SKIP_1) | instid1(VALU_DEP_2)
	v_cndmask_b32_e64 v4, 0, 1, s0
	v_cmp_gt_u32_e64 s0, 24, v2
	v_lshlrev_b32_e32 v4, 4, v4
	s_delay_alu instid0(VALU_DEP_2) | instskip(SKIP_1) | instid1(VALU_DEP_3)
	v_cndmask_b32_e64 v7, 0, 1, s0
	v_cmp_gt_u32_e64 s0, 28, v2
	v_add_lshl_u32 v4, v4, v2, 2
	ds_bpermute_b32 v8, v4, v6
	ds_bpermute_b32 v9, v4, v5
	s_waitcnt lgkmcnt(1)
	v_dual_add_f32 v6, v6, v8 :: v_dual_lshlrev_b32 v7, 3, v7
	s_delay_alu instid0(VALU_DEP_1)
	v_add_lshl_u32 v7, v7, v2, 2
	s_waitcnt lgkmcnt(0)
	v_add_f32_e32 v8, v5, v9
	v_cndmask_b32_e64 v5, 0, 1, s0
	v_cmp_gt_u32_e64 s0, 30, v2
	ds_bpermute_b32 v9, v7, v6
	ds_bpermute_b32 v10, v7, v8
	v_lshlrev_b32_e32 v5, 2, v5
	s_waitcnt lgkmcnt(0)
	v_dual_add_f32 v9, v6, v9 :: v_dual_add_f32 v8, v8, v10
	s_delay_alu instid0(VALU_DEP_2)
	v_add_lshl_u32 v5, v5, v2, 2
	v_cndmask_b32_e64 v6, 0, 1, s0
	v_cmp_ne_u32_e64 s0, 31, v2
	ds_bpermute_b32 v10, v5, v9
	ds_bpermute_b32 v11, v5, v8
	v_lshlrev_b32_e32 v6, 1, v6
	s_delay_alu instid0(VALU_DEP_1) | instskip(SKIP_3) | instid1(VALU_DEP_2)
	v_add_lshl_u32 v6, v6, v2, 2
	v_add_co_ci_u32_e64 v2, s0, 0, v2, s0
	s_waitcnt lgkmcnt(0)
	v_dual_add_f32 v9, v9, v10 :: v_dual_add_f32 v10, v8, v11
	v_lshlrev_b32_e32 v8, 2, v2
	ds_bpermute_b32 v11, v6, v9
	ds_bpermute_b32 v12, v6, v10
	s_waitcnt lgkmcnt(1)
	v_add_f32_e32 v2, v9, v11
	s_waitcnt lgkmcnt(0)
	v_add_f32_e32 v10, v10, v12
	ds_bpermute_b32 v9, v8, v2
	ds_bpermute_b32 v11, v8, v10
	v_cmpx_eq_u32_e32 0, v1
	s_cbranch_execz .LBB142_20
; %bb.19:
	v_lshrrev_b32_e32 v1, 2, v0
	s_waitcnt lgkmcnt(0)
	v_add_f32_e32 v10, v10, v11
	v_add_f32_e32 v9, v2, v9
	s_delay_alu instid0(VALU_DEP_3)
	v_and_b32_e32 v1, 0xf8, v1
	ds_store_b64 v1, v[9:10]
.LBB142_20:
	s_or_b32 exec_lo, exec_lo, s1
	v_dual_mov_b32 v2, 0 :: v_dual_mov_b32 v1, 0
	s_waitcnt lgkmcnt(0)
	s_barrier
	buffer_gl0_inv
	s_and_saveexec_b32 s0, vcc_lo
	s_cbranch_execz .LBB142_22
; %bb.21:
	ds_load_b64 v[1:2], v3
.LBB142_22:
	s_or_b32 exec_lo, exec_lo, s0
	s_and_saveexec_b32 s0, vcc_lo
	s_cbranch_execz .LBB142_24
; %bb.23:
	s_waitcnt lgkmcnt(0)
	ds_bpermute_b32 v3, v4, v1
	ds_bpermute_b32 v4, v4, v2
	s_waitcnt lgkmcnt(0)
	v_dual_add_f32 v1, v1, v3 :: v_dual_add_f32 v2, v2, v4
	ds_bpermute_b32 v3, v7, v1
	ds_bpermute_b32 v4, v7, v2
	s_waitcnt lgkmcnt(0)
	v_dual_add_f32 v1, v1, v3 :: v_dual_add_f32 v2, v2, v4
	;; [unrolled: 4-line block ×5, first 2 shown]
.LBB142_24:
	s_or_b32 exec_lo, exec_lo, s0
	s_delay_alu instid0(SALU_CYCLE_1)
	s_mov_b32 s0, exec_lo
	v_cmpx_eq_u32_e32 0, v0
	s_cbranch_execz .LBB142_28
; %bb.25:
	s_waitcnt lgkmcnt(0)
	v_mul_f32_e32 v3, s12, v2
	v_mul_f32_e32 v0, s13, v2
	v_cmp_neq_f32_e64 s0, s2, 0
	v_cmp_neq_f32_e64 s1, s3, 0
	s_delay_alu instid0(VALU_DEP_4) | instskip(NEXT) | instid1(VALU_DEP_4)
	v_fmac_f32_e32 v3, s13, v1
	v_fma_f32 v2, v1, s12, -v0
	s_delay_alu instid0(VALU_DEP_3)
	s_or_b32 s1, s0, s1
	s_mul_i32 s0, s14, s20
	s_and_not1_b32 vcc_lo, exec_lo, s1
	s_ashr_i32 s1, s0, 31
	s_cbranch_vccnz .LBB142_27
; %bb.26:
	s_lshl_b64 s[4:5], s[0:1], 3
	v_mov_b32_e32 v0, 0
	s_add_u32 s4, s18, s4
	s_addc_u32 s5, s19, s5
	global_load_b64 v[0:1], v0, s[4:5]
	s_waitcnt vmcnt(0)
	v_mul_f32_e32 v4, s3, v1
	v_mul_f32_e32 v1, s2, v1
	s_delay_alu instid0(VALU_DEP_1) | instskip(NEXT) | instid1(VALU_DEP_3)
	v_fmac_f32_e32 v1, s3, v0
	v_fma_f32 v4, s2, v0, -v4
	s_delay_alu instid0(VALU_DEP_1)
	v_dual_add_f32 v3, v3, v1 :: v_dual_add_f32 v2, v2, v4
.LBB142_27:
	s_lshl_b64 s[0:1], s[0:1], 3
	v_mov_b32_e32 v0, 0
	s_add_u32 s0, s18, s0
	s_addc_u32 s1, s19, s1
	global_store_b64 v0, v[2:3], s[0:1]
.LBB142_28:
	s_nop 0
	s_sendmsg sendmsg(MSG_DEALLOC_VGPRS)
	s_endpgm
	.section	.rodata,"a",@progbits
	.p2align	6, 0x0
	.amdhsa_kernel _ZL32rocblas_gemvt_warp_reduce_kernelILb1ELi1024Ei19rocblas_complex_numIfEPKS1_S1_EviiT3_lPKT2_lT1_lS7_lS8_lS4_lPT4_lS8_li
		.amdhsa_group_segment_fixed_size 256
		.amdhsa_private_segment_fixed_size 0
		.amdhsa_kernarg_size 140
		.amdhsa_user_sgpr_count 14
		.amdhsa_user_sgpr_dispatch_ptr 0
		.amdhsa_user_sgpr_queue_ptr 0
		.amdhsa_user_sgpr_kernarg_segment_ptr 1
		.amdhsa_user_sgpr_dispatch_id 0
		.amdhsa_user_sgpr_private_segment_size 0
		.amdhsa_wavefront_size32 1
		.amdhsa_uses_dynamic_stack 0
		.amdhsa_enable_private_segment 0
		.amdhsa_system_sgpr_workgroup_id_x 1
		.amdhsa_system_sgpr_workgroup_id_y 0
		.amdhsa_system_sgpr_workgroup_id_z 1
		.amdhsa_system_sgpr_workgroup_info 0
		.amdhsa_system_vgpr_workitem_id 0
		.amdhsa_next_free_vgpr 13
		.amdhsa_next_free_sgpr 28
		.amdhsa_reserve_vcc 1
		.amdhsa_float_round_mode_32 0
		.amdhsa_float_round_mode_16_64 0
		.amdhsa_float_denorm_mode_32 3
		.amdhsa_float_denorm_mode_16_64 3
		.amdhsa_dx10_clamp 1
		.amdhsa_ieee_mode 1
		.amdhsa_fp16_overflow 0
		.amdhsa_workgroup_processor_mode 1
		.amdhsa_memory_ordered 1
		.amdhsa_forward_progress 0
		.amdhsa_shared_vgpr_count 0
		.amdhsa_exception_fp_ieee_invalid_op 0
		.amdhsa_exception_fp_denorm_src 0
		.amdhsa_exception_fp_ieee_div_zero 0
		.amdhsa_exception_fp_ieee_overflow 0
		.amdhsa_exception_fp_ieee_underflow 0
		.amdhsa_exception_fp_ieee_inexact 0
		.amdhsa_exception_int_div_zero 0
	.end_amdhsa_kernel
	.section	.text._ZL32rocblas_gemvt_warp_reduce_kernelILb1ELi1024Ei19rocblas_complex_numIfEPKS1_S1_EviiT3_lPKT2_lT1_lS7_lS8_lS4_lPT4_lS8_li,"axG",@progbits,_ZL32rocblas_gemvt_warp_reduce_kernelILb1ELi1024Ei19rocblas_complex_numIfEPKS1_S1_EviiT3_lPKT2_lT1_lS7_lS8_lS4_lPT4_lS8_li,comdat
.Lfunc_end142:
	.size	_ZL32rocblas_gemvt_warp_reduce_kernelILb1ELi1024Ei19rocblas_complex_numIfEPKS1_S1_EviiT3_lPKT2_lT1_lS7_lS8_lS4_lPT4_lS8_li, .Lfunc_end142-_ZL32rocblas_gemvt_warp_reduce_kernelILb1ELi1024Ei19rocblas_complex_numIfEPKS1_S1_EviiT3_lPKT2_lT1_lS7_lS8_lS4_lPT4_lS8_li
                                        ; -- End function
	.section	.AMDGPU.csdata,"",@progbits
; Kernel info:
; codeLenInByte = 1848
; NumSgprs: 30
; NumVgprs: 13
; ScratchSize: 0
; MemoryBound: 0
; FloatMode: 240
; IeeeMode: 1
; LDSByteSize: 256 bytes/workgroup (compile time only)
; SGPRBlocks: 3
; VGPRBlocks: 1
; NumSGPRsForWavesPerEU: 30
; NumVGPRsForWavesPerEU: 13
; Occupancy: 16
; WaveLimiterHint : 1
; COMPUTE_PGM_RSRC2:SCRATCH_EN: 0
; COMPUTE_PGM_RSRC2:USER_SGPR: 14
; COMPUTE_PGM_RSRC2:TRAP_HANDLER: 0
; COMPUTE_PGM_RSRC2:TGID_X_EN: 1
; COMPUTE_PGM_RSRC2:TGID_Y_EN: 0
; COMPUTE_PGM_RSRC2:TGID_Z_EN: 1
; COMPUTE_PGM_RSRC2:TIDIG_COMP_CNT: 0
	.section	.text._ZL32rocblas_gemvt_warp_reduce_kernelILb1ELi1024El19rocblas_complex_numIfEPKS1_S1_EviiT3_lPKT2_lT1_lS7_lS8_lS4_lPT4_lS8_li,"axG",@progbits,_ZL32rocblas_gemvt_warp_reduce_kernelILb1ELi1024El19rocblas_complex_numIfEPKS1_S1_EviiT3_lPKT2_lT1_lS7_lS8_lS4_lPT4_lS8_li,comdat
	.globl	_ZL32rocblas_gemvt_warp_reduce_kernelILb1ELi1024El19rocblas_complex_numIfEPKS1_S1_EviiT3_lPKT2_lT1_lS7_lS8_lS4_lPT4_lS8_li ; -- Begin function _ZL32rocblas_gemvt_warp_reduce_kernelILb1ELi1024El19rocblas_complex_numIfEPKS1_S1_EviiT3_lPKT2_lT1_lS7_lS8_lS4_lPT4_lS8_li
	.p2align	8
	.type	_ZL32rocblas_gemvt_warp_reduce_kernelILb1ELi1024El19rocblas_complex_numIfEPKS1_S1_EviiT3_lPKT2_lT1_lS7_lS8_lS4_lPT4_lS8_li,@function
_ZL32rocblas_gemvt_warp_reduce_kernelILb1ELi1024El19rocblas_complex_numIfEPKS1_S1_EviiT3_lPKT2_lT1_lS7_lS8_lS4_lPT4_lS8_li: ; @_ZL32rocblas_gemvt_warp_reduce_kernelILb1ELi1024El19rocblas_complex_numIfEPKS1_S1_EviiT3_lPKT2_lT1_lS7_lS8_lS4_lPT4_lS8_li
; %bb.0:
	s_clause 0x1
	s_load_b512 s[36:51], s[0:1], 0x8
	s_load_b512 s[16:31], s[0:1], 0x48
	s_waitcnt lgkmcnt(0)
	s_mul_i32 s3, s15, s39
	s_mul_hi_u32 s4, s15, s38
	s_mul_i32 s2, s15, s38
	s_add_i32 s3, s4, s3
	s_mul_hi_u32 s6, s15, s22
	s_lshl_b64 s[2:3], s[2:3], 3
	s_delay_alu instid0(SALU_CYCLE_1)
	s_add_u32 s2, s36, s2
	s_addc_u32 s3, s37, s3
	s_load_b64 s[4:5], s[2:3], 0x0
	s_mul_i32 s3, s15, s23
	s_mul_i32 s2, s15, s22
	s_add_i32 s3, s6, s3
	s_delay_alu instid0(SALU_CYCLE_1) | instskip(NEXT) | instid1(SALU_CYCLE_1)
	s_lshl_b64 s[2:3], s[2:3], 3
	s_add_u32 s2, s20, s2
	s_addc_u32 s3, s21, s3
	s_load_b64 s[2:3], s[2:3], 0x0
	s_waitcnt lgkmcnt(0)
	v_cmp_neq_f32_e64 s6, s4, 0
	v_cmp_neq_f32_e64 s7, s5, 0
	s_delay_alu instid0(VALU_DEP_1) | instskip(NEXT) | instid1(SALU_CYCLE_1)
	s_or_b32 s6, s6, s7
	s_and_b32 vcc_lo, exec_lo, s6
	s_mov_b32 s6, -1
	s_cbranch_vccnz .LBB143_2
; %bb.1:
	v_cmp_neq_f32_e64 s6, s2, 1.0
	v_cmp_neq_f32_e64 s7, s3, 0
	s_delay_alu instid0(VALU_DEP_1)
	s_or_b32 s6, s6, s7
.LBB143_2:
	s_delay_alu instid0(SALU_CYCLE_1)
	s_and_not1_b32 vcc_lo, exec_lo, s6
	s_cbranch_vccnz .LBB143_28
; %bb.3:
	s_mul_i32 s7, s15, s31
	s_mul_hi_u32 s8, s15, s30
	s_mul_i32 s6, s15, s30
	s_add_i32 s7, s8, s7
	v_cmp_eq_u32_e32 vcc_lo, 0, v0
	s_lshl_b64 s[6:7], s[6:7], 3
	s_delay_alu instid0(SALU_CYCLE_1) | instskip(SKIP_2) | instid1(SALU_CYCLE_1)
	s_add_u32 s8, s24, s6
	s_addc_u32 s9, s25, s7
	s_lshl_b64 s[6:7], s[26:27], 3
	s_add_u32 s20, s8, s6
	s_addc_u32 s21, s9, s7
	s_or_b32 s6, s4, s5
	s_delay_alu instid0(SALU_CYCLE_1) | instskip(NEXT) | instid1(SALU_CYCLE_1)
	s_bitset0_b32 s6, 31
	s_cmp_lg_u32 s6, 0
	s_mov_b32 s6, -1
	s_cbranch_scc1 .LBB143_9
; %bb.4:
	s_and_saveexec_b32 s8, vcc_lo
	s_cbranch_execz .LBB143_8
; %bb.5:
	v_cmp_neq_f32_e64 s6, s2, 0
	v_cmp_neq_f32_e64 s7, s3, 0
	s_mul_i32 s9, s14, s29
	s_ashr_i32 s10, s14, 31
	v_dual_mov_b32 v3, 0 :: v_dual_mov_b32 v2, 0
	s_delay_alu instid0(VALU_DEP_2)
	s_or_b32 s6, s6, s7
	s_mul_hi_u32 s7, s14, s28
	v_mov_b32_e32 v1, 0
	s_add_i32 s7, s7, s9
	s_mul_i32 s10, s10, s28
	s_and_not1_b32 vcc_lo, exec_lo, s6
	s_add_i32 s7, s7, s10
	s_mul_i32 s6, s14, s28
	s_cbranch_vccnz .LBB143_7
; %bb.6:
	s_lshl_b64 s[10:11], s[6:7], 3
	s_delay_alu instid0(SALU_CYCLE_1)
	s_add_u32 s10, s20, s10
	s_addc_u32 s11, s21, s11
	s_load_b64 s[10:11], s[10:11], 0x0
	s_waitcnt lgkmcnt(0)
	v_mul_f32_e64 v1, s3, s11
	v_mul_f32_e64 v2, s2, s11
	s_delay_alu instid0(VALU_DEP_2) | instskip(NEXT) | instid1(VALU_DEP_2)
	v_fma_f32 v1, s2, s10, -v1
	v_fmac_f32_e64 v2, s3, s10
.LBB143_7:
	s_lshl_b64 s[6:7], s[6:7], 3
	s_delay_alu instid0(SALU_CYCLE_1)
	s_add_u32 s6, s20, s6
	s_addc_u32 s7, s21, s7
	global_store_b64 v3, v[1:2], s[6:7]
.LBB143_8:
	s_or_b32 exec_lo, exec_lo, s8
	s_mov_b32 s6, 0
.LBB143_9:
	s_delay_alu instid0(SALU_CYCLE_1)
	s_and_not1_b32 vcc_lo, exec_lo, s6
	s_cbranch_vccnz .LBB143_28
; %bb.10:
	s_load_b32 s9, s[0:1], 0x0
	s_mul_i32 s0, s15, s19
	s_mul_hi_u32 s7, s15, s18
	s_mul_i32 s8, s15, s47
	s_add_i32 s7, s7, s0
	s_mul_hi_u32 s10, s15, s46
	s_ashr_i32 s1, s14, 31
	s_mul_i32 s11, s14, s45
	s_mul_hi_u32 s12, s14, s44
	v_mov_b32_e32 v7, 0
	s_add_i32 s13, s10, s8
	s_add_i32 s10, s12, s11
	s_mul_i32 s11, s1, s44
	s_mul_i32 s6, s15, s18
	;; [unrolled: 1-line block ×3, first 2 shown]
	s_add_i32 s11, s10, s11
	s_mul_i32 s10, s14, s44
	s_mov_b32 s15, exec_lo
	s_waitcnt lgkmcnt(0)
	v_cmp_gt_i32_e32 vcc_lo, s9, v0
	s_ashr_i32 s0, s9, 31
	s_delay_alu instid0(SALU_CYCLE_1) | instskip(NEXT) | instid1(SALU_CYCLE_1)
	s_lshr_b32 s0, s0, 22
	s_add_i32 s0, s9, s0
	v_cndmask_b32_e32 v1, 0, v0, vcc_lo
	v_mov_b32_e32 v5, 0
	s_and_b32 s8, s0, 0xfffffc00
	s_delay_alu instid0(VALU_DEP_2)
	v_lshlrev_b32_e32 v6, 3, v1
	v_cmpx_gt_i32_e64 s8, v0
	s_cbranch_execz .LBB143_14
; %bb.11:
	v_mad_u64_u32 v[1:2], null, s16, v0, 0
	s_lshl_b64 s[18:19], s[50:51], 3
	s_lshl_b64 s[22:23], s[6:7], 3
	s_add_u32 s0, s48, s18
	s_addc_u32 s18, s49, s19
	s_add_u32 s0, s0, s22
	s_addc_u32 s26, s18, s23
	s_delay_alu instid0(VALU_DEP_1)
	v_mad_u64_u32 v[3:4], null, s17, v0, v[2:3]
	s_lshl_b64 s[22:23], s[10:11], 3
	s_lshl_b64 s[24:25], s[12:13], 3
	;; [unrolled: 1-line block ×3, first 2 shown]
	s_add_u32 s24, s22, s24
	s_addc_u32 s25, s23, s25
	s_lshl_b64 s[22:23], s[42:43], 3
	s_delay_alu instid0(VALU_DEP_1) | instskip(SKIP_3) | instid1(VALU_DEP_1)
	v_dual_mov_b32 v2, v3 :: v_dual_mov_b32 v5, 0
	s_add_u32 s22, s24, s22
	s_addc_u32 s23, s25, s23
	s_add_u32 s22, s40, s22
	v_lshlrev_b64 v[1:2], 3, v[1:2]
	s_addc_u32 s23, s41, s23
	v_dual_mov_b32 v8, v0 :: v_dual_mov_b32 v7, 0
	s_delay_alu instid0(VALU_DEP_2) | instskip(NEXT) | instid1(VALU_DEP_3)
	v_add_co_u32 v1, vcc_lo, s0, v1
	v_add_co_ci_u32_e32 v2, vcc_lo, s26, v2, vcc_lo
	v_add_co_u32 v3, s0, s22, v6
	s_delay_alu instid0(VALU_DEP_1) | instskip(NEXT) | instid1(VALU_DEP_4)
	v_add_co_ci_u32_e64 v4, null, s23, 0, s0
	v_add_co_u32 v1, vcc_lo, v1, 4
	s_delay_alu instid0(VALU_DEP_4) | instskip(NEXT) | instid1(VALU_DEP_4)
	v_add_co_ci_u32_e32 v2, vcc_lo, 0, v2, vcc_lo
	v_add_co_u32 v3, vcc_lo, v3, 4
	s_delay_alu instid0(VALU_DEP_4)
	v_add_co_ci_u32_e32 v4, vcc_lo, 0, v4, vcc_lo
	s_mov_b32 s22, 0
	.p2align	6
.LBB143_12:                             ; =>This Inner Loop Header: Depth=1
	global_load_b64 v[9:10], v[3:4], off offset:-4
	global_load_b64 v[11:12], v[1:2], off offset:-4
	v_add_co_u32 v1, vcc_lo, v1, s18
	v_add_co_ci_u32_e32 v2, vcc_lo, s19, v2, vcc_lo
	v_add_co_u32 v3, vcc_lo, 0x2000, v3
	v_add_co_ci_u32_e32 v4, vcc_lo, 0, v4, vcc_lo
	s_waitcnt vmcnt(0)
	v_mul_f32_e32 v13, v10, v12
	s_delay_alu instid0(VALU_DEP_1) | instskip(SKIP_1) | instid1(VALU_DEP_2)
	v_dual_fmac_f32 v13, v9, v11 :: v_dual_add_nc_u32 v8, 0x400, v8
	v_mul_f32_e32 v10, v10, v11
	v_cmp_le_i32_e64 s0, s8, v8
	s_delay_alu instid0(VALU_DEP_3) | instskip(NEXT) | instid1(VALU_DEP_3)
	v_add_f32_e32 v7, v7, v13
	v_fma_f32 v9, v9, v12, -v10
	s_delay_alu instid0(VALU_DEP_3) | instskip(NEXT) | instid1(VALU_DEP_1)
	s_or_b32 s22, s0, s22
	v_add_f32_e32 v5, v5, v9
	s_and_not1_b32 exec_lo, exec_lo, s22
	s_cbranch_execnz .LBB143_12
; %bb.13:
	s_or_b32 exec_lo, exec_lo, s22
.LBB143_14:
	s_delay_alu instid0(SALU_CYCLE_1) | instskip(SKIP_2) | instid1(VALU_DEP_1)
	s_or_b32 exec_lo, exec_lo, s15
	v_or_b32_e32 v1, s8, v0
	s_mov_b32 s0, exec_lo
	v_cmpx_gt_i32_e64 s9, v1
	s_cbranch_execz .LBB143_16
; %bb.15:
	v_ashrrev_i32_e32 v2, 31, v1
	v_mul_lo_u32 v4, v1, s17
	s_lshl_b64 s[12:13], s[12:13], 3
	s_delay_alu instid0(SALU_CYCLE_1) | instskip(NEXT) | instid1(VALU_DEP_2)
	s_add_u32 s9, s40, s12
	v_mul_lo_u32 v8, v2, s16
	v_mad_u64_u32 v[2:3], null, v1, s16, 0
	s_addc_u32 s15, s41, s13
	s_lshl_b64 s[12:13], s[42:43], 3
	s_delay_alu instid0(SALU_CYCLE_1) | instskip(SKIP_2) | instid1(VALU_DEP_1)
	s_add_u32 s12, s9, s12
	s_addc_u32 s13, s15, s13
	s_lshl_b64 s[6:7], s[6:7], 3
	v_add3_u32 v3, v3, v4, v8
	s_lshl_b64 s[10:11], s[10:11], 3
	s_add_u32 s9, s48, s6
	s_addc_u32 s15, s49, s7
	s_lshl_b64 s[6:7], s[50:51], 3
	v_lshlrev_b64 v[1:2], 3, v[2:3]
	s_add_u32 s16, s9, s6
	s_addc_u32 s15, s15, s7
	s_ashr_i32 s9, s8, 31
	s_delay_alu instid0(SALU_CYCLE_1) | instskip(NEXT) | instid1(VALU_DEP_1)
	s_lshl_b64 s[6:7], s[8:9], 3
	v_add_co_u32 v1, vcc_lo, s16, v1
	s_add_u32 s6, s6, s10
	s_addc_u32 s7, s7, s11
	v_add_co_ci_u32_e32 v2, vcc_lo, s15, v2, vcc_lo
	s_add_u32 s6, s6, s12
	s_addc_u32 s7, s7, s13
	global_load_b64 v[3:4], v6, s[6:7]
	global_load_b64 v[1:2], v[1:2], off
	s_waitcnt vmcnt(0)
	v_mul_f32_e32 v6, v4, v2
	s_delay_alu instid0(VALU_DEP_1) | instskip(NEXT) | instid1(VALU_DEP_1)
	v_fmac_f32_e32 v6, v3, v1
	v_dual_mul_f32 v4, v4, v1 :: v_dual_add_f32 v7, v7, v6
	s_delay_alu instid0(VALU_DEP_1) | instskip(NEXT) | instid1(VALU_DEP_1)
	v_fma_f32 v1, v3, v2, -v4
	v_add_f32_e32 v5, v5, v1
.LBB143_16:
	s_or_b32 exec_lo, exec_lo, s0
	v_and_b32_e32 v1, 31, v0
	v_cmp_gt_u32_e32 vcc_lo, 32, v0
	s_delay_alu instid0(VALU_DEP_2)
	v_lshlrev_b32_e32 v3, 3, v1
	s_and_saveexec_b32 s0, vcc_lo
	s_cbranch_execz .LBB143_18
; %bb.17:
	v_mov_b32_e32 v8, 0
	s_delay_alu instid0(VALU_DEP_1)
	v_mov_b32_e32 v9, v8
	ds_store_b64 v3, v[8:9]
.LBB143_18:
	s_or_b32 exec_lo, exec_lo, s0
	v_mbcnt_lo_u32_b32 v2, -1, 0
	s_mov_b32 s6, exec_lo
	s_waitcnt lgkmcnt(0)
	s_waitcnt_vscnt null, 0x0
	s_barrier
	buffer_gl0_inv
	v_cmp_gt_u32_e64 s0, 16, v2
	s_delay_alu instid0(VALU_DEP_1) | instskip(SKIP_1) | instid1(VALU_DEP_2)
	v_cndmask_b32_e64 v4, 0, 1, s0
	v_cmp_gt_u32_e64 s0, 24, v2
	v_lshlrev_b32_e32 v4, 4, v4
	s_delay_alu instid0(VALU_DEP_2) | instskip(SKIP_1) | instid1(VALU_DEP_3)
	v_cndmask_b32_e64 v6, 0, 1, s0
	v_cmp_gt_u32_e64 s0, 28, v2
	v_add_lshl_u32 v4, v4, v2, 2
	ds_bpermute_b32 v8, v4, v7
	ds_bpermute_b32 v9, v4, v5
	s_waitcnt lgkmcnt(1)
	v_dual_add_f32 v7, v7, v8 :: v_dual_lshlrev_b32 v6, 3, v6
	s_delay_alu instid0(VALU_DEP_1)
	v_add_lshl_u32 v6, v6, v2, 2
	s_waitcnt lgkmcnt(0)
	v_add_f32_e32 v8, v5, v9
	v_cndmask_b32_e64 v5, 0, 1, s0
	v_cmp_gt_u32_e64 s0, 30, v2
	ds_bpermute_b32 v9, v6, v7
	s_waitcnt lgkmcnt(0)
	v_add_f32_e32 v9, v7, v9
	v_cndmask_b32_e64 v7, 0, 1, s0
	v_cmp_ne_u32_e64 s0, 31, v2
	s_delay_alu instid0(VALU_DEP_2)
	v_lshlrev_b32_e32 v7, 1, v7
	ds_bpermute_b32 v10, v6, v8
	v_lshlrev_b32_e32 v5, 2, v5
	v_add_lshl_u32 v7, v7, v2, 2
	s_waitcnt lgkmcnt(0)
	v_add_f32_e32 v8, v8, v10
	s_delay_alu instid0(VALU_DEP_3)
	v_add_lshl_u32 v5, v5, v2, 2
	v_add_co_ci_u32_e64 v2, s0, 0, v2, s0
	ds_bpermute_b32 v10, v5, v9
	ds_bpermute_b32 v11, v5, v8
	s_waitcnt lgkmcnt(0)
	v_dual_add_f32 v9, v9, v10 :: v_dual_add_f32 v10, v8, v11
	v_lshlrev_b32_e32 v8, 2, v2
	ds_bpermute_b32 v11, v7, v9
	ds_bpermute_b32 v12, v7, v10
	s_waitcnt lgkmcnt(1)
	v_add_f32_e32 v2, v9, v11
	s_waitcnt lgkmcnt(0)
	v_add_f32_e32 v10, v10, v12
	ds_bpermute_b32 v9, v8, v2
	ds_bpermute_b32 v11, v8, v10
	v_cmpx_eq_u32_e32 0, v1
	s_cbranch_execz .LBB143_20
; %bb.19:
	v_lshrrev_b32_e32 v1, 2, v0
	s_waitcnt lgkmcnt(0)
	v_add_f32_e32 v10, v10, v11
	v_add_f32_e32 v9, v2, v9
	s_delay_alu instid0(VALU_DEP_3)
	v_and_b32_e32 v1, 0xf8, v1
	ds_store_b64 v1, v[9:10]
.LBB143_20:
	s_or_b32 exec_lo, exec_lo, s6
	v_dual_mov_b32 v2, 0 :: v_dual_mov_b32 v1, 0
	s_waitcnt lgkmcnt(0)
	s_barrier
	buffer_gl0_inv
	s_and_saveexec_b32 s0, vcc_lo
	s_cbranch_execz .LBB143_22
; %bb.21:
	ds_load_b64 v[1:2], v3
.LBB143_22:
	s_or_b32 exec_lo, exec_lo, s0
	s_and_saveexec_b32 s0, vcc_lo
	s_cbranch_execz .LBB143_24
; %bb.23:
	s_waitcnt lgkmcnt(0)
	ds_bpermute_b32 v3, v4, v1
	ds_bpermute_b32 v4, v4, v2
	s_waitcnt lgkmcnt(0)
	v_dual_add_f32 v1, v1, v3 :: v_dual_add_f32 v2, v2, v4
	ds_bpermute_b32 v3, v6, v1
	ds_bpermute_b32 v4, v6, v2
	s_waitcnt lgkmcnt(0)
	v_dual_add_f32 v1, v1, v3 :: v_dual_add_f32 v2, v2, v4
	;; [unrolled: 4-line block ×5, first 2 shown]
.LBB143_24:
	s_or_b32 exec_lo, exec_lo, s0
	s_delay_alu instid0(SALU_CYCLE_1)
	s_mov_b32 s0, exec_lo
	v_cmpx_eq_u32_e32 0, v0
	s_cbranch_execz .LBB143_28
; %bb.25:
	v_cmp_neq_f32_e64 s0, s2, 0
	v_cmp_neq_f32_e64 s6, s3, 0
	s_waitcnt lgkmcnt(0)
	v_mul_f32_e32 v0, s5, v2
	v_mul_f32_e32 v4, s4, v2
	s_mul_i32 s1, s1, s28
	s_or_b32 s0, s0, s6
	s_delay_alu instid0(VALU_DEP_2)
	v_fma_f32 v3, v1, s4, -v0
	s_mul_i32 s4, s14, s29
	s_mul_hi_u32 s6, s14, s28
	v_fmac_f32_e32 v4, s5, v1
	s_add_i32 s4, s6, s4
	s_and_not1_b32 vcc_lo, exec_lo, s0
	s_add_i32 s1, s4, s1
	s_mul_i32 s0, s14, s28
	s_cbranch_vccnz .LBB143_27
; %bb.26:
	s_lshl_b64 s[4:5], s[0:1], 3
	v_mov_b32_e32 v0, 0
	s_add_u32 s4, s20, s4
	s_addc_u32 s5, s21, s5
	global_load_b64 v[0:1], v0, s[4:5]
	s_waitcnt vmcnt(0)
	v_mul_f32_e32 v2, s3, v1
	v_mul_f32_e32 v1, s2, v1
	s_delay_alu instid0(VALU_DEP_1) | instskip(NEXT) | instid1(VALU_DEP_3)
	v_fmac_f32_e32 v1, s3, v0
	v_fma_f32 v2, s2, v0, -v2
	s_delay_alu instid0(VALU_DEP_1)
	v_dual_add_f32 v4, v4, v1 :: v_dual_add_f32 v3, v3, v2
.LBB143_27:
	s_lshl_b64 s[0:1], s[0:1], 3
	v_mov_b32_e32 v0, 0
	s_add_u32 s0, s20, s0
	s_addc_u32 s1, s21, s1
	global_store_b64 v0, v[3:4], s[0:1]
.LBB143_28:
	s_nop 0
	s_sendmsg sendmsg(MSG_DEALLOC_VGPRS)
	s_endpgm
	.section	.rodata,"a",@progbits
	.p2align	6, 0x0
	.amdhsa_kernel _ZL32rocblas_gemvt_warp_reduce_kernelILb1ELi1024El19rocblas_complex_numIfEPKS1_S1_EviiT3_lPKT2_lT1_lS7_lS8_lS4_lPT4_lS8_li
		.amdhsa_group_segment_fixed_size 256
		.amdhsa_private_segment_fixed_size 0
		.amdhsa_kernarg_size 140
		.amdhsa_user_sgpr_count 14
		.amdhsa_user_sgpr_dispatch_ptr 0
		.amdhsa_user_sgpr_queue_ptr 0
		.amdhsa_user_sgpr_kernarg_segment_ptr 1
		.amdhsa_user_sgpr_dispatch_id 0
		.amdhsa_user_sgpr_private_segment_size 0
		.amdhsa_wavefront_size32 1
		.amdhsa_uses_dynamic_stack 0
		.amdhsa_enable_private_segment 0
		.amdhsa_system_sgpr_workgroup_id_x 1
		.amdhsa_system_sgpr_workgroup_id_y 0
		.amdhsa_system_sgpr_workgroup_id_z 1
		.amdhsa_system_sgpr_workgroup_info 0
		.amdhsa_system_vgpr_workitem_id 0
		.amdhsa_next_free_vgpr 14
		.amdhsa_next_free_sgpr 52
		.amdhsa_reserve_vcc 1
		.amdhsa_float_round_mode_32 0
		.amdhsa_float_round_mode_16_64 0
		.amdhsa_float_denorm_mode_32 3
		.amdhsa_float_denorm_mode_16_64 3
		.amdhsa_dx10_clamp 1
		.amdhsa_ieee_mode 1
		.amdhsa_fp16_overflow 0
		.amdhsa_workgroup_processor_mode 1
		.amdhsa_memory_ordered 1
		.amdhsa_forward_progress 0
		.amdhsa_shared_vgpr_count 0
		.amdhsa_exception_fp_ieee_invalid_op 0
		.amdhsa_exception_fp_denorm_src 0
		.amdhsa_exception_fp_ieee_div_zero 0
		.amdhsa_exception_fp_ieee_overflow 0
		.amdhsa_exception_fp_ieee_underflow 0
		.amdhsa_exception_fp_ieee_inexact 0
		.amdhsa_exception_int_div_zero 0
	.end_amdhsa_kernel
	.section	.text._ZL32rocblas_gemvt_warp_reduce_kernelILb1ELi1024El19rocblas_complex_numIfEPKS1_S1_EviiT3_lPKT2_lT1_lS7_lS8_lS4_lPT4_lS8_li,"axG",@progbits,_ZL32rocblas_gemvt_warp_reduce_kernelILb1ELi1024El19rocblas_complex_numIfEPKS1_S1_EviiT3_lPKT2_lT1_lS7_lS8_lS4_lPT4_lS8_li,comdat
.Lfunc_end143:
	.size	_ZL32rocblas_gemvt_warp_reduce_kernelILb1ELi1024El19rocblas_complex_numIfEPKS1_S1_EviiT3_lPKT2_lT1_lS7_lS8_lS4_lPT4_lS8_li, .Lfunc_end143-_ZL32rocblas_gemvt_warp_reduce_kernelILb1ELi1024El19rocblas_complex_numIfEPKS1_S1_EviiT3_lPKT2_lT1_lS7_lS8_lS4_lPT4_lS8_li
                                        ; -- End function
	.section	.AMDGPU.csdata,"",@progbits
; Kernel info:
; codeLenInByte = 1928
; NumSgprs: 54
; NumVgprs: 14
; ScratchSize: 0
; MemoryBound: 0
; FloatMode: 240
; IeeeMode: 1
; LDSByteSize: 256 bytes/workgroup (compile time only)
; SGPRBlocks: 6
; VGPRBlocks: 1
; NumSGPRsForWavesPerEU: 54
; NumVGPRsForWavesPerEU: 14
; Occupancy: 16
; WaveLimiterHint : 0
; COMPUTE_PGM_RSRC2:SCRATCH_EN: 0
; COMPUTE_PGM_RSRC2:USER_SGPR: 14
; COMPUTE_PGM_RSRC2:TRAP_HANDLER: 0
; COMPUTE_PGM_RSRC2:TGID_X_EN: 1
; COMPUTE_PGM_RSRC2:TGID_Y_EN: 0
; COMPUTE_PGM_RSRC2:TGID_Z_EN: 1
; COMPUTE_PGM_RSRC2:TIDIG_COMP_CNT: 0
	.section	.text._ZL32rocblas_gemvt_warp_reduce_kernelILb1ELi1024Ei19rocblas_complex_numIfES1_S1_EviiT3_lPKT2_lT1_lS5_lS6_lS2_lPT4_lS6_li,"axG",@progbits,_ZL32rocblas_gemvt_warp_reduce_kernelILb1ELi1024Ei19rocblas_complex_numIfES1_S1_EviiT3_lPKT2_lT1_lS5_lS6_lS2_lPT4_lS6_li,comdat
	.globl	_ZL32rocblas_gemvt_warp_reduce_kernelILb1ELi1024Ei19rocblas_complex_numIfES1_S1_EviiT3_lPKT2_lT1_lS5_lS6_lS2_lPT4_lS6_li ; -- Begin function _ZL32rocblas_gemvt_warp_reduce_kernelILb1ELi1024Ei19rocblas_complex_numIfES1_S1_EviiT3_lPKT2_lT1_lS5_lS6_lS2_lPT4_lS6_li
	.p2align	8
	.type	_ZL32rocblas_gemvt_warp_reduce_kernelILb1ELi1024Ei19rocblas_complex_numIfES1_S1_EviiT3_lPKT2_lT1_lS5_lS6_lS2_lPT4_lS6_li,@function
_ZL32rocblas_gemvt_warp_reduce_kernelILb1ELi1024Ei19rocblas_complex_numIfES1_S1_EviiT3_lPKT2_lT1_lS5_lS6_lS2_lPT4_lS6_li: ; @_ZL32rocblas_gemvt_warp_reduce_kernelILb1ELi1024Ei19rocblas_complex_numIfES1_S1_EviiT3_lPKT2_lT1_lS5_lS6_lS2_lPT4_lS6_li
; %bb.0:
	s_clause 0x1
	s_load_b64 s[12:13], s[0:1], 0x8
	s_load_b64 s[2:3], s[0:1], 0x58
	s_waitcnt lgkmcnt(0)
	v_cmp_neq_f32_e64 s4, s12, 0
	v_cmp_neq_f32_e64 s5, s13, 0
	s_delay_alu instid0(VALU_DEP_1) | instskip(NEXT) | instid1(SALU_CYCLE_1)
	s_or_b32 s4, s4, s5
	s_and_b32 vcc_lo, exec_lo, s4
	s_mov_b32 s4, -1
	s_cbranch_vccnz .LBB144_2
; %bb.1:
	v_cmp_neq_f32_e64 s4, s2, 1.0
	v_cmp_neq_f32_e64 s5, s3, 0
	s_delay_alu instid0(VALU_DEP_1)
	s_or_b32 s4, s4, s5
.LBB144_2:
	s_delay_alu instid0(SALU_CYCLE_1)
	s_and_not1_b32 vcc_lo, exec_lo, s4
	s_cbranch_vccnz .LBB144_28
; %bb.3:
	s_clause 0x2
	s_load_b64 s[8:9], s[0:1], 0x80
	s_load_b128 s[4:7], s[0:1], 0x68
	s_load_b32 s18, s[0:1], 0x78
	v_cmp_eq_u32_e32 vcc_lo, 0, v0
	s_waitcnt lgkmcnt(0)
	s_mul_i32 s9, s15, s9
	s_mul_hi_u32 s10, s15, s8
	s_mul_i32 s8, s15, s8
	s_add_i32 s9, s10, s9
	s_delay_alu instid0(SALU_CYCLE_1) | instskip(NEXT) | instid1(SALU_CYCLE_1)
	s_lshl_b64 s[8:9], s[8:9], 3
	s_add_u32 s8, s4, s8
	s_addc_u32 s9, s5, s9
	s_lshl_b64 s[4:5], s[6:7], 3
	s_delay_alu instid0(SALU_CYCLE_1) | instskip(SKIP_2) | instid1(SALU_CYCLE_1)
	s_add_u32 s16, s8, s4
	s_addc_u32 s17, s9, s5
	s_or_b32 s4, s12, s13
	s_bitset0_b32 s4, 31
	s_delay_alu instid0(SALU_CYCLE_1)
	s_cmp_lg_u32 s4, 0
	s_mov_b32 s4, -1
	s_cbranch_scc1 .LBB144_9
; %bb.4:
	s_and_saveexec_b32 s6, vcc_lo
	s_cbranch_execz .LBB144_8
; %bb.5:
	v_cmp_neq_f32_e64 s4, s2, 0
	v_cmp_neq_f32_e64 s5, s3, 0
	v_dual_mov_b32 v3, 0 :: v_dual_mov_b32 v2, 0
	v_mov_b32_e32 v1, 0
	s_delay_alu instid0(VALU_DEP_3)
	s_or_b32 s5, s4, s5
	s_mul_i32 s4, s14, s18
	s_and_not1_b32 vcc_lo, exec_lo, s5
	s_ashr_i32 s5, s4, 31
	s_cbranch_vccnz .LBB144_7
; %bb.6:
	s_lshl_b64 s[8:9], s[4:5], 3
	s_delay_alu instid0(SALU_CYCLE_1)
	s_add_u32 s8, s16, s8
	s_addc_u32 s9, s17, s9
	s_load_b64 s[8:9], s[8:9], 0x0
	s_waitcnt lgkmcnt(0)
	v_mul_f32_e64 v1, s3, s9
	v_mul_f32_e64 v2, s2, s9
	s_delay_alu instid0(VALU_DEP_2) | instskip(NEXT) | instid1(VALU_DEP_2)
	v_fma_f32 v1, s2, s8, -v1
	v_fmac_f32_e64 v2, s3, s8
.LBB144_7:
	s_lshl_b64 s[4:5], s[4:5], 3
	s_delay_alu instid0(SALU_CYCLE_1)
	s_add_u32 s4, s16, s4
	s_addc_u32 s5, s17, s5
	global_store_b64 v3, v[1:2], s[4:5]
.LBB144_8:
	s_or_b32 exec_lo, exec_lo, s6
	s_mov_b32 s4, 0
.LBB144_9:
	s_delay_alu instid0(SALU_CYCLE_1)
	s_and_not1_b32 vcc_lo, exec_lo, s4
	s_cbranch_vccnz .LBB144_28
; %bb.10:
	s_clause 0x4
	s_load_b64 s[4:5], s[0:1], 0x50
	s_load_b128 s[8:11], s[0:1], 0x30
	s_load_b64 s[22:23], s[0:1], 0x40
	s_load_b32 s20, s[0:1], 0x0
	s_load_b32 s19, s[0:1], 0x48
	v_dual_mov_b32 v5, 0 :: v_dual_mov_b32 v6, 0
	s_waitcnt lgkmcnt(0)
	s_mul_i32 s5, s15, s5
	s_mul_hi_u32 s6, s15, s4
	s_mul_i32 s24, s15, s4
	s_add_i32 s25, s6, s5
	s_clause 0x1
	s_load_b128 s[4:7], s[0:1], 0x18
	s_load_b32 s26, s[0:1], 0x28
	v_cmp_gt_i32_e32 vcc_lo, s20, v0
	s_lshl_b64 s[0:1], s[24:25], 3
	s_delay_alu instid0(SALU_CYCLE_1)
	s_add_u32 s10, s10, s0
	s_addc_u32 s11, s11, s1
	s_lshl_b64 s[0:1], s[22:23], 3
	v_cndmask_b32_e32 v1, 0, v0, vcc_lo
	s_add_u32 s21, s10, s0
	s_addc_u32 s22, s11, s1
	s_ashr_i32 s0, s20, 31
	s_mul_i32 s1, s15, s9
	s_lshr_b32 s0, s0, 22
	v_lshlrev_b32_e32 v7, 3, v1
	s_mul_hi_u32 s9, s15, s8
	s_add_i32 s0, s20, s0
	s_add_i32 s9, s9, s1
	s_and_b32 s0, s0, 0xfffffc00
	s_mul_i32 s8, s15, s8
	s_mov_b32 s1, exec_lo
	s_waitcnt lgkmcnt(0)
	s_mul_i32 s10, s14, s26
	s_delay_alu instid0(SALU_CYCLE_1)
	s_ashr_i32 s11, s10, 31
	v_cmpx_gt_i32_e64 s0, v0
	s_cbranch_execz .LBB144_14
; %bb.11:
	s_lshl_b64 s[24:25], s[8:9], 3
	s_lshl_b64 s[26:27], s[6:7], 3
	s_lshl_b32 s15, s19, 10
	s_add_u32 s23, s24, s26
	s_addc_u32 s26, s25, s27
	s_lshl_b64 s[24:25], s[10:11], 3
	v_mul_lo_u32 v1, v0, s19
	s_add_u32 s23, s23, s24
	s_addc_u32 s24, s26, s25
	s_add_u32 s23, s4, s23
	s_addc_u32 s24, s5, s24
	v_add_co_u32 v2, s23, s23, v7
	s_delay_alu instid0(VALU_DEP_1) | instskip(SKIP_1) | instid1(VALU_DEP_3)
	v_add_co_ci_u32_e64 v4, null, s24, 0, s23
	v_dual_mov_b32 v5, 0 :: v_dual_mov_b32 v8, v0
	v_add_co_u32 v3, vcc_lo, v2, 4
	s_delay_alu instid0(VALU_DEP_3)
	v_add_co_ci_u32_e32 v4, vcc_lo, 0, v4, vcc_lo
	v_mov_b32_e32 v6, 0
	s_mov_b32 s23, 0
	.p2align	6
.LBB144_12:                             ; =>This Inner Loop Header: Depth=1
	v_ashrrev_i32_e32 v2, 31, v1
	s_delay_alu instid0(VALU_DEP_1) | instskip(SKIP_1) | instid1(VALU_DEP_2)
	v_lshlrev_b64 v[9:10], 3, v[1:2]
	v_add_nc_u32_e32 v1, s15, v1
	v_add_co_u32 v9, vcc_lo, s21, v9
	s_delay_alu instid0(VALU_DEP_3)
	v_add_co_ci_u32_e32 v10, vcc_lo, s22, v10, vcc_lo
	global_load_b64 v[11:12], v[3:4], off offset:-4
	global_load_b64 v[9:10], v[9:10], off
	v_add_co_u32 v3, vcc_lo, 0x2000, v3
	v_add_co_ci_u32_e32 v4, vcc_lo, 0, v4, vcc_lo
	s_waitcnt vmcnt(0)
	v_mul_f32_e32 v2, v12, v10
	v_mul_f32_e32 v12, v12, v9
	s_delay_alu instid0(VALU_DEP_2) | instskip(NEXT) | instid1(VALU_DEP_2)
	v_fmac_f32_e32 v2, v11, v9
	v_fma_f32 v9, v11, v10, -v12
	v_add_nc_u32_e32 v8, 0x400, v8
	s_delay_alu instid0(VALU_DEP_2) | instskip(NEXT) | instid1(VALU_DEP_2)
	v_dual_add_f32 v6, v6, v2 :: v_dual_add_f32 v5, v5, v9
	v_cmp_le_i32_e32 vcc_lo, s0, v8
	s_or_b32 s23, vcc_lo, s23
	s_delay_alu instid0(SALU_CYCLE_1)
	s_and_not1_b32 exec_lo, exec_lo, s23
	s_cbranch_execnz .LBB144_12
; %bb.13:
	s_or_b32 exec_lo, exec_lo, s23
.LBB144_14:
	s_delay_alu instid0(SALU_CYCLE_1) | instskip(SKIP_2) | instid1(VALU_DEP_1)
	s_or_b32 exec_lo, exec_lo, s1
	v_or_b32_e32 v1, s0, v0
	s_mov_b32 s15, exec_lo
	v_cmpx_gt_i32_e64 s20, v1
	s_cbranch_execz .LBB144_16
; %bb.15:
	v_mul_lo_u32 v1, v1, s19
	s_lshl_b64 s[8:9], s[8:9], 3
	s_delay_alu instid0(SALU_CYCLE_1) | instskip(SKIP_2) | instid1(SALU_CYCLE_1)
	s_add_u32 s1, s4, s8
	s_addc_u32 s8, s5, s9
	s_lshl_b64 s[4:5], s[6:7], 3
	s_add_u32 s6, s1, s4
	s_delay_alu instid0(VALU_DEP_1)
	v_ashrrev_i32_e32 v2, 31, v1
	s_addc_u32 s7, s8, s5
	s_ashr_i32 s1, s0, 31
	s_lshl_b64 s[4:5], s[10:11], 3
	s_lshl_b64 s[0:1], s[0:1], 3
	v_lshlrev_b64 v[1:2], 3, v[1:2]
	s_add_u32 s0, s0, s4
	s_addc_u32 s1, s1, s5
	s_add_u32 s0, s0, s6
	s_addc_u32 s1, s1, s7
	s_delay_alu instid0(VALU_DEP_1)
	v_add_co_u32 v1, vcc_lo, s21, v1
	v_add_co_ci_u32_e32 v2, vcc_lo, s22, v2, vcc_lo
	global_load_b64 v[3:4], v7, s[0:1]
	global_load_b64 v[1:2], v[1:2], off
	s_waitcnt vmcnt(0)
	v_mul_f32_e32 v7, v4, v2
	v_mul_f32_e32 v4, v4, v1
	s_delay_alu instid0(VALU_DEP_2) | instskip(NEXT) | instid1(VALU_DEP_2)
	v_fmac_f32_e32 v7, v3, v1
	v_fma_f32 v1, v3, v2, -v4
	s_delay_alu instid0(VALU_DEP_1)
	v_dual_add_f32 v6, v6, v7 :: v_dual_add_f32 v5, v5, v1
.LBB144_16:
	s_or_b32 exec_lo, exec_lo, s15
	v_and_b32_e32 v1, 31, v0
	v_cmp_gt_u32_e32 vcc_lo, 32, v0
	s_delay_alu instid0(VALU_DEP_2)
	v_lshlrev_b32_e32 v3, 3, v1
	s_and_saveexec_b32 s0, vcc_lo
	s_cbranch_execz .LBB144_18
; %bb.17:
	v_mov_b32_e32 v7, 0
	s_delay_alu instid0(VALU_DEP_1)
	v_mov_b32_e32 v8, v7
	ds_store_b64 v3, v[7:8]
.LBB144_18:
	s_or_b32 exec_lo, exec_lo, s0
	v_mbcnt_lo_u32_b32 v2, -1, 0
	s_mov_b32 s1, exec_lo
	s_waitcnt lgkmcnt(0)
	s_waitcnt_vscnt null, 0x0
	s_barrier
	buffer_gl0_inv
	v_cmp_gt_u32_e64 s0, 16, v2
	s_delay_alu instid0(VALU_DEP_1) | instskip(SKIP_1) | instid1(VALU_DEP_2)
	v_cndmask_b32_e64 v4, 0, 1, s0
	v_cmp_gt_u32_e64 s0, 24, v2
	v_lshlrev_b32_e32 v4, 4, v4
	s_delay_alu instid0(VALU_DEP_2) | instskip(SKIP_1) | instid1(VALU_DEP_3)
	v_cndmask_b32_e64 v7, 0, 1, s0
	v_cmp_gt_u32_e64 s0, 28, v2
	v_add_lshl_u32 v4, v4, v2, 2
	ds_bpermute_b32 v8, v4, v6
	ds_bpermute_b32 v9, v4, v5
	s_waitcnt lgkmcnt(1)
	v_dual_add_f32 v6, v6, v8 :: v_dual_lshlrev_b32 v7, 3, v7
	s_delay_alu instid0(VALU_DEP_1)
	v_add_lshl_u32 v7, v7, v2, 2
	s_waitcnt lgkmcnt(0)
	v_add_f32_e32 v8, v5, v9
	v_cndmask_b32_e64 v5, 0, 1, s0
	v_cmp_gt_u32_e64 s0, 30, v2
	ds_bpermute_b32 v9, v7, v6
	ds_bpermute_b32 v10, v7, v8
	v_lshlrev_b32_e32 v5, 2, v5
	s_waitcnt lgkmcnt(0)
	v_dual_add_f32 v9, v6, v9 :: v_dual_add_f32 v8, v8, v10
	s_delay_alu instid0(VALU_DEP_2)
	v_add_lshl_u32 v5, v5, v2, 2
	v_cndmask_b32_e64 v6, 0, 1, s0
	v_cmp_ne_u32_e64 s0, 31, v2
	ds_bpermute_b32 v10, v5, v9
	ds_bpermute_b32 v11, v5, v8
	v_lshlrev_b32_e32 v6, 1, v6
	s_delay_alu instid0(VALU_DEP_1) | instskip(SKIP_3) | instid1(VALU_DEP_2)
	v_add_lshl_u32 v6, v6, v2, 2
	v_add_co_ci_u32_e64 v2, s0, 0, v2, s0
	s_waitcnt lgkmcnt(0)
	v_dual_add_f32 v9, v9, v10 :: v_dual_add_f32 v10, v8, v11
	v_lshlrev_b32_e32 v8, 2, v2
	ds_bpermute_b32 v11, v6, v9
	ds_bpermute_b32 v12, v6, v10
	s_waitcnt lgkmcnt(1)
	v_add_f32_e32 v2, v9, v11
	s_waitcnt lgkmcnt(0)
	v_add_f32_e32 v10, v10, v12
	ds_bpermute_b32 v9, v8, v2
	ds_bpermute_b32 v11, v8, v10
	v_cmpx_eq_u32_e32 0, v1
	s_cbranch_execz .LBB144_20
; %bb.19:
	v_lshrrev_b32_e32 v1, 2, v0
	s_waitcnt lgkmcnt(0)
	v_add_f32_e32 v10, v10, v11
	v_add_f32_e32 v9, v2, v9
	s_delay_alu instid0(VALU_DEP_3)
	v_and_b32_e32 v1, 0xf8, v1
	ds_store_b64 v1, v[9:10]
.LBB144_20:
	s_or_b32 exec_lo, exec_lo, s1
	v_dual_mov_b32 v2, 0 :: v_dual_mov_b32 v1, 0
	s_waitcnt lgkmcnt(0)
	s_barrier
	buffer_gl0_inv
	s_and_saveexec_b32 s0, vcc_lo
	s_cbranch_execz .LBB144_22
; %bb.21:
	ds_load_b64 v[1:2], v3
.LBB144_22:
	s_or_b32 exec_lo, exec_lo, s0
	s_and_saveexec_b32 s0, vcc_lo
	s_cbranch_execz .LBB144_24
; %bb.23:
	s_waitcnt lgkmcnt(0)
	ds_bpermute_b32 v3, v4, v1
	ds_bpermute_b32 v4, v4, v2
	s_waitcnt lgkmcnt(0)
	v_dual_add_f32 v1, v1, v3 :: v_dual_add_f32 v2, v2, v4
	ds_bpermute_b32 v3, v7, v1
	ds_bpermute_b32 v4, v7, v2
	s_waitcnt lgkmcnt(0)
	v_dual_add_f32 v1, v1, v3 :: v_dual_add_f32 v2, v2, v4
	;; [unrolled: 4-line block ×5, first 2 shown]
.LBB144_24:
	s_or_b32 exec_lo, exec_lo, s0
	s_delay_alu instid0(SALU_CYCLE_1)
	s_mov_b32 s0, exec_lo
	v_cmpx_eq_u32_e32 0, v0
	s_cbranch_execz .LBB144_28
; %bb.25:
	s_waitcnt lgkmcnt(0)
	v_mul_f32_e32 v3, s12, v2
	v_mul_f32_e32 v0, s13, v2
	v_cmp_neq_f32_e64 s0, s2, 0
	v_cmp_neq_f32_e64 s1, s3, 0
	s_delay_alu instid0(VALU_DEP_4) | instskip(NEXT) | instid1(VALU_DEP_4)
	v_fmac_f32_e32 v3, s13, v1
	v_fma_f32 v2, v1, s12, -v0
	s_delay_alu instid0(VALU_DEP_3)
	s_or_b32 s1, s0, s1
	s_mul_i32 s0, s14, s18
	s_and_not1_b32 vcc_lo, exec_lo, s1
	s_ashr_i32 s1, s0, 31
	s_cbranch_vccnz .LBB144_27
; %bb.26:
	s_lshl_b64 s[4:5], s[0:1], 3
	v_mov_b32_e32 v0, 0
	s_add_u32 s4, s16, s4
	s_addc_u32 s5, s17, s5
	global_load_b64 v[0:1], v0, s[4:5]
	s_waitcnt vmcnt(0)
	v_mul_f32_e32 v4, s3, v1
	v_mul_f32_e32 v1, s2, v1
	s_delay_alu instid0(VALU_DEP_1) | instskip(NEXT) | instid1(VALU_DEP_3)
	v_fmac_f32_e32 v1, s3, v0
	v_fma_f32 v4, s2, v0, -v4
	s_delay_alu instid0(VALU_DEP_1)
	v_dual_add_f32 v3, v3, v1 :: v_dual_add_f32 v2, v2, v4
.LBB144_27:
	s_lshl_b64 s[0:1], s[0:1], 3
	v_mov_b32_e32 v0, 0
	s_add_u32 s0, s16, s0
	s_addc_u32 s1, s17, s1
	global_store_b64 v0, v[2:3], s[0:1]
.LBB144_28:
	s_nop 0
	s_sendmsg sendmsg(MSG_DEALLOC_VGPRS)
	s_endpgm
	.section	.rodata,"a",@progbits
	.p2align	6, 0x0
	.amdhsa_kernel _ZL32rocblas_gemvt_warp_reduce_kernelILb1ELi1024Ei19rocblas_complex_numIfES1_S1_EviiT3_lPKT2_lT1_lS5_lS6_lS2_lPT4_lS6_li
		.amdhsa_group_segment_fixed_size 256
		.amdhsa_private_segment_fixed_size 0
		.amdhsa_kernarg_size 140
		.amdhsa_user_sgpr_count 14
		.amdhsa_user_sgpr_dispatch_ptr 0
		.amdhsa_user_sgpr_queue_ptr 0
		.amdhsa_user_sgpr_kernarg_segment_ptr 1
		.amdhsa_user_sgpr_dispatch_id 0
		.amdhsa_user_sgpr_private_segment_size 0
		.amdhsa_wavefront_size32 1
		.amdhsa_uses_dynamic_stack 0
		.amdhsa_enable_private_segment 0
		.amdhsa_system_sgpr_workgroup_id_x 1
		.amdhsa_system_sgpr_workgroup_id_y 0
		.amdhsa_system_sgpr_workgroup_id_z 1
		.amdhsa_system_sgpr_workgroup_info 0
		.amdhsa_system_vgpr_workitem_id 0
		.amdhsa_next_free_vgpr 13
		.amdhsa_next_free_sgpr 28
		.amdhsa_reserve_vcc 1
		.amdhsa_float_round_mode_32 0
		.amdhsa_float_round_mode_16_64 0
		.amdhsa_float_denorm_mode_32 3
		.amdhsa_float_denorm_mode_16_64 3
		.amdhsa_dx10_clamp 1
		.amdhsa_ieee_mode 1
		.amdhsa_fp16_overflow 0
		.amdhsa_workgroup_processor_mode 1
		.amdhsa_memory_ordered 1
		.amdhsa_forward_progress 0
		.amdhsa_shared_vgpr_count 0
		.amdhsa_exception_fp_ieee_invalid_op 0
		.amdhsa_exception_fp_denorm_src 0
		.amdhsa_exception_fp_ieee_div_zero 0
		.amdhsa_exception_fp_ieee_overflow 0
		.amdhsa_exception_fp_ieee_underflow 0
		.amdhsa_exception_fp_ieee_inexact 0
		.amdhsa_exception_int_div_zero 0
	.end_amdhsa_kernel
	.section	.text._ZL32rocblas_gemvt_warp_reduce_kernelILb1ELi1024Ei19rocblas_complex_numIfES1_S1_EviiT3_lPKT2_lT1_lS5_lS6_lS2_lPT4_lS6_li,"axG",@progbits,_ZL32rocblas_gemvt_warp_reduce_kernelILb1ELi1024Ei19rocblas_complex_numIfES1_S1_EviiT3_lPKT2_lT1_lS5_lS6_lS2_lPT4_lS6_li,comdat
.Lfunc_end144:
	.size	_ZL32rocblas_gemvt_warp_reduce_kernelILb1ELi1024Ei19rocblas_complex_numIfES1_S1_EviiT3_lPKT2_lT1_lS5_lS6_lS2_lPT4_lS6_li, .Lfunc_end144-_ZL32rocblas_gemvt_warp_reduce_kernelILb1ELi1024Ei19rocblas_complex_numIfES1_S1_EviiT3_lPKT2_lT1_lS5_lS6_lS2_lPT4_lS6_li
                                        ; -- End function
	.section	.AMDGPU.csdata,"",@progbits
; Kernel info:
; codeLenInByte = 1796
; NumSgprs: 30
; NumVgprs: 13
; ScratchSize: 0
; MemoryBound: 0
; FloatMode: 240
; IeeeMode: 1
; LDSByteSize: 256 bytes/workgroup (compile time only)
; SGPRBlocks: 3
; VGPRBlocks: 1
; NumSGPRsForWavesPerEU: 30
; NumVGPRsForWavesPerEU: 13
; Occupancy: 16
; WaveLimiterHint : 1
; COMPUTE_PGM_RSRC2:SCRATCH_EN: 0
; COMPUTE_PGM_RSRC2:USER_SGPR: 14
; COMPUTE_PGM_RSRC2:TRAP_HANDLER: 0
; COMPUTE_PGM_RSRC2:TGID_X_EN: 1
; COMPUTE_PGM_RSRC2:TGID_Y_EN: 0
; COMPUTE_PGM_RSRC2:TGID_Z_EN: 1
; COMPUTE_PGM_RSRC2:TIDIG_COMP_CNT: 0
	.section	.text._ZL32rocblas_gemvt_warp_reduce_kernelILb1ELi1024El19rocblas_complex_numIfES1_S1_EviiT3_lPKT2_lT1_lS5_lS6_lS2_lPT4_lS6_li,"axG",@progbits,_ZL32rocblas_gemvt_warp_reduce_kernelILb1ELi1024El19rocblas_complex_numIfES1_S1_EviiT3_lPKT2_lT1_lS5_lS6_lS2_lPT4_lS6_li,comdat
	.globl	_ZL32rocblas_gemvt_warp_reduce_kernelILb1ELi1024El19rocblas_complex_numIfES1_S1_EviiT3_lPKT2_lT1_lS5_lS6_lS2_lPT4_lS6_li ; -- Begin function _ZL32rocblas_gemvt_warp_reduce_kernelILb1ELi1024El19rocblas_complex_numIfES1_S1_EviiT3_lPKT2_lT1_lS5_lS6_lS2_lPT4_lS6_li
	.p2align	8
	.type	_ZL32rocblas_gemvt_warp_reduce_kernelILb1ELi1024El19rocblas_complex_numIfES1_S1_EviiT3_lPKT2_lT1_lS5_lS6_lS2_lPT4_lS6_li,@function
_ZL32rocblas_gemvt_warp_reduce_kernelILb1ELi1024El19rocblas_complex_numIfES1_S1_EviiT3_lPKT2_lT1_lS5_lS6_lS2_lPT4_lS6_li: ; @_ZL32rocblas_gemvt_warp_reduce_kernelILb1ELi1024El19rocblas_complex_numIfES1_S1_EviiT3_lPKT2_lT1_lS5_lS6_lS2_lPT4_lS6_li
; %bb.0:
	s_clause 0x1
	s_load_b64 s[12:13], s[0:1], 0x8
	s_load_b64 s[2:3], s[0:1], 0x58
	s_waitcnt lgkmcnt(0)
	v_cmp_neq_f32_e64 s4, s12, 0
	v_cmp_neq_f32_e64 s5, s13, 0
	s_delay_alu instid0(VALU_DEP_1) | instskip(NEXT) | instid1(SALU_CYCLE_1)
	s_or_b32 s4, s4, s5
	s_and_b32 vcc_lo, exec_lo, s4
	s_mov_b32 s4, -1
	s_cbranch_vccnz .LBB145_2
; %bb.1:
	v_cmp_neq_f32_e64 s4, s2, 1.0
	v_cmp_neq_f32_e64 s5, s3, 0
	s_delay_alu instid0(VALU_DEP_1)
	s_or_b32 s4, s4, s5
.LBB145_2:
	s_delay_alu instid0(SALU_CYCLE_1)
	s_and_not1_b32 vcc_lo, exec_lo, s4
	s_cbranch_vccnz .LBB145_28
; %bb.3:
	s_load_b256 s[4:11], s[0:1], 0x68
	v_cmp_eq_u32_e32 vcc_lo, 0, v0
	s_waitcnt lgkmcnt(0)
	s_mul_i32 s11, s15, s11
	s_mul_hi_u32 s16, s15, s10
	s_mul_i32 s10, s15, s10
	s_add_i32 s11, s16, s11
	s_delay_alu instid0(SALU_CYCLE_1) | instskip(NEXT) | instid1(SALU_CYCLE_1)
	s_lshl_b64 s[10:11], s[10:11], 3
	s_add_u32 s10, s4, s10
	s_addc_u32 s11, s5, s11
	s_lshl_b64 s[4:5], s[6:7], 3
	s_delay_alu instid0(SALU_CYCLE_1) | instskip(SKIP_2) | instid1(SALU_CYCLE_1)
	s_add_u32 s33, s10, s4
	s_addc_u32 s34, s11, s5
	s_or_b32 s4, s12, s13
	s_bitset0_b32 s4, 31
	s_delay_alu instid0(SALU_CYCLE_1)
	s_cmp_lg_u32 s4, 0
	s_mov_b32 s4, -1
	s_cbranch_scc1 .LBB145_9
; %bb.4:
	s_and_saveexec_b32 s6, vcc_lo
	s_cbranch_execz .LBB145_8
; %bb.5:
	v_cmp_neq_f32_e64 s4, s2, 0
	v_cmp_neq_f32_e64 s5, s3, 0
	s_mul_i32 s7, s14, s9
	s_ashr_i32 s10, s14, 31
	v_dual_mov_b32 v3, 0 :: v_dual_mov_b32 v2, 0
	s_delay_alu instid0(VALU_DEP_2)
	s_or_b32 s4, s4, s5
	s_mul_hi_u32 s5, s14, s8
	v_mov_b32_e32 v1, 0
	s_add_i32 s5, s5, s7
	s_mul_i32 s10, s10, s8
	s_and_not1_b32 vcc_lo, exec_lo, s4
	s_add_i32 s5, s5, s10
	s_mul_i32 s4, s14, s8
	s_cbranch_vccnz .LBB145_7
; %bb.6:
	s_lshl_b64 s[10:11], s[4:5], 3
	s_delay_alu instid0(SALU_CYCLE_1)
	s_add_u32 s10, s33, s10
	s_addc_u32 s11, s34, s11
	s_load_b64 s[10:11], s[10:11], 0x0
	s_waitcnt lgkmcnt(0)
	v_mul_f32_e64 v1, s3, s11
	v_mul_f32_e64 v2, s2, s11
	s_delay_alu instid0(VALU_DEP_2) | instskip(NEXT) | instid1(VALU_DEP_2)
	v_fma_f32 v1, s2, s10, -v1
	v_fmac_f32_e64 v2, s3, s10
.LBB145_7:
	s_lshl_b64 s[4:5], s[4:5], 3
	s_delay_alu instid0(SALU_CYCLE_1)
	s_add_u32 s4, s33, s4
	s_addc_u32 s5, s34, s5
	global_store_b64 v3, v[1:2], s[4:5]
.LBB145_8:
	s_or_b32 exec_lo, exec_lo, s6
	s_mov_b32 s4, 0
.LBB145_9:
	s_delay_alu instid0(SALU_CYCLE_1)
	s_and_not1_b32 vcc_lo, exec_lo, s4
	s_cbranch_vccnz .LBB145_28
; %bb.10:
	s_clause 0x1
	s_load_b512 s[16:31], s[0:1], 0x18
	s_load_b32 s7, s[0:1], 0x0
	s_ashr_i32 s1, s14, 31
	v_mov_b32_e32 v7, 0
	s_waitcnt lgkmcnt(0)
	s_mul_i32 s0, s15, s31
	v_cmp_gt_i32_e32 vcc_lo, s7, v0
	s_mul_hi_u32 s5, s15, s30
	s_mul_i32 s6, s15, s23
	s_ashr_i32 s23, s7, 31
	s_mul_hi_u32 s10, s15, s22
	v_cndmask_b32_e32 v1, 0, v0, vcc_lo
	s_mul_i32 s11, s14, s21
	s_mul_hi_u32 s21, s14, s20
	s_add_i32 s5, s5, s0
	s_lshr_b32 s0, s23, 22
	v_dual_mov_b32 v5, 0 :: v_dual_lshlrev_b32 v6, 3, v1
	s_mul_i32 s4, s15, s30
	s_mul_i32 s30, s1, s20
	s_add_i32 s23, s10, s6
	s_add_i32 s0, s7, s0
	;; [unrolled: 1-line block ×3, first 2 shown]
	s_and_b32 s6, s0, 0xfffffc00
	s_mul_i32 s22, s15, s22
	s_add_i32 s11, s10, s30
	s_mul_i32 s10, s14, s20
	s_mov_b32 s15, exec_lo
	v_cmpx_gt_i32_e64 s6, v0
	s_cbranch_execz .LBB145_14
; %bb.11:
	v_mad_u64_u32 v[1:2], null, s28, v0, 0
	s_lshl_b64 s[20:21], s[26:27], 3
	s_lshl_b64 s[30:31], s[4:5], 3
	s_add_u32 s0, s24, s20
	s_addc_u32 s20, s25, s21
	s_add_u32 s0, s0, s30
	s_addc_u32 s35, s20, s31
	s_delay_alu instid0(VALU_DEP_1)
	v_mad_u64_u32 v[3:4], null, s29, v0, v[2:3]
	s_lshl_b64 s[30:31], s[10:11], 3
	s_lshl_b64 s[36:37], s[22:23], 3
	s_lshl_b64 s[20:21], s[28:29], 13
	s_add_u32 s36, s30, s36
	s_addc_u32 s37, s31, s37
	s_lshl_b64 s[30:31], s[18:19], 3
	s_delay_alu instid0(VALU_DEP_1) | instskip(SKIP_3) | instid1(VALU_DEP_1)
	v_dual_mov_b32 v2, v3 :: v_dual_mov_b32 v5, 0
	s_add_u32 s30, s36, s30
	s_addc_u32 s31, s37, s31
	s_add_u32 s30, s16, s30
	v_lshlrev_b64 v[1:2], 3, v[1:2]
	s_addc_u32 s31, s17, s31
	v_dual_mov_b32 v8, v0 :: v_dual_mov_b32 v7, 0
	s_delay_alu instid0(VALU_DEP_2) | instskip(NEXT) | instid1(VALU_DEP_3)
	v_add_co_u32 v1, vcc_lo, s0, v1
	v_add_co_ci_u32_e32 v2, vcc_lo, s35, v2, vcc_lo
	v_add_co_u32 v3, s0, s30, v6
	s_delay_alu instid0(VALU_DEP_1) | instskip(NEXT) | instid1(VALU_DEP_4)
	v_add_co_ci_u32_e64 v4, null, s31, 0, s0
	v_add_co_u32 v1, vcc_lo, v1, 4
	s_delay_alu instid0(VALU_DEP_4) | instskip(NEXT) | instid1(VALU_DEP_4)
	v_add_co_ci_u32_e32 v2, vcc_lo, 0, v2, vcc_lo
	v_add_co_u32 v3, vcc_lo, v3, 4
	s_delay_alu instid0(VALU_DEP_4)
	v_add_co_ci_u32_e32 v4, vcc_lo, 0, v4, vcc_lo
	s_mov_b32 s30, 0
	.p2align	6
.LBB145_12:                             ; =>This Inner Loop Header: Depth=1
	global_load_b64 v[9:10], v[3:4], off offset:-4
	global_load_b64 v[11:12], v[1:2], off offset:-4
	v_add_co_u32 v1, vcc_lo, v1, s20
	v_add_co_ci_u32_e32 v2, vcc_lo, s21, v2, vcc_lo
	v_add_co_u32 v3, vcc_lo, 0x2000, v3
	v_add_co_ci_u32_e32 v4, vcc_lo, 0, v4, vcc_lo
	s_waitcnt vmcnt(0)
	v_mul_f32_e32 v13, v10, v12
	s_delay_alu instid0(VALU_DEP_1) | instskip(SKIP_1) | instid1(VALU_DEP_2)
	v_dual_fmac_f32 v13, v9, v11 :: v_dual_add_nc_u32 v8, 0x400, v8
	v_mul_f32_e32 v10, v10, v11
	v_cmp_le_i32_e64 s0, s6, v8
	s_delay_alu instid0(VALU_DEP_3) | instskip(NEXT) | instid1(VALU_DEP_3)
	v_add_f32_e32 v7, v7, v13
	v_fma_f32 v9, v9, v12, -v10
	s_delay_alu instid0(VALU_DEP_3) | instskip(NEXT) | instid1(VALU_DEP_1)
	s_or_b32 s30, s0, s30
	v_add_f32_e32 v5, v5, v9
	s_and_not1_b32 exec_lo, exec_lo, s30
	s_cbranch_execnz .LBB145_12
; %bb.13:
	s_or_b32 exec_lo, exec_lo, s30
.LBB145_14:
	s_delay_alu instid0(SALU_CYCLE_1) | instskip(SKIP_2) | instid1(VALU_DEP_1)
	s_or_b32 exec_lo, exec_lo, s15
	v_or_b32_e32 v1, s6, v0
	s_mov_b32 s0, exec_lo
	v_cmpx_gt_i32_e64 s7, v1
	s_cbranch_execz .LBB145_16
; %bb.15:
	v_ashrrev_i32_e32 v2, 31, v1
	v_mul_lo_u32 v4, v1, s29
	s_lshl_b64 s[20:21], s[22:23], 3
	s_delay_alu instid0(SALU_CYCLE_1) | instskip(NEXT) | instid1(VALU_DEP_2)
	s_add_u32 s7, s16, s20
	v_mul_lo_u32 v8, v2, s28
	v_mad_u64_u32 v[2:3], null, v1, s28, 0
	s_addc_u32 s15, s17, s21
	s_lshl_b64 s[16:17], s[18:19], 3
	s_delay_alu instid0(SALU_CYCLE_1) | instskip(SKIP_2) | instid1(VALU_DEP_1)
	s_add_u32 s16, s7, s16
	s_addc_u32 s15, s15, s17
	s_lshl_b64 s[4:5], s[4:5], 3
	v_add3_u32 v3, v3, v4, v8
	s_lshl_b64 s[10:11], s[10:11], 3
	s_add_u32 s7, s24, s4
	s_addc_u32 s17, s25, s5
	s_lshl_b64 s[4:5], s[26:27], 3
	v_lshlrev_b64 v[1:2], 3, v[2:3]
	s_add_u32 s18, s7, s4
	s_addc_u32 s17, s17, s5
	s_ashr_i32 s7, s6, 31
	s_delay_alu instid0(SALU_CYCLE_1) | instskip(NEXT) | instid1(VALU_DEP_1)
	s_lshl_b64 s[4:5], s[6:7], 3
	v_add_co_u32 v1, vcc_lo, s18, v1
	s_add_u32 s4, s4, s10
	s_addc_u32 s5, s5, s11
	v_add_co_ci_u32_e32 v2, vcc_lo, s17, v2, vcc_lo
	s_add_u32 s4, s4, s16
	s_addc_u32 s5, s5, s15
	global_load_b64 v[3:4], v6, s[4:5]
	global_load_b64 v[1:2], v[1:2], off
	s_waitcnt vmcnt(0)
	v_mul_f32_e32 v6, v4, v2
	s_delay_alu instid0(VALU_DEP_1) | instskip(NEXT) | instid1(VALU_DEP_1)
	v_fmac_f32_e32 v6, v3, v1
	v_dual_mul_f32 v4, v4, v1 :: v_dual_add_f32 v7, v7, v6
	s_delay_alu instid0(VALU_DEP_1) | instskip(NEXT) | instid1(VALU_DEP_1)
	v_fma_f32 v1, v3, v2, -v4
	v_add_f32_e32 v5, v5, v1
.LBB145_16:
	s_or_b32 exec_lo, exec_lo, s0
	v_and_b32_e32 v1, 31, v0
	v_cmp_gt_u32_e32 vcc_lo, 32, v0
	s_delay_alu instid0(VALU_DEP_2)
	v_lshlrev_b32_e32 v3, 3, v1
	s_and_saveexec_b32 s0, vcc_lo
	s_cbranch_execz .LBB145_18
; %bb.17:
	v_mov_b32_e32 v8, 0
	s_delay_alu instid0(VALU_DEP_1)
	v_mov_b32_e32 v9, v8
	ds_store_b64 v3, v[8:9]
.LBB145_18:
	s_or_b32 exec_lo, exec_lo, s0
	v_mbcnt_lo_u32_b32 v2, -1, 0
	s_mov_b32 s4, exec_lo
	s_waitcnt lgkmcnt(0)
	s_waitcnt_vscnt null, 0x0
	s_barrier
	buffer_gl0_inv
	v_cmp_gt_u32_e64 s0, 16, v2
	s_delay_alu instid0(VALU_DEP_1) | instskip(SKIP_1) | instid1(VALU_DEP_2)
	v_cndmask_b32_e64 v4, 0, 1, s0
	v_cmp_gt_u32_e64 s0, 24, v2
	v_lshlrev_b32_e32 v4, 4, v4
	s_delay_alu instid0(VALU_DEP_2) | instskip(SKIP_1) | instid1(VALU_DEP_3)
	v_cndmask_b32_e64 v6, 0, 1, s0
	v_cmp_gt_u32_e64 s0, 28, v2
	v_add_lshl_u32 v4, v4, v2, 2
	ds_bpermute_b32 v8, v4, v7
	ds_bpermute_b32 v9, v4, v5
	s_waitcnt lgkmcnt(1)
	v_dual_add_f32 v7, v7, v8 :: v_dual_lshlrev_b32 v6, 3, v6
	s_delay_alu instid0(VALU_DEP_1)
	v_add_lshl_u32 v6, v6, v2, 2
	s_waitcnt lgkmcnt(0)
	v_add_f32_e32 v8, v5, v9
	v_cndmask_b32_e64 v5, 0, 1, s0
	v_cmp_gt_u32_e64 s0, 30, v2
	ds_bpermute_b32 v9, v6, v7
	s_waitcnt lgkmcnt(0)
	v_add_f32_e32 v9, v7, v9
	v_cndmask_b32_e64 v7, 0, 1, s0
	v_cmp_ne_u32_e64 s0, 31, v2
	s_delay_alu instid0(VALU_DEP_2)
	v_lshlrev_b32_e32 v7, 1, v7
	ds_bpermute_b32 v10, v6, v8
	v_lshlrev_b32_e32 v5, 2, v5
	v_add_lshl_u32 v7, v7, v2, 2
	s_waitcnt lgkmcnt(0)
	v_add_f32_e32 v8, v8, v10
	s_delay_alu instid0(VALU_DEP_3)
	v_add_lshl_u32 v5, v5, v2, 2
	v_add_co_ci_u32_e64 v2, s0, 0, v2, s0
	ds_bpermute_b32 v10, v5, v9
	ds_bpermute_b32 v11, v5, v8
	s_waitcnt lgkmcnt(0)
	v_dual_add_f32 v9, v9, v10 :: v_dual_add_f32 v10, v8, v11
	v_lshlrev_b32_e32 v8, 2, v2
	ds_bpermute_b32 v11, v7, v9
	ds_bpermute_b32 v12, v7, v10
	s_waitcnt lgkmcnt(1)
	v_add_f32_e32 v2, v9, v11
	s_waitcnt lgkmcnt(0)
	v_add_f32_e32 v10, v10, v12
	ds_bpermute_b32 v9, v8, v2
	ds_bpermute_b32 v11, v8, v10
	v_cmpx_eq_u32_e32 0, v1
	s_cbranch_execz .LBB145_20
; %bb.19:
	v_lshrrev_b32_e32 v1, 2, v0
	s_waitcnt lgkmcnt(0)
	v_add_f32_e32 v10, v10, v11
	v_add_f32_e32 v9, v2, v9
	s_delay_alu instid0(VALU_DEP_3)
	v_and_b32_e32 v1, 0xf8, v1
	ds_store_b64 v1, v[9:10]
.LBB145_20:
	s_or_b32 exec_lo, exec_lo, s4
	v_dual_mov_b32 v2, 0 :: v_dual_mov_b32 v1, 0
	s_waitcnt lgkmcnt(0)
	s_barrier
	buffer_gl0_inv
	s_and_saveexec_b32 s0, vcc_lo
	s_cbranch_execz .LBB145_22
; %bb.21:
	ds_load_b64 v[1:2], v3
.LBB145_22:
	s_or_b32 exec_lo, exec_lo, s0
	s_and_saveexec_b32 s0, vcc_lo
	s_cbranch_execz .LBB145_24
; %bb.23:
	s_waitcnt lgkmcnt(0)
	ds_bpermute_b32 v3, v4, v1
	ds_bpermute_b32 v4, v4, v2
	s_waitcnt lgkmcnt(0)
	v_dual_add_f32 v1, v1, v3 :: v_dual_add_f32 v2, v2, v4
	ds_bpermute_b32 v3, v6, v1
	ds_bpermute_b32 v4, v6, v2
	s_waitcnt lgkmcnt(0)
	v_dual_add_f32 v1, v1, v3 :: v_dual_add_f32 v2, v2, v4
	;; [unrolled: 4-line block ×5, first 2 shown]
.LBB145_24:
	s_or_b32 exec_lo, exec_lo, s0
	s_delay_alu instid0(SALU_CYCLE_1)
	s_mov_b32 s0, exec_lo
	v_cmpx_eq_u32_e32 0, v0
	s_cbranch_execz .LBB145_28
; %bb.25:
	v_cmp_neq_f32_e64 s0, s2, 0
	v_cmp_neq_f32_e64 s4, s3, 0
	s_waitcnt lgkmcnt(0)
	v_mul_f32_e32 v0, s13, v2
	v_mul_f32_e32 v4, s12, v2
	s_mul_hi_u32 s5, s14, s8
	s_mul_i32 s1, s1, s8
	s_or_b32 s0, s0, s4
	s_mul_i32 s4, s14, s9
	v_fma_f32 v3, v1, s12, -v0
	v_fmac_f32_e32 v4, s13, v1
	s_add_i32 s4, s5, s4
	s_and_not1_b32 vcc_lo, exec_lo, s0
	s_add_i32 s1, s4, s1
	s_mul_i32 s0, s14, s8
	s_cbranch_vccnz .LBB145_27
; %bb.26:
	s_lshl_b64 s[4:5], s[0:1], 3
	v_mov_b32_e32 v0, 0
	s_add_u32 s4, s33, s4
	s_addc_u32 s5, s34, s5
	global_load_b64 v[0:1], v0, s[4:5]
	s_waitcnt vmcnt(0)
	v_mul_f32_e32 v2, s3, v1
	v_mul_f32_e32 v1, s2, v1
	s_delay_alu instid0(VALU_DEP_1) | instskip(NEXT) | instid1(VALU_DEP_3)
	v_fmac_f32_e32 v1, s3, v0
	v_fma_f32 v2, s2, v0, -v2
	s_delay_alu instid0(VALU_DEP_1)
	v_dual_add_f32 v4, v4, v1 :: v_dual_add_f32 v3, v3, v2
.LBB145_27:
	s_lshl_b64 s[0:1], s[0:1], 3
	v_mov_b32_e32 v0, 0
	s_add_u32 s0, s33, s0
	s_addc_u32 s1, s34, s1
	global_store_b64 v0, v[3:4], s[0:1]
.LBB145_28:
	s_nop 0
	s_sendmsg sendmsg(MSG_DEALLOC_VGPRS)
	s_endpgm
	.section	.rodata,"a",@progbits
	.p2align	6, 0x0
	.amdhsa_kernel _ZL32rocblas_gemvt_warp_reduce_kernelILb1ELi1024El19rocblas_complex_numIfES1_S1_EviiT3_lPKT2_lT1_lS5_lS6_lS2_lPT4_lS6_li
		.amdhsa_group_segment_fixed_size 256
		.amdhsa_private_segment_fixed_size 0
		.amdhsa_kernarg_size 140
		.amdhsa_user_sgpr_count 14
		.amdhsa_user_sgpr_dispatch_ptr 0
		.amdhsa_user_sgpr_queue_ptr 0
		.amdhsa_user_sgpr_kernarg_segment_ptr 1
		.amdhsa_user_sgpr_dispatch_id 0
		.amdhsa_user_sgpr_private_segment_size 0
		.amdhsa_wavefront_size32 1
		.amdhsa_uses_dynamic_stack 0
		.amdhsa_enable_private_segment 0
		.amdhsa_system_sgpr_workgroup_id_x 1
		.amdhsa_system_sgpr_workgroup_id_y 0
		.amdhsa_system_sgpr_workgroup_id_z 1
		.amdhsa_system_sgpr_workgroup_info 0
		.amdhsa_system_vgpr_workitem_id 0
		.amdhsa_next_free_vgpr 14
		.amdhsa_next_free_sgpr 38
		.amdhsa_reserve_vcc 1
		.amdhsa_float_round_mode_32 0
		.amdhsa_float_round_mode_16_64 0
		.amdhsa_float_denorm_mode_32 3
		.amdhsa_float_denorm_mode_16_64 3
		.amdhsa_dx10_clamp 1
		.amdhsa_ieee_mode 1
		.amdhsa_fp16_overflow 0
		.amdhsa_workgroup_processor_mode 1
		.amdhsa_memory_ordered 1
		.amdhsa_forward_progress 0
		.amdhsa_shared_vgpr_count 0
		.amdhsa_exception_fp_ieee_invalid_op 0
		.amdhsa_exception_fp_denorm_src 0
		.amdhsa_exception_fp_ieee_div_zero 0
		.amdhsa_exception_fp_ieee_overflow 0
		.amdhsa_exception_fp_ieee_underflow 0
		.amdhsa_exception_fp_ieee_inexact 0
		.amdhsa_exception_int_div_zero 0
	.end_amdhsa_kernel
	.section	.text._ZL32rocblas_gemvt_warp_reduce_kernelILb1ELi1024El19rocblas_complex_numIfES1_S1_EviiT3_lPKT2_lT1_lS5_lS6_lS2_lPT4_lS6_li,"axG",@progbits,_ZL32rocblas_gemvt_warp_reduce_kernelILb1ELi1024El19rocblas_complex_numIfES1_S1_EviiT3_lPKT2_lT1_lS5_lS6_lS2_lPT4_lS6_li,comdat
.Lfunc_end145:
	.size	_ZL32rocblas_gemvt_warp_reduce_kernelILb1ELi1024El19rocblas_complex_numIfES1_S1_EviiT3_lPKT2_lT1_lS5_lS6_lS2_lPT4_lS6_li, .Lfunc_end145-_ZL32rocblas_gemvt_warp_reduce_kernelILb1ELi1024El19rocblas_complex_numIfES1_S1_EviiT3_lPKT2_lT1_lS5_lS6_lS2_lPT4_lS6_li
                                        ; -- End function
	.section	.AMDGPU.csdata,"",@progbits
; Kernel info:
; codeLenInByte = 1860
; NumSgprs: 40
; NumVgprs: 14
; ScratchSize: 0
; MemoryBound: 0
; FloatMode: 240
; IeeeMode: 1
; LDSByteSize: 256 bytes/workgroup (compile time only)
; SGPRBlocks: 4
; VGPRBlocks: 1
; NumSGPRsForWavesPerEU: 40
; NumVGPRsForWavesPerEU: 14
; Occupancy: 16
; WaveLimiterHint : 1
; COMPUTE_PGM_RSRC2:SCRATCH_EN: 0
; COMPUTE_PGM_RSRC2:USER_SGPR: 14
; COMPUTE_PGM_RSRC2:TRAP_HANDLER: 0
; COMPUTE_PGM_RSRC2:TGID_X_EN: 1
; COMPUTE_PGM_RSRC2:TGID_Y_EN: 0
; COMPUTE_PGM_RSRC2:TGID_Z_EN: 1
; COMPUTE_PGM_RSRC2:TIDIG_COMP_CNT: 0
	.section	.text._ZL34rocblas_gemvn_sm_mn_batched_kernelILi32ELi24E19rocblas_complex_numIdEPKS1_S1_EviiT2_lPKT1_lilS7_lilS4_lPT3_lili,"axG",@progbits,_ZL34rocblas_gemvn_sm_mn_batched_kernelILi32ELi24E19rocblas_complex_numIdEPKS1_S1_EviiT2_lPKT1_lilS7_lilS4_lPT3_lili,comdat
	.globl	_ZL34rocblas_gemvn_sm_mn_batched_kernelILi32ELi24E19rocblas_complex_numIdEPKS1_S1_EviiT2_lPKT1_lilS7_lilS4_lPT3_lili ; -- Begin function _ZL34rocblas_gemvn_sm_mn_batched_kernelILi32ELi24E19rocblas_complex_numIdEPKS1_S1_EviiT2_lPKT1_lilS7_lilS4_lPT3_lili
	.p2align	8
	.type	_ZL34rocblas_gemvn_sm_mn_batched_kernelILi32ELi24E19rocblas_complex_numIdEPKS1_S1_EviiT2_lPKT1_lilS7_lilS4_lPT3_lili,@function
_ZL34rocblas_gemvn_sm_mn_batched_kernelILi32ELi24E19rocblas_complex_numIdEPKS1_S1_EviiT2_lPKT1_lilS7_lilS4_lPT3_lili: ; @_ZL34rocblas_gemvn_sm_mn_batched_kernelILi32ELi24E19rocblas_complex_numIdEPKS1_S1_EviiT2_lPKT1_lilS7_lilS4_lPT3_lili
; %bb.0:
	s_endpgm
	.section	.rodata,"a",@progbits
	.p2align	6, 0x0
	.amdhsa_kernel _ZL34rocblas_gemvn_sm_mn_batched_kernelILi32ELi24E19rocblas_complex_numIdEPKS1_S1_EviiT2_lPKT1_lilS7_lilS4_lPT3_lili
		.amdhsa_group_segment_fixed_size 0
		.amdhsa_private_segment_fixed_size 0
		.amdhsa_kernarg_size 140
		.amdhsa_user_sgpr_count 15
		.amdhsa_user_sgpr_dispatch_ptr 0
		.amdhsa_user_sgpr_queue_ptr 0
		.amdhsa_user_sgpr_kernarg_segment_ptr 1
		.amdhsa_user_sgpr_dispatch_id 0
		.amdhsa_user_sgpr_private_segment_size 0
		.amdhsa_wavefront_size32 1
		.amdhsa_uses_dynamic_stack 0
		.amdhsa_enable_private_segment 0
		.amdhsa_system_sgpr_workgroup_id_x 1
		.amdhsa_system_sgpr_workgroup_id_y 0
		.amdhsa_system_sgpr_workgroup_id_z 0
		.amdhsa_system_sgpr_workgroup_info 0
		.amdhsa_system_vgpr_workitem_id 0
		.amdhsa_next_free_vgpr 1
		.amdhsa_next_free_sgpr 1
		.amdhsa_reserve_vcc 0
		.amdhsa_float_round_mode_32 0
		.amdhsa_float_round_mode_16_64 0
		.amdhsa_float_denorm_mode_32 3
		.amdhsa_float_denorm_mode_16_64 3
		.amdhsa_dx10_clamp 1
		.amdhsa_ieee_mode 1
		.amdhsa_fp16_overflow 0
		.amdhsa_workgroup_processor_mode 1
		.amdhsa_memory_ordered 1
		.amdhsa_forward_progress 0
		.amdhsa_shared_vgpr_count 0
		.amdhsa_exception_fp_ieee_invalid_op 0
		.amdhsa_exception_fp_denorm_src 0
		.amdhsa_exception_fp_ieee_div_zero 0
		.amdhsa_exception_fp_ieee_overflow 0
		.amdhsa_exception_fp_ieee_underflow 0
		.amdhsa_exception_fp_ieee_inexact 0
		.amdhsa_exception_int_div_zero 0
	.end_amdhsa_kernel
	.section	.text._ZL34rocblas_gemvn_sm_mn_batched_kernelILi32ELi24E19rocblas_complex_numIdEPKS1_S1_EviiT2_lPKT1_lilS7_lilS4_lPT3_lili,"axG",@progbits,_ZL34rocblas_gemvn_sm_mn_batched_kernelILi32ELi24E19rocblas_complex_numIdEPKS1_S1_EviiT2_lPKT1_lilS7_lilS4_lPT3_lili,comdat
.Lfunc_end146:
	.size	_ZL34rocblas_gemvn_sm_mn_batched_kernelILi32ELi24E19rocblas_complex_numIdEPKS1_S1_EviiT2_lPKT1_lilS7_lilS4_lPT3_lili, .Lfunc_end146-_ZL34rocblas_gemvn_sm_mn_batched_kernelILi32ELi24E19rocblas_complex_numIdEPKS1_S1_EviiT2_lPKT1_lilS7_lilS4_lPT3_lili
                                        ; -- End function
	.section	.AMDGPU.csdata,"",@progbits
; Kernel info:
; codeLenInByte = 4
; NumSgprs: 0
; NumVgprs: 0
; ScratchSize: 0
; MemoryBound: 0
; FloatMode: 240
; IeeeMode: 1
; LDSByteSize: 0 bytes/workgroup (compile time only)
; SGPRBlocks: 0
; VGPRBlocks: 0
; NumSGPRsForWavesPerEU: 1
; NumVGPRsForWavesPerEU: 1
; Occupancy: 12
; WaveLimiterHint : 0
; COMPUTE_PGM_RSRC2:SCRATCH_EN: 0
; COMPUTE_PGM_RSRC2:USER_SGPR: 15
; COMPUTE_PGM_RSRC2:TRAP_HANDLER: 0
; COMPUTE_PGM_RSRC2:TGID_X_EN: 1
; COMPUTE_PGM_RSRC2:TGID_Y_EN: 0
; COMPUTE_PGM_RSRC2:TGID_Z_EN: 0
; COMPUTE_PGM_RSRC2:TIDIG_COMP_CNT: 0
	.section	.text._ZL34rocblas_gemvn_sm_mn_batched_kernelILi32ELi24E19rocblas_complex_numIdES1_S1_EviiT2_lPKT1_lilS5_lilS2_lPT3_lili,"axG",@progbits,_ZL34rocblas_gemvn_sm_mn_batched_kernelILi32ELi24E19rocblas_complex_numIdES1_S1_EviiT2_lPKT1_lilS5_lilS2_lPT3_lili,comdat
	.globl	_ZL34rocblas_gemvn_sm_mn_batched_kernelILi32ELi24E19rocblas_complex_numIdES1_S1_EviiT2_lPKT1_lilS5_lilS2_lPT3_lili ; -- Begin function _ZL34rocblas_gemvn_sm_mn_batched_kernelILi32ELi24E19rocblas_complex_numIdES1_S1_EviiT2_lPKT1_lilS5_lilS2_lPT3_lili
	.p2align	8
	.type	_ZL34rocblas_gemvn_sm_mn_batched_kernelILi32ELi24E19rocblas_complex_numIdES1_S1_EviiT2_lPKT1_lilS5_lilS2_lPT3_lili,@function
_ZL34rocblas_gemvn_sm_mn_batched_kernelILi32ELi24E19rocblas_complex_numIdES1_S1_EviiT2_lPKT1_lilS5_lilS2_lPT3_lili: ; @_ZL34rocblas_gemvn_sm_mn_batched_kernelILi32ELi24E19rocblas_complex_numIdES1_S1_EviiT2_lPKT1_lilS5_lilS2_lPT3_lili
; %bb.0:
	s_endpgm
	.section	.rodata,"a",@progbits
	.p2align	6, 0x0
	.amdhsa_kernel _ZL34rocblas_gemvn_sm_mn_batched_kernelILi32ELi24E19rocblas_complex_numIdES1_S1_EviiT2_lPKT1_lilS5_lilS2_lPT3_lili
		.amdhsa_group_segment_fixed_size 0
		.amdhsa_private_segment_fixed_size 0
		.amdhsa_kernarg_size 156
		.amdhsa_user_sgpr_count 15
		.amdhsa_user_sgpr_dispatch_ptr 0
		.amdhsa_user_sgpr_queue_ptr 0
		.amdhsa_user_sgpr_kernarg_segment_ptr 1
		.amdhsa_user_sgpr_dispatch_id 0
		.amdhsa_user_sgpr_private_segment_size 0
		.amdhsa_wavefront_size32 1
		.amdhsa_uses_dynamic_stack 0
		.amdhsa_enable_private_segment 0
		.amdhsa_system_sgpr_workgroup_id_x 1
		.amdhsa_system_sgpr_workgroup_id_y 0
		.amdhsa_system_sgpr_workgroup_id_z 0
		.amdhsa_system_sgpr_workgroup_info 0
		.amdhsa_system_vgpr_workitem_id 0
		.amdhsa_next_free_vgpr 1
		.amdhsa_next_free_sgpr 1
		.amdhsa_reserve_vcc 0
		.amdhsa_float_round_mode_32 0
		.amdhsa_float_round_mode_16_64 0
		.amdhsa_float_denorm_mode_32 3
		.amdhsa_float_denorm_mode_16_64 3
		.amdhsa_dx10_clamp 1
		.amdhsa_ieee_mode 1
		.amdhsa_fp16_overflow 0
		.amdhsa_workgroup_processor_mode 1
		.amdhsa_memory_ordered 1
		.amdhsa_forward_progress 0
		.amdhsa_shared_vgpr_count 0
		.amdhsa_exception_fp_ieee_invalid_op 0
		.amdhsa_exception_fp_denorm_src 0
		.amdhsa_exception_fp_ieee_div_zero 0
		.amdhsa_exception_fp_ieee_overflow 0
		.amdhsa_exception_fp_ieee_underflow 0
		.amdhsa_exception_fp_ieee_inexact 0
		.amdhsa_exception_int_div_zero 0
	.end_amdhsa_kernel
	.section	.text._ZL34rocblas_gemvn_sm_mn_batched_kernelILi32ELi24E19rocblas_complex_numIdES1_S1_EviiT2_lPKT1_lilS5_lilS2_lPT3_lili,"axG",@progbits,_ZL34rocblas_gemvn_sm_mn_batched_kernelILi32ELi24E19rocblas_complex_numIdES1_S1_EviiT2_lPKT1_lilS5_lilS2_lPT3_lili,comdat
.Lfunc_end147:
	.size	_ZL34rocblas_gemvn_sm_mn_batched_kernelILi32ELi24E19rocblas_complex_numIdES1_S1_EviiT2_lPKT1_lilS5_lilS2_lPT3_lili, .Lfunc_end147-_ZL34rocblas_gemvn_sm_mn_batched_kernelILi32ELi24E19rocblas_complex_numIdES1_S1_EviiT2_lPKT1_lilS5_lilS2_lPT3_lili
                                        ; -- End function
	.section	.AMDGPU.csdata,"",@progbits
; Kernel info:
; codeLenInByte = 4
; NumSgprs: 0
; NumVgprs: 0
; ScratchSize: 0
; MemoryBound: 0
; FloatMode: 240
; IeeeMode: 1
; LDSByteSize: 0 bytes/workgroup (compile time only)
; SGPRBlocks: 0
; VGPRBlocks: 0
; NumSGPRsForWavesPerEU: 1
; NumVGPRsForWavesPerEU: 1
; Occupancy: 12
; WaveLimiterHint : 0
; COMPUTE_PGM_RSRC2:SCRATCH_EN: 0
; COMPUTE_PGM_RSRC2:USER_SGPR: 15
; COMPUTE_PGM_RSRC2:TRAP_HANDLER: 0
; COMPUTE_PGM_RSRC2:TGID_X_EN: 1
; COMPUTE_PGM_RSRC2:TGID_Y_EN: 0
; COMPUTE_PGM_RSRC2:TGID_Z_EN: 0
; COMPUTE_PGM_RSRC2:TIDIG_COMP_CNT: 0
	.section	.text._ZL20rocblas_gemvn_kernelILi64ELi4Ei19rocblas_complex_numIdEPKS1_S1_EviiT3_lPKT2_lT1_lS7_lS8_lS4_lPT4_lS8_li,"axG",@progbits,_ZL20rocblas_gemvn_kernelILi64ELi4Ei19rocblas_complex_numIdEPKS1_S1_EviiT3_lPKT2_lT1_lS7_lS8_lS4_lPT4_lS8_li,comdat
	.globl	_ZL20rocblas_gemvn_kernelILi64ELi4Ei19rocblas_complex_numIdEPKS1_S1_EviiT3_lPKT2_lT1_lS7_lS8_lS4_lPT4_lS8_li ; -- Begin function _ZL20rocblas_gemvn_kernelILi64ELi4Ei19rocblas_complex_numIdEPKS1_S1_EviiT3_lPKT2_lT1_lS7_lS8_lS4_lPT4_lS8_li
	.p2align	8
	.type	_ZL20rocblas_gemvn_kernelILi64ELi4Ei19rocblas_complex_numIdEPKS1_S1_EviiT3_lPKT2_lT1_lS7_lS8_lS4_lPT4_lS8_li,@function
_ZL20rocblas_gemvn_kernelILi64ELi4Ei19rocblas_complex_numIdEPKS1_S1_EviiT3_lPKT2_lT1_lS7_lS8_lS4_lPT4_lS8_li: ; @_ZL20rocblas_gemvn_kernelILi64ELi4Ei19rocblas_complex_numIdEPKS1_S1_EviiT3_lPKT2_lT1_lS7_lS8_lS4_lPT4_lS8_li
; %bb.0:
	s_load_b64 s[2:3], s[0:1], 0x9c
	s_waitcnt lgkmcnt(0)
	s_lshr_b32 s4, s2, 16
	s_and_b32 s2, s2, 0xffff
	s_and_b32 s3, s3, 0xffff
	s_mul_i32 s4, s4, s2
	s_delay_alu instid0(SALU_CYCLE_1) | instskip(NEXT) | instid1(SALU_CYCLE_1)
	s_mul_i32 s4, s4, s3
	s_cmpk_lg_i32 s4, 0x100
	s_cbranch_scc1 .LBB148_34
; %bb.1:
	s_load_b256 s[4:11], s[0:1], 0x8
	s_waitcnt lgkmcnt(0)
	s_mul_i32 s3, s15, s7
	s_mul_hi_u32 s7, s15, s6
	s_mul_i32 s6, s15, s6
	s_add_i32 s7, s7, s3
	s_delay_alu instid0(SALU_CYCLE_1) | instskip(NEXT) | instid1(SALU_CYCLE_1)
	s_lshl_b64 s[6:7], s[6:7], 4
	s_add_u32 s4, s4, s6
	s_addc_u32 s5, s5, s7
	s_load_b128 s[4:7], s[4:5], 0x0
	s_load_b256 s[16:23], s[0:1], 0x50
	s_waitcnt lgkmcnt(0)
	v_cmp_neq_f64_e64 s3, s[4:5], 0
	v_cmp_neq_f64_e64 s28, s[6:7], 0
	s_mul_i32 s12, s15, s21
	s_mul_hi_u32 s13, s15, s20
	s_delay_alu instid0(SALU_CYCLE_1) | instskip(SKIP_1) | instid1(SALU_CYCLE_1)
	s_add_i32 s13, s13, s12
	s_mul_i32 s12, s15, s20
	s_lshl_b64 s[12:13], s[12:13], 4
	s_delay_alu instid0(SALU_CYCLE_1) | instskip(SKIP_3) | instid1(VALU_DEP_1)
	s_add_u32 s12, s18, s12
	s_addc_u32 s13, s19, s13
	s_load_b128 s[24:27], s[12:13], 0x0
	s_mov_b32 s12, -1
	s_or_b32 s3, s3, s28
	s_delay_alu instid0(SALU_CYCLE_1)
	s_and_b32 vcc_lo, exec_lo, s3
	s_cbranch_vccnz .LBB148_3
; %bb.2:
	s_waitcnt lgkmcnt(0)
	v_cmp_neq_f64_e64 s12, s[24:25], 1.0
	v_cmp_neq_f64_e64 s13, s[26:27], 0
	s_delay_alu instid0(VALU_DEP_1)
	s_or_b32 s12, s12, s13
.LBB148_3:
	s_delay_alu instid0(SALU_CYCLE_1)
	s_and_not1_b32 vcc_lo, exec_lo, s12
	s_cbranch_vccnz .LBB148_34
; %bb.4:
	s_clause 0x3
	s_load_b64 s[20:21], s[0:1], 0x80
	s_load_b64 s[28:29], s[0:1], 0x70
	s_load_b32 s19, s[0:1], 0x78
	s_load_b64 s[12:13], s[0:1], 0x0
	v_and_b32_e32 v1, 0x3ff, v0
	v_bfe_u32 v0, v0, 10, 10
	s_xor_b32 s30, s3, -1
	s_delay_alu instid0(VALU_DEP_1)
	v_mad_u32_u24 v10, v0, s2, v1
	s_waitcnt lgkmcnt(0)
	s_mul_i32 s3, s15, s21
	s_mul_hi_u32 s18, s15, s20
	s_mul_i32 s20, s15, s20
	s_add_i32 s21, s18, s3
	s_delay_alu instid0(SALU_CYCLE_1) | instskip(NEXT) | instid1(SALU_CYCLE_1)
	s_lshl_b64 s[2:3], s[20:21], 4
	s_add_u32 s18, s22, s2
	s_addc_u32 s22, s23, s3
	s_lshl_b64 s[20:21], s[28:29], 4
	v_cmp_gt_u32_e64 s2, 64, v10
	s_add_u32 s3, s18, s20
	s_addc_u32 s18, s22, s21
	s_and_not1_b32 vcc_lo, exec_lo, s30
	s_mov_b32 s20, 0
	s_cbranch_vccnz .LBB148_11
; %bb.5:
	s_mov_b32 s21, 0
                                        ; implicit-def: $vgpr2_vgpr3
                                        ; implicit-def: $vgpr8_vgpr9
	s_and_saveexec_b32 s22, s2
	s_cbranch_execz .LBB148_12
; %bb.6:
	v_lshl_or_b32 v0, s14, 6, v10
	v_mov_b32_e32 v1, 0
	s_ashr_i32 s29, s12, 31
	s_mov_b32 s28, s12
	s_mov_b32 s2, exec_lo
                                        ; implicit-def: $vgpr2_vgpr3
                                        ; implicit-def: $vgpr8_vgpr9
	s_delay_alu instid0(VALU_DEP_1)
	v_cmpx_gt_i64_e64 s[28:29], v[0:1]
	s_cbranch_execz .LBB148_10
; %bb.7:
	v_cmp_neq_f64_e64 s20, s[24:25], 0
	v_cmp_neq_f64_e64 s23, s[26:27], 0
	v_mad_u64_u32 v[8:9], null, v0, s19, 0
	s_ashr_i32 s28, s19, 31
	s_delay_alu instid0(VALU_DEP_1) | instskip(NEXT) | instid1(VALU_DEP_1)
	v_mov_b32_e32 v1, v9
	v_mad_u64_u32 v[4:5], null, v0, s28, v[1:2]
	v_mov_b32_e32 v2, 0
	v_mov_b32_e32 v3, 0
	s_delay_alu instid0(VALU_DEP_2) | instskip(NEXT) | instid1(VALU_DEP_2)
	v_dual_mov_b32 v0, v2 :: v_dual_mov_b32 v9, v4
	v_mov_b32_e32 v1, v3
	s_or_b32 s20, s20, s23
	s_delay_alu instid0(SALU_CYCLE_1)
	s_and_not1_b32 vcc_lo, exec_lo, s20
	s_cbranch_vccnz .LBB148_9
; %bb.8:
	v_lshlrev_b64 v[0:1], 4, v[8:9]
	s_delay_alu instid0(VALU_DEP_1) | instskip(NEXT) | instid1(VALU_DEP_2)
	v_add_co_u32 v0, vcc_lo, s3, v0
	v_add_co_ci_u32_e32 v1, vcc_lo, s18, v1, vcc_lo
	global_load_b128 v[2:5], v[0:1], off
	s_waitcnt vmcnt(0)
	v_mul_f64 v[0:1], s[26:27], v[4:5]
	v_mul_f64 v[4:5], s[24:25], v[4:5]
	s_delay_alu instid0(VALU_DEP_2) | instskip(NEXT) | instid1(VALU_DEP_2)
	v_fma_f64 v[0:1], s[24:25], v[2:3], -v[0:1]
	v_fma_f64 v[2:3], s[26:27], v[2:3], v[4:5]
.LBB148_9:
	s_mov_b32 s20, exec_lo
.LBB148_10:
	s_or_b32 exec_lo, exec_lo, s2
	s_delay_alu instid0(SALU_CYCLE_1) | instskip(SKIP_1) | instid1(SALU_CYCLE_1)
	s_and_b32 s20, s20, exec_lo
	s_or_b32 exec_lo, exec_lo, s22
	s_and_b32 vcc_lo, exec_lo, s21
	s_cbranch_vccnz .LBB148_13
	s_branch .LBB148_32
.LBB148_11:
                                        ; implicit-def: $vgpr2_vgpr3
                                        ; implicit-def: $vgpr8_vgpr9
	s_cbranch_execnz .LBB148_13
	s_branch .LBB148_32
.LBB148_12:
	s_or_b32 exec_lo, exec_lo, s22
	s_delay_alu instid0(SALU_CYCLE_1)
	s_and_b32 vcc_lo, exec_lo, s21
	s_cbranch_vccz .LBB148_32
.LBB148_13:
	s_clause 0x1
	s_load_b128 s[28:31], s[0:1], 0x30
	s_load_b64 s[22:23], s[0:1], 0x40
	s_mul_i32 s17, s15, s17
	v_dual_mov_b32 v2, 0 :: v_dual_and_b32 v5, 63, v10
	v_mov_b32_e32 v3, 0
	v_lshrrev_b32_e32 v8, 6, v10
	s_delay_alu instid0(VALU_DEP_2)
	v_dual_mov_b32 v0, v2 :: v_dual_mov_b32 v1, v3
	s_waitcnt lgkmcnt(0)
	s_mul_i32 s2, s15, s29
	s_mul_hi_u32 s21, s15, s28
	s_mul_i32 s28, s15, s28
	s_add_i32 s29, s21, s2
	s_mul_hi_u32 s21, s15, s16
	s_lshl_b64 s[28:29], s[28:29], 4
	s_delay_alu instid0(SALU_CYCLE_1)
	s_add_u32 s2, s8, s28
	s_addc_u32 s28, s9, s29
	s_lshl_b64 s[8:9], s[10:11], 4
	s_mul_i32 s10, s15, s16
	s_add_u32 s2, s2, s8
	s_addc_u32 s8, s28, s9
	s_add_i32 s11, s21, s17
	s_load_b32 s9, s[0:1], 0x28
	s_lshl_b64 s[16:17], s[10:11], 4
	s_load_b32 s10, s[0:1], 0x48
	s_add_u32 s11, s30, s16
	s_addc_u32 s15, s31, s17
	s_lshl_b64 s[0:1], s[22:23], 4
	s_mov_b32 s16, exec_lo
	s_add_u32 s11, s11, s0
	s_addc_u32 s15, s15, s1
	s_ashr_i32 s0, s13, 31
	s_lshl_b32 s1, s14, 6
	s_lshr_b32 s0, s0, 30
	v_or_b32_e32 v9, s1, v5
	s_add_i32 s0, s13, s0
	s_delay_alu instid0(SALU_CYCLE_1) | instskip(NEXT) | instid1(SALU_CYCLE_1)
	s_and_b32 s14, s0, -4
	v_cmpx_gt_i32_e64 s14, v8
	s_cbranch_execz .LBB148_19
; %bb.14:
	s_waitcnt lgkmcnt(0)
	v_mul_lo_u32 v0, s9, v8
	v_mov_b32_e32 v2, 0
	v_mov_b32_e32 v3, 0
	v_mul_lo_u32 v4, s10, v8
	v_cmp_gt_i32_e32 vcc_lo, s12, v9
	s_lshl_b32 s17, s10, 2
	s_lshl_b32 s22, s9, 2
	s_mov_b32 s21, 0
	v_add3_u32 v6, v0, s1, v5
	v_dual_mov_b32 v0, v2 :: v_dual_mov_b32 v1, v3
	s_set_inst_prefetch_distance 0x1
	s_branch .LBB148_16
	.p2align	6
.LBB148_15:                             ;   in Loop: Header=BB148_16 Depth=1
	s_or_b32 exec_lo, exec_lo, s23
	v_add_nc_u32_e32 v8, 4, v8
	v_add_nc_u32_e32 v4, s17, v4
	;; [unrolled: 1-line block ×3, first 2 shown]
	s_delay_alu instid0(VALU_DEP_3) | instskip(NEXT) | instid1(VALU_DEP_1)
	v_cmp_le_i32_e64 s0, s14, v8
	s_or_b32 s21, s0, s21
	s_delay_alu instid0(SALU_CYCLE_1)
	s_and_not1_b32 exec_lo, exec_lo, s21
	s_cbranch_execz .LBB148_18
.LBB148_16:                             ; =>This Inner Loop Header: Depth=1
	s_and_saveexec_b32 s23, vcc_lo
	s_cbranch_execz .LBB148_15
; %bb.17:                               ;   in Loop: Header=BB148_16 Depth=1
	v_ashrrev_i32_e32 v5, 31, v4
	v_ashrrev_i32_e32 v7, 31, v6
	s_delay_alu instid0(VALU_DEP_2) | instskip(NEXT) | instid1(VALU_DEP_2)
	v_lshlrev_b64 v[11:12], 4, v[4:5]
	v_lshlrev_b64 v[13:14], 4, v[6:7]
	s_delay_alu instid0(VALU_DEP_2) | instskip(NEXT) | instid1(VALU_DEP_1)
	v_add_co_u32 v11, s0, s11, v11
	v_add_co_ci_u32_e64 v12, s0, s15, v12, s0
	s_delay_alu instid0(VALU_DEP_3) | instskip(NEXT) | instid1(VALU_DEP_1)
	v_add_co_u32 v15, s0, s2, v13
	v_add_co_ci_u32_e64 v16, s0, s8, v14, s0
	global_load_b128 v[11:14], v[11:12], off
	global_load_b128 v[15:18], v[15:16], off
	s_waitcnt vmcnt(0)
	v_mul_f64 v[19:20], v[13:14], v[17:18]
	v_mul_f64 v[17:18], v[11:12], v[17:18]
	s_delay_alu instid0(VALU_DEP_2) | instskip(NEXT) | instid1(VALU_DEP_2)
	v_fma_f64 v[11:12], v[11:12], v[15:16], -v[19:20]
	v_fma_f64 v[13:14], v[13:14], v[15:16], v[17:18]
	s_delay_alu instid0(VALU_DEP_2) | instskip(NEXT) | instid1(VALU_DEP_2)
	v_add_f64 v[0:1], v[0:1], v[11:12]
	v_add_f64 v[2:3], v[2:3], v[13:14]
	s_branch .LBB148_15
.LBB148_18:
	s_set_inst_prefetch_distance 0x2
	s_or_b32 exec_lo, exec_lo, s21
.LBB148_19:
	s_delay_alu instid0(SALU_CYCLE_1) | instskip(SKIP_1) | instid1(SALU_CYCLE_1)
	s_or_b32 exec_lo, exec_lo, s16
	s_sub_i32 s0, s13, s14
	s_cmp_lt_i32 s0, 1
	s_cbranch_scc1 .LBB148_25
; %bb.20:
	v_mov_b32_e32 v4, 0
	v_mov_b32_e32 v5, 0
	v_cmp_gt_i32_e32 vcc_lo, s13, v8
	s_delay_alu instid0(VALU_DEP_2)
	v_dual_mov_b32 v7, v5 :: v_dual_mov_b32 v6, v4
	s_and_saveexec_b32 s13, vcc_lo
	s_cbranch_execz .LBB148_22
; %bb.21:
	s_waitcnt lgkmcnt(0)
	v_mul_lo_u32 v4, v8, s10
	s_delay_alu instid0(VALU_DEP_1) | instskip(NEXT) | instid1(VALU_DEP_1)
	v_ashrrev_i32_e32 v5, 31, v4
	v_lshlrev_b64 v[4:5], 4, v[4:5]
	s_delay_alu instid0(VALU_DEP_1) | instskip(NEXT) | instid1(VALU_DEP_1)
	v_add_co_u32 v4, s0, s11, v4
	v_add_co_ci_u32_e64 v5, s0, s15, v5, s0
	global_load_b128 v[4:7], v[4:5], off
.LBB148_22:
	s_or_b32 exec_lo, exec_lo, s13
	s_waitcnt lgkmcnt(0)
	s_mov_b32 s10, exec_lo
	v_cmpx_gt_i32_e64 s12, v9
	s_cbranch_execz .LBB148_24
; %bb.23:
	v_mul_lo_u32 v8, v8, s9
	s_delay_alu instid0(VALU_DEP_1) | instskip(NEXT) | instid1(VALU_DEP_1)
	v_cndmask_b32_e32 v8, 0, v8, vcc_lo
	v_add_nc_u32_e32 v8, v8, v9
	s_delay_alu instid0(VALU_DEP_1) | instskip(NEXT) | instid1(VALU_DEP_1)
	v_ashrrev_i32_e32 v9, 31, v8
	v_lshlrev_b64 v[8:9], 4, v[8:9]
	s_delay_alu instid0(VALU_DEP_1) | instskip(NEXT) | instid1(VALU_DEP_2)
	v_add_co_u32 v8, vcc_lo, s2, v8
	v_add_co_ci_u32_e32 v9, vcc_lo, s8, v9, vcc_lo
	global_load_b128 v[11:14], v[8:9], off
	s_waitcnt vmcnt(0)
	v_mul_f64 v[8:9], v[6:7], v[13:14]
	v_mul_f64 v[13:14], v[4:5], v[13:14]
	s_delay_alu instid0(VALU_DEP_2) | instskip(NEXT) | instid1(VALU_DEP_2)
	v_fma_f64 v[4:5], v[4:5], v[11:12], -v[8:9]
	v_fma_f64 v[6:7], v[6:7], v[11:12], v[13:14]
	s_delay_alu instid0(VALU_DEP_2) | instskip(NEXT) | instid1(VALU_DEP_2)
	v_add_f64 v[0:1], v[0:1], v[4:5]
	v_add_f64 v[2:3], v[2:3], v[6:7]
.LBB148_24:
	s_or_b32 exec_lo, exec_lo, s10
.LBB148_25:
	v_lshlrev_b32_e32 v11, 4, v10
	s_mov_b32 s0, exec_lo
                                        ; implicit-def: $vgpr8_vgpr9
	ds_store_b128 v11, v[0:3]
	s_waitcnt vmcnt(0) lgkmcnt(0)
	s_barrier
	buffer_gl0_inv
                                        ; implicit-def: $vgpr2_vgpr3
	v_cmpx_gt_u32_e32 64, v10
	s_cbranch_execz .LBB148_31
; %bb.26:
	ds_load_b128 v[0:3], v11
	ds_load_b128 v[4:7], v11 offset:1024
	v_or_b32_e32 v10, s1, v10
	s_mov_b32 s2, s20
	s_mov_b32 s1, exec_lo
	s_waitcnt lgkmcnt(0)
	v_add_f64 v[8:9], v[0:1], v[4:5]
	v_add_f64 v[12:13], v[2:3], v[6:7]
	ds_load_b128 v[0:3], v11 offset:2048
	ds_load_b128 v[4:7], v11 offset:3072
	s_waitcnt lgkmcnt(1)
	v_add_f64 v[0:1], v[8:9], v[0:1]
	v_add_f64 v[2:3], v[12:13], v[2:3]
                                        ; implicit-def: $vgpr8_vgpr9
	s_waitcnt lgkmcnt(0)
	s_delay_alu instid0(VALU_DEP_2) | instskip(NEXT) | instid1(VALU_DEP_2)
	v_add_f64 v[4:5], v[0:1], v[4:5]
	v_add_f64 v[6:7], v[2:3], v[6:7]
                                        ; implicit-def: $vgpr2_vgpr3
	ds_store_b128 v11, v[4:7]
	v_cmpx_gt_i32_e64 s12, v10
	s_cbranch_execz .LBB148_30
; %bb.27:
	v_mul_f64 v[0:1], s[6:7], v[6:7]
	v_mul_f64 v[2:3], s[4:5], v[6:7]
	v_cmp_neq_f64_e64 s2, s[24:25], 0
	v_cmp_neq_f64_e64 s8, s[26:27], 0
	v_mul_lo_u32 v8, v10, s19
	s_delay_alu instid0(VALU_DEP_1) | instskip(SKIP_3) | instid1(SALU_CYCLE_1)
	v_ashrrev_i32_e32 v9, 31, v8
	v_fma_f64 v[0:1], s[4:5], v[4:5], -v[0:1]
	v_fma_f64 v[2:3], s[6:7], v[4:5], v[2:3]
	s_or_b32 s2, s2, s8
	s_and_not1_b32 vcc_lo, exec_lo, s2
	s_cbranch_vccnz .LBB148_29
; %bb.28:
	v_lshlrev_b64 v[4:5], 4, v[8:9]
	s_delay_alu instid0(VALU_DEP_1) | instskip(NEXT) | instid1(VALU_DEP_2)
	v_add_co_u32 v4, vcc_lo, s3, v4
	v_add_co_ci_u32_e32 v5, vcc_lo, s18, v5, vcc_lo
	global_load_b128 v[4:7], v[4:5], off
	s_waitcnt vmcnt(0)
	v_mul_f64 v[10:11], s[26:27], v[6:7]
	v_mul_f64 v[6:7], s[24:25], v[6:7]
	s_delay_alu instid0(VALU_DEP_2) | instskip(NEXT) | instid1(VALU_DEP_2)
	v_fma_f64 v[10:11], s[24:25], v[4:5], -v[10:11]
	v_fma_f64 v[4:5], s[26:27], v[4:5], v[6:7]
	s_delay_alu instid0(VALU_DEP_2) | instskip(NEXT) | instid1(VALU_DEP_2)
	v_add_f64 v[0:1], v[0:1], v[10:11]
	v_add_f64 v[2:3], v[2:3], v[4:5]
.LBB148_29:
	s_or_b32 s2, s20, exec_lo
.LBB148_30:
	s_or_b32 exec_lo, exec_lo, s1
	s_delay_alu instid0(SALU_CYCLE_1) | instskip(SKIP_1) | instid1(SALU_CYCLE_1)
	s_and_not1_b32 s1, s20, exec_lo
	s_and_b32 s2, s2, exec_lo
	s_or_b32 s20, s1, s2
.LBB148_31:
	s_or_b32 exec_lo, exec_lo, s0
.LBB148_32:
	s_and_saveexec_b32 s0, s20
	s_cbranch_execz .LBB148_34
; %bb.33:
	v_lshlrev_b64 v[4:5], 4, v[8:9]
	s_delay_alu instid0(VALU_DEP_1) | instskip(NEXT) | instid1(VALU_DEP_2)
	v_add_co_u32 v4, vcc_lo, s3, v4
	v_add_co_ci_u32_e32 v5, vcc_lo, s18, v5, vcc_lo
	global_store_b128 v[4:5], v[0:3], off
.LBB148_34:
	s_nop 0
	s_sendmsg sendmsg(MSG_DEALLOC_VGPRS)
	s_endpgm
	.section	.rodata,"a",@progbits
	.p2align	6, 0x0
	.amdhsa_kernel _ZL20rocblas_gemvn_kernelILi64ELi4Ei19rocblas_complex_numIdEPKS1_S1_EviiT3_lPKT2_lT1_lS7_lS8_lS4_lPT4_lS8_li
		.amdhsa_group_segment_fixed_size 4096
		.amdhsa_private_segment_fixed_size 0
		.amdhsa_kernarg_size 400
		.amdhsa_user_sgpr_count 14
		.amdhsa_user_sgpr_dispatch_ptr 0
		.amdhsa_user_sgpr_queue_ptr 0
		.amdhsa_user_sgpr_kernarg_segment_ptr 1
		.amdhsa_user_sgpr_dispatch_id 0
		.amdhsa_user_sgpr_private_segment_size 0
		.amdhsa_wavefront_size32 1
		.amdhsa_uses_dynamic_stack 0
		.amdhsa_enable_private_segment 0
		.amdhsa_system_sgpr_workgroup_id_x 1
		.amdhsa_system_sgpr_workgroup_id_y 0
		.amdhsa_system_sgpr_workgroup_id_z 1
		.amdhsa_system_sgpr_workgroup_info 0
		.amdhsa_system_vgpr_workitem_id 1
		.amdhsa_next_free_vgpr 21
		.amdhsa_next_free_sgpr 32
		.amdhsa_reserve_vcc 1
		.amdhsa_float_round_mode_32 0
		.amdhsa_float_round_mode_16_64 0
		.amdhsa_float_denorm_mode_32 3
		.amdhsa_float_denorm_mode_16_64 3
		.amdhsa_dx10_clamp 1
		.amdhsa_ieee_mode 1
		.amdhsa_fp16_overflow 0
		.amdhsa_workgroup_processor_mode 1
		.amdhsa_memory_ordered 1
		.amdhsa_forward_progress 0
		.amdhsa_shared_vgpr_count 0
		.amdhsa_exception_fp_ieee_invalid_op 0
		.amdhsa_exception_fp_denorm_src 0
		.amdhsa_exception_fp_ieee_div_zero 0
		.amdhsa_exception_fp_ieee_overflow 0
		.amdhsa_exception_fp_ieee_underflow 0
		.amdhsa_exception_fp_ieee_inexact 0
		.amdhsa_exception_int_div_zero 0
	.end_amdhsa_kernel
	.section	.text._ZL20rocblas_gemvn_kernelILi64ELi4Ei19rocblas_complex_numIdEPKS1_S1_EviiT3_lPKT2_lT1_lS7_lS8_lS4_lPT4_lS8_li,"axG",@progbits,_ZL20rocblas_gemvn_kernelILi64ELi4Ei19rocblas_complex_numIdEPKS1_S1_EviiT3_lPKT2_lT1_lS7_lS8_lS4_lPT4_lS8_li,comdat
.Lfunc_end148:
	.size	_ZL20rocblas_gemvn_kernelILi64ELi4Ei19rocblas_complex_numIdEPKS1_S1_EviiT3_lPKT2_lT1_lS7_lS8_lS4_lPT4_lS8_li, .Lfunc_end148-_ZL20rocblas_gemvn_kernelILi64ELi4Ei19rocblas_complex_numIdEPKS1_S1_EviiT3_lPKT2_lT1_lS7_lS8_lS4_lPT4_lS8_li
                                        ; -- End function
	.section	.AMDGPU.csdata,"",@progbits
; Kernel info:
; codeLenInByte = 1780
; NumSgprs: 34
; NumVgprs: 21
; ScratchSize: 0
; MemoryBound: 1
; FloatMode: 240
; IeeeMode: 1
; LDSByteSize: 4096 bytes/workgroup (compile time only)
; SGPRBlocks: 4
; VGPRBlocks: 2
; NumSGPRsForWavesPerEU: 34
; NumVGPRsForWavesPerEU: 21
; Occupancy: 16
; WaveLimiterHint : 1
; COMPUTE_PGM_RSRC2:SCRATCH_EN: 0
; COMPUTE_PGM_RSRC2:USER_SGPR: 14
; COMPUTE_PGM_RSRC2:TRAP_HANDLER: 0
; COMPUTE_PGM_RSRC2:TGID_X_EN: 1
; COMPUTE_PGM_RSRC2:TGID_Y_EN: 0
; COMPUTE_PGM_RSRC2:TGID_Z_EN: 1
; COMPUTE_PGM_RSRC2:TIDIG_COMP_CNT: 1
	.section	.text._ZL20rocblas_gemvn_kernelILi64ELi4El19rocblas_complex_numIdEPKS1_S1_EviiT3_lPKT2_lT1_lS7_lS8_lS4_lPT4_lS8_li,"axG",@progbits,_ZL20rocblas_gemvn_kernelILi64ELi4El19rocblas_complex_numIdEPKS1_S1_EviiT3_lPKT2_lT1_lS7_lS8_lS4_lPT4_lS8_li,comdat
	.globl	_ZL20rocblas_gemvn_kernelILi64ELi4El19rocblas_complex_numIdEPKS1_S1_EviiT3_lPKT2_lT1_lS7_lS8_lS4_lPT4_lS8_li ; -- Begin function _ZL20rocblas_gemvn_kernelILi64ELi4El19rocblas_complex_numIdEPKS1_S1_EviiT3_lPKT2_lT1_lS7_lS8_lS4_lPT4_lS8_li
	.p2align	8
	.type	_ZL20rocblas_gemvn_kernelILi64ELi4El19rocblas_complex_numIdEPKS1_S1_EviiT3_lPKT2_lT1_lS7_lS8_lS4_lPT4_lS8_li,@function
_ZL20rocblas_gemvn_kernelILi64ELi4El19rocblas_complex_numIdEPKS1_S1_EviiT3_lPKT2_lT1_lS7_lS8_lS4_lPT4_lS8_li: ; @_ZL20rocblas_gemvn_kernelILi64ELi4El19rocblas_complex_numIdEPKS1_S1_EviiT3_lPKT2_lT1_lS7_lS8_lS4_lPT4_lS8_li
; %bb.0:
	s_load_b64 s[2:3], s[0:1], 0x9c
	s_waitcnt lgkmcnt(0)
	s_lshr_b32 s4, s2, 16
	s_and_b32 s12, s2, 0xffff
	s_and_b32 s2, s3, 0xffff
	s_mul_i32 s3, s4, s12
	s_delay_alu instid0(SALU_CYCLE_1) | instskip(NEXT) | instid1(SALU_CYCLE_1)
	s_mul_i32 s3, s3, s2
	s_cmpk_lg_i32 s3, 0x100
	s_cbranch_scc1 .LBB149_34
; %bb.1:
	s_load_b512 s[36:51], s[0:1], 0x8
	s_waitcnt lgkmcnt(0)
	s_mul_i32 s3, s15, s39
	s_mul_hi_u32 s4, s15, s38
	s_mul_i32 s2, s15, s38
	s_add_i32 s3, s4, s3
	s_delay_alu instid0(SALU_CYCLE_1) | instskip(NEXT) | instid1(SALU_CYCLE_1)
	s_lshl_b64 s[2:3], s[2:3], 4
	s_add_u32 s2, s36, s2
	s_addc_u32 s3, s37, s3
	s_load_b128 s[4:7], s[2:3], 0x0
	s_load_b512 s[16:31], s[0:1], 0x48
	s_waitcnt lgkmcnt(0)
	v_cmp_neq_f64_e64 s13, s[4:5], 0
	v_cmp_neq_f64_e64 s33, s[6:7], 0
	s_mul_i32 s2, s15, s23
	s_mul_hi_u32 s3, s15, s22
	s_delay_alu instid0(SALU_CYCLE_1) | instskip(SKIP_1) | instid1(SALU_CYCLE_1)
	s_add_i32 s3, s3, s2
	s_mul_i32 s2, s15, s22
	s_lshl_b64 s[2:3], s[2:3], 4
	s_delay_alu instid0(SALU_CYCLE_1) | instskip(SKIP_3) | instid1(VALU_DEP_1)
	s_add_u32 s2, s20, s2
	s_addc_u32 s3, s21, s3
	s_load_b128 s[8:11], s[2:3], 0x0
	s_mov_b32 s2, -1
	s_or_b32 s13, s13, s33
	s_delay_alu instid0(SALU_CYCLE_1)
	s_and_b32 vcc_lo, exec_lo, s13
	s_cbranch_vccnz .LBB149_3
; %bb.2:
	s_waitcnt lgkmcnt(0)
	v_cmp_neq_f64_e64 s2, s[8:9], 1.0
	v_cmp_neq_f64_e64 s3, s[10:11], 0
	s_delay_alu instid0(VALU_DEP_1)
	s_or_b32 s2, s2, s3
.LBB149_3:
	s_delay_alu instid0(SALU_CYCLE_1)
	s_and_not1_b32 vcc_lo, exec_lo, s2
	s_cbranch_vccnz .LBB149_34
; %bb.4:
	s_load_b64 s[2:3], s[0:1], 0x0
	v_and_b32_e32 v1, 0x3ff, v0
	v_bfe_u32 v0, v0, 10, 10
	s_mul_i32 s20, s15, s31
	s_mul_hi_u32 s21, s15, s30
	s_mul_i32 s0, s15, s30
	s_add_i32 s1, s21, s20
	v_mad_u32_u24 v10, v0, s12, v1
	s_lshl_b64 s[0:1], s[0:1], 4
	s_xor_b32 s13, s13, -1
	s_add_u32 s20, s24, s0
	s_addc_u32 s21, s25, s1
	s_lshl_b64 s[0:1], s[26:27], 4
	s_mov_b32 s24, 0
	s_add_u32 s22, s20, s0
	v_cmp_gt_u32_e64 s0, 64, v10
	s_addc_u32 s23, s21, s1
	s_and_not1_b32 vcc_lo, exec_lo, s13
	s_cbranch_vccnz .LBB149_11
; %bb.5:
	s_mov_b32 s1, 0
                                        ; implicit-def: $vgpr2_vgpr3
                                        ; implicit-def: $vgpr8_vgpr9
	s_and_saveexec_b32 s12, s0
	s_cbranch_execz .LBB149_12
; %bb.6:
	v_lshl_or_b32 v0, s14, 6, v10
	v_mov_b32_e32 v1, 0
	s_waitcnt lgkmcnt(0)
	s_ashr_i32 s21, s2, 31
	s_mov_b32 s20, s2
	s_mov_b32 s13, 0
	s_mov_b32 s0, exec_lo
                                        ; implicit-def: $vgpr2_vgpr3
                                        ; implicit-def: $vgpr8_vgpr9
	v_cmpx_gt_i64_e64 s[20:21], v[0:1]
	s_cbranch_execz .LBB149_10
; %bb.7:
	v_cmp_neq_f64_e64 s13, s[8:9], 0
	v_cmp_neq_f64_e64 s20, s[10:11], 0
	v_mad_u64_u32 v[8:9], null, v0, s28, 0
	s_delay_alu instid0(VALU_DEP_1) | instskip(NEXT) | instid1(VALU_DEP_1)
	v_mov_b32_e32 v1, v9
	v_mad_u64_u32 v[4:5], null, v0, s29, v[1:2]
	v_mov_b32_e32 v2, 0
	v_mov_b32_e32 v3, 0
	s_delay_alu instid0(VALU_DEP_2) | instskip(NEXT) | instid1(VALU_DEP_2)
	v_dual_mov_b32 v0, v2 :: v_dual_mov_b32 v9, v4
	v_mov_b32_e32 v1, v3
	s_or_b32 s13, s13, s20
	s_delay_alu instid0(SALU_CYCLE_1)
	s_and_not1_b32 vcc_lo, exec_lo, s13
	s_cbranch_vccnz .LBB149_9
; %bb.8:
	v_lshlrev_b64 v[0:1], 4, v[8:9]
	s_delay_alu instid0(VALU_DEP_1) | instskip(NEXT) | instid1(VALU_DEP_2)
	v_add_co_u32 v0, vcc_lo, s22, v0
	v_add_co_ci_u32_e32 v1, vcc_lo, s23, v1, vcc_lo
	global_load_b128 v[2:5], v[0:1], off
	s_waitcnt vmcnt(0)
	v_mul_f64 v[0:1], s[10:11], v[4:5]
	v_mul_f64 v[4:5], s[8:9], v[4:5]
	s_delay_alu instid0(VALU_DEP_2) | instskip(NEXT) | instid1(VALU_DEP_2)
	v_fma_f64 v[0:1], s[8:9], v[2:3], -v[0:1]
	v_fma_f64 v[2:3], s[10:11], v[2:3], v[4:5]
.LBB149_9:
	s_mov_b32 s13, exec_lo
.LBB149_10:
	s_or_b32 exec_lo, exec_lo, s0
	s_delay_alu instid0(SALU_CYCLE_1) | instskip(SKIP_1) | instid1(SALU_CYCLE_1)
	s_and_b32 s24, s13, exec_lo
	s_or_b32 exec_lo, exec_lo, s12
	s_and_b32 vcc_lo, exec_lo, s1
	s_cbranch_vccnz .LBB149_13
	s_branch .LBB149_32
.LBB149_11:
                                        ; implicit-def: $vgpr2_vgpr3
                                        ; implicit-def: $vgpr8_vgpr9
	s_cbranch_execnz .LBB149_13
	s_branch .LBB149_32
.LBB149_12:
	s_or_b32 exec_lo, exec_lo, s12
	s_delay_alu instid0(SALU_CYCLE_1)
	s_and_b32 vcc_lo, exec_lo, s1
	s_cbranch_vccz .LBB149_32
.LBB149_13:
	v_mov_b32_e32 v2, 0
	v_dual_mov_b32 v3, 0 :: v_dual_and_b32 v4, 63, v10
	s_waitcnt lgkmcnt(0)
	s_ashr_i32 s12, s3, 31
	s_lshl_b32 s25, s14, 6
	s_mul_i32 s0, s15, s47
	s_mul_hi_u32 s1, s15, s46
	s_lshr_b32 s12, s12, 30
	v_lshrrev_b32_e32 v9, 6, v10
	v_or_b32_e32 v8, s25, v4
	v_dual_mov_b32 v0, v2 :: v_dual_mov_b32 v1, v3
	s_add_i32 s13, s1, s0
	s_mul_i32 s0, s15, s19
	s_mul_hi_u32 s1, s15, s18
	s_add_i32 s12, s3, s12
	s_add_i32 s19, s1, s0
	s_and_b32 s26, s12, -4
	s_mul_i32 s12, s15, s46
	s_mul_i32 s18, s15, s18
	s_mov_b32 s27, exec_lo
	v_cmpx_gt_i32_e64 s26, v9
	s_cbranch_execz .LBB149_19
; %bb.14:
	v_lshrrev_b32_e32 v14, 6, v10
	v_add_nc_u32_e32 v11, s25, v4
	s_lshl_b64 s[14:15], s[50:51], 4
	s_lshl_b64 s[0:1], s[18:19], 4
	s_add_u32 s14, s48, s14
	v_mad_u64_u32 v[0:1], null, s44, v14, 0
	v_mad_u64_u32 v[5:6], null, s16, v14, 0
	s_addc_u32 s15, s49, s15
	s_add_u32 s30, s14, s0
	s_addc_u32 s31, s15, s1
	s_lshl_b64 s[0:1], s[12:13], 4
	s_delay_alu instid0(VALU_DEP_2) | instskip(SKIP_1) | instid1(VALU_DEP_3)
	v_mad_u64_u32 v[12:13], null, s45, v14, v[1:2]
	v_mov_b32_e32 v2, 0
	v_dual_mov_b32 v3, 0 :: v_dual_mov_b32 v4, v6
	s_lshl_b64 s[20:21], s[42:43], 4
	s_lshl_b64 s[14:15], s[16:17], 6
	s_add_u32 s0, s20, s0
	s_delay_alu instid0(VALU_DEP_3) | instskip(SKIP_3) | instid1(VALU_DEP_3)
	v_mov_b32_e32 v1, v12
	v_mad_u64_u32 v[6:7], null, s17, v14, v[4:5]
	v_ashrrev_i32_e32 v12, 31, v11
	s_addc_u32 s1, s21, s1
	v_lshlrev_b64 v[0:1], 4, v[0:1]
	v_cmp_gt_i32_e32 vcc_lo, s2, v8
	s_lshl_b64 s[20:21], s[44:45], 6
	v_lshlrev_b64 v[11:12], 4, v[11:12]
	s_delay_alu instid0(VALU_DEP_3) | instskip(NEXT) | instid1(VALU_DEP_1)
	v_add_co_u32 v4, s0, s0, v0
	v_add_co_ci_u32_e64 v7, s0, s1, v1, s0
	v_lshlrev_b64 v[0:1], 4, v[5:6]
	s_delay_alu instid0(VALU_DEP_3) | instskip(NEXT) | instid1(VALU_DEP_1)
	v_add_co_u32 v4, s0, v4, v11
	v_add_co_ci_u32_e64 v5, s0, v7, v12, s0
	s_delay_alu instid0(VALU_DEP_3) | instskip(NEXT) | instid1(VALU_DEP_1)
	v_add_co_u32 v0, s0, s30, v0
	v_add_co_ci_u32_e64 v1, s0, s31, v1, s0
	s_delay_alu instid0(VALU_DEP_4) | instskip(NEXT) | instid1(VALU_DEP_1)
	v_add_co_u32 v6, s0, v4, s40
	v_add_co_ci_u32_e64 v7, s0, s41, v5, s0
	s_delay_alu instid0(VALU_DEP_4) | instskip(NEXT) | instid1(VALU_DEP_1)
	;; [unrolled: 3-line block ×3, first 2 shown]
	v_add_co_u32 v6, s0, v6, 8
	v_add_co_ci_u32_e64 v7, s0, 0, v7, s0
	v_dual_mov_b32 v0, v2 :: v_dual_mov_b32 v1, v3
	s_mov_b32 s30, 0
	s_set_inst_prefetch_distance 0x1
	s_branch .LBB149_16
	.p2align	6
.LBB149_15:                             ;   in Loop: Header=BB149_16 Depth=1
	s_or_b32 exec_lo, exec_lo, s0
	v_add_nc_u32_e32 v9, 4, v9
	v_add_co_u32 v4, s0, v4, s14
	s_delay_alu instid0(VALU_DEP_1) | instskip(NEXT) | instid1(VALU_DEP_3)
	v_add_co_ci_u32_e64 v5, s0, s15, v5, s0
	v_cmp_le_i32_e64 s0, s26, v9
	v_add_co_u32 v6, s1, v6, s20
	s_delay_alu instid0(VALU_DEP_1) | instskip(NEXT) | instid1(VALU_DEP_3)
	v_add_co_ci_u32_e64 v7, s1, s21, v7, s1
	s_or_b32 s30, s0, s30
	s_delay_alu instid0(SALU_CYCLE_1)
	s_and_not1_b32 exec_lo, exec_lo, s30
	s_cbranch_execz .LBB149_18
.LBB149_16:                             ; =>This Inner Loop Header: Depth=1
	s_and_saveexec_b32 s0, vcc_lo
	s_cbranch_execz .LBB149_15
; %bb.17:                               ;   in Loop: Header=BB149_16 Depth=1
	global_load_b128 v[11:14], v[4:5], off offset:-8
	global_load_b128 v[15:18], v[6:7], off offset:-8
	s_waitcnt vmcnt(0)
	v_mul_f64 v[19:20], v[13:14], v[17:18]
	v_mul_f64 v[17:18], v[11:12], v[17:18]
	s_delay_alu instid0(VALU_DEP_2) | instskip(NEXT) | instid1(VALU_DEP_2)
	v_fma_f64 v[11:12], v[11:12], v[15:16], -v[19:20]
	v_fma_f64 v[13:14], v[13:14], v[15:16], v[17:18]
	s_delay_alu instid0(VALU_DEP_2) | instskip(NEXT) | instid1(VALU_DEP_2)
	v_add_f64 v[0:1], v[0:1], v[11:12]
	v_add_f64 v[2:3], v[2:3], v[13:14]
	s_branch .LBB149_15
.LBB149_18:
	s_set_inst_prefetch_distance 0x2
	s_or_b32 exec_lo, exec_lo, s30
.LBB149_19:
	s_delay_alu instid0(SALU_CYCLE_1) | instskip(SKIP_1) | instid1(SALU_CYCLE_1)
	s_or_b32 exec_lo, exec_lo, s27
	s_sub_i32 s0, s3, s26
	s_cmp_lt_i32 s0, 1
	s_cbranch_scc1 .LBB149_25
; %bb.20:
	v_mov_b32_e32 v4, 0
	v_mov_b32_e32 v5, 0
	v_cmp_gt_i32_e32 vcc_lo, s3, v9
	s_delay_alu instid0(VALU_DEP_2)
	v_dual_mov_b32 v7, v5 :: v_dual_mov_b32 v6, v4
	s_and_saveexec_b32 s1, vcc_lo
	s_cbranch_execz .LBB149_22
; %bb.21:
	v_mad_u64_u32 v[4:5], null, v9, s16, 0
	s_lshl_b64 s[14:15], s[18:19], 4
	s_delay_alu instid0(SALU_CYCLE_1) | instskip(SKIP_2) | instid1(SALU_CYCLE_1)
	s_add_u32 s0, s48, s14
	s_addc_u32 s3, s49, s15
	s_lshl_b64 s[14:15], s[50:51], 4
	s_add_u32 s0, s0, s14
	s_delay_alu instid0(VALU_DEP_1) | instskip(SKIP_1) | instid1(VALU_DEP_1)
	v_mad_u64_u32 v[6:7], null, v9, s17, v[5:6]
	s_addc_u32 s3, s3, s15
	v_mov_b32_e32 v5, v6
	s_delay_alu instid0(VALU_DEP_1) | instskip(NEXT) | instid1(VALU_DEP_1)
	v_lshlrev_b64 v[4:5], 4, v[4:5]
	v_add_co_u32 v4, s0, s0, v4
	s_delay_alu instid0(VALU_DEP_1)
	v_add_co_ci_u32_e64 v5, s0, s3, v5, s0
	global_load_b128 v[4:7], v[4:5], off
.LBB149_22:
	s_or_b32 exec_lo, exec_lo, s1
	s_delay_alu instid0(SALU_CYCLE_1)
	s_mov_b32 s1, exec_lo
	v_cmpx_gt_i32_e64 s2, v8
	s_cbranch_execz .LBB149_24
; %bb.23:
	v_mad_u64_u32 v[11:12], null, v9, s44, 0
	s_lshl_b64 s[12:13], s[12:13], 4
	s_delay_alu instid0(SALU_CYCLE_1) | instskip(SKIP_2) | instid1(SALU_CYCLE_1)
	s_add_u32 s0, s40, s12
	s_addc_u32 s3, s41, s13
	s_lshl_b64 s[12:13], s[42:43], 4
	s_add_u32 s0, s0, s12
	s_delay_alu instid0(VALU_DEP_1) | instskip(NEXT) | instid1(VALU_DEP_2)
	v_mad_u64_u32 v[13:14], null, v9, s45, v[12:13]
	v_cndmask_b32_e32 v11, 0, v11, vcc_lo
	v_ashrrev_i32_e32 v9, 31, v8
	s_addc_u32 s3, s3, s13
	s_delay_alu instid0(VALU_DEP_3) | instskip(NEXT) | instid1(VALU_DEP_2)
	v_cndmask_b32_e32 v12, 0, v13, vcc_lo
	v_lshlrev_b64 v[8:9], 4, v[8:9]
	s_delay_alu instid0(VALU_DEP_2) | instskip(NEXT) | instid1(VALU_DEP_1)
	v_lshlrev_b64 v[11:12], 4, v[11:12]
	v_add_co_u32 v11, vcc_lo, s0, v11
	s_delay_alu instid0(VALU_DEP_2) | instskip(NEXT) | instid1(VALU_DEP_2)
	v_add_co_ci_u32_e32 v12, vcc_lo, s3, v12, vcc_lo
	v_add_co_u32 v8, vcc_lo, v11, v8
	s_delay_alu instid0(VALU_DEP_2) | instskip(SKIP_4) | instid1(VALU_DEP_2)
	v_add_co_ci_u32_e32 v9, vcc_lo, v12, v9, vcc_lo
	global_load_b128 v[11:14], v[8:9], off
	s_waitcnt vmcnt(0)
	v_mul_f64 v[8:9], v[6:7], v[13:14]
	v_mul_f64 v[13:14], v[4:5], v[13:14]
	v_fma_f64 v[4:5], v[4:5], v[11:12], -v[8:9]
	s_delay_alu instid0(VALU_DEP_2) | instskip(NEXT) | instid1(VALU_DEP_2)
	v_fma_f64 v[6:7], v[6:7], v[11:12], v[13:14]
	v_add_f64 v[0:1], v[0:1], v[4:5]
	s_delay_alu instid0(VALU_DEP_2)
	v_add_f64 v[2:3], v[2:3], v[6:7]
.LBB149_24:
	s_or_b32 exec_lo, exec_lo, s1
.LBB149_25:
	v_lshlrev_b32_e32 v11, 4, v10
	s_mov_b32 s0, exec_lo
                                        ; implicit-def: $vgpr8_vgpr9
	ds_store_b128 v11, v[0:3]
	s_waitcnt vmcnt(0) lgkmcnt(0)
	s_barrier
	buffer_gl0_inv
                                        ; implicit-def: $vgpr2_vgpr3
	v_cmpx_gt_u32_e32 64, v10
	s_cbranch_execz .LBB149_31
; %bb.26:
	ds_load_b128 v[0:3], v11
	ds_load_b128 v[4:7], v11 offset:1024
	v_or_b32_e32 v10, s25, v10
	s_delay_alu instid0(VALU_DEP_1)
	v_cmp_gt_i32_e32 vcc_lo, s2, v10
	s_mov_b32 s2, s24
	s_waitcnt lgkmcnt(0)
	v_add_f64 v[8:9], v[0:1], v[4:5]
	v_add_f64 v[12:13], v[2:3], v[6:7]
	ds_load_b128 v[0:3], v11 offset:2048
	ds_load_b128 v[4:7], v11 offset:3072
	s_waitcnt lgkmcnt(1)
	v_add_f64 v[0:1], v[8:9], v[0:1]
	v_add_f64 v[2:3], v[12:13], v[2:3]
                                        ; implicit-def: $vgpr8_vgpr9
	s_waitcnt lgkmcnt(0)
	s_delay_alu instid0(VALU_DEP_2) | instskip(NEXT) | instid1(VALU_DEP_2)
	v_add_f64 v[4:5], v[0:1], v[4:5]
	v_add_f64 v[6:7], v[2:3], v[6:7]
                                        ; implicit-def: $vgpr2_vgpr3
	ds_store_b128 v11, v[4:7]
	s_and_saveexec_b32 s1, vcc_lo
	s_cbranch_execz .LBB149_30
; %bb.27:
	v_mul_f64 v[0:1], s[6:7], v[6:7]
	v_mul_f64 v[2:3], s[4:5], v[6:7]
	v_cmp_neq_f64_e64 s2, s[8:9], 0
	v_cmp_neq_f64_e64 s3, s[10:11], 0
	v_mad_u64_u32 v[8:9], null, v10, s28, 0
	v_fma_f64 v[0:1], s[4:5], v[4:5], -v[0:1]
	v_fma_f64 v[2:3], s[6:7], v[4:5], v[2:3]
	v_ashrrev_i32_e32 v4, 31, v10
	v_mul_lo_u32 v5, v10, s29
	s_or_b32 s2, s2, s3
	s_delay_alu instid0(SALU_CYCLE_1) | instskip(NEXT) | instid1(VALU_DEP_2)
	s_and_not1_b32 vcc_lo, exec_lo, s2
	v_mul_lo_u32 v4, v4, s28
	s_delay_alu instid0(VALU_DEP_1)
	v_add3_u32 v9, v9, v5, v4
	s_cbranch_vccnz .LBB149_29
; %bb.28:
	s_delay_alu instid0(VALU_DEP_1) | instskip(NEXT) | instid1(VALU_DEP_1)
	v_lshlrev_b64 v[4:5], 4, v[8:9]
	v_add_co_u32 v4, vcc_lo, s22, v4
	s_delay_alu instid0(VALU_DEP_2) | instskip(SKIP_4) | instid1(VALU_DEP_2)
	v_add_co_ci_u32_e32 v5, vcc_lo, s23, v5, vcc_lo
	global_load_b128 v[4:7], v[4:5], off
	s_waitcnt vmcnt(0)
	v_mul_f64 v[10:11], s[10:11], v[6:7]
	v_mul_f64 v[6:7], s[8:9], v[6:7]
	v_fma_f64 v[10:11], s[8:9], v[4:5], -v[10:11]
	s_delay_alu instid0(VALU_DEP_2) | instskip(NEXT) | instid1(VALU_DEP_2)
	v_fma_f64 v[4:5], s[10:11], v[4:5], v[6:7]
	v_add_f64 v[0:1], v[0:1], v[10:11]
	s_delay_alu instid0(VALU_DEP_2)
	v_add_f64 v[2:3], v[2:3], v[4:5]
.LBB149_29:
	s_or_b32 s2, s24, exec_lo
.LBB149_30:
	s_or_b32 exec_lo, exec_lo, s1
	s_delay_alu instid0(SALU_CYCLE_1) | instskip(SKIP_1) | instid1(SALU_CYCLE_1)
	s_and_not1_b32 s1, s24, exec_lo
	s_and_b32 s2, s2, exec_lo
	s_or_b32 s24, s1, s2
.LBB149_31:
	s_or_b32 exec_lo, exec_lo, s0
.LBB149_32:
	s_and_saveexec_b32 s0, s24
	s_cbranch_execz .LBB149_34
; %bb.33:
	v_lshlrev_b64 v[4:5], 4, v[8:9]
	s_delay_alu instid0(VALU_DEP_1) | instskip(NEXT) | instid1(VALU_DEP_2)
	v_add_co_u32 v4, vcc_lo, s22, v4
	v_add_co_ci_u32_e32 v5, vcc_lo, s23, v5, vcc_lo
	global_store_b128 v[4:5], v[0:3], off
.LBB149_34:
	s_nop 0
	s_sendmsg sendmsg(MSG_DEALLOC_VGPRS)
	s_endpgm
	.section	.rodata,"a",@progbits
	.p2align	6, 0x0
	.amdhsa_kernel _ZL20rocblas_gemvn_kernelILi64ELi4El19rocblas_complex_numIdEPKS1_S1_EviiT3_lPKT2_lT1_lS7_lS8_lS4_lPT4_lS8_li
		.amdhsa_group_segment_fixed_size 4096
		.amdhsa_private_segment_fixed_size 0
		.amdhsa_kernarg_size 400
		.amdhsa_user_sgpr_count 14
		.amdhsa_user_sgpr_dispatch_ptr 0
		.amdhsa_user_sgpr_queue_ptr 0
		.amdhsa_user_sgpr_kernarg_segment_ptr 1
		.amdhsa_user_sgpr_dispatch_id 0
		.amdhsa_user_sgpr_private_segment_size 0
		.amdhsa_wavefront_size32 1
		.amdhsa_uses_dynamic_stack 0
		.amdhsa_enable_private_segment 0
		.amdhsa_system_sgpr_workgroup_id_x 1
		.amdhsa_system_sgpr_workgroup_id_y 0
		.amdhsa_system_sgpr_workgroup_id_z 1
		.amdhsa_system_sgpr_workgroup_info 0
		.amdhsa_system_vgpr_workitem_id 1
		.amdhsa_next_free_vgpr 21
		.amdhsa_next_free_sgpr 52
		.amdhsa_reserve_vcc 1
		.amdhsa_float_round_mode_32 0
		.amdhsa_float_round_mode_16_64 0
		.amdhsa_float_denorm_mode_32 3
		.amdhsa_float_denorm_mode_16_64 3
		.amdhsa_dx10_clamp 1
		.amdhsa_ieee_mode 1
		.amdhsa_fp16_overflow 0
		.amdhsa_workgroup_processor_mode 1
		.amdhsa_memory_ordered 1
		.amdhsa_forward_progress 0
		.amdhsa_shared_vgpr_count 0
		.amdhsa_exception_fp_ieee_invalid_op 0
		.amdhsa_exception_fp_denorm_src 0
		.amdhsa_exception_fp_ieee_div_zero 0
		.amdhsa_exception_fp_ieee_overflow 0
		.amdhsa_exception_fp_ieee_underflow 0
		.amdhsa_exception_fp_ieee_inexact 0
		.amdhsa_exception_int_div_zero 0
	.end_amdhsa_kernel
	.section	.text._ZL20rocblas_gemvn_kernelILi64ELi4El19rocblas_complex_numIdEPKS1_S1_EviiT3_lPKT2_lT1_lS7_lS8_lS4_lPT4_lS8_li,"axG",@progbits,_ZL20rocblas_gemvn_kernelILi64ELi4El19rocblas_complex_numIdEPKS1_S1_EviiT3_lPKT2_lT1_lS7_lS8_lS4_lPT4_lS8_li,comdat
.Lfunc_end149:
	.size	_ZL20rocblas_gemvn_kernelILi64ELi4El19rocblas_complex_numIdEPKS1_S1_EviiT3_lPKT2_lT1_lS7_lS8_lS4_lPT4_lS8_li, .Lfunc_end149-_ZL20rocblas_gemvn_kernelILi64ELi4El19rocblas_complex_numIdEPKS1_S1_EviiT3_lPKT2_lT1_lS7_lS8_lS4_lPT4_lS8_li
                                        ; -- End function
	.section	.AMDGPU.csdata,"",@progbits
; Kernel info:
; codeLenInByte = 1952
; NumSgprs: 54
; NumVgprs: 21
; ScratchSize: 0
; MemoryBound: 0
; FloatMode: 240
; IeeeMode: 1
; LDSByteSize: 4096 bytes/workgroup (compile time only)
; SGPRBlocks: 6
; VGPRBlocks: 2
; NumSGPRsForWavesPerEU: 54
; NumVGPRsForWavesPerEU: 21
; Occupancy: 16
; WaveLimiterHint : 0
; COMPUTE_PGM_RSRC2:SCRATCH_EN: 0
; COMPUTE_PGM_RSRC2:USER_SGPR: 14
; COMPUTE_PGM_RSRC2:TRAP_HANDLER: 0
; COMPUTE_PGM_RSRC2:TGID_X_EN: 1
; COMPUTE_PGM_RSRC2:TGID_Y_EN: 0
; COMPUTE_PGM_RSRC2:TGID_Z_EN: 1
; COMPUTE_PGM_RSRC2:TIDIG_COMP_CNT: 1
	.section	.text._ZL20rocblas_gemvn_kernelILi64ELi4Ei19rocblas_complex_numIdES1_S1_EviiT3_lPKT2_lT1_lS5_lS6_lS2_lPT4_lS6_li,"axG",@progbits,_ZL20rocblas_gemvn_kernelILi64ELi4Ei19rocblas_complex_numIdES1_S1_EviiT3_lPKT2_lT1_lS5_lS6_lS2_lPT4_lS6_li,comdat
	.globl	_ZL20rocblas_gemvn_kernelILi64ELi4Ei19rocblas_complex_numIdES1_S1_EviiT3_lPKT2_lT1_lS5_lS6_lS2_lPT4_lS6_li ; -- Begin function _ZL20rocblas_gemvn_kernelILi64ELi4Ei19rocblas_complex_numIdES1_S1_EviiT3_lPKT2_lT1_lS5_lS6_lS2_lPT4_lS6_li
	.p2align	8
	.type	_ZL20rocblas_gemvn_kernelILi64ELi4Ei19rocblas_complex_numIdES1_S1_EviiT3_lPKT2_lT1_lS5_lS6_lS2_lPT4_lS6_li,@function
_ZL20rocblas_gemvn_kernelILi64ELi4Ei19rocblas_complex_numIdES1_S1_EviiT3_lPKT2_lT1_lS5_lS6_lS2_lPT4_lS6_li: ; @_ZL20rocblas_gemvn_kernelILi64ELi4Ei19rocblas_complex_numIdES1_S1_EviiT3_lPKT2_lT1_lS5_lS6_lS2_lPT4_lS6_li
; %bb.0:
	s_load_b64 s[2:3], s[0:1], 0xac
	s_waitcnt lgkmcnt(0)
	s_lshr_b32 s4, s2, 16
	s_and_b32 s2, s2, 0xffff
	s_and_b32 s3, s3, 0xffff
	s_mul_i32 s4, s4, s2
	s_delay_alu instid0(SALU_CYCLE_1) | instskip(NEXT) | instid1(SALU_CYCLE_1)
	s_mul_i32 s4, s4, s3
	s_cmpk_lg_i32 s4, 0x100
	s_cbranch_scc1 .LBB150_34
; %bb.1:
	s_clause 0x2
	s_load_b128 s[8:11], s[0:1], 0x8
	s_load_b128 s[4:7], s[0:1], 0x58
	s_load_b64 s[12:13], s[0:1], 0x68
	s_waitcnt lgkmcnt(0)
	v_cmp_neq_f64_e64 s3, s[8:9], 0
	v_cmp_neq_f64_e64 s16, s[10:11], 0
	s_delay_alu instid0(VALU_DEP_1)
	s_or_b32 s3, s3, s16
	s_mov_b32 s16, -1
	s_and_b32 vcc_lo, exec_lo, s3
	s_cbranch_vccnz .LBB150_3
; %bb.2:
	v_cmp_neq_f64_e64 s16, s[6:7], 1.0
	v_cmp_neq_f64_e64 s17, s[12:13], 0
	s_delay_alu instid0(VALU_DEP_1)
	s_or_b32 s16, s16, s17
.LBB150_3:
	s_delay_alu instid0(SALU_CYCLE_1)
	s_and_not1_b32 vcc_lo, exec_lo, s16
	s_cbranch_vccnz .LBB150_34
; %bb.4:
	s_clause 0x3
	s_load_b64 s[24:25], s[0:1], 0x90
	s_load_b128 s[20:23], s[0:1], 0x78
	s_load_b32 s19, s[0:1], 0x88
	s_load_b64 s[16:17], s[0:1], 0x0
	v_and_b32_e32 v1, 0x3ff, v0
	v_bfe_u32 v0, v0, 10, 10
	s_xor_b32 s26, s3, -1
	s_delay_alu instid0(VALU_DEP_1)
	v_mad_u32_u24 v10, v0, s2, v1
	s_waitcnt lgkmcnt(0)
	s_mul_i32 s3, s15, s25
	s_mul_hi_u32 s18, s15, s24
	s_mul_i32 s24, s15, s24
	s_add_i32 s25, s18, s3
	s_delay_alu instid0(SALU_CYCLE_1) | instskip(NEXT) | instid1(SALU_CYCLE_1)
	s_lshl_b64 s[2:3], s[24:25], 4
	s_add_u32 s18, s20, s2
	s_addc_u32 s24, s21, s3
	s_lshl_b64 s[20:21], s[22:23], 4
	v_cmp_gt_u32_e64 s2, 64, v10
	s_add_u32 s3, s18, s20
	s_addc_u32 s18, s24, s21
	s_and_not1_b32 vcc_lo, exec_lo, s26
	s_mov_b32 s20, 0
	s_cbranch_vccnz .LBB150_11
; %bb.5:
	s_mov_b32 s21, 0
                                        ; implicit-def: $vgpr2_vgpr3
                                        ; implicit-def: $vgpr8_vgpr9
	s_and_saveexec_b32 s22, s2
	s_cbranch_execz .LBB150_12
; %bb.6:
	v_lshl_or_b32 v0, s14, 6, v10
	v_mov_b32_e32 v1, 0
	s_ashr_i32 s25, s16, 31
	s_mov_b32 s24, s16
	s_mov_b32 s2, exec_lo
                                        ; implicit-def: $vgpr2_vgpr3
                                        ; implicit-def: $vgpr8_vgpr9
	s_delay_alu instid0(VALU_DEP_1)
	v_cmpx_gt_i64_e64 s[24:25], v[0:1]
	s_cbranch_execz .LBB150_10
; %bb.7:
	v_cmp_neq_f64_e64 s20, s[6:7], 0
	v_cmp_neq_f64_e64 s23, s[12:13], 0
	v_mad_u64_u32 v[8:9], null, v0, s19, 0
	s_ashr_i32 s24, s19, 31
	s_delay_alu instid0(VALU_DEP_1) | instskip(NEXT) | instid1(VALU_DEP_1)
	v_mov_b32_e32 v1, v9
	v_mad_u64_u32 v[4:5], null, v0, s24, v[1:2]
	v_mov_b32_e32 v2, 0
	v_mov_b32_e32 v3, 0
	s_delay_alu instid0(VALU_DEP_2) | instskip(NEXT) | instid1(VALU_DEP_2)
	v_dual_mov_b32 v0, v2 :: v_dual_mov_b32 v9, v4
	v_mov_b32_e32 v1, v3
	s_or_b32 s20, s20, s23
	s_delay_alu instid0(SALU_CYCLE_1)
	s_and_not1_b32 vcc_lo, exec_lo, s20
	s_cbranch_vccnz .LBB150_9
; %bb.8:
	v_lshlrev_b64 v[0:1], 4, v[8:9]
	s_delay_alu instid0(VALU_DEP_1) | instskip(NEXT) | instid1(VALU_DEP_2)
	v_add_co_u32 v0, vcc_lo, s3, v0
	v_add_co_ci_u32_e32 v1, vcc_lo, s18, v1, vcc_lo
	global_load_b128 v[2:5], v[0:1], off
	s_waitcnt vmcnt(0)
	v_mul_f64 v[0:1], s[12:13], v[4:5]
	v_mul_f64 v[4:5], s[6:7], v[4:5]
	s_delay_alu instid0(VALU_DEP_2) | instskip(NEXT) | instid1(VALU_DEP_2)
	v_fma_f64 v[0:1], s[6:7], v[2:3], -v[0:1]
	v_fma_f64 v[2:3], s[12:13], v[2:3], v[4:5]
.LBB150_9:
	s_mov_b32 s20, exec_lo
.LBB150_10:
	s_or_b32 exec_lo, exec_lo, s2
	s_delay_alu instid0(SALU_CYCLE_1) | instskip(SKIP_1) | instid1(SALU_CYCLE_1)
	s_and_b32 s20, s20, exec_lo
	s_or_b32 exec_lo, exec_lo, s22
	s_and_b32 vcc_lo, exec_lo, s21
	s_cbranch_vccnz .LBB150_13
	s_branch .LBB150_32
.LBB150_11:
                                        ; implicit-def: $vgpr2_vgpr3
                                        ; implicit-def: $vgpr8_vgpr9
	s_cbranch_execnz .LBB150_13
	s_branch .LBB150_32
.LBB150_12:
	s_or_b32 exec_lo, exec_lo, s22
	s_delay_alu instid0(SALU_CYCLE_1)
	s_and_b32 vcc_lo, exec_lo, s21
	s_cbranch_vccz .LBB150_32
.LBB150_13:
	s_clause 0x3
	s_load_b128 s[24:27], s[0:1], 0x38
	s_load_b128 s[28:31], s[0:1], 0x20
	s_load_b32 s2, s[0:1], 0x30
	s_load_b64 s[22:23], s[0:1], 0x48
	s_mul_hi_u32 s33, s15, s4
	v_dual_mov_b32 v2, 0 :: v_dual_and_b32 v5, 63, v10
	v_mov_b32_e32 v3, 0
	v_lshrrev_b32_e32 v8, 6, v10
	s_delay_alu instid0(VALU_DEP_2)
	v_dual_mov_b32 v0, v2 :: v_dual_mov_b32 v1, v3
	s_waitcnt lgkmcnt(0)
	s_mul_i32 s21, s15, s25
	s_mul_hi_u32 s25, s15, s24
	s_mul_i32 s24, s15, s24
	s_add_i32 s25, s25, s21
	s_mul_i32 s21, s15, s5
	s_lshl_b64 s[24:25], s[24:25], 4
	s_delay_alu instid0(SALU_CYCLE_1) | instskip(SKIP_4) | instid1(SALU_CYCLE_1)
	s_add_u32 s5, s28, s24
	s_mul_i32 s28, s15, s4
	s_load_b32 s15, s[0:1], 0x50
	s_addc_u32 s29, s29, s25
	s_lshl_b64 s[24:25], s[30:31], 4
	s_add_u32 s4, s5, s24
	s_addc_u32 s5, s29, s25
	s_add_i32 s29, s33, s21
	s_delay_alu instid0(SALU_CYCLE_1) | instskip(NEXT) | instid1(SALU_CYCLE_1)
	s_lshl_b64 s[24:25], s[28:29], 4
	s_add_u32 s21, s26, s24
	s_addc_u32 s24, s27, s25
	s_lshl_b64 s[0:1], s[22:23], 4
	s_mov_b32 s23, exec_lo
	s_add_u32 s21, s21, s0
	s_addc_u32 s22, s24, s1
	s_ashr_i32 s0, s17, 31
	s_lshl_b32 s1, s14, 6
	s_lshr_b32 s0, s0, 30
	v_or_b32_e32 v9, s1, v5
	s_add_i32 s0, s17, s0
	s_delay_alu instid0(SALU_CYCLE_1) | instskip(NEXT) | instid1(SALU_CYCLE_1)
	s_and_b32 s14, s0, -4
	v_cmpx_gt_i32_e64 s14, v8
	s_cbranch_execz .LBB150_19
; %bb.14:
	v_mul_lo_u32 v0, s2, v8
	v_mov_b32_e32 v2, 0
	v_mov_b32_e32 v3, 0
	s_waitcnt lgkmcnt(0)
	v_mul_lo_u32 v4, s15, v8
	v_cmp_gt_i32_e32 vcc_lo, s16, v9
	s_lshl_b32 s24, s15, 2
	s_lshl_b32 s26, s2, 2
	s_mov_b32 s25, 0
	v_add3_u32 v6, v0, s1, v5
	v_dual_mov_b32 v0, v2 :: v_dual_mov_b32 v1, v3
	s_set_inst_prefetch_distance 0x1
	s_branch .LBB150_16
	.p2align	6
.LBB150_15:                             ;   in Loop: Header=BB150_16 Depth=1
	s_or_b32 exec_lo, exec_lo, s27
	v_add_nc_u32_e32 v8, 4, v8
	v_add_nc_u32_e32 v4, s24, v4
	;; [unrolled: 1-line block ×3, first 2 shown]
	s_delay_alu instid0(VALU_DEP_3) | instskip(NEXT) | instid1(VALU_DEP_1)
	v_cmp_le_i32_e64 s0, s14, v8
	s_or_b32 s25, s0, s25
	s_delay_alu instid0(SALU_CYCLE_1)
	s_and_not1_b32 exec_lo, exec_lo, s25
	s_cbranch_execz .LBB150_18
.LBB150_16:                             ; =>This Inner Loop Header: Depth=1
	s_and_saveexec_b32 s27, vcc_lo
	s_cbranch_execz .LBB150_15
; %bb.17:                               ;   in Loop: Header=BB150_16 Depth=1
	v_ashrrev_i32_e32 v5, 31, v4
	v_ashrrev_i32_e32 v7, 31, v6
	s_delay_alu instid0(VALU_DEP_2) | instskip(NEXT) | instid1(VALU_DEP_2)
	v_lshlrev_b64 v[11:12], 4, v[4:5]
	v_lshlrev_b64 v[13:14], 4, v[6:7]
	s_delay_alu instid0(VALU_DEP_2) | instskip(NEXT) | instid1(VALU_DEP_1)
	v_add_co_u32 v11, s0, s21, v11
	v_add_co_ci_u32_e64 v12, s0, s22, v12, s0
	s_delay_alu instid0(VALU_DEP_3) | instskip(NEXT) | instid1(VALU_DEP_1)
	v_add_co_u32 v15, s0, s4, v13
	v_add_co_ci_u32_e64 v16, s0, s5, v14, s0
	global_load_b128 v[11:14], v[11:12], off
	global_load_b128 v[15:18], v[15:16], off
	s_waitcnt vmcnt(0)
	v_mul_f64 v[19:20], v[13:14], v[17:18]
	v_mul_f64 v[17:18], v[11:12], v[17:18]
	s_delay_alu instid0(VALU_DEP_2) | instskip(NEXT) | instid1(VALU_DEP_2)
	v_fma_f64 v[11:12], v[11:12], v[15:16], -v[19:20]
	v_fma_f64 v[13:14], v[13:14], v[15:16], v[17:18]
	s_delay_alu instid0(VALU_DEP_2) | instskip(NEXT) | instid1(VALU_DEP_2)
	v_add_f64 v[0:1], v[0:1], v[11:12]
	v_add_f64 v[2:3], v[2:3], v[13:14]
	s_branch .LBB150_15
.LBB150_18:
	s_set_inst_prefetch_distance 0x2
	s_or_b32 exec_lo, exec_lo, s25
.LBB150_19:
	s_delay_alu instid0(SALU_CYCLE_1) | instskip(SKIP_1) | instid1(SALU_CYCLE_1)
	s_or_b32 exec_lo, exec_lo, s23
	s_sub_i32 s0, s17, s14
	s_cmp_lt_i32 s0, 1
	s_cbranch_scc1 .LBB150_25
; %bb.20:
	v_mov_b32_e32 v4, 0
	v_mov_b32_e32 v5, 0
	v_cmp_gt_i32_e32 vcc_lo, s17, v8
	s_delay_alu instid0(VALU_DEP_2)
	v_dual_mov_b32 v7, v5 :: v_dual_mov_b32 v6, v4
	s_and_saveexec_b32 s14, vcc_lo
	s_cbranch_execz .LBB150_22
; %bb.21:
	s_waitcnt lgkmcnt(0)
	v_mul_lo_u32 v4, v8, s15
	s_delay_alu instid0(VALU_DEP_1) | instskip(NEXT) | instid1(VALU_DEP_1)
	v_ashrrev_i32_e32 v5, 31, v4
	v_lshlrev_b64 v[4:5], 4, v[4:5]
	s_delay_alu instid0(VALU_DEP_1) | instskip(NEXT) | instid1(VALU_DEP_1)
	v_add_co_u32 v4, s0, s21, v4
	v_add_co_ci_u32_e64 v5, s0, s22, v5, s0
	global_load_b128 v[4:7], v[4:5], off
.LBB150_22:
	s_or_b32 exec_lo, exec_lo, s14
	s_delay_alu instid0(SALU_CYCLE_1)
	s_mov_b32 s14, exec_lo
	v_cmpx_gt_i32_e64 s16, v9
	s_cbranch_execz .LBB150_24
; %bb.23:
	v_mul_lo_u32 v8, v8, s2
	s_delay_alu instid0(VALU_DEP_1) | instskip(NEXT) | instid1(VALU_DEP_1)
	v_cndmask_b32_e32 v8, 0, v8, vcc_lo
	v_add_nc_u32_e32 v8, v8, v9
	s_delay_alu instid0(VALU_DEP_1) | instskip(NEXT) | instid1(VALU_DEP_1)
	v_ashrrev_i32_e32 v9, 31, v8
	v_lshlrev_b64 v[8:9], 4, v[8:9]
	s_delay_alu instid0(VALU_DEP_1) | instskip(NEXT) | instid1(VALU_DEP_2)
	v_add_co_u32 v8, vcc_lo, s4, v8
	v_add_co_ci_u32_e32 v9, vcc_lo, s5, v9, vcc_lo
	global_load_b128 v[11:14], v[8:9], off
	s_waitcnt vmcnt(0)
	v_mul_f64 v[8:9], v[6:7], v[13:14]
	v_mul_f64 v[13:14], v[4:5], v[13:14]
	s_delay_alu instid0(VALU_DEP_2) | instskip(NEXT) | instid1(VALU_DEP_2)
	v_fma_f64 v[4:5], v[4:5], v[11:12], -v[8:9]
	v_fma_f64 v[6:7], v[6:7], v[11:12], v[13:14]
	s_delay_alu instid0(VALU_DEP_2) | instskip(NEXT) | instid1(VALU_DEP_2)
	v_add_f64 v[0:1], v[0:1], v[4:5]
	v_add_f64 v[2:3], v[2:3], v[6:7]
.LBB150_24:
	s_or_b32 exec_lo, exec_lo, s14
.LBB150_25:
	v_lshlrev_b32_e32 v11, 4, v10
	s_mov_b32 s0, exec_lo
                                        ; implicit-def: $vgpr8_vgpr9
	ds_store_b128 v11, v[0:3]
	s_waitcnt vmcnt(0) lgkmcnt(0)
	s_barrier
	buffer_gl0_inv
                                        ; implicit-def: $vgpr2_vgpr3
	v_cmpx_gt_u32_e32 64, v10
	s_cbranch_execz .LBB150_31
; %bb.26:
	ds_load_b128 v[0:3], v11
	ds_load_b128 v[4:7], v11 offset:1024
	v_or_b32_e32 v10, s1, v10
	s_mov_b32 s2, s20
	s_mov_b32 s1, exec_lo
	s_waitcnt lgkmcnt(0)
	v_add_f64 v[8:9], v[0:1], v[4:5]
	v_add_f64 v[12:13], v[2:3], v[6:7]
	ds_load_b128 v[0:3], v11 offset:2048
	ds_load_b128 v[4:7], v11 offset:3072
	s_waitcnt lgkmcnt(1)
	v_add_f64 v[0:1], v[8:9], v[0:1]
	v_add_f64 v[2:3], v[12:13], v[2:3]
                                        ; implicit-def: $vgpr8_vgpr9
	s_waitcnt lgkmcnt(0)
	s_delay_alu instid0(VALU_DEP_2) | instskip(NEXT) | instid1(VALU_DEP_2)
	v_add_f64 v[4:5], v[0:1], v[4:5]
	v_add_f64 v[6:7], v[2:3], v[6:7]
                                        ; implicit-def: $vgpr2_vgpr3
	ds_store_b128 v11, v[4:7]
	v_cmpx_gt_i32_e64 s16, v10
	s_cbranch_execz .LBB150_30
; %bb.27:
	v_mul_f64 v[0:1], s[10:11], v[6:7]
	v_mul_f64 v[2:3], s[8:9], v[6:7]
	v_cmp_neq_f64_e64 s2, s[6:7], 0
	v_cmp_neq_f64_e64 s4, s[12:13], 0
	v_mul_lo_u32 v8, v10, s19
	s_delay_alu instid0(VALU_DEP_1) | instskip(SKIP_3) | instid1(SALU_CYCLE_1)
	v_ashrrev_i32_e32 v9, 31, v8
	v_fma_f64 v[0:1], s[8:9], v[4:5], -v[0:1]
	v_fma_f64 v[2:3], s[10:11], v[4:5], v[2:3]
	s_or_b32 s2, s2, s4
	s_and_not1_b32 vcc_lo, exec_lo, s2
	s_cbranch_vccnz .LBB150_29
; %bb.28:
	v_lshlrev_b64 v[4:5], 4, v[8:9]
	s_delay_alu instid0(VALU_DEP_1) | instskip(NEXT) | instid1(VALU_DEP_2)
	v_add_co_u32 v4, vcc_lo, s3, v4
	v_add_co_ci_u32_e32 v5, vcc_lo, s18, v5, vcc_lo
	global_load_b128 v[4:7], v[4:5], off
	s_waitcnt vmcnt(0)
	v_mul_f64 v[10:11], s[12:13], v[6:7]
	v_mul_f64 v[6:7], s[6:7], v[6:7]
	s_delay_alu instid0(VALU_DEP_2) | instskip(NEXT) | instid1(VALU_DEP_2)
	v_fma_f64 v[10:11], s[6:7], v[4:5], -v[10:11]
	v_fma_f64 v[4:5], s[12:13], v[4:5], v[6:7]
	s_delay_alu instid0(VALU_DEP_2) | instskip(NEXT) | instid1(VALU_DEP_2)
	v_add_f64 v[0:1], v[0:1], v[10:11]
	v_add_f64 v[2:3], v[2:3], v[4:5]
.LBB150_29:
	s_or_b32 s2, s20, exec_lo
.LBB150_30:
	s_or_b32 exec_lo, exec_lo, s1
	s_delay_alu instid0(SALU_CYCLE_1) | instskip(SKIP_1) | instid1(SALU_CYCLE_1)
	s_and_not1_b32 s1, s20, exec_lo
	s_and_b32 s2, s2, exec_lo
	s_or_b32 s20, s1, s2
.LBB150_31:
	s_or_b32 exec_lo, exec_lo, s0
.LBB150_32:
	s_and_saveexec_b32 s0, s20
	s_cbranch_execz .LBB150_34
; %bb.33:
	v_lshlrev_b64 v[4:5], 4, v[8:9]
	s_delay_alu instid0(VALU_DEP_1) | instskip(NEXT) | instid1(VALU_DEP_2)
	v_add_co_u32 v4, vcc_lo, s3, v4
	v_add_co_ci_u32_e32 v5, vcc_lo, s18, v5, vcc_lo
	global_store_b128 v[4:5], v[0:3], off
.LBB150_34:
	s_nop 0
	s_sendmsg sendmsg(MSG_DEALLOC_VGPRS)
	s_endpgm
	.section	.rodata,"a",@progbits
	.p2align	6, 0x0
	.amdhsa_kernel _ZL20rocblas_gemvn_kernelILi64ELi4Ei19rocblas_complex_numIdES1_S1_EviiT3_lPKT2_lT1_lS5_lS6_lS2_lPT4_lS6_li
		.amdhsa_group_segment_fixed_size 4096
		.amdhsa_private_segment_fixed_size 0
		.amdhsa_kernarg_size 416
		.amdhsa_user_sgpr_count 14
		.amdhsa_user_sgpr_dispatch_ptr 0
		.amdhsa_user_sgpr_queue_ptr 0
		.amdhsa_user_sgpr_kernarg_segment_ptr 1
		.amdhsa_user_sgpr_dispatch_id 0
		.amdhsa_user_sgpr_private_segment_size 0
		.amdhsa_wavefront_size32 1
		.amdhsa_uses_dynamic_stack 0
		.amdhsa_enable_private_segment 0
		.amdhsa_system_sgpr_workgroup_id_x 1
		.amdhsa_system_sgpr_workgroup_id_y 0
		.amdhsa_system_sgpr_workgroup_id_z 1
		.amdhsa_system_sgpr_workgroup_info 0
		.amdhsa_system_vgpr_workitem_id 1
		.amdhsa_next_free_vgpr 21
		.amdhsa_next_free_sgpr 34
		.amdhsa_reserve_vcc 1
		.amdhsa_float_round_mode_32 0
		.amdhsa_float_round_mode_16_64 0
		.amdhsa_float_denorm_mode_32 3
		.amdhsa_float_denorm_mode_16_64 3
		.amdhsa_dx10_clamp 1
		.amdhsa_ieee_mode 1
		.amdhsa_fp16_overflow 0
		.amdhsa_workgroup_processor_mode 1
		.amdhsa_memory_ordered 1
		.amdhsa_forward_progress 0
		.amdhsa_shared_vgpr_count 0
		.amdhsa_exception_fp_ieee_invalid_op 0
		.amdhsa_exception_fp_denorm_src 0
		.amdhsa_exception_fp_ieee_div_zero 0
		.amdhsa_exception_fp_ieee_overflow 0
		.amdhsa_exception_fp_ieee_underflow 0
		.amdhsa_exception_fp_ieee_inexact 0
		.amdhsa_exception_int_div_zero 0
	.end_amdhsa_kernel
	.section	.text._ZL20rocblas_gemvn_kernelILi64ELi4Ei19rocblas_complex_numIdES1_S1_EviiT3_lPKT2_lT1_lS5_lS6_lS2_lPT4_lS6_li,"axG",@progbits,_ZL20rocblas_gemvn_kernelILi64ELi4Ei19rocblas_complex_numIdES1_S1_EviiT3_lPKT2_lT1_lS5_lS6_lS2_lPT4_lS6_li,comdat
.Lfunc_end150:
	.size	_ZL20rocblas_gemvn_kernelILi64ELi4Ei19rocblas_complex_numIdES1_S1_EviiT3_lPKT2_lT1_lS5_lS6_lS2_lPT4_lS6_li, .Lfunc_end150-_ZL20rocblas_gemvn_kernelILi64ELi4Ei19rocblas_complex_numIdES1_S1_EviiT3_lPKT2_lT1_lS5_lS6_lS2_lPT4_lS6_li
                                        ; -- End function
	.section	.AMDGPU.csdata,"",@progbits
; Kernel info:
; codeLenInByte = 1712
; NumSgprs: 36
; NumVgprs: 21
; ScratchSize: 0
; MemoryBound: 1
; FloatMode: 240
; IeeeMode: 1
; LDSByteSize: 4096 bytes/workgroup (compile time only)
; SGPRBlocks: 4
; VGPRBlocks: 2
; NumSGPRsForWavesPerEU: 36
; NumVGPRsForWavesPerEU: 21
; Occupancy: 16
; WaveLimiterHint : 1
; COMPUTE_PGM_RSRC2:SCRATCH_EN: 0
; COMPUTE_PGM_RSRC2:USER_SGPR: 14
; COMPUTE_PGM_RSRC2:TRAP_HANDLER: 0
; COMPUTE_PGM_RSRC2:TGID_X_EN: 1
; COMPUTE_PGM_RSRC2:TGID_Y_EN: 0
; COMPUTE_PGM_RSRC2:TGID_Z_EN: 1
; COMPUTE_PGM_RSRC2:TIDIG_COMP_CNT: 1
	.section	.text._ZL20rocblas_gemvn_kernelILi64ELi4El19rocblas_complex_numIdES1_S1_EviiT3_lPKT2_lT1_lS5_lS6_lS2_lPT4_lS6_li,"axG",@progbits,_ZL20rocblas_gemvn_kernelILi64ELi4El19rocblas_complex_numIdES1_S1_EviiT3_lPKT2_lT1_lS5_lS6_lS2_lPT4_lS6_li,comdat
	.globl	_ZL20rocblas_gemvn_kernelILi64ELi4El19rocblas_complex_numIdES1_S1_EviiT3_lPKT2_lT1_lS5_lS6_lS2_lPT4_lS6_li ; -- Begin function _ZL20rocblas_gemvn_kernelILi64ELi4El19rocblas_complex_numIdES1_S1_EviiT3_lPKT2_lT1_lS5_lS6_lS2_lPT4_lS6_li
	.p2align	8
	.type	_ZL20rocblas_gemvn_kernelILi64ELi4El19rocblas_complex_numIdES1_S1_EviiT3_lPKT2_lT1_lS5_lS6_lS2_lPT4_lS6_li,@function
_ZL20rocblas_gemvn_kernelILi64ELi4El19rocblas_complex_numIdES1_S1_EviiT3_lPKT2_lT1_lS5_lS6_lS2_lPT4_lS6_li: ; @_ZL20rocblas_gemvn_kernelILi64ELi4El19rocblas_complex_numIdES1_S1_EviiT3_lPKT2_lT1_lS5_lS6_lS2_lPT4_lS6_li
; %bb.0:
	s_load_b64 s[2:3], s[0:1], 0xac
	s_waitcnt lgkmcnt(0)
	s_lshr_b32 s4, s2, 16
	s_and_b32 s2, s2, 0xffff
	s_and_b32 s3, s3, 0xffff
	s_mul_i32 s4, s4, s2
	s_delay_alu instid0(SALU_CYCLE_1) | instskip(NEXT) | instid1(SALU_CYCLE_1)
	s_mul_i32 s4, s4, s3
	s_cmpk_lg_i32 s4, 0x100
	s_cbranch_scc1 .LBB151_34
; %bb.1:
	s_clause 0x1
	s_load_b128 s[40:43], s[0:1], 0x8
	s_load_b128 s[36:39], s[0:1], 0x60
	s_waitcnt lgkmcnt(0)
	v_cmp_neq_f64_e64 s3, s[40:41], 0
	v_cmp_neq_f64_e64 s4, s[42:43], 0
	s_delay_alu instid0(VALU_DEP_1)
	s_or_b32 s3, s3, s4
	s_mov_b32 s4, -1
	s_and_b32 vcc_lo, exec_lo, s3
	s_cbranch_vccnz .LBB151_3
; %bb.2:
	v_cmp_neq_f64_e64 s4, s[36:37], 1.0
	v_cmp_neq_f64_e64 s5, s[38:39], 0
	s_delay_alu instid0(VALU_DEP_1)
	s_or_b32 s4, s4, s5
.LBB151_3:
	s_delay_alu instid0(SALU_CYCLE_1)
	s_and_not1_b32 vcc_lo, exec_lo, s4
	s_cbranch_vccnz .LBB151_34
; %bb.4:
	s_clause 0x1
	s_load_b256 s[4:11], s[0:1], 0x78
	s_load_b64 s[12:13], s[0:1], 0x0
	v_and_b32_e32 v1, 0x3ff, v0
	v_bfe_u32 v0, v0, 10, 10
	s_xor_b32 s16, s3, -1
	s_mov_b32 s35, 0
	s_delay_alu instid0(VALU_DEP_1)
	v_mad_u32_u24 v10, v0, s2, v1
	s_waitcnt lgkmcnt(0)
	s_mul_i32 s3, s15, s11
	s_mul_hi_u32 s11, s15, s10
	s_mul_i32 s10, s15, s10
	s_add_i32 s11, s11, s3
	s_delay_alu instid0(SALU_CYCLE_1) | instskip(NEXT) | instid1(SALU_CYCLE_1)
	s_lshl_b64 s[2:3], s[10:11], 4
	s_add_u32 s10, s4, s2
	s_addc_u32 s3, s5, s3
	s_lshl_b64 s[4:5], s[6:7], 4
	v_cmp_gt_u32_e64 s2, 64, v10
	s_add_u32 s33, s10, s4
	s_addc_u32 s34, s3, s5
	s_and_not1_b32 vcc_lo, exec_lo, s16
	s_cbranch_vccnz .LBB151_11
; %bb.5:
	s_mov_b32 s3, 0
                                        ; implicit-def: $vgpr2_vgpr3
                                        ; implicit-def: $vgpr8_vgpr9
	s_and_saveexec_b32 s4, s2
	s_cbranch_execz .LBB151_12
; %bb.6:
	v_lshl_or_b32 v0, s14, 6, v10
	v_mov_b32_e32 v1, 0
	s_ashr_i32 s7, s12, 31
	s_mov_b32 s6, s12
	s_mov_b32 s5, 0
	s_mov_b32 s2, exec_lo
                                        ; implicit-def: $vgpr2_vgpr3
                                        ; implicit-def: $vgpr8_vgpr9
	v_cmpx_gt_i64_e64 s[6:7], v[0:1]
	s_cbranch_execz .LBB151_10
; %bb.7:
	v_cmp_neq_f64_e64 s5, s[36:37], 0
	v_cmp_neq_f64_e64 s6, s[38:39], 0
	v_mad_u64_u32 v[8:9], null, v0, s8, 0
	s_delay_alu instid0(VALU_DEP_1) | instskip(NEXT) | instid1(VALU_DEP_1)
	v_mov_b32_e32 v1, v9
	v_mad_u64_u32 v[4:5], null, v0, s9, v[1:2]
	v_mov_b32_e32 v2, 0
	v_mov_b32_e32 v3, 0
	s_delay_alu instid0(VALU_DEP_2) | instskip(NEXT) | instid1(VALU_DEP_2)
	v_dual_mov_b32 v0, v2 :: v_dual_mov_b32 v9, v4
	v_mov_b32_e32 v1, v3
	s_or_b32 s5, s5, s6
	s_delay_alu instid0(SALU_CYCLE_1)
	s_and_not1_b32 vcc_lo, exec_lo, s5
	s_cbranch_vccnz .LBB151_9
; %bb.8:
	v_lshlrev_b64 v[0:1], 4, v[8:9]
	s_delay_alu instid0(VALU_DEP_1) | instskip(NEXT) | instid1(VALU_DEP_2)
	v_add_co_u32 v0, vcc_lo, s33, v0
	v_add_co_ci_u32_e32 v1, vcc_lo, s34, v1, vcc_lo
	global_load_b128 v[2:5], v[0:1], off
	s_waitcnt vmcnt(0)
	v_mul_f64 v[0:1], s[38:39], v[4:5]
	v_mul_f64 v[4:5], s[36:37], v[4:5]
	s_delay_alu instid0(VALU_DEP_2) | instskip(NEXT) | instid1(VALU_DEP_2)
	v_fma_f64 v[0:1], s[36:37], v[2:3], -v[0:1]
	v_fma_f64 v[2:3], s[38:39], v[2:3], v[4:5]
.LBB151_9:
	s_mov_b32 s5, exec_lo
.LBB151_10:
	s_or_b32 exec_lo, exec_lo, s2
	s_delay_alu instid0(SALU_CYCLE_1) | instskip(SKIP_1) | instid1(SALU_CYCLE_1)
	s_and_b32 s35, s5, exec_lo
	s_or_b32 exec_lo, exec_lo, s4
	s_and_b32 vcc_lo, exec_lo, s3
	s_cbranch_vccnz .LBB151_13
	s_branch .LBB151_32
.LBB151_11:
                                        ; implicit-def: $vgpr2_vgpr3
                                        ; implicit-def: $vgpr8_vgpr9
	s_cbranch_execnz .LBB151_13
	s_branch .LBB151_32
.LBB151_12:
	s_or_b32 exec_lo, exec_lo, s4
	s_delay_alu instid0(SALU_CYCLE_1)
	s_and_b32 vcc_lo, exec_lo, s3
	s_cbranch_vccz .LBB151_32
.LBB151_13:
	s_load_b512 s[16:31], s[0:1], 0x20
	v_mov_b32_e32 v2, 0
	v_dual_mov_b32 v3, 0 :: v_dual_and_b32 v4, 63, v10
	s_ashr_i32 s0, s13, 31
	s_lshl_b32 s14, s14, 6
	s_lshr_b32 s0, s0, 30
	v_lshrrev_b32_e32 v9, 6, v10
	s_add_i32 s0, s13, s0
	v_or_b32_e32 v8, s14, v4
	v_dual_mov_b32 v0, v2 :: v_dual_mov_b32 v1, v3
	s_and_b32 s44, s0, -4
	s_waitcnt lgkmcnt(0)
	s_mul_i32 s0, s15, s23
	s_mul_hi_u32 s1, s15, s22
	s_mul_i32 s4, s15, s31
	s_mul_hi_u32 s5, s15, s30
	s_mul_i32 s2, s15, s22
	s_add_i32 s3, s1, s0
	s_add_i32 s5, s5, s4
	s_mul_i32 s4, s15, s30
	s_mov_b32 s15, exec_lo
	v_cmpx_gt_i32_e64 s44, v9
	s_cbranch_execz .LBB151_19
; %bb.14:
	v_lshrrev_b32_e32 v14, 6, v10
	v_add_nc_u32_e32 v11, s14, v4
	s_lshl_b64 s[6:7], s[26:27], 4
	s_lshl_b64 s[0:1], s[4:5], 4
	s_add_u32 s6, s24, s6
	v_mad_u64_u32 v[0:1], null, s20, v14, 0
	v_mad_u64_u32 v[5:6], null, s28, v14, 0
	s_addc_u32 s7, s25, s7
	s_add_u32 s22, s6, s0
	s_addc_u32 s23, s7, s1
	s_lshl_b64 s[0:1], s[2:3], 4
	s_delay_alu instid0(VALU_DEP_2) | instskip(SKIP_1) | instid1(VALU_DEP_3)
	v_mad_u64_u32 v[12:13], null, s21, v14, v[1:2]
	v_mov_b32_e32 v2, 0
	v_dual_mov_b32 v3, 0 :: v_dual_mov_b32 v4, v6
	s_lshl_b64 s[10:11], s[18:19], 4
	s_lshl_b64 s[6:7], s[28:29], 6
	s_add_u32 s0, s10, s0
	s_delay_alu instid0(VALU_DEP_3) | instskip(SKIP_3) | instid1(VALU_DEP_3)
	v_mov_b32_e32 v1, v12
	v_mad_u64_u32 v[6:7], null, s29, v14, v[4:5]
	v_ashrrev_i32_e32 v12, 31, v11
	s_addc_u32 s1, s11, s1
	v_lshlrev_b64 v[0:1], 4, v[0:1]
	v_cmp_gt_i32_e32 vcc_lo, s12, v8
	s_lshl_b64 s[10:11], s[20:21], 6
	v_lshlrev_b64 v[11:12], 4, v[11:12]
	s_delay_alu instid0(VALU_DEP_3) | instskip(NEXT) | instid1(VALU_DEP_1)
	v_add_co_u32 v4, s0, s0, v0
	v_add_co_ci_u32_e64 v7, s0, s1, v1, s0
	v_lshlrev_b64 v[0:1], 4, v[5:6]
	s_delay_alu instid0(VALU_DEP_3) | instskip(NEXT) | instid1(VALU_DEP_1)
	v_add_co_u32 v4, s0, v4, v11
	v_add_co_ci_u32_e64 v5, s0, v7, v12, s0
	s_delay_alu instid0(VALU_DEP_3) | instskip(NEXT) | instid1(VALU_DEP_1)
	v_add_co_u32 v0, s0, s22, v0
	v_add_co_ci_u32_e64 v1, s0, s23, v1, s0
	s_delay_alu instid0(VALU_DEP_4) | instskip(NEXT) | instid1(VALU_DEP_1)
	v_add_co_u32 v6, s0, v4, s16
	v_add_co_ci_u32_e64 v7, s0, s17, v5, s0
	s_delay_alu instid0(VALU_DEP_4) | instskip(NEXT) | instid1(VALU_DEP_1)
	;; [unrolled: 3-line block ×3, first 2 shown]
	v_add_co_u32 v6, s0, v6, 8
	v_add_co_ci_u32_e64 v7, s0, 0, v7, s0
	v_dual_mov_b32 v0, v2 :: v_dual_mov_b32 v1, v3
	s_mov_b32 s22, 0
	s_set_inst_prefetch_distance 0x1
	s_branch .LBB151_16
	.p2align	6
.LBB151_15:                             ;   in Loop: Header=BB151_16 Depth=1
	s_or_b32 exec_lo, exec_lo, s0
	v_add_nc_u32_e32 v9, 4, v9
	v_add_co_u32 v4, s0, v4, s6
	s_delay_alu instid0(VALU_DEP_1) | instskip(NEXT) | instid1(VALU_DEP_3)
	v_add_co_ci_u32_e64 v5, s0, s7, v5, s0
	v_cmp_le_i32_e64 s0, s44, v9
	v_add_co_u32 v6, s1, v6, s10
	s_delay_alu instid0(VALU_DEP_1) | instskip(NEXT) | instid1(VALU_DEP_3)
	v_add_co_ci_u32_e64 v7, s1, s11, v7, s1
	s_or_b32 s22, s0, s22
	s_delay_alu instid0(SALU_CYCLE_1)
	s_and_not1_b32 exec_lo, exec_lo, s22
	s_cbranch_execz .LBB151_18
.LBB151_16:                             ; =>This Inner Loop Header: Depth=1
	s_and_saveexec_b32 s0, vcc_lo
	s_cbranch_execz .LBB151_15
; %bb.17:                               ;   in Loop: Header=BB151_16 Depth=1
	global_load_b128 v[11:14], v[4:5], off offset:-8
	global_load_b128 v[15:18], v[6:7], off offset:-8
	s_waitcnt vmcnt(0)
	v_mul_f64 v[19:20], v[13:14], v[17:18]
	v_mul_f64 v[17:18], v[11:12], v[17:18]
	s_delay_alu instid0(VALU_DEP_2) | instskip(NEXT) | instid1(VALU_DEP_2)
	v_fma_f64 v[11:12], v[11:12], v[15:16], -v[19:20]
	v_fma_f64 v[13:14], v[13:14], v[15:16], v[17:18]
	s_delay_alu instid0(VALU_DEP_2) | instskip(NEXT) | instid1(VALU_DEP_2)
	v_add_f64 v[0:1], v[0:1], v[11:12]
	v_add_f64 v[2:3], v[2:3], v[13:14]
	s_branch .LBB151_15
.LBB151_18:
	s_set_inst_prefetch_distance 0x2
	s_or_b32 exec_lo, exec_lo, s22
.LBB151_19:
	s_delay_alu instid0(SALU_CYCLE_1) | instskip(SKIP_1) | instid1(SALU_CYCLE_1)
	s_or_b32 exec_lo, exec_lo, s15
	s_sub_i32 s0, s13, s44
	s_cmp_lt_i32 s0, 1
	s_cbranch_scc1 .LBB151_25
; %bb.20:
	v_mov_b32_e32 v4, 0
	v_mov_b32_e32 v5, 0
	v_cmp_gt_i32_e32 vcc_lo, s13, v9
	s_delay_alu instid0(VALU_DEP_2)
	v_dual_mov_b32 v7, v5 :: v_dual_mov_b32 v6, v4
	s_and_saveexec_b32 s1, vcc_lo
	s_cbranch_execz .LBB151_22
; %bb.21:
	v_mad_u64_u32 v[4:5], null, v9, s28, 0
	s_lshl_b64 s[4:5], s[4:5], 4
	s_delay_alu instid0(SALU_CYCLE_1) | instskip(SKIP_2) | instid1(SALU_CYCLE_1)
	s_add_u32 s0, s24, s4
	s_addc_u32 s6, s25, s5
	s_lshl_b64 s[4:5], s[26:27], 4
	s_add_u32 s0, s0, s4
	s_delay_alu instid0(VALU_DEP_1) | instskip(SKIP_1) | instid1(VALU_DEP_1)
	v_mad_u64_u32 v[6:7], null, v9, s29, v[5:6]
	s_addc_u32 s4, s6, s5
	v_mov_b32_e32 v5, v6
	s_delay_alu instid0(VALU_DEP_1) | instskip(NEXT) | instid1(VALU_DEP_1)
	v_lshlrev_b64 v[4:5], 4, v[4:5]
	v_add_co_u32 v4, s0, s0, v4
	s_delay_alu instid0(VALU_DEP_1)
	v_add_co_ci_u32_e64 v5, s0, s4, v5, s0
	global_load_b128 v[4:7], v[4:5], off
.LBB151_22:
	s_or_b32 exec_lo, exec_lo, s1
	s_delay_alu instid0(SALU_CYCLE_1)
	s_mov_b32 s1, exec_lo
	v_cmpx_gt_i32_e64 s12, v8
	s_cbranch_execz .LBB151_24
; %bb.23:
	v_mad_u64_u32 v[11:12], null, v9, s20, 0
	s_lshl_b64 s[2:3], s[2:3], 4
	s_delay_alu instid0(SALU_CYCLE_1) | instskip(SKIP_2) | instid1(SALU_CYCLE_1)
	s_add_u32 s0, s16, s2
	s_addc_u32 s4, s17, s3
	s_lshl_b64 s[2:3], s[18:19], 4
	s_add_u32 s0, s0, s2
	s_delay_alu instid0(VALU_DEP_1) | instskip(NEXT) | instid1(VALU_DEP_2)
	v_mad_u64_u32 v[13:14], null, v9, s21, v[12:13]
	v_cndmask_b32_e32 v11, 0, v11, vcc_lo
	v_ashrrev_i32_e32 v9, 31, v8
	s_addc_u32 s2, s4, s3
	s_delay_alu instid0(VALU_DEP_3) | instskip(NEXT) | instid1(VALU_DEP_2)
	v_cndmask_b32_e32 v12, 0, v13, vcc_lo
	v_lshlrev_b64 v[8:9], 4, v[8:9]
	s_delay_alu instid0(VALU_DEP_2) | instskip(NEXT) | instid1(VALU_DEP_1)
	v_lshlrev_b64 v[11:12], 4, v[11:12]
	v_add_co_u32 v11, vcc_lo, s0, v11
	s_delay_alu instid0(VALU_DEP_2) | instskip(NEXT) | instid1(VALU_DEP_2)
	v_add_co_ci_u32_e32 v12, vcc_lo, s2, v12, vcc_lo
	v_add_co_u32 v8, vcc_lo, v11, v8
	s_delay_alu instid0(VALU_DEP_2) | instskip(SKIP_4) | instid1(VALU_DEP_2)
	v_add_co_ci_u32_e32 v9, vcc_lo, v12, v9, vcc_lo
	global_load_b128 v[11:14], v[8:9], off
	s_waitcnt vmcnt(0)
	v_mul_f64 v[8:9], v[6:7], v[13:14]
	v_mul_f64 v[13:14], v[4:5], v[13:14]
	v_fma_f64 v[4:5], v[4:5], v[11:12], -v[8:9]
	s_delay_alu instid0(VALU_DEP_2) | instskip(NEXT) | instid1(VALU_DEP_2)
	v_fma_f64 v[6:7], v[6:7], v[11:12], v[13:14]
	v_add_f64 v[0:1], v[0:1], v[4:5]
	s_delay_alu instid0(VALU_DEP_2)
	v_add_f64 v[2:3], v[2:3], v[6:7]
.LBB151_24:
	s_or_b32 exec_lo, exec_lo, s1
.LBB151_25:
	v_lshlrev_b32_e32 v11, 4, v10
	s_mov_b32 s0, exec_lo
                                        ; implicit-def: $vgpr8_vgpr9
	ds_store_b128 v11, v[0:3]
	s_waitcnt vmcnt(0) lgkmcnt(0)
	s_barrier
	buffer_gl0_inv
                                        ; implicit-def: $vgpr2_vgpr3
	v_cmpx_gt_u32_e32 64, v10
	s_cbranch_execz .LBB151_31
; %bb.26:
	ds_load_b128 v[0:3], v11
	ds_load_b128 v[4:7], v11 offset:1024
	v_or_b32_e32 v10, s14, v10
	s_mov_b32 s2, s35
	s_mov_b32 s1, exec_lo
	s_waitcnt lgkmcnt(0)
	v_add_f64 v[8:9], v[0:1], v[4:5]
	v_add_f64 v[12:13], v[2:3], v[6:7]
	ds_load_b128 v[0:3], v11 offset:2048
	ds_load_b128 v[4:7], v11 offset:3072
	s_waitcnt lgkmcnt(1)
	v_add_f64 v[0:1], v[8:9], v[0:1]
	v_add_f64 v[2:3], v[12:13], v[2:3]
                                        ; implicit-def: $vgpr8_vgpr9
	s_waitcnt lgkmcnt(0)
	s_delay_alu instid0(VALU_DEP_2) | instskip(NEXT) | instid1(VALU_DEP_2)
	v_add_f64 v[4:5], v[0:1], v[4:5]
	v_add_f64 v[6:7], v[2:3], v[6:7]
                                        ; implicit-def: $vgpr2_vgpr3
	ds_store_b128 v11, v[4:7]
	v_cmpx_gt_i32_e64 s12, v10
	s_cbranch_execz .LBB151_30
; %bb.27:
	v_mul_f64 v[0:1], s[42:43], v[6:7]
	v_mul_f64 v[2:3], s[40:41], v[6:7]
	v_cmp_neq_f64_e64 s2, s[36:37], 0
	v_cmp_neq_f64_e64 s3, s[38:39], 0
	v_mad_u64_u32 v[8:9], null, v10, s8, 0
	v_fma_f64 v[0:1], s[40:41], v[4:5], -v[0:1]
	v_fma_f64 v[2:3], s[42:43], v[4:5], v[2:3]
	v_ashrrev_i32_e32 v4, 31, v10
	v_mul_lo_u32 v5, v10, s9
	s_or_b32 s2, s2, s3
	s_delay_alu instid0(SALU_CYCLE_1) | instskip(NEXT) | instid1(VALU_DEP_2)
	s_and_not1_b32 vcc_lo, exec_lo, s2
	v_mul_lo_u32 v4, v4, s8
	s_delay_alu instid0(VALU_DEP_1)
	v_add3_u32 v9, v9, v5, v4
	s_cbranch_vccnz .LBB151_29
; %bb.28:
	s_delay_alu instid0(VALU_DEP_1) | instskip(NEXT) | instid1(VALU_DEP_1)
	v_lshlrev_b64 v[4:5], 4, v[8:9]
	v_add_co_u32 v4, vcc_lo, s33, v4
	s_delay_alu instid0(VALU_DEP_2) | instskip(SKIP_4) | instid1(VALU_DEP_2)
	v_add_co_ci_u32_e32 v5, vcc_lo, s34, v5, vcc_lo
	global_load_b128 v[4:7], v[4:5], off
	s_waitcnt vmcnt(0)
	v_mul_f64 v[10:11], s[38:39], v[6:7]
	v_mul_f64 v[6:7], s[36:37], v[6:7]
	v_fma_f64 v[10:11], s[36:37], v[4:5], -v[10:11]
	s_delay_alu instid0(VALU_DEP_2) | instskip(NEXT) | instid1(VALU_DEP_2)
	v_fma_f64 v[4:5], s[38:39], v[4:5], v[6:7]
	v_add_f64 v[0:1], v[0:1], v[10:11]
	s_delay_alu instid0(VALU_DEP_2)
	v_add_f64 v[2:3], v[2:3], v[4:5]
.LBB151_29:
	s_or_b32 s2, s35, exec_lo
.LBB151_30:
	s_or_b32 exec_lo, exec_lo, s1
	s_delay_alu instid0(SALU_CYCLE_1) | instskip(SKIP_1) | instid1(SALU_CYCLE_1)
	s_and_not1_b32 s1, s35, exec_lo
	s_and_b32 s2, s2, exec_lo
	s_or_b32 s35, s1, s2
.LBB151_31:
	s_or_b32 exec_lo, exec_lo, s0
.LBB151_32:
	s_and_saveexec_b32 s0, s35
	s_cbranch_execz .LBB151_34
; %bb.33:
	v_lshlrev_b64 v[4:5], 4, v[8:9]
	s_delay_alu instid0(VALU_DEP_1) | instskip(NEXT) | instid1(VALU_DEP_2)
	v_add_co_u32 v4, vcc_lo, s33, v4
	v_add_co_ci_u32_e32 v5, vcc_lo, s34, v5, vcc_lo
	global_store_b128 v[4:5], v[0:3], off
.LBB151_34:
	s_nop 0
	s_sendmsg sendmsg(MSG_DEALLOC_VGPRS)
	s_endpgm
	.section	.rodata,"a",@progbits
	.p2align	6, 0x0
	.amdhsa_kernel _ZL20rocblas_gemvn_kernelILi64ELi4El19rocblas_complex_numIdES1_S1_EviiT3_lPKT2_lT1_lS5_lS6_lS2_lPT4_lS6_li
		.amdhsa_group_segment_fixed_size 4096
		.amdhsa_private_segment_fixed_size 0
		.amdhsa_kernarg_size 416
		.amdhsa_user_sgpr_count 14
		.amdhsa_user_sgpr_dispatch_ptr 0
		.amdhsa_user_sgpr_queue_ptr 0
		.amdhsa_user_sgpr_kernarg_segment_ptr 1
		.amdhsa_user_sgpr_dispatch_id 0
		.amdhsa_user_sgpr_private_segment_size 0
		.amdhsa_wavefront_size32 1
		.amdhsa_uses_dynamic_stack 0
		.amdhsa_enable_private_segment 0
		.amdhsa_system_sgpr_workgroup_id_x 1
		.amdhsa_system_sgpr_workgroup_id_y 0
		.amdhsa_system_sgpr_workgroup_id_z 1
		.amdhsa_system_sgpr_workgroup_info 0
		.amdhsa_system_vgpr_workitem_id 1
		.amdhsa_next_free_vgpr 21
		.amdhsa_next_free_sgpr 45
		.amdhsa_reserve_vcc 1
		.amdhsa_float_round_mode_32 0
		.amdhsa_float_round_mode_16_64 0
		.amdhsa_float_denorm_mode_32 3
		.amdhsa_float_denorm_mode_16_64 3
		.amdhsa_dx10_clamp 1
		.amdhsa_ieee_mode 1
		.amdhsa_fp16_overflow 0
		.amdhsa_workgroup_processor_mode 1
		.amdhsa_memory_ordered 1
		.amdhsa_forward_progress 0
		.amdhsa_shared_vgpr_count 0
		.amdhsa_exception_fp_ieee_invalid_op 0
		.amdhsa_exception_fp_denorm_src 0
		.amdhsa_exception_fp_ieee_div_zero 0
		.amdhsa_exception_fp_ieee_overflow 0
		.amdhsa_exception_fp_ieee_underflow 0
		.amdhsa_exception_fp_ieee_inexact 0
		.amdhsa_exception_int_div_zero 0
	.end_amdhsa_kernel
	.section	.text._ZL20rocblas_gemvn_kernelILi64ELi4El19rocblas_complex_numIdES1_S1_EviiT3_lPKT2_lT1_lS5_lS6_lS2_lPT4_lS6_li,"axG",@progbits,_ZL20rocblas_gemvn_kernelILi64ELi4El19rocblas_complex_numIdES1_S1_EviiT3_lPKT2_lT1_lS5_lS6_lS2_lPT4_lS6_li,comdat
.Lfunc_end151:
	.size	_ZL20rocblas_gemvn_kernelILi64ELi4El19rocblas_complex_numIdES1_S1_EviiT3_lPKT2_lT1_lS5_lS6_lS2_lPT4_lS6_li, .Lfunc_end151-_ZL20rocblas_gemvn_kernelILi64ELi4El19rocblas_complex_numIdES1_S1_EviiT3_lPKT2_lT1_lS5_lS6_lS2_lPT4_lS6_li
                                        ; -- End function
	.section	.AMDGPU.csdata,"",@progbits
; Kernel info:
; codeLenInByte = 1892
; NumSgprs: 47
; NumVgprs: 21
; ScratchSize: 0
; MemoryBound: 0
; FloatMode: 240
; IeeeMode: 1
; LDSByteSize: 4096 bytes/workgroup (compile time only)
; SGPRBlocks: 5
; VGPRBlocks: 2
; NumSGPRsForWavesPerEU: 47
; NumVGPRsForWavesPerEU: 21
; Occupancy: 16
; WaveLimiterHint : 1
; COMPUTE_PGM_RSRC2:SCRATCH_EN: 0
; COMPUTE_PGM_RSRC2:USER_SGPR: 14
; COMPUTE_PGM_RSRC2:TRAP_HANDLER: 0
; COMPUTE_PGM_RSRC2:TGID_X_EN: 1
; COMPUTE_PGM_RSRC2:TGID_Y_EN: 0
; COMPUTE_PGM_RSRC2:TGID_Z_EN: 1
; COMPUTE_PGM_RSRC2:TIDIG_COMP_CNT: 1
	.section	.text._ZL20rocblas_gemvn_kernelILi32ELi16Ei19rocblas_complex_numIdEPKS1_S1_EviiT3_lPKT2_lT1_lS7_lS8_lS4_lPT4_lS8_li,"axG",@progbits,_ZL20rocblas_gemvn_kernelILi32ELi16Ei19rocblas_complex_numIdEPKS1_S1_EviiT3_lPKT2_lT1_lS7_lS8_lS4_lPT4_lS8_li,comdat
	.globl	_ZL20rocblas_gemvn_kernelILi32ELi16Ei19rocblas_complex_numIdEPKS1_S1_EviiT3_lPKT2_lT1_lS7_lS8_lS4_lPT4_lS8_li ; -- Begin function _ZL20rocblas_gemvn_kernelILi32ELi16Ei19rocblas_complex_numIdEPKS1_S1_EviiT3_lPKT2_lT1_lS7_lS8_lS4_lPT4_lS8_li
	.p2align	8
	.type	_ZL20rocblas_gemvn_kernelILi32ELi16Ei19rocblas_complex_numIdEPKS1_S1_EviiT3_lPKT2_lT1_lS7_lS8_lS4_lPT4_lS8_li,@function
_ZL20rocblas_gemvn_kernelILi32ELi16Ei19rocblas_complex_numIdEPKS1_S1_EviiT3_lPKT2_lT1_lS7_lS8_lS4_lPT4_lS8_li: ; @_ZL20rocblas_gemvn_kernelILi32ELi16Ei19rocblas_complex_numIdEPKS1_S1_EviiT3_lPKT2_lT1_lS7_lS8_lS4_lPT4_lS8_li
; %bb.0:
	s_load_b64 s[2:3], s[0:1], 0x9c
	s_waitcnt lgkmcnt(0)
	s_lshr_b32 s4, s2, 16
	s_and_b32 s2, s2, 0xffff
	s_and_b32 s3, s3, 0xffff
	s_mul_i32 s4, s4, s2
	s_delay_alu instid0(SALU_CYCLE_1) | instskip(NEXT) | instid1(SALU_CYCLE_1)
	s_mul_i32 s4, s4, s3
	s_cmpk_lg_i32 s4, 0x200
	s_cbranch_scc1 .LBB152_34
; %bb.1:
	s_load_b256 s[4:11], s[0:1], 0x8
	s_waitcnt lgkmcnt(0)
	s_mul_i32 s3, s15, s7
	s_mul_hi_u32 s7, s15, s6
	s_mul_i32 s6, s15, s6
	s_add_i32 s7, s7, s3
	s_delay_alu instid0(SALU_CYCLE_1) | instskip(NEXT) | instid1(SALU_CYCLE_1)
	s_lshl_b64 s[6:7], s[6:7], 4
	s_add_u32 s4, s4, s6
	s_addc_u32 s5, s5, s7
	s_load_b128 s[4:7], s[4:5], 0x0
	s_load_b256 s[16:23], s[0:1], 0x50
	s_waitcnt lgkmcnt(0)
	v_cmp_neq_f64_e64 s3, s[4:5], 0
	v_cmp_neq_f64_e64 s28, s[6:7], 0
	s_mul_i32 s12, s15, s21
	s_mul_hi_u32 s13, s15, s20
	s_delay_alu instid0(SALU_CYCLE_1) | instskip(SKIP_1) | instid1(SALU_CYCLE_1)
	s_add_i32 s13, s13, s12
	s_mul_i32 s12, s15, s20
	s_lshl_b64 s[12:13], s[12:13], 4
	s_delay_alu instid0(SALU_CYCLE_1) | instskip(SKIP_3) | instid1(VALU_DEP_1)
	s_add_u32 s12, s18, s12
	s_addc_u32 s13, s19, s13
	s_load_b128 s[24:27], s[12:13], 0x0
	s_mov_b32 s12, -1
	s_or_b32 s3, s3, s28
	s_delay_alu instid0(SALU_CYCLE_1)
	s_and_b32 vcc_lo, exec_lo, s3
	s_cbranch_vccnz .LBB152_3
; %bb.2:
	s_waitcnt lgkmcnt(0)
	v_cmp_neq_f64_e64 s12, s[24:25], 1.0
	v_cmp_neq_f64_e64 s13, s[26:27], 0
	s_delay_alu instid0(VALU_DEP_1)
	s_or_b32 s12, s12, s13
.LBB152_3:
	s_delay_alu instid0(SALU_CYCLE_1)
	s_and_not1_b32 vcc_lo, exec_lo, s12
	s_cbranch_vccnz .LBB152_34
; %bb.4:
	s_clause 0x3
	s_load_b64 s[20:21], s[0:1], 0x80
	s_load_b64 s[28:29], s[0:1], 0x70
	s_load_b32 s19, s[0:1], 0x78
	s_load_b64 s[12:13], s[0:1], 0x0
	v_and_b32_e32 v1, 0x3ff, v0
	v_bfe_u32 v0, v0, 10, 10
	s_xor_b32 s30, s3, -1
	s_delay_alu instid0(VALU_DEP_1)
	v_mad_u32_u24 v10, v0, s2, v1
	s_waitcnt lgkmcnt(0)
	s_mul_i32 s3, s15, s21
	s_mul_hi_u32 s18, s15, s20
	s_mul_i32 s20, s15, s20
	s_add_i32 s21, s18, s3
	s_delay_alu instid0(SALU_CYCLE_1) | instskip(NEXT) | instid1(SALU_CYCLE_1)
	s_lshl_b64 s[2:3], s[20:21], 4
	s_add_u32 s18, s22, s2
	s_addc_u32 s22, s23, s3
	s_lshl_b64 s[20:21], s[28:29], 4
	v_cmp_gt_u32_e64 s2, 32, v10
	s_add_u32 s3, s18, s20
	s_addc_u32 s18, s22, s21
	s_and_not1_b32 vcc_lo, exec_lo, s30
	s_mov_b32 s20, 0
	s_cbranch_vccnz .LBB152_11
; %bb.5:
	s_mov_b32 s21, 0
                                        ; implicit-def: $vgpr2_vgpr3
                                        ; implicit-def: $vgpr8_vgpr9
	s_and_saveexec_b32 s22, s2
	s_cbranch_execz .LBB152_12
; %bb.6:
	v_lshl_or_b32 v0, s14, 5, v10
	v_mov_b32_e32 v1, 0
	s_ashr_i32 s29, s12, 31
	s_mov_b32 s28, s12
	s_mov_b32 s2, exec_lo
                                        ; implicit-def: $vgpr2_vgpr3
                                        ; implicit-def: $vgpr8_vgpr9
	s_delay_alu instid0(VALU_DEP_1)
	v_cmpx_gt_i64_e64 s[28:29], v[0:1]
	s_cbranch_execz .LBB152_10
; %bb.7:
	v_cmp_neq_f64_e64 s20, s[24:25], 0
	v_cmp_neq_f64_e64 s23, s[26:27], 0
	v_mad_u64_u32 v[8:9], null, v0, s19, 0
	s_ashr_i32 s28, s19, 31
	s_delay_alu instid0(VALU_DEP_1) | instskip(NEXT) | instid1(VALU_DEP_1)
	v_mov_b32_e32 v1, v9
	v_mad_u64_u32 v[4:5], null, v0, s28, v[1:2]
	v_mov_b32_e32 v2, 0
	v_mov_b32_e32 v3, 0
	s_delay_alu instid0(VALU_DEP_2) | instskip(NEXT) | instid1(VALU_DEP_2)
	v_dual_mov_b32 v0, v2 :: v_dual_mov_b32 v9, v4
	v_mov_b32_e32 v1, v3
	s_or_b32 s20, s20, s23
	s_delay_alu instid0(SALU_CYCLE_1)
	s_and_not1_b32 vcc_lo, exec_lo, s20
	s_cbranch_vccnz .LBB152_9
; %bb.8:
	v_lshlrev_b64 v[0:1], 4, v[8:9]
	s_delay_alu instid0(VALU_DEP_1) | instskip(NEXT) | instid1(VALU_DEP_2)
	v_add_co_u32 v0, vcc_lo, s3, v0
	v_add_co_ci_u32_e32 v1, vcc_lo, s18, v1, vcc_lo
	global_load_b128 v[2:5], v[0:1], off
	s_waitcnt vmcnt(0)
	v_mul_f64 v[0:1], s[26:27], v[4:5]
	v_mul_f64 v[4:5], s[24:25], v[4:5]
	s_delay_alu instid0(VALU_DEP_2) | instskip(NEXT) | instid1(VALU_DEP_2)
	v_fma_f64 v[0:1], s[24:25], v[2:3], -v[0:1]
	v_fma_f64 v[2:3], s[26:27], v[2:3], v[4:5]
.LBB152_9:
	s_mov_b32 s20, exec_lo
.LBB152_10:
	s_or_b32 exec_lo, exec_lo, s2
	s_delay_alu instid0(SALU_CYCLE_1) | instskip(SKIP_1) | instid1(SALU_CYCLE_1)
	s_and_b32 s20, s20, exec_lo
	s_or_b32 exec_lo, exec_lo, s22
	s_and_b32 vcc_lo, exec_lo, s21
	s_cbranch_vccnz .LBB152_13
	s_branch .LBB152_32
.LBB152_11:
                                        ; implicit-def: $vgpr2_vgpr3
                                        ; implicit-def: $vgpr8_vgpr9
	s_cbranch_execnz .LBB152_13
	s_branch .LBB152_32
.LBB152_12:
	s_or_b32 exec_lo, exec_lo, s22
	s_delay_alu instid0(SALU_CYCLE_1)
	s_and_b32 vcc_lo, exec_lo, s21
	s_cbranch_vccz .LBB152_32
.LBB152_13:
	s_clause 0x1
	s_load_b128 s[28:31], s[0:1], 0x30
	s_load_b64 s[22:23], s[0:1], 0x40
	s_mul_i32 s17, s15, s17
	v_dual_mov_b32 v2, 0 :: v_dual_and_b32 v5, 31, v10
	v_mov_b32_e32 v3, 0
	v_lshrrev_b32_e32 v8, 5, v10
	s_delay_alu instid0(VALU_DEP_2)
	v_dual_mov_b32 v0, v2 :: v_dual_mov_b32 v1, v3
	s_waitcnt lgkmcnt(0)
	s_mul_i32 s2, s15, s29
	s_mul_hi_u32 s21, s15, s28
	s_mul_i32 s28, s15, s28
	s_add_i32 s29, s21, s2
	s_mul_hi_u32 s21, s15, s16
	s_lshl_b64 s[28:29], s[28:29], 4
	s_delay_alu instid0(SALU_CYCLE_1)
	s_add_u32 s2, s8, s28
	s_addc_u32 s28, s9, s29
	s_lshl_b64 s[8:9], s[10:11], 4
	s_mul_i32 s10, s15, s16
	s_add_u32 s2, s2, s8
	s_addc_u32 s8, s28, s9
	s_add_i32 s11, s21, s17
	s_load_b32 s9, s[0:1], 0x28
	s_lshl_b64 s[16:17], s[10:11], 4
	s_load_b32 s10, s[0:1], 0x48
	s_add_u32 s11, s30, s16
	s_addc_u32 s15, s31, s17
	s_lshl_b64 s[0:1], s[22:23], 4
	s_mov_b32 s16, exec_lo
	s_add_u32 s11, s11, s0
	s_addc_u32 s15, s15, s1
	s_ashr_i32 s0, s13, 31
	s_lshl_b32 s1, s14, 5
	s_lshr_b32 s0, s0, 28
	v_or_b32_e32 v9, s1, v5
	s_add_i32 s0, s13, s0
	s_delay_alu instid0(SALU_CYCLE_1) | instskip(NEXT) | instid1(SALU_CYCLE_1)
	s_and_b32 s14, s0, -16
	v_cmpx_gt_i32_e64 s14, v8
	s_cbranch_execz .LBB152_19
; %bb.14:
	s_waitcnt lgkmcnt(0)
	v_mul_lo_u32 v0, s9, v8
	v_mov_b32_e32 v2, 0
	v_mov_b32_e32 v3, 0
	v_mul_lo_u32 v4, s10, v8
	v_cmp_gt_i32_e32 vcc_lo, s12, v9
	s_lshl_b32 s17, s10, 4
	s_lshl_b32 s22, s9, 4
	s_mov_b32 s21, 0
	v_add3_u32 v6, v0, s1, v5
	v_dual_mov_b32 v0, v2 :: v_dual_mov_b32 v1, v3
	s_set_inst_prefetch_distance 0x1
	s_branch .LBB152_16
	.p2align	6
.LBB152_15:                             ;   in Loop: Header=BB152_16 Depth=1
	s_or_b32 exec_lo, exec_lo, s23
	v_add_nc_u32_e32 v8, 16, v8
	v_add_nc_u32_e32 v4, s17, v4
	;; [unrolled: 1-line block ×3, first 2 shown]
	s_delay_alu instid0(VALU_DEP_3) | instskip(NEXT) | instid1(VALU_DEP_1)
	v_cmp_le_i32_e64 s0, s14, v8
	s_or_b32 s21, s0, s21
	s_delay_alu instid0(SALU_CYCLE_1)
	s_and_not1_b32 exec_lo, exec_lo, s21
	s_cbranch_execz .LBB152_18
.LBB152_16:                             ; =>This Inner Loop Header: Depth=1
	s_and_saveexec_b32 s23, vcc_lo
	s_cbranch_execz .LBB152_15
; %bb.17:                               ;   in Loop: Header=BB152_16 Depth=1
	v_ashrrev_i32_e32 v5, 31, v4
	v_ashrrev_i32_e32 v7, 31, v6
	s_delay_alu instid0(VALU_DEP_2) | instskip(NEXT) | instid1(VALU_DEP_2)
	v_lshlrev_b64 v[11:12], 4, v[4:5]
	v_lshlrev_b64 v[13:14], 4, v[6:7]
	s_delay_alu instid0(VALU_DEP_2) | instskip(NEXT) | instid1(VALU_DEP_1)
	v_add_co_u32 v11, s0, s11, v11
	v_add_co_ci_u32_e64 v12, s0, s15, v12, s0
	s_delay_alu instid0(VALU_DEP_3) | instskip(NEXT) | instid1(VALU_DEP_1)
	v_add_co_u32 v15, s0, s2, v13
	v_add_co_ci_u32_e64 v16, s0, s8, v14, s0
	global_load_b128 v[11:14], v[11:12], off
	global_load_b128 v[15:18], v[15:16], off
	s_waitcnt vmcnt(0)
	v_mul_f64 v[19:20], v[13:14], v[17:18]
	v_mul_f64 v[17:18], v[11:12], v[17:18]
	s_delay_alu instid0(VALU_DEP_2) | instskip(NEXT) | instid1(VALU_DEP_2)
	v_fma_f64 v[11:12], v[11:12], v[15:16], -v[19:20]
	v_fma_f64 v[13:14], v[13:14], v[15:16], v[17:18]
	s_delay_alu instid0(VALU_DEP_2) | instskip(NEXT) | instid1(VALU_DEP_2)
	v_add_f64 v[0:1], v[0:1], v[11:12]
	v_add_f64 v[2:3], v[2:3], v[13:14]
	s_branch .LBB152_15
.LBB152_18:
	s_set_inst_prefetch_distance 0x2
	s_or_b32 exec_lo, exec_lo, s21
.LBB152_19:
	s_delay_alu instid0(SALU_CYCLE_1) | instskip(SKIP_1) | instid1(SALU_CYCLE_1)
	s_or_b32 exec_lo, exec_lo, s16
	s_sub_i32 s0, s13, s14
	s_cmp_lt_i32 s0, 1
	s_cbranch_scc1 .LBB152_25
; %bb.20:
	v_mov_b32_e32 v4, 0
	v_mov_b32_e32 v5, 0
	v_cmp_gt_i32_e32 vcc_lo, s13, v8
	s_delay_alu instid0(VALU_DEP_2)
	v_dual_mov_b32 v7, v5 :: v_dual_mov_b32 v6, v4
	s_and_saveexec_b32 s13, vcc_lo
	s_cbranch_execz .LBB152_22
; %bb.21:
	s_waitcnt lgkmcnt(0)
	v_mul_lo_u32 v4, v8, s10
	s_delay_alu instid0(VALU_DEP_1) | instskip(NEXT) | instid1(VALU_DEP_1)
	v_ashrrev_i32_e32 v5, 31, v4
	v_lshlrev_b64 v[4:5], 4, v[4:5]
	s_delay_alu instid0(VALU_DEP_1) | instskip(NEXT) | instid1(VALU_DEP_1)
	v_add_co_u32 v4, s0, s11, v4
	v_add_co_ci_u32_e64 v5, s0, s15, v5, s0
	global_load_b128 v[4:7], v[4:5], off
.LBB152_22:
	s_or_b32 exec_lo, exec_lo, s13
	s_waitcnt lgkmcnt(0)
	s_mov_b32 s10, exec_lo
	v_cmpx_gt_i32_e64 s12, v9
	s_cbranch_execz .LBB152_24
; %bb.23:
	v_mul_lo_u32 v8, v8, s9
	s_delay_alu instid0(VALU_DEP_1) | instskip(NEXT) | instid1(VALU_DEP_1)
	v_cndmask_b32_e32 v8, 0, v8, vcc_lo
	v_add_nc_u32_e32 v8, v8, v9
	s_delay_alu instid0(VALU_DEP_1) | instskip(NEXT) | instid1(VALU_DEP_1)
	v_ashrrev_i32_e32 v9, 31, v8
	v_lshlrev_b64 v[8:9], 4, v[8:9]
	s_delay_alu instid0(VALU_DEP_1) | instskip(NEXT) | instid1(VALU_DEP_2)
	v_add_co_u32 v8, vcc_lo, s2, v8
	v_add_co_ci_u32_e32 v9, vcc_lo, s8, v9, vcc_lo
	global_load_b128 v[11:14], v[8:9], off
	s_waitcnt vmcnt(0)
	v_mul_f64 v[8:9], v[6:7], v[13:14]
	v_mul_f64 v[13:14], v[4:5], v[13:14]
	s_delay_alu instid0(VALU_DEP_2) | instskip(NEXT) | instid1(VALU_DEP_2)
	v_fma_f64 v[4:5], v[4:5], v[11:12], -v[8:9]
	v_fma_f64 v[6:7], v[6:7], v[11:12], v[13:14]
	s_delay_alu instid0(VALU_DEP_2) | instskip(NEXT) | instid1(VALU_DEP_2)
	v_add_f64 v[0:1], v[0:1], v[4:5]
	v_add_f64 v[2:3], v[2:3], v[6:7]
.LBB152_24:
	s_or_b32 exec_lo, exec_lo, s10
.LBB152_25:
	v_lshlrev_b32_e32 v11, 4, v10
	s_mov_b32 s0, exec_lo
                                        ; implicit-def: $vgpr8_vgpr9
	ds_store_b128 v11, v[0:3]
	s_waitcnt vmcnt(0) lgkmcnt(0)
	s_barrier
	buffer_gl0_inv
                                        ; implicit-def: $vgpr2_vgpr3
	v_cmpx_gt_u32_e32 32, v10
	s_cbranch_execz .LBB152_31
; %bb.26:
	ds_load_b128 v[0:3], v11
	ds_load_b128 v[4:7], v11 offset:512
	v_or_b32_e32 v10, s1, v10
	s_mov_b32 s2, s20
	s_mov_b32 s1, exec_lo
	s_waitcnt lgkmcnt(0)
	v_add_f64 v[8:9], v[0:1], v[4:5]
	v_add_f64 v[12:13], v[2:3], v[6:7]
	ds_load_b128 v[0:3], v11 offset:1024
	ds_load_b128 v[4:7], v11 offset:1536
	s_waitcnt lgkmcnt(1)
	v_add_f64 v[0:1], v[8:9], v[0:1]
	v_add_f64 v[2:3], v[12:13], v[2:3]
	s_waitcnt lgkmcnt(0)
	s_delay_alu instid0(VALU_DEP_2) | instskip(NEXT) | instid1(VALU_DEP_2)
	v_add_f64 v[8:9], v[0:1], v[4:5]
	v_add_f64 v[12:13], v[2:3], v[6:7]
	ds_load_b128 v[0:3], v11 offset:2048
	ds_load_b128 v[4:7], v11 offset:2560
	s_waitcnt lgkmcnt(1)
	v_add_f64 v[0:1], v[8:9], v[0:1]
	v_add_f64 v[2:3], v[12:13], v[2:3]
	s_waitcnt lgkmcnt(0)
	s_delay_alu instid0(VALU_DEP_2) | instskip(NEXT) | instid1(VALU_DEP_2)
	;; [unrolled: 9-line block ×6, first 2 shown]
	v_add_f64 v[8:9], v[0:1], v[4:5]
	v_add_f64 v[12:13], v[2:3], v[6:7]
	ds_load_b128 v[0:3], v11 offset:7168
	ds_load_b128 v[4:7], v11 offset:7680
	s_waitcnt lgkmcnt(1)
	v_add_f64 v[0:1], v[8:9], v[0:1]
	v_add_f64 v[2:3], v[12:13], v[2:3]
                                        ; implicit-def: $vgpr8_vgpr9
	s_waitcnt lgkmcnt(0)
	s_delay_alu instid0(VALU_DEP_2) | instskip(NEXT) | instid1(VALU_DEP_2)
	v_add_f64 v[4:5], v[0:1], v[4:5]
	v_add_f64 v[6:7], v[2:3], v[6:7]
                                        ; implicit-def: $vgpr2_vgpr3
	ds_store_b128 v11, v[4:7]
	v_cmpx_gt_i32_e64 s12, v10
	s_cbranch_execz .LBB152_30
; %bb.27:
	v_mul_f64 v[0:1], s[6:7], v[6:7]
	v_mul_f64 v[2:3], s[4:5], v[6:7]
	v_cmp_neq_f64_e64 s2, s[24:25], 0
	v_cmp_neq_f64_e64 s8, s[26:27], 0
	v_mul_lo_u32 v8, v10, s19
	s_delay_alu instid0(VALU_DEP_1) | instskip(SKIP_3) | instid1(SALU_CYCLE_1)
	v_ashrrev_i32_e32 v9, 31, v8
	v_fma_f64 v[0:1], s[4:5], v[4:5], -v[0:1]
	v_fma_f64 v[2:3], s[6:7], v[4:5], v[2:3]
	s_or_b32 s2, s2, s8
	s_and_not1_b32 vcc_lo, exec_lo, s2
	s_cbranch_vccnz .LBB152_29
; %bb.28:
	v_lshlrev_b64 v[4:5], 4, v[8:9]
	s_delay_alu instid0(VALU_DEP_1) | instskip(NEXT) | instid1(VALU_DEP_2)
	v_add_co_u32 v4, vcc_lo, s3, v4
	v_add_co_ci_u32_e32 v5, vcc_lo, s18, v5, vcc_lo
	global_load_b128 v[4:7], v[4:5], off
	s_waitcnt vmcnt(0)
	v_mul_f64 v[10:11], s[26:27], v[6:7]
	v_mul_f64 v[6:7], s[24:25], v[6:7]
	s_delay_alu instid0(VALU_DEP_2) | instskip(NEXT) | instid1(VALU_DEP_2)
	v_fma_f64 v[10:11], s[24:25], v[4:5], -v[10:11]
	v_fma_f64 v[4:5], s[26:27], v[4:5], v[6:7]
	s_delay_alu instid0(VALU_DEP_2) | instskip(NEXT) | instid1(VALU_DEP_2)
	v_add_f64 v[0:1], v[0:1], v[10:11]
	v_add_f64 v[2:3], v[2:3], v[4:5]
.LBB152_29:
	s_or_b32 s2, s20, exec_lo
.LBB152_30:
	s_or_b32 exec_lo, exec_lo, s1
	s_delay_alu instid0(SALU_CYCLE_1) | instskip(SKIP_1) | instid1(SALU_CYCLE_1)
	s_and_not1_b32 s1, s20, exec_lo
	s_and_b32 s2, s2, exec_lo
	s_or_b32 s20, s1, s2
.LBB152_31:
	s_or_b32 exec_lo, exec_lo, s0
.LBB152_32:
	s_and_saveexec_b32 s0, s20
	s_cbranch_execz .LBB152_34
; %bb.33:
	v_lshlrev_b64 v[4:5], 4, v[8:9]
	s_delay_alu instid0(VALU_DEP_1) | instskip(NEXT) | instid1(VALU_DEP_2)
	v_add_co_u32 v4, vcc_lo, s3, v4
	v_add_co_ci_u32_e32 v5, vcc_lo, s18, v5, vcc_lo
	global_store_b128 v[4:5], v[0:3], off
.LBB152_34:
	s_nop 0
	s_sendmsg sendmsg(MSG_DEALLOC_VGPRS)
	s_endpgm
	.section	.rodata,"a",@progbits
	.p2align	6, 0x0
	.amdhsa_kernel _ZL20rocblas_gemvn_kernelILi32ELi16Ei19rocblas_complex_numIdEPKS1_S1_EviiT3_lPKT2_lT1_lS7_lS8_lS4_lPT4_lS8_li
		.amdhsa_group_segment_fixed_size 8192
		.amdhsa_private_segment_fixed_size 0
		.amdhsa_kernarg_size 400
		.amdhsa_user_sgpr_count 14
		.amdhsa_user_sgpr_dispatch_ptr 0
		.amdhsa_user_sgpr_queue_ptr 0
		.amdhsa_user_sgpr_kernarg_segment_ptr 1
		.amdhsa_user_sgpr_dispatch_id 0
		.amdhsa_user_sgpr_private_segment_size 0
		.amdhsa_wavefront_size32 1
		.amdhsa_uses_dynamic_stack 0
		.amdhsa_enable_private_segment 0
		.amdhsa_system_sgpr_workgroup_id_x 1
		.amdhsa_system_sgpr_workgroup_id_y 0
		.amdhsa_system_sgpr_workgroup_id_z 1
		.amdhsa_system_sgpr_workgroup_info 0
		.amdhsa_system_vgpr_workitem_id 1
		.amdhsa_next_free_vgpr 21
		.amdhsa_next_free_sgpr 32
		.amdhsa_reserve_vcc 1
		.amdhsa_float_round_mode_32 0
		.amdhsa_float_round_mode_16_64 0
		.amdhsa_float_denorm_mode_32 3
		.amdhsa_float_denorm_mode_16_64 3
		.amdhsa_dx10_clamp 1
		.amdhsa_ieee_mode 1
		.amdhsa_fp16_overflow 0
		.amdhsa_workgroup_processor_mode 1
		.amdhsa_memory_ordered 1
		.amdhsa_forward_progress 0
		.amdhsa_shared_vgpr_count 0
		.amdhsa_exception_fp_ieee_invalid_op 0
		.amdhsa_exception_fp_denorm_src 0
		.amdhsa_exception_fp_ieee_div_zero 0
		.amdhsa_exception_fp_ieee_overflow 0
		.amdhsa_exception_fp_ieee_underflow 0
		.amdhsa_exception_fp_ieee_inexact 0
		.amdhsa_exception_int_div_zero 0
	.end_amdhsa_kernel
	.section	.text._ZL20rocblas_gemvn_kernelILi32ELi16Ei19rocblas_complex_numIdEPKS1_S1_EviiT3_lPKT2_lT1_lS7_lS8_lS4_lPT4_lS8_li,"axG",@progbits,_ZL20rocblas_gemvn_kernelILi32ELi16Ei19rocblas_complex_numIdEPKS1_S1_EviiT3_lPKT2_lT1_lS7_lS8_lS4_lPT4_lS8_li,comdat
.Lfunc_end152:
	.size	_ZL20rocblas_gemvn_kernelILi32ELi16Ei19rocblas_complex_numIdEPKS1_S1_EviiT3_lPKT2_lT1_lS7_lS8_lS4_lPT4_lS8_li, .Lfunc_end152-_ZL20rocblas_gemvn_kernelILi32ELi16Ei19rocblas_complex_numIdEPKS1_S1_EviiT3_lPKT2_lT1_lS7_lS8_lS4_lPT4_lS8_li
                                        ; -- End function
	.section	.AMDGPU.csdata,"",@progbits
; Kernel info:
; codeLenInByte = 2140
; NumSgprs: 34
; NumVgprs: 21
; ScratchSize: 0
; MemoryBound: 1
; FloatMode: 240
; IeeeMode: 1
; LDSByteSize: 8192 bytes/workgroup (compile time only)
; SGPRBlocks: 4
; VGPRBlocks: 2
; NumSGPRsForWavesPerEU: 34
; NumVGPRsForWavesPerEU: 21
; Occupancy: 16
; WaveLimiterHint : 1
; COMPUTE_PGM_RSRC2:SCRATCH_EN: 0
; COMPUTE_PGM_RSRC2:USER_SGPR: 14
; COMPUTE_PGM_RSRC2:TRAP_HANDLER: 0
; COMPUTE_PGM_RSRC2:TGID_X_EN: 1
; COMPUTE_PGM_RSRC2:TGID_Y_EN: 0
; COMPUTE_PGM_RSRC2:TGID_Z_EN: 1
; COMPUTE_PGM_RSRC2:TIDIG_COMP_CNT: 1
	.section	.text._ZL20rocblas_gemvn_kernelILi32ELi16El19rocblas_complex_numIdEPKS1_S1_EviiT3_lPKT2_lT1_lS7_lS8_lS4_lPT4_lS8_li,"axG",@progbits,_ZL20rocblas_gemvn_kernelILi32ELi16El19rocblas_complex_numIdEPKS1_S1_EviiT3_lPKT2_lT1_lS7_lS8_lS4_lPT4_lS8_li,comdat
	.globl	_ZL20rocblas_gemvn_kernelILi32ELi16El19rocblas_complex_numIdEPKS1_S1_EviiT3_lPKT2_lT1_lS7_lS8_lS4_lPT4_lS8_li ; -- Begin function _ZL20rocblas_gemvn_kernelILi32ELi16El19rocblas_complex_numIdEPKS1_S1_EviiT3_lPKT2_lT1_lS7_lS8_lS4_lPT4_lS8_li
	.p2align	8
	.type	_ZL20rocblas_gemvn_kernelILi32ELi16El19rocblas_complex_numIdEPKS1_S1_EviiT3_lPKT2_lT1_lS7_lS8_lS4_lPT4_lS8_li,@function
_ZL20rocblas_gemvn_kernelILi32ELi16El19rocblas_complex_numIdEPKS1_S1_EviiT3_lPKT2_lT1_lS7_lS8_lS4_lPT4_lS8_li: ; @_ZL20rocblas_gemvn_kernelILi32ELi16El19rocblas_complex_numIdEPKS1_S1_EviiT3_lPKT2_lT1_lS7_lS8_lS4_lPT4_lS8_li
; %bb.0:
	s_load_b64 s[2:3], s[0:1], 0x9c
	s_waitcnt lgkmcnt(0)
	s_lshr_b32 s4, s2, 16
	s_and_b32 s12, s2, 0xffff
	s_and_b32 s2, s3, 0xffff
	s_mul_i32 s3, s4, s12
	s_delay_alu instid0(SALU_CYCLE_1) | instskip(NEXT) | instid1(SALU_CYCLE_1)
	s_mul_i32 s3, s3, s2
	s_cmpk_lg_i32 s3, 0x200
	s_cbranch_scc1 .LBB153_34
; %bb.1:
	s_load_b512 s[36:51], s[0:1], 0x8
	s_waitcnt lgkmcnt(0)
	s_mul_i32 s3, s15, s39
	s_mul_hi_u32 s4, s15, s38
	s_mul_i32 s2, s15, s38
	s_add_i32 s3, s4, s3
	s_delay_alu instid0(SALU_CYCLE_1) | instskip(NEXT) | instid1(SALU_CYCLE_1)
	s_lshl_b64 s[2:3], s[2:3], 4
	s_add_u32 s2, s36, s2
	s_addc_u32 s3, s37, s3
	s_load_b128 s[4:7], s[2:3], 0x0
	s_load_b512 s[16:31], s[0:1], 0x48
	s_waitcnt lgkmcnt(0)
	v_cmp_neq_f64_e64 s13, s[4:5], 0
	v_cmp_neq_f64_e64 s33, s[6:7], 0
	s_mul_i32 s2, s15, s23
	s_mul_hi_u32 s3, s15, s22
	s_delay_alu instid0(SALU_CYCLE_1) | instskip(SKIP_1) | instid1(SALU_CYCLE_1)
	s_add_i32 s3, s3, s2
	s_mul_i32 s2, s15, s22
	s_lshl_b64 s[2:3], s[2:3], 4
	s_delay_alu instid0(SALU_CYCLE_1) | instskip(SKIP_3) | instid1(VALU_DEP_1)
	s_add_u32 s2, s20, s2
	s_addc_u32 s3, s21, s3
	s_load_b128 s[8:11], s[2:3], 0x0
	s_mov_b32 s2, -1
	s_or_b32 s13, s13, s33
	s_delay_alu instid0(SALU_CYCLE_1)
	s_and_b32 vcc_lo, exec_lo, s13
	s_cbranch_vccnz .LBB153_3
; %bb.2:
	s_waitcnt lgkmcnt(0)
	v_cmp_neq_f64_e64 s2, s[8:9], 1.0
	v_cmp_neq_f64_e64 s3, s[10:11], 0
	s_delay_alu instid0(VALU_DEP_1)
	s_or_b32 s2, s2, s3
.LBB153_3:
	s_delay_alu instid0(SALU_CYCLE_1)
	s_and_not1_b32 vcc_lo, exec_lo, s2
	s_cbranch_vccnz .LBB153_34
; %bb.4:
	s_load_b64 s[2:3], s[0:1], 0x0
	v_and_b32_e32 v1, 0x3ff, v0
	v_bfe_u32 v0, v0, 10, 10
	s_mul_i32 s20, s15, s31
	s_mul_hi_u32 s21, s15, s30
	s_mul_i32 s0, s15, s30
	s_add_i32 s1, s21, s20
	v_mad_u32_u24 v10, v0, s12, v1
	s_lshl_b64 s[0:1], s[0:1], 4
	s_xor_b32 s13, s13, -1
	s_add_u32 s20, s24, s0
	s_addc_u32 s21, s25, s1
	s_lshl_b64 s[0:1], s[26:27], 4
	s_mov_b32 s24, 0
	s_add_u32 s22, s20, s0
	v_cmp_gt_u32_e64 s0, 32, v10
	s_addc_u32 s23, s21, s1
	s_and_not1_b32 vcc_lo, exec_lo, s13
	s_cbranch_vccnz .LBB153_11
; %bb.5:
	s_mov_b32 s1, 0
                                        ; implicit-def: $vgpr2_vgpr3
                                        ; implicit-def: $vgpr8_vgpr9
	s_and_saveexec_b32 s12, s0
	s_cbranch_execz .LBB153_12
; %bb.6:
	v_lshl_or_b32 v0, s14, 5, v10
	v_mov_b32_e32 v1, 0
	s_waitcnt lgkmcnt(0)
	s_ashr_i32 s21, s2, 31
	s_mov_b32 s20, s2
	s_mov_b32 s13, 0
	s_mov_b32 s0, exec_lo
                                        ; implicit-def: $vgpr2_vgpr3
                                        ; implicit-def: $vgpr8_vgpr9
	v_cmpx_gt_i64_e64 s[20:21], v[0:1]
	s_cbranch_execz .LBB153_10
; %bb.7:
	v_cmp_neq_f64_e64 s13, s[8:9], 0
	v_cmp_neq_f64_e64 s20, s[10:11], 0
	v_mad_u64_u32 v[8:9], null, v0, s28, 0
	s_delay_alu instid0(VALU_DEP_1) | instskip(NEXT) | instid1(VALU_DEP_1)
	v_mov_b32_e32 v1, v9
	v_mad_u64_u32 v[4:5], null, v0, s29, v[1:2]
	v_mov_b32_e32 v2, 0
	v_mov_b32_e32 v3, 0
	s_delay_alu instid0(VALU_DEP_2) | instskip(NEXT) | instid1(VALU_DEP_2)
	v_dual_mov_b32 v0, v2 :: v_dual_mov_b32 v9, v4
	v_mov_b32_e32 v1, v3
	s_or_b32 s13, s13, s20
	s_delay_alu instid0(SALU_CYCLE_1)
	s_and_not1_b32 vcc_lo, exec_lo, s13
	s_cbranch_vccnz .LBB153_9
; %bb.8:
	v_lshlrev_b64 v[0:1], 4, v[8:9]
	s_delay_alu instid0(VALU_DEP_1) | instskip(NEXT) | instid1(VALU_DEP_2)
	v_add_co_u32 v0, vcc_lo, s22, v0
	v_add_co_ci_u32_e32 v1, vcc_lo, s23, v1, vcc_lo
	global_load_b128 v[2:5], v[0:1], off
	s_waitcnt vmcnt(0)
	v_mul_f64 v[0:1], s[10:11], v[4:5]
	v_mul_f64 v[4:5], s[8:9], v[4:5]
	s_delay_alu instid0(VALU_DEP_2) | instskip(NEXT) | instid1(VALU_DEP_2)
	v_fma_f64 v[0:1], s[8:9], v[2:3], -v[0:1]
	v_fma_f64 v[2:3], s[10:11], v[2:3], v[4:5]
.LBB153_9:
	s_mov_b32 s13, exec_lo
.LBB153_10:
	s_or_b32 exec_lo, exec_lo, s0
	s_delay_alu instid0(SALU_CYCLE_1) | instskip(SKIP_1) | instid1(SALU_CYCLE_1)
	s_and_b32 s24, s13, exec_lo
	s_or_b32 exec_lo, exec_lo, s12
	s_and_b32 vcc_lo, exec_lo, s1
	s_cbranch_vccnz .LBB153_13
	s_branch .LBB153_32
.LBB153_11:
                                        ; implicit-def: $vgpr2_vgpr3
                                        ; implicit-def: $vgpr8_vgpr9
	s_cbranch_execnz .LBB153_13
	s_branch .LBB153_32
.LBB153_12:
	s_or_b32 exec_lo, exec_lo, s12
	s_delay_alu instid0(SALU_CYCLE_1)
	s_and_b32 vcc_lo, exec_lo, s1
	s_cbranch_vccz .LBB153_32
.LBB153_13:
	v_mov_b32_e32 v2, 0
	v_dual_mov_b32 v3, 0 :: v_dual_and_b32 v4, 31, v10
	s_waitcnt lgkmcnt(0)
	s_ashr_i32 s12, s3, 31
	s_lshl_b32 s25, s14, 5
	s_mul_i32 s0, s15, s47
	s_mul_hi_u32 s1, s15, s46
	s_lshr_b32 s12, s12, 28
	v_lshrrev_b32_e32 v9, 5, v10
	v_or_b32_e32 v8, s25, v4
	v_dual_mov_b32 v0, v2 :: v_dual_mov_b32 v1, v3
	s_add_i32 s13, s1, s0
	s_mul_i32 s0, s15, s19
	s_mul_hi_u32 s1, s15, s18
	s_add_i32 s12, s3, s12
	s_add_i32 s19, s1, s0
	s_and_b32 s26, s12, -16
	s_mul_i32 s12, s15, s46
	s_mul_i32 s18, s15, s18
	s_mov_b32 s27, exec_lo
	v_cmpx_gt_i32_e64 s26, v9
	s_cbranch_execz .LBB153_19
; %bb.14:
	v_lshrrev_b32_e32 v14, 5, v10
	v_add_nc_u32_e32 v11, s25, v4
	s_lshl_b64 s[14:15], s[50:51], 4
	s_lshl_b64 s[0:1], s[18:19], 4
	s_add_u32 s14, s48, s14
	v_mad_u64_u32 v[0:1], null, s44, v14, 0
	v_mad_u64_u32 v[5:6], null, s16, v14, 0
	s_addc_u32 s15, s49, s15
	s_add_u32 s30, s14, s0
	s_addc_u32 s31, s15, s1
	s_lshl_b64 s[0:1], s[12:13], 4
	s_delay_alu instid0(VALU_DEP_2) | instskip(SKIP_1) | instid1(VALU_DEP_3)
	v_mad_u64_u32 v[12:13], null, s45, v14, v[1:2]
	v_mov_b32_e32 v2, 0
	v_dual_mov_b32 v3, 0 :: v_dual_mov_b32 v4, v6
	s_lshl_b64 s[20:21], s[42:43], 4
	s_lshl_b64 s[14:15], s[16:17], 8
	s_add_u32 s0, s20, s0
	s_delay_alu instid0(VALU_DEP_3) | instskip(SKIP_3) | instid1(VALU_DEP_3)
	v_mov_b32_e32 v1, v12
	v_mad_u64_u32 v[6:7], null, s17, v14, v[4:5]
	v_ashrrev_i32_e32 v12, 31, v11
	s_addc_u32 s1, s21, s1
	v_lshlrev_b64 v[0:1], 4, v[0:1]
	v_cmp_gt_i32_e32 vcc_lo, s2, v8
	s_lshl_b64 s[20:21], s[44:45], 8
	v_lshlrev_b64 v[11:12], 4, v[11:12]
	s_delay_alu instid0(VALU_DEP_3) | instskip(NEXT) | instid1(VALU_DEP_1)
	v_add_co_u32 v4, s0, s0, v0
	v_add_co_ci_u32_e64 v7, s0, s1, v1, s0
	v_lshlrev_b64 v[0:1], 4, v[5:6]
	s_delay_alu instid0(VALU_DEP_3) | instskip(NEXT) | instid1(VALU_DEP_1)
	v_add_co_u32 v4, s0, v4, v11
	v_add_co_ci_u32_e64 v5, s0, v7, v12, s0
	s_delay_alu instid0(VALU_DEP_3) | instskip(NEXT) | instid1(VALU_DEP_1)
	v_add_co_u32 v0, s0, s30, v0
	v_add_co_ci_u32_e64 v1, s0, s31, v1, s0
	s_delay_alu instid0(VALU_DEP_4) | instskip(NEXT) | instid1(VALU_DEP_1)
	v_add_co_u32 v6, s0, v4, s40
	v_add_co_ci_u32_e64 v7, s0, s41, v5, s0
	s_delay_alu instid0(VALU_DEP_4) | instskip(NEXT) | instid1(VALU_DEP_1)
	;; [unrolled: 3-line block ×3, first 2 shown]
	v_add_co_u32 v6, s0, v6, 8
	v_add_co_ci_u32_e64 v7, s0, 0, v7, s0
	v_dual_mov_b32 v0, v2 :: v_dual_mov_b32 v1, v3
	s_mov_b32 s30, 0
	s_set_inst_prefetch_distance 0x1
	s_branch .LBB153_16
	.p2align	6
.LBB153_15:                             ;   in Loop: Header=BB153_16 Depth=1
	s_or_b32 exec_lo, exec_lo, s0
	v_add_nc_u32_e32 v9, 16, v9
	v_add_co_u32 v4, s0, v4, s14
	s_delay_alu instid0(VALU_DEP_1) | instskip(NEXT) | instid1(VALU_DEP_3)
	v_add_co_ci_u32_e64 v5, s0, s15, v5, s0
	v_cmp_le_i32_e64 s0, s26, v9
	v_add_co_u32 v6, s1, v6, s20
	s_delay_alu instid0(VALU_DEP_1) | instskip(NEXT) | instid1(VALU_DEP_3)
	v_add_co_ci_u32_e64 v7, s1, s21, v7, s1
	s_or_b32 s30, s0, s30
	s_delay_alu instid0(SALU_CYCLE_1)
	s_and_not1_b32 exec_lo, exec_lo, s30
	s_cbranch_execz .LBB153_18
.LBB153_16:                             ; =>This Inner Loop Header: Depth=1
	s_and_saveexec_b32 s0, vcc_lo
	s_cbranch_execz .LBB153_15
; %bb.17:                               ;   in Loop: Header=BB153_16 Depth=1
	global_load_b128 v[11:14], v[4:5], off offset:-8
	global_load_b128 v[15:18], v[6:7], off offset:-8
	s_waitcnt vmcnt(0)
	v_mul_f64 v[19:20], v[13:14], v[17:18]
	v_mul_f64 v[17:18], v[11:12], v[17:18]
	s_delay_alu instid0(VALU_DEP_2) | instskip(NEXT) | instid1(VALU_DEP_2)
	v_fma_f64 v[11:12], v[11:12], v[15:16], -v[19:20]
	v_fma_f64 v[13:14], v[13:14], v[15:16], v[17:18]
	s_delay_alu instid0(VALU_DEP_2) | instskip(NEXT) | instid1(VALU_DEP_2)
	v_add_f64 v[0:1], v[0:1], v[11:12]
	v_add_f64 v[2:3], v[2:3], v[13:14]
	s_branch .LBB153_15
.LBB153_18:
	s_set_inst_prefetch_distance 0x2
	s_or_b32 exec_lo, exec_lo, s30
.LBB153_19:
	s_delay_alu instid0(SALU_CYCLE_1) | instskip(SKIP_1) | instid1(SALU_CYCLE_1)
	s_or_b32 exec_lo, exec_lo, s27
	s_sub_i32 s0, s3, s26
	s_cmp_lt_i32 s0, 1
	s_cbranch_scc1 .LBB153_25
; %bb.20:
	v_mov_b32_e32 v4, 0
	v_mov_b32_e32 v5, 0
	v_cmp_gt_i32_e32 vcc_lo, s3, v9
	s_delay_alu instid0(VALU_DEP_2)
	v_dual_mov_b32 v7, v5 :: v_dual_mov_b32 v6, v4
	s_and_saveexec_b32 s1, vcc_lo
	s_cbranch_execz .LBB153_22
; %bb.21:
	v_mad_u64_u32 v[4:5], null, v9, s16, 0
	s_lshl_b64 s[14:15], s[18:19], 4
	s_delay_alu instid0(SALU_CYCLE_1) | instskip(SKIP_2) | instid1(SALU_CYCLE_1)
	s_add_u32 s0, s48, s14
	s_addc_u32 s3, s49, s15
	s_lshl_b64 s[14:15], s[50:51], 4
	s_add_u32 s0, s0, s14
	s_delay_alu instid0(VALU_DEP_1) | instskip(SKIP_1) | instid1(VALU_DEP_1)
	v_mad_u64_u32 v[6:7], null, v9, s17, v[5:6]
	s_addc_u32 s3, s3, s15
	v_mov_b32_e32 v5, v6
	s_delay_alu instid0(VALU_DEP_1) | instskip(NEXT) | instid1(VALU_DEP_1)
	v_lshlrev_b64 v[4:5], 4, v[4:5]
	v_add_co_u32 v4, s0, s0, v4
	s_delay_alu instid0(VALU_DEP_1)
	v_add_co_ci_u32_e64 v5, s0, s3, v5, s0
	global_load_b128 v[4:7], v[4:5], off
.LBB153_22:
	s_or_b32 exec_lo, exec_lo, s1
	s_delay_alu instid0(SALU_CYCLE_1)
	s_mov_b32 s1, exec_lo
	v_cmpx_gt_i32_e64 s2, v8
	s_cbranch_execz .LBB153_24
; %bb.23:
	v_mad_u64_u32 v[11:12], null, v9, s44, 0
	s_lshl_b64 s[12:13], s[12:13], 4
	s_delay_alu instid0(SALU_CYCLE_1) | instskip(SKIP_2) | instid1(SALU_CYCLE_1)
	s_add_u32 s0, s40, s12
	s_addc_u32 s3, s41, s13
	s_lshl_b64 s[12:13], s[42:43], 4
	s_add_u32 s0, s0, s12
	s_delay_alu instid0(VALU_DEP_1) | instskip(NEXT) | instid1(VALU_DEP_2)
	v_mad_u64_u32 v[13:14], null, v9, s45, v[12:13]
	v_cndmask_b32_e32 v11, 0, v11, vcc_lo
	v_ashrrev_i32_e32 v9, 31, v8
	s_addc_u32 s3, s3, s13
	s_delay_alu instid0(VALU_DEP_3) | instskip(NEXT) | instid1(VALU_DEP_2)
	v_cndmask_b32_e32 v12, 0, v13, vcc_lo
	v_lshlrev_b64 v[8:9], 4, v[8:9]
	s_delay_alu instid0(VALU_DEP_2) | instskip(NEXT) | instid1(VALU_DEP_1)
	v_lshlrev_b64 v[11:12], 4, v[11:12]
	v_add_co_u32 v11, vcc_lo, s0, v11
	s_delay_alu instid0(VALU_DEP_2) | instskip(NEXT) | instid1(VALU_DEP_2)
	v_add_co_ci_u32_e32 v12, vcc_lo, s3, v12, vcc_lo
	v_add_co_u32 v8, vcc_lo, v11, v8
	s_delay_alu instid0(VALU_DEP_2) | instskip(SKIP_4) | instid1(VALU_DEP_2)
	v_add_co_ci_u32_e32 v9, vcc_lo, v12, v9, vcc_lo
	global_load_b128 v[11:14], v[8:9], off
	s_waitcnt vmcnt(0)
	v_mul_f64 v[8:9], v[6:7], v[13:14]
	v_mul_f64 v[13:14], v[4:5], v[13:14]
	v_fma_f64 v[4:5], v[4:5], v[11:12], -v[8:9]
	s_delay_alu instid0(VALU_DEP_2) | instskip(NEXT) | instid1(VALU_DEP_2)
	v_fma_f64 v[6:7], v[6:7], v[11:12], v[13:14]
	v_add_f64 v[0:1], v[0:1], v[4:5]
	s_delay_alu instid0(VALU_DEP_2)
	v_add_f64 v[2:3], v[2:3], v[6:7]
.LBB153_24:
	s_or_b32 exec_lo, exec_lo, s1
.LBB153_25:
	v_lshlrev_b32_e32 v11, 4, v10
	s_mov_b32 s0, exec_lo
                                        ; implicit-def: $vgpr8_vgpr9
	ds_store_b128 v11, v[0:3]
	s_waitcnt vmcnt(0) lgkmcnt(0)
	s_barrier
	buffer_gl0_inv
                                        ; implicit-def: $vgpr2_vgpr3
	v_cmpx_gt_u32_e32 32, v10
	s_cbranch_execz .LBB153_31
; %bb.26:
	ds_load_b128 v[0:3], v11
	ds_load_b128 v[4:7], v11 offset:512
	v_or_b32_e32 v10, s25, v10
	s_delay_alu instid0(VALU_DEP_1)
	v_cmp_gt_i32_e32 vcc_lo, s2, v10
	s_mov_b32 s2, s24
	s_waitcnt lgkmcnt(0)
	v_add_f64 v[8:9], v[0:1], v[4:5]
	v_add_f64 v[12:13], v[2:3], v[6:7]
	ds_load_b128 v[0:3], v11 offset:1024
	ds_load_b128 v[4:7], v11 offset:1536
	s_waitcnt lgkmcnt(1)
	v_add_f64 v[0:1], v[8:9], v[0:1]
	v_add_f64 v[2:3], v[12:13], v[2:3]
	s_waitcnt lgkmcnt(0)
	s_delay_alu instid0(VALU_DEP_2) | instskip(NEXT) | instid1(VALU_DEP_2)
	v_add_f64 v[8:9], v[0:1], v[4:5]
	v_add_f64 v[12:13], v[2:3], v[6:7]
	ds_load_b128 v[0:3], v11 offset:2048
	ds_load_b128 v[4:7], v11 offset:2560
	s_waitcnt lgkmcnt(1)
	v_add_f64 v[0:1], v[8:9], v[0:1]
	v_add_f64 v[2:3], v[12:13], v[2:3]
	s_waitcnt lgkmcnt(0)
	s_delay_alu instid0(VALU_DEP_2) | instskip(NEXT) | instid1(VALU_DEP_2)
	;; [unrolled: 9-line block ×6, first 2 shown]
	v_add_f64 v[8:9], v[0:1], v[4:5]
	v_add_f64 v[12:13], v[2:3], v[6:7]
	ds_load_b128 v[0:3], v11 offset:7168
	ds_load_b128 v[4:7], v11 offset:7680
	s_waitcnt lgkmcnt(1)
	v_add_f64 v[0:1], v[8:9], v[0:1]
	v_add_f64 v[2:3], v[12:13], v[2:3]
                                        ; implicit-def: $vgpr8_vgpr9
	s_waitcnt lgkmcnt(0)
	s_delay_alu instid0(VALU_DEP_2) | instskip(NEXT) | instid1(VALU_DEP_2)
	v_add_f64 v[4:5], v[0:1], v[4:5]
	v_add_f64 v[6:7], v[2:3], v[6:7]
                                        ; implicit-def: $vgpr2_vgpr3
	ds_store_b128 v11, v[4:7]
	s_and_saveexec_b32 s1, vcc_lo
	s_cbranch_execz .LBB153_30
; %bb.27:
	v_mul_f64 v[0:1], s[6:7], v[6:7]
	v_mul_f64 v[2:3], s[4:5], v[6:7]
	v_cmp_neq_f64_e64 s2, s[8:9], 0
	v_cmp_neq_f64_e64 s3, s[10:11], 0
	v_mad_u64_u32 v[8:9], null, v10, s28, 0
	v_fma_f64 v[0:1], s[4:5], v[4:5], -v[0:1]
	v_fma_f64 v[2:3], s[6:7], v[4:5], v[2:3]
	v_ashrrev_i32_e32 v4, 31, v10
	v_mul_lo_u32 v5, v10, s29
	s_or_b32 s2, s2, s3
	s_delay_alu instid0(SALU_CYCLE_1) | instskip(NEXT) | instid1(VALU_DEP_2)
	s_and_not1_b32 vcc_lo, exec_lo, s2
	v_mul_lo_u32 v4, v4, s28
	s_delay_alu instid0(VALU_DEP_1)
	v_add3_u32 v9, v9, v5, v4
	s_cbranch_vccnz .LBB153_29
; %bb.28:
	s_delay_alu instid0(VALU_DEP_1) | instskip(NEXT) | instid1(VALU_DEP_1)
	v_lshlrev_b64 v[4:5], 4, v[8:9]
	v_add_co_u32 v4, vcc_lo, s22, v4
	s_delay_alu instid0(VALU_DEP_2) | instskip(SKIP_4) | instid1(VALU_DEP_2)
	v_add_co_ci_u32_e32 v5, vcc_lo, s23, v5, vcc_lo
	global_load_b128 v[4:7], v[4:5], off
	s_waitcnt vmcnt(0)
	v_mul_f64 v[10:11], s[10:11], v[6:7]
	v_mul_f64 v[6:7], s[8:9], v[6:7]
	v_fma_f64 v[10:11], s[8:9], v[4:5], -v[10:11]
	s_delay_alu instid0(VALU_DEP_2) | instskip(NEXT) | instid1(VALU_DEP_2)
	v_fma_f64 v[4:5], s[10:11], v[4:5], v[6:7]
	v_add_f64 v[0:1], v[0:1], v[10:11]
	s_delay_alu instid0(VALU_DEP_2)
	v_add_f64 v[2:3], v[2:3], v[4:5]
.LBB153_29:
	s_or_b32 s2, s24, exec_lo
.LBB153_30:
	s_or_b32 exec_lo, exec_lo, s1
	s_delay_alu instid0(SALU_CYCLE_1) | instskip(SKIP_1) | instid1(SALU_CYCLE_1)
	s_and_not1_b32 s1, s24, exec_lo
	s_and_b32 s2, s2, exec_lo
	s_or_b32 s24, s1, s2
.LBB153_31:
	s_or_b32 exec_lo, exec_lo, s0
.LBB153_32:
	s_and_saveexec_b32 s0, s24
	s_cbranch_execz .LBB153_34
; %bb.33:
	v_lshlrev_b64 v[4:5], 4, v[8:9]
	s_delay_alu instid0(VALU_DEP_1) | instskip(NEXT) | instid1(VALU_DEP_2)
	v_add_co_u32 v4, vcc_lo, s22, v4
	v_add_co_ci_u32_e32 v5, vcc_lo, s23, v5, vcc_lo
	global_store_b128 v[4:5], v[0:3], off
.LBB153_34:
	s_nop 0
	s_sendmsg sendmsg(MSG_DEALLOC_VGPRS)
	s_endpgm
	.section	.rodata,"a",@progbits
	.p2align	6, 0x0
	.amdhsa_kernel _ZL20rocblas_gemvn_kernelILi32ELi16El19rocblas_complex_numIdEPKS1_S1_EviiT3_lPKT2_lT1_lS7_lS8_lS4_lPT4_lS8_li
		.amdhsa_group_segment_fixed_size 8192
		.amdhsa_private_segment_fixed_size 0
		.amdhsa_kernarg_size 400
		.amdhsa_user_sgpr_count 14
		.amdhsa_user_sgpr_dispatch_ptr 0
		.amdhsa_user_sgpr_queue_ptr 0
		.amdhsa_user_sgpr_kernarg_segment_ptr 1
		.amdhsa_user_sgpr_dispatch_id 0
		.amdhsa_user_sgpr_private_segment_size 0
		.amdhsa_wavefront_size32 1
		.amdhsa_uses_dynamic_stack 0
		.amdhsa_enable_private_segment 0
		.amdhsa_system_sgpr_workgroup_id_x 1
		.amdhsa_system_sgpr_workgroup_id_y 0
		.amdhsa_system_sgpr_workgroup_id_z 1
		.amdhsa_system_sgpr_workgroup_info 0
		.amdhsa_system_vgpr_workitem_id 1
		.amdhsa_next_free_vgpr 21
		.amdhsa_next_free_sgpr 52
		.amdhsa_reserve_vcc 1
		.amdhsa_float_round_mode_32 0
		.amdhsa_float_round_mode_16_64 0
		.amdhsa_float_denorm_mode_32 3
		.amdhsa_float_denorm_mode_16_64 3
		.amdhsa_dx10_clamp 1
		.amdhsa_ieee_mode 1
		.amdhsa_fp16_overflow 0
		.amdhsa_workgroup_processor_mode 1
		.amdhsa_memory_ordered 1
		.amdhsa_forward_progress 0
		.amdhsa_shared_vgpr_count 0
		.amdhsa_exception_fp_ieee_invalid_op 0
		.amdhsa_exception_fp_denorm_src 0
		.amdhsa_exception_fp_ieee_div_zero 0
		.amdhsa_exception_fp_ieee_overflow 0
		.amdhsa_exception_fp_ieee_underflow 0
		.amdhsa_exception_fp_ieee_inexact 0
		.amdhsa_exception_int_div_zero 0
	.end_amdhsa_kernel
	.section	.text._ZL20rocblas_gemvn_kernelILi32ELi16El19rocblas_complex_numIdEPKS1_S1_EviiT3_lPKT2_lT1_lS7_lS8_lS4_lPT4_lS8_li,"axG",@progbits,_ZL20rocblas_gemvn_kernelILi32ELi16El19rocblas_complex_numIdEPKS1_S1_EviiT3_lPKT2_lT1_lS7_lS8_lS4_lPT4_lS8_li,comdat
.Lfunc_end153:
	.size	_ZL20rocblas_gemvn_kernelILi32ELi16El19rocblas_complex_numIdEPKS1_S1_EviiT3_lPKT2_lT1_lS7_lS8_lS4_lPT4_lS8_li, .Lfunc_end153-_ZL20rocblas_gemvn_kernelILi32ELi16El19rocblas_complex_numIdEPKS1_S1_EviiT3_lPKT2_lT1_lS7_lS8_lS4_lPT4_lS8_li
                                        ; -- End function
	.section	.AMDGPU.csdata,"",@progbits
; Kernel info:
; codeLenInByte = 2312
; NumSgprs: 54
; NumVgprs: 21
; ScratchSize: 0
; MemoryBound: 0
; FloatMode: 240
; IeeeMode: 1
; LDSByteSize: 8192 bytes/workgroup (compile time only)
; SGPRBlocks: 6
; VGPRBlocks: 2
; NumSGPRsForWavesPerEU: 54
; NumVGPRsForWavesPerEU: 21
; Occupancy: 16
; WaveLimiterHint : 0
; COMPUTE_PGM_RSRC2:SCRATCH_EN: 0
; COMPUTE_PGM_RSRC2:USER_SGPR: 14
; COMPUTE_PGM_RSRC2:TRAP_HANDLER: 0
; COMPUTE_PGM_RSRC2:TGID_X_EN: 1
; COMPUTE_PGM_RSRC2:TGID_Y_EN: 0
; COMPUTE_PGM_RSRC2:TGID_Z_EN: 1
; COMPUTE_PGM_RSRC2:TIDIG_COMP_CNT: 1
	.section	.text._ZL20rocblas_gemvn_kernelILi32ELi16Ei19rocblas_complex_numIdES1_S1_EviiT3_lPKT2_lT1_lS5_lS6_lS2_lPT4_lS6_li,"axG",@progbits,_ZL20rocblas_gemvn_kernelILi32ELi16Ei19rocblas_complex_numIdES1_S1_EviiT3_lPKT2_lT1_lS5_lS6_lS2_lPT4_lS6_li,comdat
	.globl	_ZL20rocblas_gemvn_kernelILi32ELi16Ei19rocblas_complex_numIdES1_S1_EviiT3_lPKT2_lT1_lS5_lS6_lS2_lPT4_lS6_li ; -- Begin function _ZL20rocblas_gemvn_kernelILi32ELi16Ei19rocblas_complex_numIdES1_S1_EviiT3_lPKT2_lT1_lS5_lS6_lS2_lPT4_lS6_li
	.p2align	8
	.type	_ZL20rocblas_gemvn_kernelILi32ELi16Ei19rocblas_complex_numIdES1_S1_EviiT3_lPKT2_lT1_lS5_lS6_lS2_lPT4_lS6_li,@function
_ZL20rocblas_gemvn_kernelILi32ELi16Ei19rocblas_complex_numIdES1_S1_EviiT3_lPKT2_lT1_lS5_lS6_lS2_lPT4_lS6_li: ; @_ZL20rocblas_gemvn_kernelILi32ELi16Ei19rocblas_complex_numIdES1_S1_EviiT3_lPKT2_lT1_lS5_lS6_lS2_lPT4_lS6_li
; %bb.0:
	s_load_b64 s[2:3], s[0:1], 0xac
	s_waitcnt lgkmcnt(0)
	s_lshr_b32 s4, s2, 16
	s_and_b32 s2, s2, 0xffff
	s_and_b32 s3, s3, 0xffff
	s_mul_i32 s4, s4, s2
	s_delay_alu instid0(SALU_CYCLE_1) | instskip(NEXT) | instid1(SALU_CYCLE_1)
	s_mul_i32 s4, s4, s3
	s_cmpk_lg_i32 s4, 0x200
	s_cbranch_scc1 .LBB154_34
; %bb.1:
	s_clause 0x2
	s_load_b128 s[8:11], s[0:1], 0x8
	s_load_b128 s[4:7], s[0:1], 0x58
	s_load_b64 s[12:13], s[0:1], 0x68
	s_waitcnt lgkmcnt(0)
	v_cmp_neq_f64_e64 s3, s[8:9], 0
	v_cmp_neq_f64_e64 s16, s[10:11], 0
	s_delay_alu instid0(VALU_DEP_1)
	s_or_b32 s3, s3, s16
	s_mov_b32 s16, -1
	s_and_b32 vcc_lo, exec_lo, s3
	s_cbranch_vccnz .LBB154_3
; %bb.2:
	v_cmp_neq_f64_e64 s16, s[6:7], 1.0
	v_cmp_neq_f64_e64 s17, s[12:13], 0
	s_delay_alu instid0(VALU_DEP_1)
	s_or_b32 s16, s16, s17
.LBB154_3:
	s_delay_alu instid0(SALU_CYCLE_1)
	s_and_not1_b32 vcc_lo, exec_lo, s16
	s_cbranch_vccnz .LBB154_34
; %bb.4:
	s_clause 0x3
	s_load_b64 s[24:25], s[0:1], 0x90
	s_load_b128 s[20:23], s[0:1], 0x78
	s_load_b32 s19, s[0:1], 0x88
	s_load_b64 s[16:17], s[0:1], 0x0
	v_and_b32_e32 v1, 0x3ff, v0
	v_bfe_u32 v0, v0, 10, 10
	s_xor_b32 s26, s3, -1
	s_delay_alu instid0(VALU_DEP_1)
	v_mad_u32_u24 v10, v0, s2, v1
	s_waitcnt lgkmcnt(0)
	s_mul_i32 s3, s15, s25
	s_mul_hi_u32 s18, s15, s24
	s_mul_i32 s24, s15, s24
	s_add_i32 s25, s18, s3
	s_delay_alu instid0(SALU_CYCLE_1) | instskip(NEXT) | instid1(SALU_CYCLE_1)
	s_lshl_b64 s[2:3], s[24:25], 4
	s_add_u32 s18, s20, s2
	s_addc_u32 s24, s21, s3
	s_lshl_b64 s[20:21], s[22:23], 4
	v_cmp_gt_u32_e64 s2, 32, v10
	s_add_u32 s3, s18, s20
	s_addc_u32 s18, s24, s21
	s_and_not1_b32 vcc_lo, exec_lo, s26
	s_mov_b32 s20, 0
	s_cbranch_vccnz .LBB154_11
; %bb.5:
	s_mov_b32 s21, 0
                                        ; implicit-def: $vgpr2_vgpr3
                                        ; implicit-def: $vgpr8_vgpr9
	s_and_saveexec_b32 s22, s2
	s_cbranch_execz .LBB154_12
; %bb.6:
	v_lshl_or_b32 v0, s14, 5, v10
	v_mov_b32_e32 v1, 0
	s_ashr_i32 s25, s16, 31
	s_mov_b32 s24, s16
	s_mov_b32 s2, exec_lo
                                        ; implicit-def: $vgpr2_vgpr3
                                        ; implicit-def: $vgpr8_vgpr9
	s_delay_alu instid0(VALU_DEP_1)
	v_cmpx_gt_i64_e64 s[24:25], v[0:1]
	s_cbranch_execz .LBB154_10
; %bb.7:
	v_cmp_neq_f64_e64 s20, s[6:7], 0
	v_cmp_neq_f64_e64 s23, s[12:13], 0
	v_mad_u64_u32 v[8:9], null, v0, s19, 0
	s_ashr_i32 s24, s19, 31
	s_delay_alu instid0(VALU_DEP_1) | instskip(NEXT) | instid1(VALU_DEP_1)
	v_mov_b32_e32 v1, v9
	v_mad_u64_u32 v[4:5], null, v0, s24, v[1:2]
	v_mov_b32_e32 v2, 0
	v_mov_b32_e32 v3, 0
	s_delay_alu instid0(VALU_DEP_2) | instskip(NEXT) | instid1(VALU_DEP_2)
	v_dual_mov_b32 v0, v2 :: v_dual_mov_b32 v9, v4
	v_mov_b32_e32 v1, v3
	s_or_b32 s20, s20, s23
	s_delay_alu instid0(SALU_CYCLE_1)
	s_and_not1_b32 vcc_lo, exec_lo, s20
	s_cbranch_vccnz .LBB154_9
; %bb.8:
	v_lshlrev_b64 v[0:1], 4, v[8:9]
	s_delay_alu instid0(VALU_DEP_1) | instskip(NEXT) | instid1(VALU_DEP_2)
	v_add_co_u32 v0, vcc_lo, s3, v0
	v_add_co_ci_u32_e32 v1, vcc_lo, s18, v1, vcc_lo
	global_load_b128 v[2:5], v[0:1], off
	s_waitcnt vmcnt(0)
	v_mul_f64 v[0:1], s[12:13], v[4:5]
	v_mul_f64 v[4:5], s[6:7], v[4:5]
	s_delay_alu instid0(VALU_DEP_2) | instskip(NEXT) | instid1(VALU_DEP_2)
	v_fma_f64 v[0:1], s[6:7], v[2:3], -v[0:1]
	v_fma_f64 v[2:3], s[12:13], v[2:3], v[4:5]
.LBB154_9:
	s_mov_b32 s20, exec_lo
.LBB154_10:
	s_or_b32 exec_lo, exec_lo, s2
	s_delay_alu instid0(SALU_CYCLE_1) | instskip(SKIP_1) | instid1(SALU_CYCLE_1)
	s_and_b32 s20, s20, exec_lo
	s_or_b32 exec_lo, exec_lo, s22
	s_and_b32 vcc_lo, exec_lo, s21
	s_cbranch_vccnz .LBB154_13
	s_branch .LBB154_32
.LBB154_11:
                                        ; implicit-def: $vgpr2_vgpr3
                                        ; implicit-def: $vgpr8_vgpr9
	s_cbranch_execnz .LBB154_13
	s_branch .LBB154_32
.LBB154_12:
	s_or_b32 exec_lo, exec_lo, s22
	s_delay_alu instid0(SALU_CYCLE_1)
	s_and_b32 vcc_lo, exec_lo, s21
	s_cbranch_vccz .LBB154_32
.LBB154_13:
	s_clause 0x3
	s_load_b128 s[24:27], s[0:1], 0x38
	s_load_b128 s[28:31], s[0:1], 0x20
	s_load_b32 s2, s[0:1], 0x30
	s_load_b64 s[22:23], s[0:1], 0x48
	s_mul_hi_u32 s33, s15, s4
	v_dual_mov_b32 v2, 0 :: v_dual_and_b32 v5, 31, v10
	v_mov_b32_e32 v3, 0
	v_lshrrev_b32_e32 v8, 5, v10
	s_delay_alu instid0(VALU_DEP_2)
	v_dual_mov_b32 v0, v2 :: v_dual_mov_b32 v1, v3
	s_waitcnt lgkmcnt(0)
	s_mul_i32 s21, s15, s25
	s_mul_hi_u32 s25, s15, s24
	s_mul_i32 s24, s15, s24
	s_add_i32 s25, s25, s21
	s_mul_i32 s21, s15, s5
	s_lshl_b64 s[24:25], s[24:25], 4
	s_delay_alu instid0(SALU_CYCLE_1) | instskip(SKIP_4) | instid1(SALU_CYCLE_1)
	s_add_u32 s5, s28, s24
	s_mul_i32 s28, s15, s4
	s_load_b32 s15, s[0:1], 0x50
	s_addc_u32 s29, s29, s25
	s_lshl_b64 s[24:25], s[30:31], 4
	s_add_u32 s4, s5, s24
	s_addc_u32 s5, s29, s25
	s_add_i32 s29, s33, s21
	s_delay_alu instid0(SALU_CYCLE_1) | instskip(NEXT) | instid1(SALU_CYCLE_1)
	s_lshl_b64 s[24:25], s[28:29], 4
	s_add_u32 s21, s26, s24
	s_addc_u32 s24, s27, s25
	s_lshl_b64 s[0:1], s[22:23], 4
	s_mov_b32 s23, exec_lo
	s_add_u32 s21, s21, s0
	s_addc_u32 s22, s24, s1
	s_ashr_i32 s0, s17, 31
	s_lshl_b32 s1, s14, 5
	s_lshr_b32 s0, s0, 28
	v_or_b32_e32 v9, s1, v5
	s_add_i32 s0, s17, s0
	s_delay_alu instid0(SALU_CYCLE_1) | instskip(NEXT) | instid1(SALU_CYCLE_1)
	s_and_b32 s14, s0, -16
	v_cmpx_gt_i32_e64 s14, v8
	s_cbranch_execz .LBB154_19
; %bb.14:
	v_mul_lo_u32 v0, s2, v8
	v_mov_b32_e32 v2, 0
	v_mov_b32_e32 v3, 0
	s_waitcnt lgkmcnt(0)
	v_mul_lo_u32 v4, s15, v8
	v_cmp_gt_i32_e32 vcc_lo, s16, v9
	s_lshl_b32 s24, s15, 4
	s_lshl_b32 s26, s2, 4
	s_mov_b32 s25, 0
	v_add3_u32 v6, v0, s1, v5
	v_dual_mov_b32 v0, v2 :: v_dual_mov_b32 v1, v3
	s_set_inst_prefetch_distance 0x1
	s_branch .LBB154_16
	.p2align	6
.LBB154_15:                             ;   in Loop: Header=BB154_16 Depth=1
	s_or_b32 exec_lo, exec_lo, s27
	v_add_nc_u32_e32 v8, 16, v8
	v_add_nc_u32_e32 v4, s24, v4
	;; [unrolled: 1-line block ×3, first 2 shown]
	s_delay_alu instid0(VALU_DEP_3) | instskip(NEXT) | instid1(VALU_DEP_1)
	v_cmp_le_i32_e64 s0, s14, v8
	s_or_b32 s25, s0, s25
	s_delay_alu instid0(SALU_CYCLE_1)
	s_and_not1_b32 exec_lo, exec_lo, s25
	s_cbranch_execz .LBB154_18
.LBB154_16:                             ; =>This Inner Loop Header: Depth=1
	s_and_saveexec_b32 s27, vcc_lo
	s_cbranch_execz .LBB154_15
; %bb.17:                               ;   in Loop: Header=BB154_16 Depth=1
	v_ashrrev_i32_e32 v5, 31, v4
	v_ashrrev_i32_e32 v7, 31, v6
	s_delay_alu instid0(VALU_DEP_2) | instskip(NEXT) | instid1(VALU_DEP_2)
	v_lshlrev_b64 v[11:12], 4, v[4:5]
	v_lshlrev_b64 v[13:14], 4, v[6:7]
	s_delay_alu instid0(VALU_DEP_2) | instskip(NEXT) | instid1(VALU_DEP_1)
	v_add_co_u32 v11, s0, s21, v11
	v_add_co_ci_u32_e64 v12, s0, s22, v12, s0
	s_delay_alu instid0(VALU_DEP_3) | instskip(NEXT) | instid1(VALU_DEP_1)
	v_add_co_u32 v15, s0, s4, v13
	v_add_co_ci_u32_e64 v16, s0, s5, v14, s0
	global_load_b128 v[11:14], v[11:12], off
	global_load_b128 v[15:18], v[15:16], off
	s_waitcnt vmcnt(0)
	v_mul_f64 v[19:20], v[13:14], v[17:18]
	v_mul_f64 v[17:18], v[11:12], v[17:18]
	s_delay_alu instid0(VALU_DEP_2) | instskip(NEXT) | instid1(VALU_DEP_2)
	v_fma_f64 v[11:12], v[11:12], v[15:16], -v[19:20]
	v_fma_f64 v[13:14], v[13:14], v[15:16], v[17:18]
	s_delay_alu instid0(VALU_DEP_2) | instskip(NEXT) | instid1(VALU_DEP_2)
	v_add_f64 v[0:1], v[0:1], v[11:12]
	v_add_f64 v[2:3], v[2:3], v[13:14]
	s_branch .LBB154_15
.LBB154_18:
	s_set_inst_prefetch_distance 0x2
	s_or_b32 exec_lo, exec_lo, s25
.LBB154_19:
	s_delay_alu instid0(SALU_CYCLE_1) | instskip(SKIP_1) | instid1(SALU_CYCLE_1)
	s_or_b32 exec_lo, exec_lo, s23
	s_sub_i32 s0, s17, s14
	s_cmp_lt_i32 s0, 1
	s_cbranch_scc1 .LBB154_25
; %bb.20:
	v_mov_b32_e32 v4, 0
	v_mov_b32_e32 v5, 0
	v_cmp_gt_i32_e32 vcc_lo, s17, v8
	s_delay_alu instid0(VALU_DEP_2)
	v_dual_mov_b32 v7, v5 :: v_dual_mov_b32 v6, v4
	s_and_saveexec_b32 s14, vcc_lo
	s_cbranch_execz .LBB154_22
; %bb.21:
	s_waitcnt lgkmcnt(0)
	v_mul_lo_u32 v4, v8, s15
	s_delay_alu instid0(VALU_DEP_1) | instskip(NEXT) | instid1(VALU_DEP_1)
	v_ashrrev_i32_e32 v5, 31, v4
	v_lshlrev_b64 v[4:5], 4, v[4:5]
	s_delay_alu instid0(VALU_DEP_1) | instskip(NEXT) | instid1(VALU_DEP_1)
	v_add_co_u32 v4, s0, s21, v4
	v_add_co_ci_u32_e64 v5, s0, s22, v5, s0
	global_load_b128 v[4:7], v[4:5], off
.LBB154_22:
	s_or_b32 exec_lo, exec_lo, s14
	s_delay_alu instid0(SALU_CYCLE_1)
	s_mov_b32 s14, exec_lo
	v_cmpx_gt_i32_e64 s16, v9
	s_cbranch_execz .LBB154_24
; %bb.23:
	v_mul_lo_u32 v8, v8, s2
	s_delay_alu instid0(VALU_DEP_1) | instskip(NEXT) | instid1(VALU_DEP_1)
	v_cndmask_b32_e32 v8, 0, v8, vcc_lo
	v_add_nc_u32_e32 v8, v8, v9
	s_delay_alu instid0(VALU_DEP_1) | instskip(NEXT) | instid1(VALU_DEP_1)
	v_ashrrev_i32_e32 v9, 31, v8
	v_lshlrev_b64 v[8:9], 4, v[8:9]
	s_delay_alu instid0(VALU_DEP_1) | instskip(NEXT) | instid1(VALU_DEP_2)
	v_add_co_u32 v8, vcc_lo, s4, v8
	v_add_co_ci_u32_e32 v9, vcc_lo, s5, v9, vcc_lo
	global_load_b128 v[11:14], v[8:9], off
	s_waitcnt vmcnt(0)
	v_mul_f64 v[8:9], v[6:7], v[13:14]
	v_mul_f64 v[13:14], v[4:5], v[13:14]
	s_delay_alu instid0(VALU_DEP_2) | instskip(NEXT) | instid1(VALU_DEP_2)
	v_fma_f64 v[4:5], v[4:5], v[11:12], -v[8:9]
	v_fma_f64 v[6:7], v[6:7], v[11:12], v[13:14]
	s_delay_alu instid0(VALU_DEP_2) | instskip(NEXT) | instid1(VALU_DEP_2)
	v_add_f64 v[0:1], v[0:1], v[4:5]
	v_add_f64 v[2:3], v[2:3], v[6:7]
.LBB154_24:
	s_or_b32 exec_lo, exec_lo, s14
.LBB154_25:
	v_lshlrev_b32_e32 v11, 4, v10
	s_mov_b32 s0, exec_lo
                                        ; implicit-def: $vgpr8_vgpr9
	ds_store_b128 v11, v[0:3]
	s_waitcnt vmcnt(0) lgkmcnt(0)
	s_barrier
	buffer_gl0_inv
                                        ; implicit-def: $vgpr2_vgpr3
	v_cmpx_gt_u32_e32 32, v10
	s_cbranch_execz .LBB154_31
; %bb.26:
	ds_load_b128 v[0:3], v11
	ds_load_b128 v[4:7], v11 offset:512
	v_or_b32_e32 v10, s1, v10
	s_mov_b32 s2, s20
	s_mov_b32 s1, exec_lo
	s_waitcnt lgkmcnt(0)
	v_add_f64 v[8:9], v[0:1], v[4:5]
	v_add_f64 v[12:13], v[2:3], v[6:7]
	ds_load_b128 v[0:3], v11 offset:1024
	ds_load_b128 v[4:7], v11 offset:1536
	s_waitcnt lgkmcnt(1)
	v_add_f64 v[0:1], v[8:9], v[0:1]
	v_add_f64 v[2:3], v[12:13], v[2:3]
	s_waitcnt lgkmcnt(0)
	s_delay_alu instid0(VALU_DEP_2) | instskip(NEXT) | instid1(VALU_DEP_2)
	v_add_f64 v[8:9], v[0:1], v[4:5]
	v_add_f64 v[12:13], v[2:3], v[6:7]
	ds_load_b128 v[0:3], v11 offset:2048
	ds_load_b128 v[4:7], v11 offset:2560
	s_waitcnt lgkmcnt(1)
	v_add_f64 v[0:1], v[8:9], v[0:1]
	v_add_f64 v[2:3], v[12:13], v[2:3]
	s_waitcnt lgkmcnt(0)
	s_delay_alu instid0(VALU_DEP_2) | instskip(NEXT) | instid1(VALU_DEP_2)
	;; [unrolled: 9-line block ×6, first 2 shown]
	v_add_f64 v[8:9], v[0:1], v[4:5]
	v_add_f64 v[12:13], v[2:3], v[6:7]
	ds_load_b128 v[0:3], v11 offset:7168
	ds_load_b128 v[4:7], v11 offset:7680
	s_waitcnt lgkmcnt(1)
	v_add_f64 v[0:1], v[8:9], v[0:1]
	v_add_f64 v[2:3], v[12:13], v[2:3]
                                        ; implicit-def: $vgpr8_vgpr9
	s_waitcnt lgkmcnt(0)
	s_delay_alu instid0(VALU_DEP_2) | instskip(NEXT) | instid1(VALU_DEP_2)
	v_add_f64 v[4:5], v[0:1], v[4:5]
	v_add_f64 v[6:7], v[2:3], v[6:7]
                                        ; implicit-def: $vgpr2_vgpr3
	ds_store_b128 v11, v[4:7]
	v_cmpx_gt_i32_e64 s16, v10
	s_cbranch_execz .LBB154_30
; %bb.27:
	v_mul_f64 v[0:1], s[10:11], v[6:7]
	v_mul_f64 v[2:3], s[8:9], v[6:7]
	v_cmp_neq_f64_e64 s2, s[6:7], 0
	v_cmp_neq_f64_e64 s4, s[12:13], 0
	v_mul_lo_u32 v8, v10, s19
	s_delay_alu instid0(VALU_DEP_1) | instskip(SKIP_3) | instid1(SALU_CYCLE_1)
	v_ashrrev_i32_e32 v9, 31, v8
	v_fma_f64 v[0:1], s[8:9], v[4:5], -v[0:1]
	v_fma_f64 v[2:3], s[10:11], v[4:5], v[2:3]
	s_or_b32 s2, s2, s4
	s_and_not1_b32 vcc_lo, exec_lo, s2
	s_cbranch_vccnz .LBB154_29
; %bb.28:
	v_lshlrev_b64 v[4:5], 4, v[8:9]
	s_delay_alu instid0(VALU_DEP_1) | instskip(NEXT) | instid1(VALU_DEP_2)
	v_add_co_u32 v4, vcc_lo, s3, v4
	v_add_co_ci_u32_e32 v5, vcc_lo, s18, v5, vcc_lo
	global_load_b128 v[4:7], v[4:5], off
	s_waitcnt vmcnt(0)
	v_mul_f64 v[10:11], s[12:13], v[6:7]
	v_mul_f64 v[6:7], s[6:7], v[6:7]
	s_delay_alu instid0(VALU_DEP_2) | instskip(NEXT) | instid1(VALU_DEP_2)
	v_fma_f64 v[10:11], s[6:7], v[4:5], -v[10:11]
	v_fma_f64 v[4:5], s[12:13], v[4:5], v[6:7]
	s_delay_alu instid0(VALU_DEP_2) | instskip(NEXT) | instid1(VALU_DEP_2)
	v_add_f64 v[0:1], v[0:1], v[10:11]
	v_add_f64 v[2:3], v[2:3], v[4:5]
.LBB154_29:
	s_or_b32 s2, s20, exec_lo
.LBB154_30:
	s_or_b32 exec_lo, exec_lo, s1
	s_delay_alu instid0(SALU_CYCLE_1) | instskip(SKIP_1) | instid1(SALU_CYCLE_1)
	s_and_not1_b32 s1, s20, exec_lo
	s_and_b32 s2, s2, exec_lo
	s_or_b32 s20, s1, s2
.LBB154_31:
	s_or_b32 exec_lo, exec_lo, s0
.LBB154_32:
	s_and_saveexec_b32 s0, s20
	s_cbranch_execz .LBB154_34
; %bb.33:
	v_lshlrev_b64 v[4:5], 4, v[8:9]
	s_delay_alu instid0(VALU_DEP_1) | instskip(NEXT) | instid1(VALU_DEP_2)
	v_add_co_u32 v4, vcc_lo, s3, v4
	v_add_co_ci_u32_e32 v5, vcc_lo, s18, v5, vcc_lo
	global_store_b128 v[4:5], v[0:3], off
.LBB154_34:
	s_nop 0
	s_sendmsg sendmsg(MSG_DEALLOC_VGPRS)
	s_endpgm
	.section	.rodata,"a",@progbits
	.p2align	6, 0x0
	.amdhsa_kernel _ZL20rocblas_gemvn_kernelILi32ELi16Ei19rocblas_complex_numIdES1_S1_EviiT3_lPKT2_lT1_lS5_lS6_lS2_lPT4_lS6_li
		.amdhsa_group_segment_fixed_size 8192
		.amdhsa_private_segment_fixed_size 0
		.amdhsa_kernarg_size 416
		.amdhsa_user_sgpr_count 14
		.amdhsa_user_sgpr_dispatch_ptr 0
		.amdhsa_user_sgpr_queue_ptr 0
		.amdhsa_user_sgpr_kernarg_segment_ptr 1
		.amdhsa_user_sgpr_dispatch_id 0
		.amdhsa_user_sgpr_private_segment_size 0
		.amdhsa_wavefront_size32 1
		.amdhsa_uses_dynamic_stack 0
		.amdhsa_enable_private_segment 0
		.amdhsa_system_sgpr_workgroup_id_x 1
		.amdhsa_system_sgpr_workgroup_id_y 0
		.amdhsa_system_sgpr_workgroup_id_z 1
		.amdhsa_system_sgpr_workgroup_info 0
		.amdhsa_system_vgpr_workitem_id 1
		.amdhsa_next_free_vgpr 21
		.amdhsa_next_free_sgpr 34
		.amdhsa_reserve_vcc 1
		.amdhsa_float_round_mode_32 0
		.amdhsa_float_round_mode_16_64 0
		.amdhsa_float_denorm_mode_32 3
		.amdhsa_float_denorm_mode_16_64 3
		.amdhsa_dx10_clamp 1
		.amdhsa_ieee_mode 1
		.amdhsa_fp16_overflow 0
		.amdhsa_workgroup_processor_mode 1
		.amdhsa_memory_ordered 1
		.amdhsa_forward_progress 0
		.amdhsa_shared_vgpr_count 0
		.amdhsa_exception_fp_ieee_invalid_op 0
		.amdhsa_exception_fp_denorm_src 0
		.amdhsa_exception_fp_ieee_div_zero 0
		.amdhsa_exception_fp_ieee_overflow 0
		.amdhsa_exception_fp_ieee_underflow 0
		.amdhsa_exception_fp_ieee_inexact 0
		.amdhsa_exception_int_div_zero 0
	.end_amdhsa_kernel
	.section	.text._ZL20rocblas_gemvn_kernelILi32ELi16Ei19rocblas_complex_numIdES1_S1_EviiT3_lPKT2_lT1_lS5_lS6_lS2_lPT4_lS6_li,"axG",@progbits,_ZL20rocblas_gemvn_kernelILi32ELi16Ei19rocblas_complex_numIdES1_S1_EviiT3_lPKT2_lT1_lS5_lS6_lS2_lPT4_lS6_li,comdat
.Lfunc_end154:
	.size	_ZL20rocblas_gemvn_kernelILi32ELi16Ei19rocblas_complex_numIdES1_S1_EviiT3_lPKT2_lT1_lS5_lS6_lS2_lPT4_lS6_li, .Lfunc_end154-_ZL20rocblas_gemvn_kernelILi32ELi16Ei19rocblas_complex_numIdES1_S1_EviiT3_lPKT2_lT1_lS5_lS6_lS2_lPT4_lS6_li
                                        ; -- End function
	.section	.AMDGPU.csdata,"",@progbits
; Kernel info:
; codeLenInByte = 2072
; NumSgprs: 36
; NumVgprs: 21
; ScratchSize: 0
; MemoryBound: 1
; FloatMode: 240
; IeeeMode: 1
; LDSByteSize: 8192 bytes/workgroup (compile time only)
; SGPRBlocks: 4
; VGPRBlocks: 2
; NumSGPRsForWavesPerEU: 36
; NumVGPRsForWavesPerEU: 21
; Occupancy: 16
; WaveLimiterHint : 1
; COMPUTE_PGM_RSRC2:SCRATCH_EN: 0
; COMPUTE_PGM_RSRC2:USER_SGPR: 14
; COMPUTE_PGM_RSRC2:TRAP_HANDLER: 0
; COMPUTE_PGM_RSRC2:TGID_X_EN: 1
; COMPUTE_PGM_RSRC2:TGID_Y_EN: 0
; COMPUTE_PGM_RSRC2:TGID_Z_EN: 1
; COMPUTE_PGM_RSRC2:TIDIG_COMP_CNT: 1
	.section	.text._ZL20rocblas_gemvn_kernelILi32ELi16El19rocblas_complex_numIdES1_S1_EviiT3_lPKT2_lT1_lS5_lS6_lS2_lPT4_lS6_li,"axG",@progbits,_ZL20rocblas_gemvn_kernelILi32ELi16El19rocblas_complex_numIdES1_S1_EviiT3_lPKT2_lT1_lS5_lS6_lS2_lPT4_lS6_li,comdat
	.globl	_ZL20rocblas_gemvn_kernelILi32ELi16El19rocblas_complex_numIdES1_S1_EviiT3_lPKT2_lT1_lS5_lS6_lS2_lPT4_lS6_li ; -- Begin function _ZL20rocblas_gemvn_kernelILi32ELi16El19rocblas_complex_numIdES1_S1_EviiT3_lPKT2_lT1_lS5_lS6_lS2_lPT4_lS6_li
	.p2align	8
	.type	_ZL20rocblas_gemvn_kernelILi32ELi16El19rocblas_complex_numIdES1_S1_EviiT3_lPKT2_lT1_lS5_lS6_lS2_lPT4_lS6_li,@function
_ZL20rocblas_gemvn_kernelILi32ELi16El19rocblas_complex_numIdES1_S1_EviiT3_lPKT2_lT1_lS5_lS6_lS2_lPT4_lS6_li: ; @_ZL20rocblas_gemvn_kernelILi32ELi16El19rocblas_complex_numIdES1_S1_EviiT3_lPKT2_lT1_lS5_lS6_lS2_lPT4_lS6_li
; %bb.0:
	s_load_b64 s[2:3], s[0:1], 0xac
	s_waitcnt lgkmcnt(0)
	s_lshr_b32 s4, s2, 16
	s_and_b32 s2, s2, 0xffff
	s_and_b32 s3, s3, 0xffff
	s_mul_i32 s4, s4, s2
	s_delay_alu instid0(SALU_CYCLE_1) | instskip(NEXT) | instid1(SALU_CYCLE_1)
	s_mul_i32 s4, s4, s3
	s_cmpk_lg_i32 s4, 0x200
	s_cbranch_scc1 .LBB155_34
; %bb.1:
	s_clause 0x1
	s_load_b128 s[40:43], s[0:1], 0x8
	s_load_b128 s[36:39], s[0:1], 0x60
	s_waitcnt lgkmcnt(0)
	v_cmp_neq_f64_e64 s3, s[40:41], 0
	v_cmp_neq_f64_e64 s4, s[42:43], 0
	s_delay_alu instid0(VALU_DEP_1)
	s_or_b32 s3, s3, s4
	s_mov_b32 s4, -1
	s_and_b32 vcc_lo, exec_lo, s3
	s_cbranch_vccnz .LBB155_3
; %bb.2:
	v_cmp_neq_f64_e64 s4, s[36:37], 1.0
	v_cmp_neq_f64_e64 s5, s[38:39], 0
	s_delay_alu instid0(VALU_DEP_1)
	s_or_b32 s4, s4, s5
.LBB155_3:
	s_delay_alu instid0(SALU_CYCLE_1)
	s_and_not1_b32 vcc_lo, exec_lo, s4
	s_cbranch_vccnz .LBB155_34
; %bb.4:
	s_clause 0x1
	s_load_b256 s[4:11], s[0:1], 0x78
	s_load_b64 s[12:13], s[0:1], 0x0
	v_and_b32_e32 v1, 0x3ff, v0
	v_bfe_u32 v0, v0, 10, 10
	s_xor_b32 s16, s3, -1
	s_mov_b32 s35, 0
	s_delay_alu instid0(VALU_DEP_1)
	v_mad_u32_u24 v10, v0, s2, v1
	s_waitcnt lgkmcnt(0)
	s_mul_i32 s3, s15, s11
	s_mul_hi_u32 s11, s15, s10
	s_mul_i32 s10, s15, s10
	s_add_i32 s11, s11, s3
	s_delay_alu instid0(SALU_CYCLE_1) | instskip(NEXT) | instid1(SALU_CYCLE_1)
	s_lshl_b64 s[2:3], s[10:11], 4
	s_add_u32 s10, s4, s2
	s_addc_u32 s3, s5, s3
	s_lshl_b64 s[4:5], s[6:7], 4
	v_cmp_gt_u32_e64 s2, 32, v10
	s_add_u32 s33, s10, s4
	s_addc_u32 s34, s3, s5
	s_and_not1_b32 vcc_lo, exec_lo, s16
	s_cbranch_vccnz .LBB155_11
; %bb.5:
	s_mov_b32 s3, 0
                                        ; implicit-def: $vgpr2_vgpr3
                                        ; implicit-def: $vgpr8_vgpr9
	s_and_saveexec_b32 s4, s2
	s_cbranch_execz .LBB155_12
; %bb.6:
	v_lshl_or_b32 v0, s14, 5, v10
	v_mov_b32_e32 v1, 0
	s_ashr_i32 s7, s12, 31
	s_mov_b32 s6, s12
	s_mov_b32 s5, 0
	s_mov_b32 s2, exec_lo
                                        ; implicit-def: $vgpr2_vgpr3
                                        ; implicit-def: $vgpr8_vgpr9
	v_cmpx_gt_i64_e64 s[6:7], v[0:1]
	s_cbranch_execz .LBB155_10
; %bb.7:
	v_cmp_neq_f64_e64 s5, s[36:37], 0
	v_cmp_neq_f64_e64 s6, s[38:39], 0
	v_mad_u64_u32 v[8:9], null, v0, s8, 0
	s_delay_alu instid0(VALU_DEP_1) | instskip(NEXT) | instid1(VALU_DEP_1)
	v_mov_b32_e32 v1, v9
	v_mad_u64_u32 v[4:5], null, v0, s9, v[1:2]
	v_mov_b32_e32 v2, 0
	v_mov_b32_e32 v3, 0
	s_delay_alu instid0(VALU_DEP_2) | instskip(NEXT) | instid1(VALU_DEP_2)
	v_dual_mov_b32 v0, v2 :: v_dual_mov_b32 v9, v4
	v_mov_b32_e32 v1, v3
	s_or_b32 s5, s5, s6
	s_delay_alu instid0(SALU_CYCLE_1)
	s_and_not1_b32 vcc_lo, exec_lo, s5
	s_cbranch_vccnz .LBB155_9
; %bb.8:
	v_lshlrev_b64 v[0:1], 4, v[8:9]
	s_delay_alu instid0(VALU_DEP_1) | instskip(NEXT) | instid1(VALU_DEP_2)
	v_add_co_u32 v0, vcc_lo, s33, v0
	v_add_co_ci_u32_e32 v1, vcc_lo, s34, v1, vcc_lo
	global_load_b128 v[2:5], v[0:1], off
	s_waitcnt vmcnt(0)
	v_mul_f64 v[0:1], s[38:39], v[4:5]
	v_mul_f64 v[4:5], s[36:37], v[4:5]
	s_delay_alu instid0(VALU_DEP_2) | instskip(NEXT) | instid1(VALU_DEP_2)
	v_fma_f64 v[0:1], s[36:37], v[2:3], -v[0:1]
	v_fma_f64 v[2:3], s[38:39], v[2:3], v[4:5]
.LBB155_9:
	s_mov_b32 s5, exec_lo
.LBB155_10:
	s_or_b32 exec_lo, exec_lo, s2
	s_delay_alu instid0(SALU_CYCLE_1) | instskip(SKIP_1) | instid1(SALU_CYCLE_1)
	s_and_b32 s35, s5, exec_lo
	s_or_b32 exec_lo, exec_lo, s4
	s_and_b32 vcc_lo, exec_lo, s3
	s_cbranch_vccnz .LBB155_13
	s_branch .LBB155_32
.LBB155_11:
                                        ; implicit-def: $vgpr2_vgpr3
                                        ; implicit-def: $vgpr8_vgpr9
	s_cbranch_execnz .LBB155_13
	s_branch .LBB155_32
.LBB155_12:
	s_or_b32 exec_lo, exec_lo, s4
	s_delay_alu instid0(SALU_CYCLE_1)
	s_and_b32 vcc_lo, exec_lo, s3
	s_cbranch_vccz .LBB155_32
.LBB155_13:
	s_load_b512 s[16:31], s[0:1], 0x20
	v_mov_b32_e32 v2, 0
	v_dual_mov_b32 v3, 0 :: v_dual_and_b32 v4, 31, v10
	s_ashr_i32 s0, s13, 31
	s_lshl_b32 s14, s14, 5
	s_lshr_b32 s0, s0, 28
	v_lshrrev_b32_e32 v9, 5, v10
	s_add_i32 s0, s13, s0
	v_or_b32_e32 v8, s14, v4
	v_dual_mov_b32 v0, v2 :: v_dual_mov_b32 v1, v3
	s_and_b32 s44, s0, -16
	s_waitcnt lgkmcnt(0)
	s_mul_i32 s0, s15, s23
	s_mul_hi_u32 s1, s15, s22
	s_mul_i32 s4, s15, s31
	s_mul_hi_u32 s5, s15, s30
	s_mul_i32 s2, s15, s22
	s_add_i32 s3, s1, s0
	s_add_i32 s5, s5, s4
	s_mul_i32 s4, s15, s30
	s_mov_b32 s15, exec_lo
	v_cmpx_gt_i32_e64 s44, v9
	s_cbranch_execz .LBB155_19
; %bb.14:
	v_lshrrev_b32_e32 v14, 5, v10
	v_add_nc_u32_e32 v11, s14, v4
	s_lshl_b64 s[6:7], s[26:27], 4
	s_lshl_b64 s[0:1], s[4:5], 4
	s_add_u32 s6, s24, s6
	v_mad_u64_u32 v[0:1], null, s20, v14, 0
	v_mad_u64_u32 v[5:6], null, s28, v14, 0
	s_addc_u32 s7, s25, s7
	s_add_u32 s22, s6, s0
	s_addc_u32 s23, s7, s1
	s_lshl_b64 s[0:1], s[2:3], 4
	s_delay_alu instid0(VALU_DEP_2) | instskip(SKIP_1) | instid1(VALU_DEP_3)
	v_mad_u64_u32 v[12:13], null, s21, v14, v[1:2]
	v_mov_b32_e32 v2, 0
	v_dual_mov_b32 v3, 0 :: v_dual_mov_b32 v4, v6
	s_lshl_b64 s[10:11], s[18:19], 4
	s_lshl_b64 s[6:7], s[28:29], 8
	s_add_u32 s0, s10, s0
	s_delay_alu instid0(VALU_DEP_3) | instskip(SKIP_3) | instid1(VALU_DEP_3)
	v_mov_b32_e32 v1, v12
	v_mad_u64_u32 v[6:7], null, s29, v14, v[4:5]
	v_ashrrev_i32_e32 v12, 31, v11
	s_addc_u32 s1, s11, s1
	v_lshlrev_b64 v[0:1], 4, v[0:1]
	v_cmp_gt_i32_e32 vcc_lo, s12, v8
	s_lshl_b64 s[10:11], s[20:21], 8
	v_lshlrev_b64 v[11:12], 4, v[11:12]
	s_delay_alu instid0(VALU_DEP_3) | instskip(NEXT) | instid1(VALU_DEP_1)
	v_add_co_u32 v4, s0, s0, v0
	v_add_co_ci_u32_e64 v7, s0, s1, v1, s0
	v_lshlrev_b64 v[0:1], 4, v[5:6]
	s_delay_alu instid0(VALU_DEP_3) | instskip(NEXT) | instid1(VALU_DEP_1)
	v_add_co_u32 v4, s0, v4, v11
	v_add_co_ci_u32_e64 v5, s0, v7, v12, s0
	s_delay_alu instid0(VALU_DEP_3) | instskip(NEXT) | instid1(VALU_DEP_1)
	v_add_co_u32 v0, s0, s22, v0
	v_add_co_ci_u32_e64 v1, s0, s23, v1, s0
	s_delay_alu instid0(VALU_DEP_4) | instskip(NEXT) | instid1(VALU_DEP_1)
	v_add_co_u32 v6, s0, v4, s16
	v_add_co_ci_u32_e64 v7, s0, s17, v5, s0
	s_delay_alu instid0(VALU_DEP_4) | instskip(NEXT) | instid1(VALU_DEP_1)
	;; [unrolled: 3-line block ×3, first 2 shown]
	v_add_co_u32 v6, s0, v6, 8
	v_add_co_ci_u32_e64 v7, s0, 0, v7, s0
	v_dual_mov_b32 v0, v2 :: v_dual_mov_b32 v1, v3
	s_mov_b32 s22, 0
	s_set_inst_prefetch_distance 0x1
	s_branch .LBB155_16
	.p2align	6
.LBB155_15:                             ;   in Loop: Header=BB155_16 Depth=1
	s_or_b32 exec_lo, exec_lo, s0
	v_add_nc_u32_e32 v9, 16, v9
	v_add_co_u32 v4, s0, v4, s6
	s_delay_alu instid0(VALU_DEP_1) | instskip(NEXT) | instid1(VALU_DEP_3)
	v_add_co_ci_u32_e64 v5, s0, s7, v5, s0
	v_cmp_le_i32_e64 s0, s44, v9
	v_add_co_u32 v6, s1, v6, s10
	s_delay_alu instid0(VALU_DEP_1) | instskip(NEXT) | instid1(VALU_DEP_3)
	v_add_co_ci_u32_e64 v7, s1, s11, v7, s1
	s_or_b32 s22, s0, s22
	s_delay_alu instid0(SALU_CYCLE_1)
	s_and_not1_b32 exec_lo, exec_lo, s22
	s_cbranch_execz .LBB155_18
.LBB155_16:                             ; =>This Inner Loop Header: Depth=1
	s_and_saveexec_b32 s0, vcc_lo
	s_cbranch_execz .LBB155_15
; %bb.17:                               ;   in Loop: Header=BB155_16 Depth=1
	global_load_b128 v[11:14], v[4:5], off offset:-8
	global_load_b128 v[15:18], v[6:7], off offset:-8
	s_waitcnt vmcnt(0)
	v_mul_f64 v[19:20], v[13:14], v[17:18]
	v_mul_f64 v[17:18], v[11:12], v[17:18]
	s_delay_alu instid0(VALU_DEP_2) | instskip(NEXT) | instid1(VALU_DEP_2)
	v_fma_f64 v[11:12], v[11:12], v[15:16], -v[19:20]
	v_fma_f64 v[13:14], v[13:14], v[15:16], v[17:18]
	s_delay_alu instid0(VALU_DEP_2) | instskip(NEXT) | instid1(VALU_DEP_2)
	v_add_f64 v[0:1], v[0:1], v[11:12]
	v_add_f64 v[2:3], v[2:3], v[13:14]
	s_branch .LBB155_15
.LBB155_18:
	s_set_inst_prefetch_distance 0x2
	s_or_b32 exec_lo, exec_lo, s22
.LBB155_19:
	s_delay_alu instid0(SALU_CYCLE_1) | instskip(SKIP_1) | instid1(SALU_CYCLE_1)
	s_or_b32 exec_lo, exec_lo, s15
	s_sub_i32 s0, s13, s44
	s_cmp_lt_i32 s0, 1
	s_cbranch_scc1 .LBB155_25
; %bb.20:
	v_mov_b32_e32 v4, 0
	v_mov_b32_e32 v5, 0
	v_cmp_gt_i32_e32 vcc_lo, s13, v9
	s_delay_alu instid0(VALU_DEP_2)
	v_dual_mov_b32 v7, v5 :: v_dual_mov_b32 v6, v4
	s_and_saveexec_b32 s1, vcc_lo
	s_cbranch_execz .LBB155_22
; %bb.21:
	v_mad_u64_u32 v[4:5], null, v9, s28, 0
	s_lshl_b64 s[4:5], s[4:5], 4
	s_delay_alu instid0(SALU_CYCLE_1) | instskip(SKIP_2) | instid1(SALU_CYCLE_1)
	s_add_u32 s0, s24, s4
	s_addc_u32 s6, s25, s5
	s_lshl_b64 s[4:5], s[26:27], 4
	s_add_u32 s0, s0, s4
	s_delay_alu instid0(VALU_DEP_1) | instskip(SKIP_1) | instid1(VALU_DEP_1)
	v_mad_u64_u32 v[6:7], null, v9, s29, v[5:6]
	s_addc_u32 s4, s6, s5
	v_mov_b32_e32 v5, v6
	s_delay_alu instid0(VALU_DEP_1) | instskip(NEXT) | instid1(VALU_DEP_1)
	v_lshlrev_b64 v[4:5], 4, v[4:5]
	v_add_co_u32 v4, s0, s0, v4
	s_delay_alu instid0(VALU_DEP_1)
	v_add_co_ci_u32_e64 v5, s0, s4, v5, s0
	global_load_b128 v[4:7], v[4:5], off
.LBB155_22:
	s_or_b32 exec_lo, exec_lo, s1
	s_delay_alu instid0(SALU_CYCLE_1)
	s_mov_b32 s1, exec_lo
	v_cmpx_gt_i32_e64 s12, v8
	s_cbranch_execz .LBB155_24
; %bb.23:
	v_mad_u64_u32 v[11:12], null, v9, s20, 0
	s_lshl_b64 s[2:3], s[2:3], 4
	s_delay_alu instid0(SALU_CYCLE_1) | instskip(SKIP_2) | instid1(SALU_CYCLE_1)
	s_add_u32 s0, s16, s2
	s_addc_u32 s4, s17, s3
	s_lshl_b64 s[2:3], s[18:19], 4
	s_add_u32 s0, s0, s2
	s_delay_alu instid0(VALU_DEP_1) | instskip(NEXT) | instid1(VALU_DEP_2)
	v_mad_u64_u32 v[13:14], null, v9, s21, v[12:13]
	v_cndmask_b32_e32 v11, 0, v11, vcc_lo
	v_ashrrev_i32_e32 v9, 31, v8
	s_addc_u32 s2, s4, s3
	s_delay_alu instid0(VALU_DEP_3) | instskip(NEXT) | instid1(VALU_DEP_2)
	v_cndmask_b32_e32 v12, 0, v13, vcc_lo
	v_lshlrev_b64 v[8:9], 4, v[8:9]
	s_delay_alu instid0(VALU_DEP_2) | instskip(NEXT) | instid1(VALU_DEP_1)
	v_lshlrev_b64 v[11:12], 4, v[11:12]
	v_add_co_u32 v11, vcc_lo, s0, v11
	s_delay_alu instid0(VALU_DEP_2) | instskip(NEXT) | instid1(VALU_DEP_2)
	v_add_co_ci_u32_e32 v12, vcc_lo, s2, v12, vcc_lo
	v_add_co_u32 v8, vcc_lo, v11, v8
	s_delay_alu instid0(VALU_DEP_2) | instskip(SKIP_4) | instid1(VALU_DEP_2)
	v_add_co_ci_u32_e32 v9, vcc_lo, v12, v9, vcc_lo
	global_load_b128 v[11:14], v[8:9], off
	s_waitcnt vmcnt(0)
	v_mul_f64 v[8:9], v[6:7], v[13:14]
	v_mul_f64 v[13:14], v[4:5], v[13:14]
	v_fma_f64 v[4:5], v[4:5], v[11:12], -v[8:9]
	s_delay_alu instid0(VALU_DEP_2) | instskip(NEXT) | instid1(VALU_DEP_2)
	v_fma_f64 v[6:7], v[6:7], v[11:12], v[13:14]
	v_add_f64 v[0:1], v[0:1], v[4:5]
	s_delay_alu instid0(VALU_DEP_2)
	v_add_f64 v[2:3], v[2:3], v[6:7]
.LBB155_24:
	s_or_b32 exec_lo, exec_lo, s1
.LBB155_25:
	v_lshlrev_b32_e32 v11, 4, v10
	s_mov_b32 s0, exec_lo
                                        ; implicit-def: $vgpr8_vgpr9
	ds_store_b128 v11, v[0:3]
	s_waitcnt vmcnt(0) lgkmcnt(0)
	s_barrier
	buffer_gl0_inv
                                        ; implicit-def: $vgpr2_vgpr3
	v_cmpx_gt_u32_e32 32, v10
	s_cbranch_execz .LBB155_31
; %bb.26:
	ds_load_b128 v[0:3], v11
	ds_load_b128 v[4:7], v11 offset:512
	v_or_b32_e32 v10, s14, v10
	s_mov_b32 s2, s35
	s_mov_b32 s1, exec_lo
	s_waitcnt lgkmcnt(0)
	v_add_f64 v[8:9], v[0:1], v[4:5]
	v_add_f64 v[12:13], v[2:3], v[6:7]
	ds_load_b128 v[0:3], v11 offset:1024
	ds_load_b128 v[4:7], v11 offset:1536
	s_waitcnt lgkmcnt(1)
	v_add_f64 v[0:1], v[8:9], v[0:1]
	v_add_f64 v[2:3], v[12:13], v[2:3]
	s_waitcnt lgkmcnt(0)
	s_delay_alu instid0(VALU_DEP_2) | instskip(NEXT) | instid1(VALU_DEP_2)
	v_add_f64 v[8:9], v[0:1], v[4:5]
	v_add_f64 v[12:13], v[2:3], v[6:7]
	ds_load_b128 v[0:3], v11 offset:2048
	ds_load_b128 v[4:7], v11 offset:2560
	s_waitcnt lgkmcnt(1)
	v_add_f64 v[0:1], v[8:9], v[0:1]
	v_add_f64 v[2:3], v[12:13], v[2:3]
	s_waitcnt lgkmcnt(0)
	s_delay_alu instid0(VALU_DEP_2) | instskip(NEXT) | instid1(VALU_DEP_2)
	;; [unrolled: 9-line block ×6, first 2 shown]
	v_add_f64 v[8:9], v[0:1], v[4:5]
	v_add_f64 v[12:13], v[2:3], v[6:7]
	ds_load_b128 v[0:3], v11 offset:7168
	ds_load_b128 v[4:7], v11 offset:7680
	s_waitcnt lgkmcnt(1)
	v_add_f64 v[0:1], v[8:9], v[0:1]
	v_add_f64 v[2:3], v[12:13], v[2:3]
                                        ; implicit-def: $vgpr8_vgpr9
	s_waitcnt lgkmcnt(0)
	s_delay_alu instid0(VALU_DEP_2) | instskip(NEXT) | instid1(VALU_DEP_2)
	v_add_f64 v[4:5], v[0:1], v[4:5]
	v_add_f64 v[6:7], v[2:3], v[6:7]
                                        ; implicit-def: $vgpr2_vgpr3
	ds_store_b128 v11, v[4:7]
	v_cmpx_gt_i32_e64 s12, v10
	s_cbranch_execz .LBB155_30
; %bb.27:
	v_mul_f64 v[0:1], s[42:43], v[6:7]
	v_mul_f64 v[2:3], s[40:41], v[6:7]
	v_cmp_neq_f64_e64 s2, s[36:37], 0
	v_cmp_neq_f64_e64 s3, s[38:39], 0
	v_mad_u64_u32 v[8:9], null, v10, s8, 0
	v_fma_f64 v[0:1], s[40:41], v[4:5], -v[0:1]
	v_fma_f64 v[2:3], s[42:43], v[4:5], v[2:3]
	v_ashrrev_i32_e32 v4, 31, v10
	v_mul_lo_u32 v5, v10, s9
	s_or_b32 s2, s2, s3
	s_delay_alu instid0(SALU_CYCLE_1) | instskip(NEXT) | instid1(VALU_DEP_2)
	s_and_not1_b32 vcc_lo, exec_lo, s2
	v_mul_lo_u32 v4, v4, s8
	s_delay_alu instid0(VALU_DEP_1)
	v_add3_u32 v9, v9, v5, v4
	s_cbranch_vccnz .LBB155_29
; %bb.28:
	s_delay_alu instid0(VALU_DEP_1) | instskip(NEXT) | instid1(VALU_DEP_1)
	v_lshlrev_b64 v[4:5], 4, v[8:9]
	v_add_co_u32 v4, vcc_lo, s33, v4
	s_delay_alu instid0(VALU_DEP_2) | instskip(SKIP_4) | instid1(VALU_DEP_2)
	v_add_co_ci_u32_e32 v5, vcc_lo, s34, v5, vcc_lo
	global_load_b128 v[4:7], v[4:5], off
	s_waitcnt vmcnt(0)
	v_mul_f64 v[10:11], s[38:39], v[6:7]
	v_mul_f64 v[6:7], s[36:37], v[6:7]
	v_fma_f64 v[10:11], s[36:37], v[4:5], -v[10:11]
	s_delay_alu instid0(VALU_DEP_2) | instskip(NEXT) | instid1(VALU_DEP_2)
	v_fma_f64 v[4:5], s[38:39], v[4:5], v[6:7]
	v_add_f64 v[0:1], v[0:1], v[10:11]
	s_delay_alu instid0(VALU_DEP_2)
	v_add_f64 v[2:3], v[2:3], v[4:5]
.LBB155_29:
	s_or_b32 s2, s35, exec_lo
.LBB155_30:
	s_or_b32 exec_lo, exec_lo, s1
	s_delay_alu instid0(SALU_CYCLE_1) | instskip(SKIP_1) | instid1(SALU_CYCLE_1)
	s_and_not1_b32 s1, s35, exec_lo
	s_and_b32 s2, s2, exec_lo
	s_or_b32 s35, s1, s2
.LBB155_31:
	s_or_b32 exec_lo, exec_lo, s0
.LBB155_32:
	s_and_saveexec_b32 s0, s35
	s_cbranch_execz .LBB155_34
; %bb.33:
	v_lshlrev_b64 v[4:5], 4, v[8:9]
	s_delay_alu instid0(VALU_DEP_1) | instskip(NEXT) | instid1(VALU_DEP_2)
	v_add_co_u32 v4, vcc_lo, s33, v4
	v_add_co_ci_u32_e32 v5, vcc_lo, s34, v5, vcc_lo
	global_store_b128 v[4:5], v[0:3], off
.LBB155_34:
	s_nop 0
	s_sendmsg sendmsg(MSG_DEALLOC_VGPRS)
	s_endpgm
	.section	.rodata,"a",@progbits
	.p2align	6, 0x0
	.amdhsa_kernel _ZL20rocblas_gemvn_kernelILi32ELi16El19rocblas_complex_numIdES1_S1_EviiT3_lPKT2_lT1_lS5_lS6_lS2_lPT4_lS6_li
		.amdhsa_group_segment_fixed_size 8192
		.amdhsa_private_segment_fixed_size 0
		.amdhsa_kernarg_size 416
		.amdhsa_user_sgpr_count 14
		.amdhsa_user_sgpr_dispatch_ptr 0
		.amdhsa_user_sgpr_queue_ptr 0
		.amdhsa_user_sgpr_kernarg_segment_ptr 1
		.amdhsa_user_sgpr_dispatch_id 0
		.amdhsa_user_sgpr_private_segment_size 0
		.amdhsa_wavefront_size32 1
		.amdhsa_uses_dynamic_stack 0
		.amdhsa_enable_private_segment 0
		.amdhsa_system_sgpr_workgroup_id_x 1
		.amdhsa_system_sgpr_workgroup_id_y 0
		.amdhsa_system_sgpr_workgroup_id_z 1
		.amdhsa_system_sgpr_workgroup_info 0
		.amdhsa_system_vgpr_workitem_id 1
		.amdhsa_next_free_vgpr 21
		.amdhsa_next_free_sgpr 45
		.amdhsa_reserve_vcc 1
		.amdhsa_float_round_mode_32 0
		.amdhsa_float_round_mode_16_64 0
		.amdhsa_float_denorm_mode_32 3
		.amdhsa_float_denorm_mode_16_64 3
		.amdhsa_dx10_clamp 1
		.amdhsa_ieee_mode 1
		.amdhsa_fp16_overflow 0
		.amdhsa_workgroup_processor_mode 1
		.amdhsa_memory_ordered 1
		.amdhsa_forward_progress 0
		.amdhsa_shared_vgpr_count 0
		.amdhsa_exception_fp_ieee_invalid_op 0
		.amdhsa_exception_fp_denorm_src 0
		.amdhsa_exception_fp_ieee_div_zero 0
		.amdhsa_exception_fp_ieee_overflow 0
		.amdhsa_exception_fp_ieee_underflow 0
		.amdhsa_exception_fp_ieee_inexact 0
		.amdhsa_exception_int_div_zero 0
	.end_amdhsa_kernel
	.section	.text._ZL20rocblas_gemvn_kernelILi32ELi16El19rocblas_complex_numIdES1_S1_EviiT3_lPKT2_lT1_lS5_lS6_lS2_lPT4_lS6_li,"axG",@progbits,_ZL20rocblas_gemvn_kernelILi32ELi16El19rocblas_complex_numIdES1_S1_EviiT3_lPKT2_lT1_lS5_lS6_lS2_lPT4_lS6_li,comdat
.Lfunc_end155:
	.size	_ZL20rocblas_gemvn_kernelILi32ELi16El19rocblas_complex_numIdES1_S1_EviiT3_lPKT2_lT1_lS5_lS6_lS2_lPT4_lS6_li, .Lfunc_end155-_ZL20rocblas_gemvn_kernelILi32ELi16El19rocblas_complex_numIdES1_S1_EviiT3_lPKT2_lT1_lS5_lS6_lS2_lPT4_lS6_li
                                        ; -- End function
	.section	.AMDGPU.csdata,"",@progbits
; Kernel info:
; codeLenInByte = 2252
; NumSgprs: 47
; NumVgprs: 21
; ScratchSize: 0
; MemoryBound: 0
; FloatMode: 240
; IeeeMode: 1
; LDSByteSize: 8192 bytes/workgroup (compile time only)
; SGPRBlocks: 5
; VGPRBlocks: 2
; NumSGPRsForWavesPerEU: 47
; NumVGPRsForWavesPerEU: 21
; Occupancy: 16
; WaveLimiterHint : 1
; COMPUTE_PGM_RSRC2:SCRATCH_EN: 0
; COMPUTE_PGM_RSRC2:USER_SGPR: 14
; COMPUTE_PGM_RSRC2:TRAP_HANDLER: 0
; COMPUTE_PGM_RSRC2:TGID_X_EN: 1
; COMPUTE_PGM_RSRC2:TGID_Y_EN: 0
; COMPUTE_PGM_RSRC2:TGID_Z_EN: 1
; COMPUTE_PGM_RSRC2:TIDIG_COMP_CNT: 1
	.section	.text._ZL20rocblas_gemvn_kernelILi64ELi16Ei19rocblas_complex_numIdEPKS1_S1_EviiT3_lPKT2_lT1_lS7_lS8_lS4_lPT4_lS8_li,"axG",@progbits,_ZL20rocblas_gemvn_kernelILi64ELi16Ei19rocblas_complex_numIdEPKS1_S1_EviiT3_lPKT2_lT1_lS7_lS8_lS4_lPT4_lS8_li,comdat
	.globl	_ZL20rocblas_gemvn_kernelILi64ELi16Ei19rocblas_complex_numIdEPKS1_S1_EviiT3_lPKT2_lT1_lS7_lS8_lS4_lPT4_lS8_li ; -- Begin function _ZL20rocblas_gemvn_kernelILi64ELi16Ei19rocblas_complex_numIdEPKS1_S1_EviiT3_lPKT2_lT1_lS7_lS8_lS4_lPT4_lS8_li
	.p2align	8
	.type	_ZL20rocblas_gemvn_kernelILi64ELi16Ei19rocblas_complex_numIdEPKS1_S1_EviiT3_lPKT2_lT1_lS7_lS8_lS4_lPT4_lS8_li,@function
_ZL20rocblas_gemvn_kernelILi64ELi16Ei19rocblas_complex_numIdEPKS1_S1_EviiT3_lPKT2_lT1_lS7_lS8_lS4_lPT4_lS8_li: ; @_ZL20rocblas_gemvn_kernelILi64ELi16Ei19rocblas_complex_numIdEPKS1_S1_EviiT3_lPKT2_lT1_lS7_lS8_lS4_lPT4_lS8_li
; %bb.0:
	s_load_b64 s[2:3], s[0:1], 0x9c
	s_waitcnt lgkmcnt(0)
	s_lshr_b32 s4, s2, 16
	s_and_b32 s2, s2, 0xffff
	s_and_b32 s3, s3, 0xffff
	s_mul_i32 s4, s4, s2
	s_delay_alu instid0(SALU_CYCLE_1) | instskip(NEXT) | instid1(SALU_CYCLE_1)
	s_mul_i32 s4, s4, s3
	s_cmpk_lg_i32 s4, 0x400
	s_cbranch_scc1 .LBB156_34
; %bb.1:
	s_load_b256 s[4:11], s[0:1], 0x8
	s_waitcnt lgkmcnt(0)
	s_mul_i32 s3, s15, s7
	s_mul_hi_u32 s7, s15, s6
	s_mul_i32 s6, s15, s6
	s_add_i32 s7, s7, s3
	s_delay_alu instid0(SALU_CYCLE_1) | instskip(NEXT) | instid1(SALU_CYCLE_1)
	s_lshl_b64 s[6:7], s[6:7], 4
	s_add_u32 s4, s4, s6
	s_addc_u32 s5, s5, s7
	s_load_b128 s[4:7], s[4:5], 0x0
	s_load_b256 s[16:23], s[0:1], 0x50
	s_waitcnt lgkmcnt(0)
	v_cmp_neq_f64_e64 s3, s[4:5], 0
	v_cmp_neq_f64_e64 s28, s[6:7], 0
	s_mul_i32 s12, s15, s21
	s_mul_hi_u32 s13, s15, s20
	s_delay_alu instid0(SALU_CYCLE_1) | instskip(SKIP_1) | instid1(SALU_CYCLE_1)
	s_add_i32 s13, s13, s12
	s_mul_i32 s12, s15, s20
	s_lshl_b64 s[12:13], s[12:13], 4
	s_delay_alu instid0(SALU_CYCLE_1) | instskip(SKIP_3) | instid1(VALU_DEP_1)
	s_add_u32 s12, s18, s12
	s_addc_u32 s13, s19, s13
	s_load_b128 s[24:27], s[12:13], 0x0
	s_mov_b32 s12, -1
	s_or_b32 s3, s3, s28
	s_delay_alu instid0(SALU_CYCLE_1)
	s_and_b32 vcc_lo, exec_lo, s3
	s_cbranch_vccnz .LBB156_3
; %bb.2:
	s_waitcnt lgkmcnt(0)
	v_cmp_neq_f64_e64 s12, s[24:25], 1.0
	v_cmp_neq_f64_e64 s13, s[26:27], 0
	s_delay_alu instid0(VALU_DEP_1)
	s_or_b32 s12, s12, s13
.LBB156_3:
	s_delay_alu instid0(SALU_CYCLE_1)
	s_and_not1_b32 vcc_lo, exec_lo, s12
	s_cbranch_vccnz .LBB156_34
; %bb.4:
	s_clause 0x3
	s_load_b64 s[20:21], s[0:1], 0x80
	s_load_b64 s[28:29], s[0:1], 0x70
	s_load_b32 s19, s[0:1], 0x78
	s_load_b64 s[12:13], s[0:1], 0x0
	v_and_b32_e32 v1, 0x3ff, v0
	v_bfe_u32 v0, v0, 10, 10
	s_xor_b32 s30, s3, -1
	s_delay_alu instid0(VALU_DEP_1)
	v_mad_u32_u24 v10, v0, s2, v1
	s_waitcnt lgkmcnt(0)
	s_mul_i32 s3, s15, s21
	s_mul_hi_u32 s18, s15, s20
	s_mul_i32 s20, s15, s20
	s_add_i32 s21, s18, s3
	s_delay_alu instid0(SALU_CYCLE_1) | instskip(NEXT) | instid1(SALU_CYCLE_1)
	s_lshl_b64 s[2:3], s[20:21], 4
	s_add_u32 s18, s22, s2
	s_addc_u32 s22, s23, s3
	s_lshl_b64 s[20:21], s[28:29], 4
	v_cmp_gt_u32_e64 s2, 64, v10
	s_add_u32 s3, s18, s20
	s_addc_u32 s18, s22, s21
	s_and_not1_b32 vcc_lo, exec_lo, s30
	s_mov_b32 s20, 0
	s_cbranch_vccnz .LBB156_11
; %bb.5:
	s_mov_b32 s21, 0
                                        ; implicit-def: $vgpr2_vgpr3
                                        ; implicit-def: $vgpr8_vgpr9
	s_and_saveexec_b32 s22, s2
	s_cbranch_execz .LBB156_12
; %bb.6:
	v_lshl_or_b32 v0, s14, 6, v10
	v_mov_b32_e32 v1, 0
	s_ashr_i32 s29, s12, 31
	s_mov_b32 s28, s12
	s_mov_b32 s2, exec_lo
                                        ; implicit-def: $vgpr2_vgpr3
                                        ; implicit-def: $vgpr8_vgpr9
	s_delay_alu instid0(VALU_DEP_1)
	v_cmpx_gt_i64_e64 s[28:29], v[0:1]
	s_cbranch_execz .LBB156_10
; %bb.7:
	v_cmp_neq_f64_e64 s20, s[24:25], 0
	v_cmp_neq_f64_e64 s23, s[26:27], 0
	v_mad_u64_u32 v[8:9], null, v0, s19, 0
	s_ashr_i32 s28, s19, 31
	s_delay_alu instid0(VALU_DEP_1) | instskip(NEXT) | instid1(VALU_DEP_1)
	v_mov_b32_e32 v1, v9
	v_mad_u64_u32 v[4:5], null, v0, s28, v[1:2]
	v_mov_b32_e32 v2, 0
	v_mov_b32_e32 v3, 0
	s_delay_alu instid0(VALU_DEP_2) | instskip(NEXT) | instid1(VALU_DEP_2)
	v_dual_mov_b32 v0, v2 :: v_dual_mov_b32 v9, v4
	v_mov_b32_e32 v1, v3
	s_or_b32 s20, s20, s23
	s_delay_alu instid0(SALU_CYCLE_1)
	s_and_not1_b32 vcc_lo, exec_lo, s20
	s_cbranch_vccnz .LBB156_9
; %bb.8:
	v_lshlrev_b64 v[0:1], 4, v[8:9]
	s_delay_alu instid0(VALU_DEP_1) | instskip(NEXT) | instid1(VALU_DEP_2)
	v_add_co_u32 v0, vcc_lo, s3, v0
	v_add_co_ci_u32_e32 v1, vcc_lo, s18, v1, vcc_lo
	global_load_b128 v[2:5], v[0:1], off
	s_waitcnt vmcnt(0)
	v_mul_f64 v[0:1], s[26:27], v[4:5]
	v_mul_f64 v[4:5], s[24:25], v[4:5]
	s_delay_alu instid0(VALU_DEP_2) | instskip(NEXT) | instid1(VALU_DEP_2)
	v_fma_f64 v[0:1], s[24:25], v[2:3], -v[0:1]
	v_fma_f64 v[2:3], s[26:27], v[2:3], v[4:5]
.LBB156_9:
	s_mov_b32 s20, exec_lo
.LBB156_10:
	s_or_b32 exec_lo, exec_lo, s2
	s_delay_alu instid0(SALU_CYCLE_1) | instskip(SKIP_1) | instid1(SALU_CYCLE_1)
	s_and_b32 s20, s20, exec_lo
	s_or_b32 exec_lo, exec_lo, s22
	s_and_b32 vcc_lo, exec_lo, s21
	s_cbranch_vccnz .LBB156_13
	s_branch .LBB156_32
.LBB156_11:
                                        ; implicit-def: $vgpr2_vgpr3
                                        ; implicit-def: $vgpr8_vgpr9
	s_cbranch_execnz .LBB156_13
	s_branch .LBB156_32
.LBB156_12:
	s_or_b32 exec_lo, exec_lo, s22
	s_delay_alu instid0(SALU_CYCLE_1)
	s_and_b32 vcc_lo, exec_lo, s21
	s_cbranch_vccz .LBB156_32
.LBB156_13:
	s_clause 0x1
	s_load_b128 s[28:31], s[0:1], 0x30
	s_load_b64 s[22:23], s[0:1], 0x40
	s_mul_i32 s17, s15, s17
	v_dual_mov_b32 v2, 0 :: v_dual_and_b32 v5, 63, v10
	v_mov_b32_e32 v3, 0
	v_lshrrev_b32_e32 v8, 6, v10
	s_delay_alu instid0(VALU_DEP_2)
	v_dual_mov_b32 v0, v2 :: v_dual_mov_b32 v1, v3
	s_waitcnt lgkmcnt(0)
	s_mul_i32 s2, s15, s29
	s_mul_hi_u32 s21, s15, s28
	s_mul_i32 s28, s15, s28
	s_add_i32 s29, s21, s2
	s_mul_hi_u32 s21, s15, s16
	s_lshl_b64 s[28:29], s[28:29], 4
	s_delay_alu instid0(SALU_CYCLE_1)
	s_add_u32 s2, s8, s28
	s_addc_u32 s28, s9, s29
	s_lshl_b64 s[8:9], s[10:11], 4
	s_mul_i32 s10, s15, s16
	s_add_u32 s2, s2, s8
	s_addc_u32 s8, s28, s9
	s_add_i32 s11, s21, s17
	s_load_b32 s9, s[0:1], 0x28
	s_lshl_b64 s[16:17], s[10:11], 4
	s_load_b32 s10, s[0:1], 0x48
	s_add_u32 s11, s30, s16
	s_addc_u32 s15, s31, s17
	s_lshl_b64 s[0:1], s[22:23], 4
	s_mov_b32 s16, exec_lo
	s_add_u32 s11, s11, s0
	s_addc_u32 s15, s15, s1
	s_ashr_i32 s0, s13, 31
	s_lshl_b32 s1, s14, 6
	s_lshr_b32 s0, s0, 28
	v_or_b32_e32 v9, s1, v5
	s_add_i32 s0, s13, s0
	s_delay_alu instid0(SALU_CYCLE_1) | instskip(NEXT) | instid1(SALU_CYCLE_1)
	s_and_b32 s14, s0, -16
	v_cmpx_gt_i32_e64 s14, v8
	s_cbranch_execz .LBB156_19
; %bb.14:
	s_waitcnt lgkmcnt(0)
	v_mul_lo_u32 v0, s9, v8
	v_mov_b32_e32 v2, 0
	v_mov_b32_e32 v3, 0
	v_mul_lo_u32 v4, s10, v8
	v_cmp_gt_i32_e32 vcc_lo, s12, v9
	s_lshl_b32 s17, s10, 4
	s_lshl_b32 s22, s9, 4
	s_mov_b32 s21, 0
	v_add3_u32 v6, v0, s1, v5
	v_dual_mov_b32 v0, v2 :: v_dual_mov_b32 v1, v3
	s_set_inst_prefetch_distance 0x1
	s_branch .LBB156_16
	.p2align	6
.LBB156_15:                             ;   in Loop: Header=BB156_16 Depth=1
	s_or_b32 exec_lo, exec_lo, s23
	v_add_nc_u32_e32 v8, 16, v8
	v_add_nc_u32_e32 v4, s17, v4
	;; [unrolled: 1-line block ×3, first 2 shown]
	s_delay_alu instid0(VALU_DEP_3) | instskip(NEXT) | instid1(VALU_DEP_1)
	v_cmp_le_i32_e64 s0, s14, v8
	s_or_b32 s21, s0, s21
	s_delay_alu instid0(SALU_CYCLE_1)
	s_and_not1_b32 exec_lo, exec_lo, s21
	s_cbranch_execz .LBB156_18
.LBB156_16:                             ; =>This Inner Loop Header: Depth=1
	s_and_saveexec_b32 s23, vcc_lo
	s_cbranch_execz .LBB156_15
; %bb.17:                               ;   in Loop: Header=BB156_16 Depth=1
	v_ashrrev_i32_e32 v5, 31, v4
	v_ashrrev_i32_e32 v7, 31, v6
	s_delay_alu instid0(VALU_DEP_2) | instskip(NEXT) | instid1(VALU_DEP_2)
	v_lshlrev_b64 v[11:12], 4, v[4:5]
	v_lshlrev_b64 v[13:14], 4, v[6:7]
	s_delay_alu instid0(VALU_DEP_2) | instskip(NEXT) | instid1(VALU_DEP_1)
	v_add_co_u32 v11, s0, s11, v11
	v_add_co_ci_u32_e64 v12, s0, s15, v12, s0
	s_delay_alu instid0(VALU_DEP_3) | instskip(NEXT) | instid1(VALU_DEP_1)
	v_add_co_u32 v15, s0, s2, v13
	v_add_co_ci_u32_e64 v16, s0, s8, v14, s0
	global_load_b128 v[11:14], v[11:12], off
	global_load_b128 v[15:18], v[15:16], off
	s_waitcnt vmcnt(0)
	v_mul_f64 v[19:20], v[13:14], v[17:18]
	v_mul_f64 v[17:18], v[11:12], v[17:18]
	s_delay_alu instid0(VALU_DEP_2) | instskip(NEXT) | instid1(VALU_DEP_2)
	v_fma_f64 v[11:12], v[11:12], v[15:16], -v[19:20]
	v_fma_f64 v[13:14], v[13:14], v[15:16], v[17:18]
	s_delay_alu instid0(VALU_DEP_2) | instskip(NEXT) | instid1(VALU_DEP_2)
	v_add_f64 v[0:1], v[0:1], v[11:12]
	v_add_f64 v[2:3], v[2:3], v[13:14]
	s_branch .LBB156_15
.LBB156_18:
	s_set_inst_prefetch_distance 0x2
	s_or_b32 exec_lo, exec_lo, s21
.LBB156_19:
	s_delay_alu instid0(SALU_CYCLE_1) | instskip(SKIP_1) | instid1(SALU_CYCLE_1)
	s_or_b32 exec_lo, exec_lo, s16
	s_sub_i32 s0, s13, s14
	s_cmp_lt_i32 s0, 1
	s_cbranch_scc1 .LBB156_25
; %bb.20:
	v_mov_b32_e32 v4, 0
	v_mov_b32_e32 v5, 0
	v_cmp_gt_i32_e32 vcc_lo, s13, v8
	s_delay_alu instid0(VALU_DEP_2)
	v_dual_mov_b32 v7, v5 :: v_dual_mov_b32 v6, v4
	s_and_saveexec_b32 s13, vcc_lo
	s_cbranch_execz .LBB156_22
; %bb.21:
	s_waitcnt lgkmcnt(0)
	v_mul_lo_u32 v4, v8, s10
	s_delay_alu instid0(VALU_DEP_1) | instskip(NEXT) | instid1(VALU_DEP_1)
	v_ashrrev_i32_e32 v5, 31, v4
	v_lshlrev_b64 v[4:5], 4, v[4:5]
	s_delay_alu instid0(VALU_DEP_1) | instskip(NEXT) | instid1(VALU_DEP_1)
	v_add_co_u32 v4, s0, s11, v4
	v_add_co_ci_u32_e64 v5, s0, s15, v5, s0
	global_load_b128 v[4:7], v[4:5], off
.LBB156_22:
	s_or_b32 exec_lo, exec_lo, s13
	s_waitcnt lgkmcnt(0)
	s_mov_b32 s10, exec_lo
	v_cmpx_gt_i32_e64 s12, v9
	s_cbranch_execz .LBB156_24
; %bb.23:
	v_mul_lo_u32 v8, v8, s9
	s_delay_alu instid0(VALU_DEP_1) | instskip(NEXT) | instid1(VALU_DEP_1)
	v_cndmask_b32_e32 v8, 0, v8, vcc_lo
	v_add_nc_u32_e32 v8, v8, v9
	s_delay_alu instid0(VALU_DEP_1) | instskip(NEXT) | instid1(VALU_DEP_1)
	v_ashrrev_i32_e32 v9, 31, v8
	v_lshlrev_b64 v[8:9], 4, v[8:9]
	s_delay_alu instid0(VALU_DEP_1) | instskip(NEXT) | instid1(VALU_DEP_2)
	v_add_co_u32 v8, vcc_lo, s2, v8
	v_add_co_ci_u32_e32 v9, vcc_lo, s8, v9, vcc_lo
	global_load_b128 v[11:14], v[8:9], off
	s_waitcnt vmcnt(0)
	v_mul_f64 v[8:9], v[6:7], v[13:14]
	v_mul_f64 v[13:14], v[4:5], v[13:14]
	s_delay_alu instid0(VALU_DEP_2) | instskip(NEXT) | instid1(VALU_DEP_2)
	v_fma_f64 v[4:5], v[4:5], v[11:12], -v[8:9]
	v_fma_f64 v[6:7], v[6:7], v[11:12], v[13:14]
	s_delay_alu instid0(VALU_DEP_2) | instskip(NEXT) | instid1(VALU_DEP_2)
	v_add_f64 v[0:1], v[0:1], v[4:5]
	v_add_f64 v[2:3], v[2:3], v[6:7]
.LBB156_24:
	s_or_b32 exec_lo, exec_lo, s10
.LBB156_25:
	v_lshlrev_b32_e32 v11, 4, v10
	s_mov_b32 s0, exec_lo
                                        ; implicit-def: $vgpr8_vgpr9
	ds_store_b128 v11, v[0:3]
	s_waitcnt vmcnt(0) lgkmcnt(0)
	s_barrier
	buffer_gl0_inv
                                        ; implicit-def: $vgpr2_vgpr3
	v_cmpx_gt_u32_e32 64, v10
	s_cbranch_execz .LBB156_31
; %bb.26:
	ds_load_b128 v[0:3], v11
	ds_load_b128 v[4:7], v11 offset:1024
	v_or_b32_e32 v10, s1, v10
	s_mov_b32 s2, s20
	s_mov_b32 s1, exec_lo
	s_waitcnt lgkmcnt(0)
	v_add_f64 v[8:9], v[0:1], v[4:5]
	v_add_f64 v[12:13], v[2:3], v[6:7]
	ds_load_b128 v[0:3], v11 offset:2048
	ds_load_b128 v[4:7], v11 offset:3072
	s_waitcnt lgkmcnt(1)
	v_add_f64 v[0:1], v[8:9], v[0:1]
	v_add_f64 v[2:3], v[12:13], v[2:3]
	s_waitcnt lgkmcnt(0)
	s_delay_alu instid0(VALU_DEP_2) | instskip(NEXT) | instid1(VALU_DEP_2)
	v_add_f64 v[8:9], v[0:1], v[4:5]
	v_add_f64 v[12:13], v[2:3], v[6:7]
	ds_load_b128 v[0:3], v11 offset:4096
	ds_load_b128 v[4:7], v11 offset:5120
	s_waitcnt lgkmcnt(1)
	v_add_f64 v[0:1], v[8:9], v[0:1]
	v_add_f64 v[2:3], v[12:13], v[2:3]
	s_waitcnt lgkmcnt(0)
	s_delay_alu instid0(VALU_DEP_2) | instskip(NEXT) | instid1(VALU_DEP_2)
	v_add_f64 v[8:9], v[0:1], v[4:5]
	v_add_f64 v[12:13], v[2:3], v[6:7]
	ds_load_b128 v[0:3], v11 offset:6144
	ds_load_b128 v[4:7], v11 offset:7168
	s_waitcnt lgkmcnt(1)
	v_add_f64 v[0:1], v[8:9], v[0:1]
	v_add_f64 v[2:3], v[12:13], v[2:3]
	s_waitcnt lgkmcnt(0)
	s_delay_alu instid0(VALU_DEP_2) | instskip(NEXT) | instid1(VALU_DEP_2)
	v_add_f64 v[8:9], v[0:1], v[4:5]
	v_add_f64 v[12:13], v[2:3], v[6:7]
	ds_load_b128 v[0:3], v11 offset:8192
	ds_load_b128 v[4:7], v11 offset:9216
	s_waitcnt lgkmcnt(1)
	v_add_f64 v[0:1], v[8:9], v[0:1]
	v_add_f64 v[2:3], v[12:13], v[2:3]
	s_waitcnt lgkmcnt(0)
	s_delay_alu instid0(VALU_DEP_2) | instskip(NEXT) | instid1(VALU_DEP_2)
	v_add_f64 v[8:9], v[0:1], v[4:5]
	v_add_f64 v[12:13], v[2:3], v[6:7]
	ds_load_b128 v[0:3], v11 offset:10240
	ds_load_b128 v[4:7], v11 offset:11264
	s_waitcnt lgkmcnt(1)
	v_add_f64 v[0:1], v[8:9], v[0:1]
	v_add_f64 v[2:3], v[12:13], v[2:3]
	s_waitcnt lgkmcnt(0)
	s_delay_alu instid0(VALU_DEP_2) | instskip(NEXT) | instid1(VALU_DEP_2)
	v_add_f64 v[8:9], v[0:1], v[4:5]
	v_add_f64 v[12:13], v[2:3], v[6:7]
	ds_load_b128 v[0:3], v11 offset:12288
	ds_load_b128 v[4:7], v11 offset:13312
	s_waitcnt lgkmcnt(1)
	v_add_f64 v[0:1], v[8:9], v[0:1]
	v_add_f64 v[2:3], v[12:13], v[2:3]
	s_waitcnt lgkmcnt(0)
	s_delay_alu instid0(VALU_DEP_2) | instskip(NEXT) | instid1(VALU_DEP_2)
	v_add_f64 v[8:9], v[0:1], v[4:5]
	v_add_f64 v[12:13], v[2:3], v[6:7]
	ds_load_b128 v[0:3], v11 offset:14336
	ds_load_b128 v[4:7], v11 offset:15360
	s_waitcnt lgkmcnt(1)
	v_add_f64 v[0:1], v[8:9], v[0:1]
	v_add_f64 v[2:3], v[12:13], v[2:3]
                                        ; implicit-def: $vgpr8_vgpr9
	s_waitcnt lgkmcnt(0)
	s_delay_alu instid0(VALU_DEP_2) | instskip(NEXT) | instid1(VALU_DEP_2)
	v_add_f64 v[4:5], v[0:1], v[4:5]
	v_add_f64 v[6:7], v[2:3], v[6:7]
                                        ; implicit-def: $vgpr2_vgpr3
	ds_store_b128 v11, v[4:7]
	v_cmpx_gt_i32_e64 s12, v10
	s_cbranch_execz .LBB156_30
; %bb.27:
	v_mul_f64 v[0:1], s[6:7], v[6:7]
	v_mul_f64 v[2:3], s[4:5], v[6:7]
	v_cmp_neq_f64_e64 s2, s[24:25], 0
	v_cmp_neq_f64_e64 s8, s[26:27], 0
	v_mul_lo_u32 v8, v10, s19
	s_delay_alu instid0(VALU_DEP_1) | instskip(SKIP_3) | instid1(SALU_CYCLE_1)
	v_ashrrev_i32_e32 v9, 31, v8
	v_fma_f64 v[0:1], s[4:5], v[4:5], -v[0:1]
	v_fma_f64 v[2:3], s[6:7], v[4:5], v[2:3]
	s_or_b32 s2, s2, s8
	s_and_not1_b32 vcc_lo, exec_lo, s2
	s_cbranch_vccnz .LBB156_29
; %bb.28:
	v_lshlrev_b64 v[4:5], 4, v[8:9]
	s_delay_alu instid0(VALU_DEP_1) | instskip(NEXT) | instid1(VALU_DEP_2)
	v_add_co_u32 v4, vcc_lo, s3, v4
	v_add_co_ci_u32_e32 v5, vcc_lo, s18, v5, vcc_lo
	global_load_b128 v[4:7], v[4:5], off
	s_waitcnt vmcnt(0)
	v_mul_f64 v[10:11], s[26:27], v[6:7]
	v_mul_f64 v[6:7], s[24:25], v[6:7]
	s_delay_alu instid0(VALU_DEP_2) | instskip(NEXT) | instid1(VALU_DEP_2)
	v_fma_f64 v[10:11], s[24:25], v[4:5], -v[10:11]
	v_fma_f64 v[4:5], s[26:27], v[4:5], v[6:7]
	s_delay_alu instid0(VALU_DEP_2) | instskip(NEXT) | instid1(VALU_DEP_2)
	v_add_f64 v[0:1], v[0:1], v[10:11]
	v_add_f64 v[2:3], v[2:3], v[4:5]
.LBB156_29:
	s_or_b32 s2, s20, exec_lo
.LBB156_30:
	s_or_b32 exec_lo, exec_lo, s1
	s_delay_alu instid0(SALU_CYCLE_1) | instskip(SKIP_1) | instid1(SALU_CYCLE_1)
	s_and_not1_b32 s1, s20, exec_lo
	s_and_b32 s2, s2, exec_lo
	s_or_b32 s20, s1, s2
.LBB156_31:
	s_or_b32 exec_lo, exec_lo, s0
.LBB156_32:
	s_and_saveexec_b32 s0, s20
	s_cbranch_execz .LBB156_34
; %bb.33:
	v_lshlrev_b64 v[4:5], 4, v[8:9]
	s_delay_alu instid0(VALU_DEP_1) | instskip(NEXT) | instid1(VALU_DEP_2)
	v_add_co_u32 v4, vcc_lo, s3, v4
	v_add_co_ci_u32_e32 v5, vcc_lo, s18, v5, vcc_lo
	global_store_b128 v[4:5], v[0:3], off
.LBB156_34:
	s_nop 0
	s_sendmsg sendmsg(MSG_DEALLOC_VGPRS)
	s_endpgm
	.section	.rodata,"a",@progbits
	.p2align	6, 0x0
	.amdhsa_kernel _ZL20rocblas_gemvn_kernelILi64ELi16Ei19rocblas_complex_numIdEPKS1_S1_EviiT3_lPKT2_lT1_lS7_lS8_lS4_lPT4_lS8_li
		.amdhsa_group_segment_fixed_size 16384
		.amdhsa_private_segment_fixed_size 0
		.amdhsa_kernarg_size 400
		.amdhsa_user_sgpr_count 14
		.amdhsa_user_sgpr_dispatch_ptr 0
		.amdhsa_user_sgpr_queue_ptr 0
		.amdhsa_user_sgpr_kernarg_segment_ptr 1
		.amdhsa_user_sgpr_dispatch_id 0
		.amdhsa_user_sgpr_private_segment_size 0
		.amdhsa_wavefront_size32 1
		.amdhsa_uses_dynamic_stack 0
		.amdhsa_enable_private_segment 0
		.amdhsa_system_sgpr_workgroup_id_x 1
		.amdhsa_system_sgpr_workgroup_id_y 0
		.amdhsa_system_sgpr_workgroup_id_z 1
		.amdhsa_system_sgpr_workgroup_info 0
		.amdhsa_system_vgpr_workitem_id 1
		.amdhsa_next_free_vgpr 21
		.amdhsa_next_free_sgpr 32
		.amdhsa_reserve_vcc 1
		.amdhsa_float_round_mode_32 0
		.amdhsa_float_round_mode_16_64 0
		.amdhsa_float_denorm_mode_32 3
		.amdhsa_float_denorm_mode_16_64 3
		.amdhsa_dx10_clamp 1
		.amdhsa_ieee_mode 1
		.amdhsa_fp16_overflow 0
		.amdhsa_workgroup_processor_mode 1
		.amdhsa_memory_ordered 1
		.amdhsa_forward_progress 0
		.amdhsa_shared_vgpr_count 0
		.amdhsa_exception_fp_ieee_invalid_op 0
		.amdhsa_exception_fp_denorm_src 0
		.amdhsa_exception_fp_ieee_div_zero 0
		.amdhsa_exception_fp_ieee_overflow 0
		.amdhsa_exception_fp_ieee_underflow 0
		.amdhsa_exception_fp_ieee_inexact 0
		.amdhsa_exception_int_div_zero 0
	.end_amdhsa_kernel
	.section	.text._ZL20rocblas_gemvn_kernelILi64ELi16Ei19rocblas_complex_numIdEPKS1_S1_EviiT3_lPKT2_lT1_lS7_lS8_lS4_lPT4_lS8_li,"axG",@progbits,_ZL20rocblas_gemvn_kernelILi64ELi16Ei19rocblas_complex_numIdEPKS1_S1_EviiT3_lPKT2_lT1_lS7_lS8_lS4_lPT4_lS8_li,comdat
.Lfunc_end156:
	.size	_ZL20rocblas_gemvn_kernelILi64ELi16Ei19rocblas_complex_numIdEPKS1_S1_EviiT3_lPKT2_lT1_lS7_lS8_lS4_lPT4_lS8_li, .Lfunc_end156-_ZL20rocblas_gemvn_kernelILi64ELi16Ei19rocblas_complex_numIdEPKS1_S1_EviiT3_lPKT2_lT1_lS7_lS8_lS4_lPT4_lS8_li
                                        ; -- End function
	.section	.AMDGPU.csdata,"",@progbits
; Kernel info:
; codeLenInByte = 2140
; NumSgprs: 34
; NumVgprs: 21
; ScratchSize: 0
; MemoryBound: 1
; FloatMode: 240
; IeeeMode: 1
; LDSByteSize: 16384 bytes/workgroup (compile time only)
; SGPRBlocks: 4
; VGPRBlocks: 2
; NumSGPRsForWavesPerEU: 34
; NumVGPRsForWavesPerEU: 21
; Occupancy: 16
; WaveLimiterHint : 1
; COMPUTE_PGM_RSRC2:SCRATCH_EN: 0
; COMPUTE_PGM_RSRC2:USER_SGPR: 14
; COMPUTE_PGM_RSRC2:TRAP_HANDLER: 0
; COMPUTE_PGM_RSRC2:TGID_X_EN: 1
; COMPUTE_PGM_RSRC2:TGID_Y_EN: 0
; COMPUTE_PGM_RSRC2:TGID_Z_EN: 1
; COMPUTE_PGM_RSRC2:TIDIG_COMP_CNT: 1
	.section	.text._ZL20rocblas_gemvn_kernelILi64ELi16El19rocblas_complex_numIdEPKS1_S1_EviiT3_lPKT2_lT1_lS7_lS8_lS4_lPT4_lS8_li,"axG",@progbits,_ZL20rocblas_gemvn_kernelILi64ELi16El19rocblas_complex_numIdEPKS1_S1_EviiT3_lPKT2_lT1_lS7_lS8_lS4_lPT4_lS8_li,comdat
	.globl	_ZL20rocblas_gemvn_kernelILi64ELi16El19rocblas_complex_numIdEPKS1_S1_EviiT3_lPKT2_lT1_lS7_lS8_lS4_lPT4_lS8_li ; -- Begin function _ZL20rocblas_gemvn_kernelILi64ELi16El19rocblas_complex_numIdEPKS1_S1_EviiT3_lPKT2_lT1_lS7_lS8_lS4_lPT4_lS8_li
	.p2align	8
	.type	_ZL20rocblas_gemvn_kernelILi64ELi16El19rocblas_complex_numIdEPKS1_S1_EviiT3_lPKT2_lT1_lS7_lS8_lS4_lPT4_lS8_li,@function
_ZL20rocblas_gemvn_kernelILi64ELi16El19rocblas_complex_numIdEPKS1_S1_EviiT3_lPKT2_lT1_lS7_lS8_lS4_lPT4_lS8_li: ; @_ZL20rocblas_gemvn_kernelILi64ELi16El19rocblas_complex_numIdEPKS1_S1_EviiT3_lPKT2_lT1_lS7_lS8_lS4_lPT4_lS8_li
; %bb.0:
	s_load_b64 s[2:3], s[0:1], 0x9c
	s_waitcnt lgkmcnt(0)
	s_lshr_b32 s4, s2, 16
	s_and_b32 s12, s2, 0xffff
	s_and_b32 s2, s3, 0xffff
	s_mul_i32 s3, s4, s12
	s_delay_alu instid0(SALU_CYCLE_1) | instskip(NEXT) | instid1(SALU_CYCLE_1)
	s_mul_i32 s3, s3, s2
	s_cmpk_lg_i32 s3, 0x400
	s_cbranch_scc1 .LBB157_34
; %bb.1:
	s_load_b512 s[36:51], s[0:1], 0x8
	s_waitcnt lgkmcnt(0)
	s_mul_i32 s3, s15, s39
	s_mul_hi_u32 s4, s15, s38
	s_mul_i32 s2, s15, s38
	s_add_i32 s3, s4, s3
	s_delay_alu instid0(SALU_CYCLE_1) | instskip(NEXT) | instid1(SALU_CYCLE_1)
	s_lshl_b64 s[2:3], s[2:3], 4
	s_add_u32 s2, s36, s2
	s_addc_u32 s3, s37, s3
	s_load_b128 s[4:7], s[2:3], 0x0
	s_load_b512 s[16:31], s[0:1], 0x48
	s_waitcnt lgkmcnt(0)
	v_cmp_neq_f64_e64 s13, s[4:5], 0
	v_cmp_neq_f64_e64 s33, s[6:7], 0
	s_mul_i32 s2, s15, s23
	s_mul_hi_u32 s3, s15, s22
	s_delay_alu instid0(SALU_CYCLE_1) | instskip(SKIP_1) | instid1(SALU_CYCLE_1)
	s_add_i32 s3, s3, s2
	s_mul_i32 s2, s15, s22
	s_lshl_b64 s[2:3], s[2:3], 4
	s_delay_alu instid0(SALU_CYCLE_1) | instskip(SKIP_3) | instid1(VALU_DEP_1)
	s_add_u32 s2, s20, s2
	s_addc_u32 s3, s21, s3
	s_load_b128 s[8:11], s[2:3], 0x0
	s_mov_b32 s2, -1
	s_or_b32 s13, s13, s33
	s_delay_alu instid0(SALU_CYCLE_1)
	s_and_b32 vcc_lo, exec_lo, s13
	s_cbranch_vccnz .LBB157_3
; %bb.2:
	s_waitcnt lgkmcnt(0)
	v_cmp_neq_f64_e64 s2, s[8:9], 1.0
	v_cmp_neq_f64_e64 s3, s[10:11], 0
	s_delay_alu instid0(VALU_DEP_1)
	s_or_b32 s2, s2, s3
.LBB157_3:
	s_delay_alu instid0(SALU_CYCLE_1)
	s_and_not1_b32 vcc_lo, exec_lo, s2
	s_cbranch_vccnz .LBB157_34
; %bb.4:
	s_load_b64 s[2:3], s[0:1], 0x0
	v_and_b32_e32 v1, 0x3ff, v0
	v_bfe_u32 v0, v0, 10, 10
	s_mul_i32 s20, s15, s31
	s_mul_hi_u32 s21, s15, s30
	s_mul_i32 s0, s15, s30
	s_add_i32 s1, s21, s20
	v_mad_u32_u24 v10, v0, s12, v1
	s_lshl_b64 s[0:1], s[0:1], 4
	s_xor_b32 s13, s13, -1
	s_add_u32 s20, s24, s0
	s_addc_u32 s21, s25, s1
	s_lshl_b64 s[0:1], s[26:27], 4
	s_mov_b32 s24, 0
	s_add_u32 s22, s20, s0
	v_cmp_gt_u32_e64 s0, 64, v10
	s_addc_u32 s23, s21, s1
	s_and_not1_b32 vcc_lo, exec_lo, s13
	s_cbranch_vccnz .LBB157_11
; %bb.5:
	s_mov_b32 s1, 0
                                        ; implicit-def: $vgpr2_vgpr3
                                        ; implicit-def: $vgpr8_vgpr9
	s_and_saveexec_b32 s12, s0
	s_cbranch_execz .LBB157_12
; %bb.6:
	v_lshl_or_b32 v0, s14, 6, v10
	v_mov_b32_e32 v1, 0
	s_waitcnt lgkmcnt(0)
	s_ashr_i32 s21, s2, 31
	s_mov_b32 s20, s2
	s_mov_b32 s13, 0
	s_mov_b32 s0, exec_lo
                                        ; implicit-def: $vgpr2_vgpr3
                                        ; implicit-def: $vgpr8_vgpr9
	v_cmpx_gt_i64_e64 s[20:21], v[0:1]
	s_cbranch_execz .LBB157_10
; %bb.7:
	v_cmp_neq_f64_e64 s13, s[8:9], 0
	v_cmp_neq_f64_e64 s20, s[10:11], 0
	v_mad_u64_u32 v[8:9], null, v0, s28, 0
	s_delay_alu instid0(VALU_DEP_1) | instskip(NEXT) | instid1(VALU_DEP_1)
	v_mov_b32_e32 v1, v9
	v_mad_u64_u32 v[4:5], null, v0, s29, v[1:2]
	v_mov_b32_e32 v2, 0
	v_mov_b32_e32 v3, 0
	s_delay_alu instid0(VALU_DEP_2) | instskip(NEXT) | instid1(VALU_DEP_2)
	v_dual_mov_b32 v0, v2 :: v_dual_mov_b32 v9, v4
	v_mov_b32_e32 v1, v3
	s_or_b32 s13, s13, s20
	s_delay_alu instid0(SALU_CYCLE_1)
	s_and_not1_b32 vcc_lo, exec_lo, s13
	s_cbranch_vccnz .LBB157_9
; %bb.8:
	v_lshlrev_b64 v[0:1], 4, v[8:9]
	s_delay_alu instid0(VALU_DEP_1) | instskip(NEXT) | instid1(VALU_DEP_2)
	v_add_co_u32 v0, vcc_lo, s22, v0
	v_add_co_ci_u32_e32 v1, vcc_lo, s23, v1, vcc_lo
	global_load_b128 v[2:5], v[0:1], off
	s_waitcnt vmcnt(0)
	v_mul_f64 v[0:1], s[10:11], v[4:5]
	v_mul_f64 v[4:5], s[8:9], v[4:5]
	s_delay_alu instid0(VALU_DEP_2) | instskip(NEXT) | instid1(VALU_DEP_2)
	v_fma_f64 v[0:1], s[8:9], v[2:3], -v[0:1]
	v_fma_f64 v[2:3], s[10:11], v[2:3], v[4:5]
.LBB157_9:
	s_mov_b32 s13, exec_lo
.LBB157_10:
	s_or_b32 exec_lo, exec_lo, s0
	s_delay_alu instid0(SALU_CYCLE_1) | instskip(SKIP_1) | instid1(SALU_CYCLE_1)
	s_and_b32 s24, s13, exec_lo
	s_or_b32 exec_lo, exec_lo, s12
	s_and_b32 vcc_lo, exec_lo, s1
	s_cbranch_vccnz .LBB157_13
	s_branch .LBB157_32
.LBB157_11:
                                        ; implicit-def: $vgpr2_vgpr3
                                        ; implicit-def: $vgpr8_vgpr9
	s_cbranch_execnz .LBB157_13
	s_branch .LBB157_32
.LBB157_12:
	s_or_b32 exec_lo, exec_lo, s12
	s_delay_alu instid0(SALU_CYCLE_1)
	s_and_b32 vcc_lo, exec_lo, s1
	s_cbranch_vccz .LBB157_32
.LBB157_13:
	v_mov_b32_e32 v2, 0
	v_dual_mov_b32 v3, 0 :: v_dual_and_b32 v4, 63, v10
	s_waitcnt lgkmcnt(0)
	s_ashr_i32 s12, s3, 31
	s_lshl_b32 s25, s14, 6
	s_mul_i32 s0, s15, s47
	s_mul_hi_u32 s1, s15, s46
	s_lshr_b32 s12, s12, 28
	v_lshrrev_b32_e32 v9, 6, v10
	v_or_b32_e32 v8, s25, v4
	v_dual_mov_b32 v0, v2 :: v_dual_mov_b32 v1, v3
	s_add_i32 s13, s1, s0
	s_mul_i32 s0, s15, s19
	s_mul_hi_u32 s1, s15, s18
	s_add_i32 s12, s3, s12
	s_add_i32 s19, s1, s0
	s_and_b32 s26, s12, -16
	s_mul_i32 s12, s15, s46
	s_mul_i32 s18, s15, s18
	s_mov_b32 s27, exec_lo
	v_cmpx_gt_i32_e64 s26, v9
	s_cbranch_execz .LBB157_19
; %bb.14:
	v_lshrrev_b32_e32 v14, 6, v10
	v_add_nc_u32_e32 v11, s25, v4
	s_lshl_b64 s[14:15], s[50:51], 4
	s_lshl_b64 s[0:1], s[18:19], 4
	s_add_u32 s14, s48, s14
	v_mad_u64_u32 v[0:1], null, s44, v14, 0
	v_mad_u64_u32 v[5:6], null, s16, v14, 0
	s_addc_u32 s15, s49, s15
	s_add_u32 s30, s14, s0
	s_addc_u32 s31, s15, s1
	s_lshl_b64 s[0:1], s[12:13], 4
	s_delay_alu instid0(VALU_DEP_2) | instskip(SKIP_1) | instid1(VALU_DEP_3)
	v_mad_u64_u32 v[12:13], null, s45, v14, v[1:2]
	v_mov_b32_e32 v2, 0
	v_dual_mov_b32 v3, 0 :: v_dual_mov_b32 v4, v6
	s_lshl_b64 s[20:21], s[42:43], 4
	s_lshl_b64 s[14:15], s[16:17], 8
	s_add_u32 s0, s20, s0
	s_delay_alu instid0(VALU_DEP_3) | instskip(SKIP_3) | instid1(VALU_DEP_3)
	v_mov_b32_e32 v1, v12
	v_mad_u64_u32 v[6:7], null, s17, v14, v[4:5]
	v_ashrrev_i32_e32 v12, 31, v11
	s_addc_u32 s1, s21, s1
	v_lshlrev_b64 v[0:1], 4, v[0:1]
	v_cmp_gt_i32_e32 vcc_lo, s2, v8
	s_lshl_b64 s[20:21], s[44:45], 8
	v_lshlrev_b64 v[11:12], 4, v[11:12]
	s_delay_alu instid0(VALU_DEP_3) | instskip(NEXT) | instid1(VALU_DEP_1)
	v_add_co_u32 v4, s0, s0, v0
	v_add_co_ci_u32_e64 v7, s0, s1, v1, s0
	v_lshlrev_b64 v[0:1], 4, v[5:6]
	s_delay_alu instid0(VALU_DEP_3) | instskip(NEXT) | instid1(VALU_DEP_1)
	v_add_co_u32 v4, s0, v4, v11
	v_add_co_ci_u32_e64 v5, s0, v7, v12, s0
	s_delay_alu instid0(VALU_DEP_3) | instskip(NEXT) | instid1(VALU_DEP_1)
	v_add_co_u32 v0, s0, s30, v0
	v_add_co_ci_u32_e64 v1, s0, s31, v1, s0
	s_delay_alu instid0(VALU_DEP_4) | instskip(NEXT) | instid1(VALU_DEP_1)
	v_add_co_u32 v6, s0, v4, s40
	v_add_co_ci_u32_e64 v7, s0, s41, v5, s0
	s_delay_alu instid0(VALU_DEP_4) | instskip(NEXT) | instid1(VALU_DEP_1)
	;; [unrolled: 3-line block ×3, first 2 shown]
	v_add_co_u32 v6, s0, v6, 8
	v_add_co_ci_u32_e64 v7, s0, 0, v7, s0
	v_dual_mov_b32 v0, v2 :: v_dual_mov_b32 v1, v3
	s_mov_b32 s30, 0
	s_set_inst_prefetch_distance 0x1
	s_branch .LBB157_16
	.p2align	6
.LBB157_15:                             ;   in Loop: Header=BB157_16 Depth=1
	s_or_b32 exec_lo, exec_lo, s0
	v_add_nc_u32_e32 v9, 16, v9
	v_add_co_u32 v4, s0, v4, s14
	s_delay_alu instid0(VALU_DEP_1) | instskip(NEXT) | instid1(VALU_DEP_3)
	v_add_co_ci_u32_e64 v5, s0, s15, v5, s0
	v_cmp_le_i32_e64 s0, s26, v9
	v_add_co_u32 v6, s1, v6, s20
	s_delay_alu instid0(VALU_DEP_1) | instskip(NEXT) | instid1(VALU_DEP_3)
	v_add_co_ci_u32_e64 v7, s1, s21, v7, s1
	s_or_b32 s30, s0, s30
	s_delay_alu instid0(SALU_CYCLE_1)
	s_and_not1_b32 exec_lo, exec_lo, s30
	s_cbranch_execz .LBB157_18
.LBB157_16:                             ; =>This Inner Loop Header: Depth=1
	s_and_saveexec_b32 s0, vcc_lo
	s_cbranch_execz .LBB157_15
; %bb.17:                               ;   in Loop: Header=BB157_16 Depth=1
	global_load_b128 v[11:14], v[4:5], off offset:-8
	global_load_b128 v[15:18], v[6:7], off offset:-8
	s_waitcnt vmcnt(0)
	v_mul_f64 v[19:20], v[13:14], v[17:18]
	v_mul_f64 v[17:18], v[11:12], v[17:18]
	s_delay_alu instid0(VALU_DEP_2) | instskip(NEXT) | instid1(VALU_DEP_2)
	v_fma_f64 v[11:12], v[11:12], v[15:16], -v[19:20]
	v_fma_f64 v[13:14], v[13:14], v[15:16], v[17:18]
	s_delay_alu instid0(VALU_DEP_2) | instskip(NEXT) | instid1(VALU_DEP_2)
	v_add_f64 v[0:1], v[0:1], v[11:12]
	v_add_f64 v[2:3], v[2:3], v[13:14]
	s_branch .LBB157_15
.LBB157_18:
	s_set_inst_prefetch_distance 0x2
	s_or_b32 exec_lo, exec_lo, s30
.LBB157_19:
	s_delay_alu instid0(SALU_CYCLE_1) | instskip(SKIP_1) | instid1(SALU_CYCLE_1)
	s_or_b32 exec_lo, exec_lo, s27
	s_sub_i32 s0, s3, s26
	s_cmp_lt_i32 s0, 1
	s_cbranch_scc1 .LBB157_25
; %bb.20:
	v_mov_b32_e32 v4, 0
	v_mov_b32_e32 v5, 0
	v_cmp_gt_i32_e32 vcc_lo, s3, v9
	s_delay_alu instid0(VALU_DEP_2)
	v_dual_mov_b32 v7, v5 :: v_dual_mov_b32 v6, v4
	s_and_saveexec_b32 s1, vcc_lo
	s_cbranch_execz .LBB157_22
; %bb.21:
	v_mad_u64_u32 v[4:5], null, v9, s16, 0
	s_lshl_b64 s[14:15], s[18:19], 4
	s_delay_alu instid0(SALU_CYCLE_1) | instskip(SKIP_2) | instid1(SALU_CYCLE_1)
	s_add_u32 s0, s48, s14
	s_addc_u32 s3, s49, s15
	s_lshl_b64 s[14:15], s[50:51], 4
	s_add_u32 s0, s0, s14
	s_delay_alu instid0(VALU_DEP_1) | instskip(SKIP_1) | instid1(VALU_DEP_1)
	v_mad_u64_u32 v[6:7], null, v9, s17, v[5:6]
	s_addc_u32 s3, s3, s15
	v_mov_b32_e32 v5, v6
	s_delay_alu instid0(VALU_DEP_1) | instskip(NEXT) | instid1(VALU_DEP_1)
	v_lshlrev_b64 v[4:5], 4, v[4:5]
	v_add_co_u32 v4, s0, s0, v4
	s_delay_alu instid0(VALU_DEP_1)
	v_add_co_ci_u32_e64 v5, s0, s3, v5, s0
	global_load_b128 v[4:7], v[4:5], off
.LBB157_22:
	s_or_b32 exec_lo, exec_lo, s1
	s_delay_alu instid0(SALU_CYCLE_1)
	s_mov_b32 s1, exec_lo
	v_cmpx_gt_i32_e64 s2, v8
	s_cbranch_execz .LBB157_24
; %bb.23:
	v_mad_u64_u32 v[11:12], null, v9, s44, 0
	s_lshl_b64 s[12:13], s[12:13], 4
	s_delay_alu instid0(SALU_CYCLE_1) | instskip(SKIP_2) | instid1(SALU_CYCLE_1)
	s_add_u32 s0, s40, s12
	s_addc_u32 s3, s41, s13
	s_lshl_b64 s[12:13], s[42:43], 4
	s_add_u32 s0, s0, s12
	s_delay_alu instid0(VALU_DEP_1) | instskip(NEXT) | instid1(VALU_DEP_2)
	v_mad_u64_u32 v[13:14], null, v9, s45, v[12:13]
	v_cndmask_b32_e32 v11, 0, v11, vcc_lo
	v_ashrrev_i32_e32 v9, 31, v8
	s_addc_u32 s3, s3, s13
	s_delay_alu instid0(VALU_DEP_3) | instskip(NEXT) | instid1(VALU_DEP_2)
	v_cndmask_b32_e32 v12, 0, v13, vcc_lo
	v_lshlrev_b64 v[8:9], 4, v[8:9]
	s_delay_alu instid0(VALU_DEP_2) | instskip(NEXT) | instid1(VALU_DEP_1)
	v_lshlrev_b64 v[11:12], 4, v[11:12]
	v_add_co_u32 v11, vcc_lo, s0, v11
	s_delay_alu instid0(VALU_DEP_2) | instskip(NEXT) | instid1(VALU_DEP_2)
	v_add_co_ci_u32_e32 v12, vcc_lo, s3, v12, vcc_lo
	v_add_co_u32 v8, vcc_lo, v11, v8
	s_delay_alu instid0(VALU_DEP_2) | instskip(SKIP_4) | instid1(VALU_DEP_2)
	v_add_co_ci_u32_e32 v9, vcc_lo, v12, v9, vcc_lo
	global_load_b128 v[11:14], v[8:9], off
	s_waitcnt vmcnt(0)
	v_mul_f64 v[8:9], v[6:7], v[13:14]
	v_mul_f64 v[13:14], v[4:5], v[13:14]
	v_fma_f64 v[4:5], v[4:5], v[11:12], -v[8:9]
	s_delay_alu instid0(VALU_DEP_2) | instskip(NEXT) | instid1(VALU_DEP_2)
	v_fma_f64 v[6:7], v[6:7], v[11:12], v[13:14]
	v_add_f64 v[0:1], v[0:1], v[4:5]
	s_delay_alu instid0(VALU_DEP_2)
	v_add_f64 v[2:3], v[2:3], v[6:7]
.LBB157_24:
	s_or_b32 exec_lo, exec_lo, s1
.LBB157_25:
	v_lshlrev_b32_e32 v11, 4, v10
	s_mov_b32 s0, exec_lo
                                        ; implicit-def: $vgpr8_vgpr9
	ds_store_b128 v11, v[0:3]
	s_waitcnt vmcnt(0) lgkmcnt(0)
	s_barrier
	buffer_gl0_inv
                                        ; implicit-def: $vgpr2_vgpr3
	v_cmpx_gt_u32_e32 64, v10
	s_cbranch_execz .LBB157_31
; %bb.26:
	ds_load_b128 v[0:3], v11
	ds_load_b128 v[4:7], v11 offset:1024
	v_or_b32_e32 v10, s25, v10
	s_delay_alu instid0(VALU_DEP_1)
	v_cmp_gt_i32_e32 vcc_lo, s2, v10
	s_mov_b32 s2, s24
	s_waitcnt lgkmcnt(0)
	v_add_f64 v[8:9], v[0:1], v[4:5]
	v_add_f64 v[12:13], v[2:3], v[6:7]
	ds_load_b128 v[0:3], v11 offset:2048
	ds_load_b128 v[4:7], v11 offset:3072
	s_waitcnt lgkmcnt(1)
	v_add_f64 v[0:1], v[8:9], v[0:1]
	v_add_f64 v[2:3], v[12:13], v[2:3]
	s_waitcnt lgkmcnt(0)
	s_delay_alu instid0(VALU_DEP_2) | instskip(NEXT) | instid1(VALU_DEP_2)
	v_add_f64 v[8:9], v[0:1], v[4:5]
	v_add_f64 v[12:13], v[2:3], v[6:7]
	ds_load_b128 v[0:3], v11 offset:4096
	ds_load_b128 v[4:7], v11 offset:5120
	s_waitcnt lgkmcnt(1)
	v_add_f64 v[0:1], v[8:9], v[0:1]
	v_add_f64 v[2:3], v[12:13], v[2:3]
	s_waitcnt lgkmcnt(0)
	s_delay_alu instid0(VALU_DEP_2) | instskip(NEXT) | instid1(VALU_DEP_2)
	v_add_f64 v[8:9], v[0:1], v[4:5]
	v_add_f64 v[12:13], v[2:3], v[6:7]
	ds_load_b128 v[0:3], v11 offset:6144
	ds_load_b128 v[4:7], v11 offset:7168
	s_waitcnt lgkmcnt(1)
	v_add_f64 v[0:1], v[8:9], v[0:1]
	v_add_f64 v[2:3], v[12:13], v[2:3]
	s_waitcnt lgkmcnt(0)
	s_delay_alu instid0(VALU_DEP_2) | instskip(NEXT) | instid1(VALU_DEP_2)
	v_add_f64 v[8:9], v[0:1], v[4:5]
	v_add_f64 v[12:13], v[2:3], v[6:7]
	ds_load_b128 v[0:3], v11 offset:8192
	ds_load_b128 v[4:7], v11 offset:9216
	s_waitcnt lgkmcnt(1)
	v_add_f64 v[0:1], v[8:9], v[0:1]
	v_add_f64 v[2:3], v[12:13], v[2:3]
	s_waitcnt lgkmcnt(0)
	s_delay_alu instid0(VALU_DEP_2) | instskip(NEXT) | instid1(VALU_DEP_2)
	v_add_f64 v[8:9], v[0:1], v[4:5]
	v_add_f64 v[12:13], v[2:3], v[6:7]
	ds_load_b128 v[0:3], v11 offset:10240
	ds_load_b128 v[4:7], v11 offset:11264
	s_waitcnt lgkmcnt(1)
	v_add_f64 v[0:1], v[8:9], v[0:1]
	v_add_f64 v[2:3], v[12:13], v[2:3]
	s_waitcnt lgkmcnt(0)
	s_delay_alu instid0(VALU_DEP_2) | instskip(NEXT) | instid1(VALU_DEP_2)
	v_add_f64 v[8:9], v[0:1], v[4:5]
	v_add_f64 v[12:13], v[2:3], v[6:7]
	ds_load_b128 v[0:3], v11 offset:12288
	ds_load_b128 v[4:7], v11 offset:13312
	s_waitcnt lgkmcnt(1)
	v_add_f64 v[0:1], v[8:9], v[0:1]
	v_add_f64 v[2:3], v[12:13], v[2:3]
	s_waitcnt lgkmcnt(0)
	s_delay_alu instid0(VALU_DEP_2) | instskip(NEXT) | instid1(VALU_DEP_2)
	v_add_f64 v[8:9], v[0:1], v[4:5]
	v_add_f64 v[12:13], v[2:3], v[6:7]
	ds_load_b128 v[0:3], v11 offset:14336
	ds_load_b128 v[4:7], v11 offset:15360
	s_waitcnt lgkmcnt(1)
	v_add_f64 v[0:1], v[8:9], v[0:1]
	v_add_f64 v[2:3], v[12:13], v[2:3]
                                        ; implicit-def: $vgpr8_vgpr9
	s_waitcnt lgkmcnt(0)
	s_delay_alu instid0(VALU_DEP_2) | instskip(NEXT) | instid1(VALU_DEP_2)
	v_add_f64 v[4:5], v[0:1], v[4:5]
	v_add_f64 v[6:7], v[2:3], v[6:7]
                                        ; implicit-def: $vgpr2_vgpr3
	ds_store_b128 v11, v[4:7]
	s_and_saveexec_b32 s1, vcc_lo
	s_cbranch_execz .LBB157_30
; %bb.27:
	v_mul_f64 v[0:1], s[6:7], v[6:7]
	v_mul_f64 v[2:3], s[4:5], v[6:7]
	v_cmp_neq_f64_e64 s2, s[8:9], 0
	v_cmp_neq_f64_e64 s3, s[10:11], 0
	v_mad_u64_u32 v[8:9], null, v10, s28, 0
	v_fma_f64 v[0:1], s[4:5], v[4:5], -v[0:1]
	v_fma_f64 v[2:3], s[6:7], v[4:5], v[2:3]
	v_ashrrev_i32_e32 v4, 31, v10
	v_mul_lo_u32 v5, v10, s29
	s_or_b32 s2, s2, s3
	s_delay_alu instid0(SALU_CYCLE_1) | instskip(NEXT) | instid1(VALU_DEP_2)
	s_and_not1_b32 vcc_lo, exec_lo, s2
	v_mul_lo_u32 v4, v4, s28
	s_delay_alu instid0(VALU_DEP_1)
	v_add3_u32 v9, v9, v5, v4
	s_cbranch_vccnz .LBB157_29
; %bb.28:
	s_delay_alu instid0(VALU_DEP_1) | instskip(NEXT) | instid1(VALU_DEP_1)
	v_lshlrev_b64 v[4:5], 4, v[8:9]
	v_add_co_u32 v4, vcc_lo, s22, v4
	s_delay_alu instid0(VALU_DEP_2) | instskip(SKIP_4) | instid1(VALU_DEP_2)
	v_add_co_ci_u32_e32 v5, vcc_lo, s23, v5, vcc_lo
	global_load_b128 v[4:7], v[4:5], off
	s_waitcnt vmcnt(0)
	v_mul_f64 v[10:11], s[10:11], v[6:7]
	v_mul_f64 v[6:7], s[8:9], v[6:7]
	v_fma_f64 v[10:11], s[8:9], v[4:5], -v[10:11]
	s_delay_alu instid0(VALU_DEP_2) | instskip(NEXT) | instid1(VALU_DEP_2)
	v_fma_f64 v[4:5], s[10:11], v[4:5], v[6:7]
	v_add_f64 v[0:1], v[0:1], v[10:11]
	s_delay_alu instid0(VALU_DEP_2)
	v_add_f64 v[2:3], v[2:3], v[4:5]
.LBB157_29:
	s_or_b32 s2, s24, exec_lo
.LBB157_30:
	s_or_b32 exec_lo, exec_lo, s1
	s_delay_alu instid0(SALU_CYCLE_1) | instskip(SKIP_1) | instid1(SALU_CYCLE_1)
	s_and_not1_b32 s1, s24, exec_lo
	s_and_b32 s2, s2, exec_lo
	s_or_b32 s24, s1, s2
.LBB157_31:
	s_or_b32 exec_lo, exec_lo, s0
.LBB157_32:
	s_and_saveexec_b32 s0, s24
	s_cbranch_execz .LBB157_34
; %bb.33:
	v_lshlrev_b64 v[4:5], 4, v[8:9]
	s_delay_alu instid0(VALU_DEP_1) | instskip(NEXT) | instid1(VALU_DEP_2)
	v_add_co_u32 v4, vcc_lo, s22, v4
	v_add_co_ci_u32_e32 v5, vcc_lo, s23, v5, vcc_lo
	global_store_b128 v[4:5], v[0:3], off
.LBB157_34:
	s_nop 0
	s_sendmsg sendmsg(MSG_DEALLOC_VGPRS)
	s_endpgm
	.section	.rodata,"a",@progbits
	.p2align	6, 0x0
	.amdhsa_kernel _ZL20rocblas_gemvn_kernelILi64ELi16El19rocblas_complex_numIdEPKS1_S1_EviiT3_lPKT2_lT1_lS7_lS8_lS4_lPT4_lS8_li
		.amdhsa_group_segment_fixed_size 16384
		.amdhsa_private_segment_fixed_size 0
		.amdhsa_kernarg_size 400
		.amdhsa_user_sgpr_count 14
		.amdhsa_user_sgpr_dispatch_ptr 0
		.amdhsa_user_sgpr_queue_ptr 0
		.amdhsa_user_sgpr_kernarg_segment_ptr 1
		.amdhsa_user_sgpr_dispatch_id 0
		.amdhsa_user_sgpr_private_segment_size 0
		.amdhsa_wavefront_size32 1
		.amdhsa_uses_dynamic_stack 0
		.amdhsa_enable_private_segment 0
		.amdhsa_system_sgpr_workgroup_id_x 1
		.amdhsa_system_sgpr_workgroup_id_y 0
		.amdhsa_system_sgpr_workgroup_id_z 1
		.amdhsa_system_sgpr_workgroup_info 0
		.amdhsa_system_vgpr_workitem_id 1
		.amdhsa_next_free_vgpr 21
		.amdhsa_next_free_sgpr 52
		.amdhsa_reserve_vcc 1
		.amdhsa_float_round_mode_32 0
		.amdhsa_float_round_mode_16_64 0
		.amdhsa_float_denorm_mode_32 3
		.amdhsa_float_denorm_mode_16_64 3
		.amdhsa_dx10_clamp 1
		.amdhsa_ieee_mode 1
		.amdhsa_fp16_overflow 0
		.amdhsa_workgroup_processor_mode 1
		.amdhsa_memory_ordered 1
		.amdhsa_forward_progress 0
		.amdhsa_shared_vgpr_count 0
		.amdhsa_exception_fp_ieee_invalid_op 0
		.amdhsa_exception_fp_denorm_src 0
		.amdhsa_exception_fp_ieee_div_zero 0
		.amdhsa_exception_fp_ieee_overflow 0
		.amdhsa_exception_fp_ieee_underflow 0
		.amdhsa_exception_fp_ieee_inexact 0
		.amdhsa_exception_int_div_zero 0
	.end_amdhsa_kernel
	.section	.text._ZL20rocblas_gemvn_kernelILi64ELi16El19rocblas_complex_numIdEPKS1_S1_EviiT3_lPKT2_lT1_lS7_lS8_lS4_lPT4_lS8_li,"axG",@progbits,_ZL20rocblas_gemvn_kernelILi64ELi16El19rocblas_complex_numIdEPKS1_S1_EviiT3_lPKT2_lT1_lS7_lS8_lS4_lPT4_lS8_li,comdat
.Lfunc_end157:
	.size	_ZL20rocblas_gemvn_kernelILi64ELi16El19rocblas_complex_numIdEPKS1_S1_EviiT3_lPKT2_lT1_lS7_lS8_lS4_lPT4_lS8_li, .Lfunc_end157-_ZL20rocblas_gemvn_kernelILi64ELi16El19rocblas_complex_numIdEPKS1_S1_EviiT3_lPKT2_lT1_lS7_lS8_lS4_lPT4_lS8_li
                                        ; -- End function
	.section	.AMDGPU.csdata,"",@progbits
; Kernel info:
; codeLenInByte = 2312
; NumSgprs: 54
; NumVgprs: 21
; ScratchSize: 0
; MemoryBound: 0
; FloatMode: 240
; IeeeMode: 1
; LDSByteSize: 16384 bytes/workgroup (compile time only)
; SGPRBlocks: 6
; VGPRBlocks: 2
; NumSGPRsForWavesPerEU: 54
; NumVGPRsForWavesPerEU: 21
; Occupancy: 16
; WaveLimiterHint : 0
; COMPUTE_PGM_RSRC2:SCRATCH_EN: 0
; COMPUTE_PGM_RSRC2:USER_SGPR: 14
; COMPUTE_PGM_RSRC2:TRAP_HANDLER: 0
; COMPUTE_PGM_RSRC2:TGID_X_EN: 1
; COMPUTE_PGM_RSRC2:TGID_Y_EN: 0
; COMPUTE_PGM_RSRC2:TGID_Z_EN: 1
; COMPUTE_PGM_RSRC2:TIDIG_COMP_CNT: 1
	.section	.text._ZL20rocblas_gemvn_kernelILi64ELi16Ei19rocblas_complex_numIdES1_S1_EviiT3_lPKT2_lT1_lS5_lS6_lS2_lPT4_lS6_li,"axG",@progbits,_ZL20rocblas_gemvn_kernelILi64ELi16Ei19rocblas_complex_numIdES1_S1_EviiT3_lPKT2_lT1_lS5_lS6_lS2_lPT4_lS6_li,comdat
	.globl	_ZL20rocblas_gemvn_kernelILi64ELi16Ei19rocblas_complex_numIdES1_S1_EviiT3_lPKT2_lT1_lS5_lS6_lS2_lPT4_lS6_li ; -- Begin function _ZL20rocblas_gemvn_kernelILi64ELi16Ei19rocblas_complex_numIdES1_S1_EviiT3_lPKT2_lT1_lS5_lS6_lS2_lPT4_lS6_li
	.p2align	8
	.type	_ZL20rocblas_gemvn_kernelILi64ELi16Ei19rocblas_complex_numIdES1_S1_EviiT3_lPKT2_lT1_lS5_lS6_lS2_lPT4_lS6_li,@function
_ZL20rocblas_gemvn_kernelILi64ELi16Ei19rocblas_complex_numIdES1_S1_EviiT3_lPKT2_lT1_lS5_lS6_lS2_lPT4_lS6_li: ; @_ZL20rocblas_gemvn_kernelILi64ELi16Ei19rocblas_complex_numIdES1_S1_EviiT3_lPKT2_lT1_lS5_lS6_lS2_lPT4_lS6_li
; %bb.0:
	s_load_b64 s[2:3], s[0:1], 0xac
	s_waitcnt lgkmcnt(0)
	s_lshr_b32 s4, s2, 16
	s_and_b32 s2, s2, 0xffff
	s_and_b32 s3, s3, 0xffff
	s_mul_i32 s4, s4, s2
	s_delay_alu instid0(SALU_CYCLE_1) | instskip(NEXT) | instid1(SALU_CYCLE_1)
	s_mul_i32 s4, s4, s3
	s_cmpk_lg_i32 s4, 0x400
	s_cbranch_scc1 .LBB158_34
; %bb.1:
	s_clause 0x2
	s_load_b128 s[8:11], s[0:1], 0x8
	s_load_b128 s[4:7], s[0:1], 0x58
	s_load_b64 s[12:13], s[0:1], 0x68
	s_waitcnt lgkmcnt(0)
	v_cmp_neq_f64_e64 s3, s[8:9], 0
	v_cmp_neq_f64_e64 s16, s[10:11], 0
	s_delay_alu instid0(VALU_DEP_1)
	s_or_b32 s3, s3, s16
	s_mov_b32 s16, -1
	s_and_b32 vcc_lo, exec_lo, s3
	s_cbranch_vccnz .LBB158_3
; %bb.2:
	v_cmp_neq_f64_e64 s16, s[6:7], 1.0
	v_cmp_neq_f64_e64 s17, s[12:13], 0
	s_delay_alu instid0(VALU_DEP_1)
	s_or_b32 s16, s16, s17
.LBB158_3:
	s_delay_alu instid0(SALU_CYCLE_1)
	s_and_not1_b32 vcc_lo, exec_lo, s16
	s_cbranch_vccnz .LBB158_34
; %bb.4:
	s_clause 0x3
	s_load_b64 s[24:25], s[0:1], 0x90
	s_load_b128 s[20:23], s[0:1], 0x78
	s_load_b32 s19, s[0:1], 0x88
	s_load_b64 s[16:17], s[0:1], 0x0
	v_and_b32_e32 v1, 0x3ff, v0
	v_bfe_u32 v0, v0, 10, 10
	s_xor_b32 s26, s3, -1
	s_delay_alu instid0(VALU_DEP_1)
	v_mad_u32_u24 v10, v0, s2, v1
	s_waitcnt lgkmcnt(0)
	s_mul_i32 s3, s15, s25
	s_mul_hi_u32 s18, s15, s24
	s_mul_i32 s24, s15, s24
	s_add_i32 s25, s18, s3
	s_delay_alu instid0(SALU_CYCLE_1) | instskip(NEXT) | instid1(SALU_CYCLE_1)
	s_lshl_b64 s[2:3], s[24:25], 4
	s_add_u32 s18, s20, s2
	s_addc_u32 s24, s21, s3
	s_lshl_b64 s[20:21], s[22:23], 4
	v_cmp_gt_u32_e64 s2, 64, v10
	s_add_u32 s3, s18, s20
	s_addc_u32 s18, s24, s21
	s_and_not1_b32 vcc_lo, exec_lo, s26
	s_mov_b32 s20, 0
	s_cbranch_vccnz .LBB158_11
; %bb.5:
	s_mov_b32 s21, 0
                                        ; implicit-def: $vgpr2_vgpr3
                                        ; implicit-def: $vgpr8_vgpr9
	s_and_saveexec_b32 s22, s2
	s_cbranch_execz .LBB158_12
; %bb.6:
	v_lshl_or_b32 v0, s14, 6, v10
	v_mov_b32_e32 v1, 0
	s_ashr_i32 s25, s16, 31
	s_mov_b32 s24, s16
	s_mov_b32 s2, exec_lo
                                        ; implicit-def: $vgpr2_vgpr3
                                        ; implicit-def: $vgpr8_vgpr9
	s_delay_alu instid0(VALU_DEP_1)
	v_cmpx_gt_i64_e64 s[24:25], v[0:1]
	s_cbranch_execz .LBB158_10
; %bb.7:
	v_cmp_neq_f64_e64 s20, s[6:7], 0
	v_cmp_neq_f64_e64 s23, s[12:13], 0
	v_mad_u64_u32 v[8:9], null, v0, s19, 0
	s_ashr_i32 s24, s19, 31
	s_delay_alu instid0(VALU_DEP_1) | instskip(NEXT) | instid1(VALU_DEP_1)
	v_mov_b32_e32 v1, v9
	v_mad_u64_u32 v[4:5], null, v0, s24, v[1:2]
	v_mov_b32_e32 v2, 0
	v_mov_b32_e32 v3, 0
	s_delay_alu instid0(VALU_DEP_2) | instskip(NEXT) | instid1(VALU_DEP_2)
	v_dual_mov_b32 v0, v2 :: v_dual_mov_b32 v9, v4
	v_mov_b32_e32 v1, v3
	s_or_b32 s20, s20, s23
	s_delay_alu instid0(SALU_CYCLE_1)
	s_and_not1_b32 vcc_lo, exec_lo, s20
	s_cbranch_vccnz .LBB158_9
; %bb.8:
	v_lshlrev_b64 v[0:1], 4, v[8:9]
	s_delay_alu instid0(VALU_DEP_1) | instskip(NEXT) | instid1(VALU_DEP_2)
	v_add_co_u32 v0, vcc_lo, s3, v0
	v_add_co_ci_u32_e32 v1, vcc_lo, s18, v1, vcc_lo
	global_load_b128 v[2:5], v[0:1], off
	s_waitcnt vmcnt(0)
	v_mul_f64 v[0:1], s[12:13], v[4:5]
	v_mul_f64 v[4:5], s[6:7], v[4:5]
	s_delay_alu instid0(VALU_DEP_2) | instskip(NEXT) | instid1(VALU_DEP_2)
	v_fma_f64 v[0:1], s[6:7], v[2:3], -v[0:1]
	v_fma_f64 v[2:3], s[12:13], v[2:3], v[4:5]
.LBB158_9:
	s_mov_b32 s20, exec_lo
.LBB158_10:
	s_or_b32 exec_lo, exec_lo, s2
	s_delay_alu instid0(SALU_CYCLE_1) | instskip(SKIP_1) | instid1(SALU_CYCLE_1)
	s_and_b32 s20, s20, exec_lo
	s_or_b32 exec_lo, exec_lo, s22
	s_and_b32 vcc_lo, exec_lo, s21
	s_cbranch_vccnz .LBB158_13
	s_branch .LBB158_32
.LBB158_11:
                                        ; implicit-def: $vgpr2_vgpr3
                                        ; implicit-def: $vgpr8_vgpr9
	s_cbranch_execnz .LBB158_13
	s_branch .LBB158_32
.LBB158_12:
	s_or_b32 exec_lo, exec_lo, s22
	s_delay_alu instid0(SALU_CYCLE_1)
	s_and_b32 vcc_lo, exec_lo, s21
	s_cbranch_vccz .LBB158_32
.LBB158_13:
	s_clause 0x3
	s_load_b128 s[24:27], s[0:1], 0x38
	s_load_b128 s[28:31], s[0:1], 0x20
	s_load_b32 s2, s[0:1], 0x30
	s_load_b64 s[22:23], s[0:1], 0x48
	s_mul_hi_u32 s33, s15, s4
	v_dual_mov_b32 v2, 0 :: v_dual_and_b32 v5, 63, v10
	v_mov_b32_e32 v3, 0
	v_lshrrev_b32_e32 v8, 6, v10
	s_delay_alu instid0(VALU_DEP_2)
	v_dual_mov_b32 v0, v2 :: v_dual_mov_b32 v1, v3
	s_waitcnt lgkmcnt(0)
	s_mul_i32 s21, s15, s25
	s_mul_hi_u32 s25, s15, s24
	s_mul_i32 s24, s15, s24
	s_add_i32 s25, s25, s21
	s_mul_i32 s21, s15, s5
	s_lshl_b64 s[24:25], s[24:25], 4
	s_delay_alu instid0(SALU_CYCLE_1) | instskip(SKIP_4) | instid1(SALU_CYCLE_1)
	s_add_u32 s5, s28, s24
	s_mul_i32 s28, s15, s4
	s_load_b32 s15, s[0:1], 0x50
	s_addc_u32 s29, s29, s25
	s_lshl_b64 s[24:25], s[30:31], 4
	s_add_u32 s4, s5, s24
	s_addc_u32 s5, s29, s25
	s_add_i32 s29, s33, s21
	s_delay_alu instid0(SALU_CYCLE_1) | instskip(NEXT) | instid1(SALU_CYCLE_1)
	s_lshl_b64 s[24:25], s[28:29], 4
	s_add_u32 s21, s26, s24
	s_addc_u32 s24, s27, s25
	s_lshl_b64 s[0:1], s[22:23], 4
	s_mov_b32 s23, exec_lo
	s_add_u32 s21, s21, s0
	s_addc_u32 s22, s24, s1
	s_ashr_i32 s0, s17, 31
	s_lshl_b32 s1, s14, 6
	s_lshr_b32 s0, s0, 28
	v_or_b32_e32 v9, s1, v5
	s_add_i32 s0, s17, s0
	s_delay_alu instid0(SALU_CYCLE_1) | instskip(NEXT) | instid1(SALU_CYCLE_1)
	s_and_b32 s14, s0, -16
	v_cmpx_gt_i32_e64 s14, v8
	s_cbranch_execz .LBB158_19
; %bb.14:
	v_mul_lo_u32 v0, s2, v8
	v_mov_b32_e32 v2, 0
	v_mov_b32_e32 v3, 0
	s_waitcnt lgkmcnt(0)
	v_mul_lo_u32 v4, s15, v8
	v_cmp_gt_i32_e32 vcc_lo, s16, v9
	s_lshl_b32 s24, s15, 4
	s_lshl_b32 s26, s2, 4
	s_mov_b32 s25, 0
	v_add3_u32 v6, v0, s1, v5
	v_dual_mov_b32 v0, v2 :: v_dual_mov_b32 v1, v3
	s_set_inst_prefetch_distance 0x1
	s_branch .LBB158_16
	.p2align	6
.LBB158_15:                             ;   in Loop: Header=BB158_16 Depth=1
	s_or_b32 exec_lo, exec_lo, s27
	v_add_nc_u32_e32 v8, 16, v8
	v_add_nc_u32_e32 v4, s24, v4
	v_add_nc_u32_e32 v6, s26, v6
	s_delay_alu instid0(VALU_DEP_3) | instskip(NEXT) | instid1(VALU_DEP_1)
	v_cmp_le_i32_e64 s0, s14, v8
	s_or_b32 s25, s0, s25
	s_delay_alu instid0(SALU_CYCLE_1)
	s_and_not1_b32 exec_lo, exec_lo, s25
	s_cbranch_execz .LBB158_18
.LBB158_16:                             ; =>This Inner Loop Header: Depth=1
	s_and_saveexec_b32 s27, vcc_lo
	s_cbranch_execz .LBB158_15
; %bb.17:                               ;   in Loop: Header=BB158_16 Depth=1
	v_ashrrev_i32_e32 v5, 31, v4
	v_ashrrev_i32_e32 v7, 31, v6
	s_delay_alu instid0(VALU_DEP_2) | instskip(NEXT) | instid1(VALU_DEP_2)
	v_lshlrev_b64 v[11:12], 4, v[4:5]
	v_lshlrev_b64 v[13:14], 4, v[6:7]
	s_delay_alu instid0(VALU_DEP_2) | instskip(NEXT) | instid1(VALU_DEP_1)
	v_add_co_u32 v11, s0, s21, v11
	v_add_co_ci_u32_e64 v12, s0, s22, v12, s0
	s_delay_alu instid0(VALU_DEP_3) | instskip(NEXT) | instid1(VALU_DEP_1)
	v_add_co_u32 v15, s0, s4, v13
	v_add_co_ci_u32_e64 v16, s0, s5, v14, s0
	global_load_b128 v[11:14], v[11:12], off
	global_load_b128 v[15:18], v[15:16], off
	s_waitcnt vmcnt(0)
	v_mul_f64 v[19:20], v[13:14], v[17:18]
	v_mul_f64 v[17:18], v[11:12], v[17:18]
	s_delay_alu instid0(VALU_DEP_2) | instskip(NEXT) | instid1(VALU_DEP_2)
	v_fma_f64 v[11:12], v[11:12], v[15:16], -v[19:20]
	v_fma_f64 v[13:14], v[13:14], v[15:16], v[17:18]
	s_delay_alu instid0(VALU_DEP_2) | instskip(NEXT) | instid1(VALU_DEP_2)
	v_add_f64 v[0:1], v[0:1], v[11:12]
	v_add_f64 v[2:3], v[2:3], v[13:14]
	s_branch .LBB158_15
.LBB158_18:
	s_set_inst_prefetch_distance 0x2
	s_or_b32 exec_lo, exec_lo, s25
.LBB158_19:
	s_delay_alu instid0(SALU_CYCLE_1) | instskip(SKIP_1) | instid1(SALU_CYCLE_1)
	s_or_b32 exec_lo, exec_lo, s23
	s_sub_i32 s0, s17, s14
	s_cmp_lt_i32 s0, 1
	s_cbranch_scc1 .LBB158_25
; %bb.20:
	v_mov_b32_e32 v4, 0
	v_mov_b32_e32 v5, 0
	v_cmp_gt_i32_e32 vcc_lo, s17, v8
	s_delay_alu instid0(VALU_DEP_2)
	v_dual_mov_b32 v7, v5 :: v_dual_mov_b32 v6, v4
	s_and_saveexec_b32 s14, vcc_lo
	s_cbranch_execz .LBB158_22
; %bb.21:
	s_waitcnt lgkmcnt(0)
	v_mul_lo_u32 v4, v8, s15
	s_delay_alu instid0(VALU_DEP_1) | instskip(NEXT) | instid1(VALU_DEP_1)
	v_ashrrev_i32_e32 v5, 31, v4
	v_lshlrev_b64 v[4:5], 4, v[4:5]
	s_delay_alu instid0(VALU_DEP_1) | instskip(NEXT) | instid1(VALU_DEP_1)
	v_add_co_u32 v4, s0, s21, v4
	v_add_co_ci_u32_e64 v5, s0, s22, v5, s0
	global_load_b128 v[4:7], v[4:5], off
.LBB158_22:
	s_or_b32 exec_lo, exec_lo, s14
	s_delay_alu instid0(SALU_CYCLE_1)
	s_mov_b32 s14, exec_lo
	v_cmpx_gt_i32_e64 s16, v9
	s_cbranch_execz .LBB158_24
; %bb.23:
	v_mul_lo_u32 v8, v8, s2
	s_delay_alu instid0(VALU_DEP_1) | instskip(NEXT) | instid1(VALU_DEP_1)
	v_cndmask_b32_e32 v8, 0, v8, vcc_lo
	v_add_nc_u32_e32 v8, v8, v9
	s_delay_alu instid0(VALU_DEP_1) | instskip(NEXT) | instid1(VALU_DEP_1)
	v_ashrrev_i32_e32 v9, 31, v8
	v_lshlrev_b64 v[8:9], 4, v[8:9]
	s_delay_alu instid0(VALU_DEP_1) | instskip(NEXT) | instid1(VALU_DEP_2)
	v_add_co_u32 v8, vcc_lo, s4, v8
	v_add_co_ci_u32_e32 v9, vcc_lo, s5, v9, vcc_lo
	global_load_b128 v[11:14], v[8:9], off
	s_waitcnt vmcnt(0)
	v_mul_f64 v[8:9], v[6:7], v[13:14]
	v_mul_f64 v[13:14], v[4:5], v[13:14]
	s_delay_alu instid0(VALU_DEP_2) | instskip(NEXT) | instid1(VALU_DEP_2)
	v_fma_f64 v[4:5], v[4:5], v[11:12], -v[8:9]
	v_fma_f64 v[6:7], v[6:7], v[11:12], v[13:14]
	s_delay_alu instid0(VALU_DEP_2) | instskip(NEXT) | instid1(VALU_DEP_2)
	v_add_f64 v[0:1], v[0:1], v[4:5]
	v_add_f64 v[2:3], v[2:3], v[6:7]
.LBB158_24:
	s_or_b32 exec_lo, exec_lo, s14
.LBB158_25:
	v_lshlrev_b32_e32 v11, 4, v10
	s_mov_b32 s0, exec_lo
                                        ; implicit-def: $vgpr8_vgpr9
	ds_store_b128 v11, v[0:3]
	s_waitcnt vmcnt(0) lgkmcnt(0)
	s_barrier
	buffer_gl0_inv
                                        ; implicit-def: $vgpr2_vgpr3
	v_cmpx_gt_u32_e32 64, v10
	s_cbranch_execz .LBB158_31
; %bb.26:
	ds_load_b128 v[0:3], v11
	ds_load_b128 v[4:7], v11 offset:1024
	v_or_b32_e32 v10, s1, v10
	s_mov_b32 s2, s20
	s_mov_b32 s1, exec_lo
	s_waitcnt lgkmcnt(0)
	v_add_f64 v[8:9], v[0:1], v[4:5]
	v_add_f64 v[12:13], v[2:3], v[6:7]
	ds_load_b128 v[0:3], v11 offset:2048
	ds_load_b128 v[4:7], v11 offset:3072
	s_waitcnt lgkmcnt(1)
	v_add_f64 v[0:1], v[8:9], v[0:1]
	v_add_f64 v[2:3], v[12:13], v[2:3]
	s_waitcnt lgkmcnt(0)
	s_delay_alu instid0(VALU_DEP_2) | instskip(NEXT) | instid1(VALU_DEP_2)
	v_add_f64 v[8:9], v[0:1], v[4:5]
	v_add_f64 v[12:13], v[2:3], v[6:7]
	ds_load_b128 v[0:3], v11 offset:4096
	ds_load_b128 v[4:7], v11 offset:5120
	s_waitcnt lgkmcnt(1)
	v_add_f64 v[0:1], v[8:9], v[0:1]
	v_add_f64 v[2:3], v[12:13], v[2:3]
	s_waitcnt lgkmcnt(0)
	s_delay_alu instid0(VALU_DEP_2) | instskip(NEXT) | instid1(VALU_DEP_2)
	;; [unrolled: 9-line block ×6, first 2 shown]
	v_add_f64 v[8:9], v[0:1], v[4:5]
	v_add_f64 v[12:13], v[2:3], v[6:7]
	ds_load_b128 v[0:3], v11 offset:14336
	ds_load_b128 v[4:7], v11 offset:15360
	s_waitcnt lgkmcnt(1)
	v_add_f64 v[0:1], v[8:9], v[0:1]
	v_add_f64 v[2:3], v[12:13], v[2:3]
                                        ; implicit-def: $vgpr8_vgpr9
	s_waitcnt lgkmcnt(0)
	s_delay_alu instid0(VALU_DEP_2) | instskip(NEXT) | instid1(VALU_DEP_2)
	v_add_f64 v[4:5], v[0:1], v[4:5]
	v_add_f64 v[6:7], v[2:3], v[6:7]
                                        ; implicit-def: $vgpr2_vgpr3
	ds_store_b128 v11, v[4:7]
	v_cmpx_gt_i32_e64 s16, v10
	s_cbranch_execz .LBB158_30
; %bb.27:
	v_mul_f64 v[0:1], s[10:11], v[6:7]
	v_mul_f64 v[2:3], s[8:9], v[6:7]
	v_cmp_neq_f64_e64 s2, s[6:7], 0
	v_cmp_neq_f64_e64 s4, s[12:13], 0
	v_mul_lo_u32 v8, v10, s19
	s_delay_alu instid0(VALU_DEP_1) | instskip(SKIP_3) | instid1(SALU_CYCLE_1)
	v_ashrrev_i32_e32 v9, 31, v8
	v_fma_f64 v[0:1], s[8:9], v[4:5], -v[0:1]
	v_fma_f64 v[2:3], s[10:11], v[4:5], v[2:3]
	s_or_b32 s2, s2, s4
	s_and_not1_b32 vcc_lo, exec_lo, s2
	s_cbranch_vccnz .LBB158_29
; %bb.28:
	v_lshlrev_b64 v[4:5], 4, v[8:9]
	s_delay_alu instid0(VALU_DEP_1) | instskip(NEXT) | instid1(VALU_DEP_2)
	v_add_co_u32 v4, vcc_lo, s3, v4
	v_add_co_ci_u32_e32 v5, vcc_lo, s18, v5, vcc_lo
	global_load_b128 v[4:7], v[4:5], off
	s_waitcnt vmcnt(0)
	v_mul_f64 v[10:11], s[12:13], v[6:7]
	v_mul_f64 v[6:7], s[6:7], v[6:7]
	s_delay_alu instid0(VALU_DEP_2) | instskip(NEXT) | instid1(VALU_DEP_2)
	v_fma_f64 v[10:11], s[6:7], v[4:5], -v[10:11]
	v_fma_f64 v[4:5], s[12:13], v[4:5], v[6:7]
	s_delay_alu instid0(VALU_DEP_2) | instskip(NEXT) | instid1(VALU_DEP_2)
	v_add_f64 v[0:1], v[0:1], v[10:11]
	v_add_f64 v[2:3], v[2:3], v[4:5]
.LBB158_29:
	s_or_b32 s2, s20, exec_lo
.LBB158_30:
	s_or_b32 exec_lo, exec_lo, s1
	s_delay_alu instid0(SALU_CYCLE_1) | instskip(SKIP_1) | instid1(SALU_CYCLE_1)
	s_and_not1_b32 s1, s20, exec_lo
	s_and_b32 s2, s2, exec_lo
	s_or_b32 s20, s1, s2
.LBB158_31:
	s_or_b32 exec_lo, exec_lo, s0
.LBB158_32:
	s_and_saveexec_b32 s0, s20
	s_cbranch_execz .LBB158_34
; %bb.33:
	v_lshlrev_b64 v[4:5], 4, v[8:9]
	s_delay_alu instid0(VALU_DEP_1) | instskip(NEXT) | instid1(VALU_DEP_2)
	v_add_co_u32 v4, vcc_lo, s3, v4
	v_add_co_ci_u32_e32 v5, vcc_lo, s18, v5, vcc_lo
	global_store_b128 v[4:5], v[0:3], off
.LBB158_34:
	s_nop 0
	s_sendmsg sendmsg(MSG_DEALLOC_VGPRS)
	s_endpgm
	.section	.rodata,"a",@progbits
	.p2align	6, 0x0
	.amdhsa_kernel _ZL20rocblas_gemvn_kernelILi64ELi16Ei19rocblas_complex_numIdES1_S1_EviiT3_lPKT2_lT1_lS5_lS6_lS2_lPT4_lS6_li
		.amdhsa_group_segment_fixed_size 16384
		.amdhsa_private_segment_fixed_size 0
		.amdhsa_kernarg_size 416
		.amdhsa_user_sgpr_count 14
		.amdhsa_user_sgpr_dispatch_ptr 0
		.amdhsa_user_sgpr_queue_ptr 0
		.amdhsa_user_sgpr_kernarg_segment_ptr 1
		.amdhsa_user_sgpr_dispatch_id 0
		.amdhsa_user_sgpr_private_segment_size 0
		.amdhsa_wavefront_size32 1
		.amdhsa_uses_dynamic_stack 0
		.amdhsa_enable_private_segment 0
		.amdhsa_system_sgpr_workgroup_id_x 1
		.amdhsa_system_sgpr_workgroup_id_y 0
		.amdhsa_system_sgpr_workgroup_id_z 1
		.amdhsa_system_sgpr_workgroup_info 0
		.amdhsa_system_vgpr_workitem_id 1
		.amdhsa_next_free_vgpr 21
		.amdhsa_next_free_sgpr 34
		.amdhsa_reserve_vcc 1
		.amdhsa_float_round_mode_32 0
		.amdhsa_float_round_mode_16_64 0
		.amdhsa_float_denorm_mode_32 3
		.amdhsa_float_denorm_mode_16_64 3
		.amdhsa_dx10_clamp 1
		.amdhsa_ieee_mode 1
		.amdhsa_fp16_overflow 0
		.amdhsa_workgroup_processor_mode 1
		.amdhsa_memory_ordered 1
		.amdhsa_forward_progress 0
		.amdhsa_shared_vgpr_count 0
		.amdhsa_exception_fp_ieee_invalid_op 0
		.amdhsa_exception_fp_denorm_src 0
		.amdhsa_exception_fp_ieee_div_zero 0
		.amdhsa_exception_fp_ieee_overflow 0
		.amdhsa_exception_fp_ieee_underflow 0
		.amdhsa_exception_fp_ieee_inexact 0
		.amdhsa_exception_int_div_zero 0
	.end_amdhsa_kernel
	.section	.text._ZL20rocblas_gemvn_kernelILi64ELi16Ei19rocblas_complex_numIdES1_S1_EviiT3_lPKT2_lT1_lS5_lS6_lS2_lPT4_lS6_li,"axG",@progbits,_ZL20rocblas_gemvn_kernelILi64ELi16Ei19rocblas_complex_numIdES1_S1_EviiT3_lPKT2_lT1_lS5_lS6_lS2_lPT4_lS6_li,comdat
.Lfunc_end158:
	.size	_ZL20rocblas_gemvn_kernelILi64ELi16Ei19rocblas_complex_numIdES1_S1_EviiT3_lPKT2_lT1_lS5_lS6_lS2_lPT4_lS6_li, .Lfunc_end158-_ZL20rocblas_gemvn_kernelILi64ELi16Ei19rocblas_complex_numIdES1_S1_EviiT3_lPKT2_lT1_lS5_lS6_lS2_lPT4_lS6_li
                                        ; -- End function
	.section	.AMDGPU.csdata,"",@progbits
; Kernel info:
; codeLenInByte = 2072
; NumSgprs: 36
; NumVgprs: 21
; ScratchSize: 0
; MemoryBound: 1
; FloatMode: 240
; IeeeMode: 1
; LDSByteSize: 16384 bytes/workgroup (compile time only)
; SGPRBlocks: 4
; VGPRBlocks: 2
; NumSGPRsForWavesPerEU: 36
; NumVGPRsForWavesPerEU: 21
; Occupancy: 16
; WaveLimiterHint : 1
; COMPUTE_PGM_RSRC2:SCRATCH_EN: 0
; COMPUTE_PGM_RSRC2:USER_SGPR: 14
; COMPUTE_PGM_RSRC2:TRAP_HANDLER: 0
; COMPUTE_PGM_RSRC2:TGID_X_EN: 1
; COMPUTE_PGM_RSRC2:TGID_Y_EN: 0
; COMPUTE_PGM_RSRC2:TGID_Z_EN: 1
; COMPUTE_PGM_RSRC2:TIDIG_COMP_CNT: 1
	.section	.text._ZL20rocblas_gemvn_kernelILi64ELi16El19rocblas_complex_numIdES1_S1_EviiT3_lPKT2_lT1_lS5_lS6_lS2_lPT4_lS6_li,"axG",@progbits,_ZL20rocblas_gemvn_kernelILi64ELi16El19rocblas_complex_numIdES1_S1_EviiT3_lPKT2_lT1_lS5_lS6_lS2_lPT4_lS6_li,comdat
	.globl	_ZL20rocblas_gemvn_kernelILi64ELi16El19rocblas_complex_numIdES1_S1_EviiT3_lPKT2_lT1_lS5_lS6_lS2_lPT4_lS6_li ; -- Begin function _ZL20rocblas_gemvn_kernelILi64ELi16El19rocblas_complex_numIdES1_S1_EviiT3_lPKT2_lT1_lS5_lS6_lS2_lPT4_lS6_li
	.p2align	8
	.type	_ZL20rocblas_gemvn_kernelILi64ELi16El19rocblas_complex_numIdES1_S1_EviiT3_lPKT2_lT1_lS5_lS6_lS2_lPT4_lS6_li,@function
_ZL20rocblas_gemvn_kernelILi64ELi16El19rocblas_complex_numIdES1_S1_EviiT3_lPKT2_lT1_lS5_lS6_lS2_lPT4_lS6_li: ; @_ZL20rocblas_gemvn_kernelILi64ELi16El19rocblas_complex_numIdES1_S1_EviiT3_lPKT2_lT1_lS5_lS6_lS2_lPT4_lS6_li
; %bb.0:
	s_load_b64 s[2:3], s[0:1], 0xac
	s_waitcnt lgkmcnt(0)
	s_lshr_b32 s4, s2, 16
	s_and_b32 s2, s2, 0xffff
	s_and_b32 s3, s3, 0xffff
	s_mul_i32 s4, s4, s2
	s_delay_alu instid0(SALU_CYCLE_1) | instskip(NEXT) | instid1(SALU_CYCLE_1)
	s_mul_i32 s4, s4, s3
	s_cmpk_lg_i32 s4, 0x400
	s_cbranch_scc1 .LBB159_34
; %bb.1:
	s_clause 0x1
	s_load_b128 s[40:43], s[0:1], 0x8
	s_load_b128 s[36:39], s[0:1], 0x60
	s_waitcnt lgkmcnt(0)
	v_cmp_neq_f64_e64 s3, s[40:41], 0
	v_cmp_neq_f64_e64 s4, s[42:43], 0
	s_delay_alu instid0(VALU_DEP_1)
	s_or_b32 s3, s3, s4
	s_mov_b32 s4, -1
	s_and_b32 vcc_lo, exec_lo, s3
	s_cbranch_vccnz .LBB159_3
; %bb.2:
	v_cmp_neq_f64_e64 s4, s[36:37], 1.0
	v_cmp_neq_f64_e64 s5, s[38:39], 0
	s_delay_alu instid0(VALU_DEP_1)
	s_or_b32 s4, s4, s5
.LBB159_3:
	s_delay_alu instid0(SALU_CYCLE_1)
	s_and_not1_b32 vcc_lo, exec_lo, s4
	s_cbranch_vccnz .LBB159_34
; %bb.4:
	s_clause 0x1
	s_load_b256 s[4:11], s[0:1], 0x78
	s_load_b64 s[12:13], s[0:1], 0x0
	v_and_b32_e32 v1, 0x3ff, v0
	v_bfe_u32 v0, v0, 10, 10
	s_xor_b32 s16, s3, -1
	s_mov_b32 s35, 0
	s_delay_alu instid0(VALU_DEP_1)
	v_mad_u32_u24 v10, v0, s2, v1
	s_waitcnt lgkmcnt(0)
	s_mul_i32 s3, s15, s11
	s_mul_hi_u32 s11, s15, s10
	s_mul_i32 s10, s15, s10
	s_add_i32 s11, s11, s3
	s_delay_alu instid0(SALU_CYCLE_1) | instskip(NEXT) | instid1(SALU_CYCLE_1)
	s_lshl_b64 s[2:3], s[10:11], 4
	s_add_u32 s10, s4, s2
	s_addc_u32 s3, s5, s3
	s_lshl_b64 s[4:5], s[6:7], 4
	v_cmp_gt_u32_e64 s2, 64, v10
	s_add_u32 s33, s10, s4
	s_addc_u32 s34, s3, s5
	s_and_not1_b32 vcc_lo, exec_lo, s16
	s_cbranch_vccnz .LBB159_11
; %bb.5:
	s_mov_b32 s3, 0
                                        ; implicit-def: $vgpr2_vgpr3
                                        ; implicit-def: $vgpr8_vgpr9
	s_and_saveexec_b32 s4, s2
	s_cbranch_execz .LBB159_12
; %bb.6:
	v_lshl_or_b32 v0, s14, 6, v10
	v_mov_b32_e32 v1, 0
	s_ashr_i32 s7, s12, 31
	s_mov_b32 s6, s12
	s_mov_b32 s5, 0
	s_mov_b32 s2, exec_lo
                                        ; implicit-def: $vgpr2_vgpr3
                                        ; implicit-def: $vgpr8_vgpr9
	v_cmpx_gt_i64_e64 s[6:7], v[0:1]
	s_cbranch_execz .LBB159_10
; %bb.7:
	v_cmp_neq_f64_e64 s5, s[36:37], 0
	v_cmp_neq_f64_e64 s6, s[38:39], 0
	v_mad_u64_u32 v[8:9], null, v0, s8, 0
	s_delay_alu instid0(VALU_DEP_1) | instskip(NEXT) | instid1(VALU_DEP_1)
	v_mov_b32_e32 v1, v9
	v_mad_u64_u32 v[4:5], null, v0, s9, v[1:2]
	v_mov_b32_e32 v2, 0
	v_mov_b32_e32 v3, 0
	s_delay_alu instid0(VALU_DEP_2) | instskip(NEXT) | instid1(VALU_DEP_2)
	v_dual_mov_b32 v0, v2 :: v_dual_mov_b32 v9, v4
	v_mov_b32_e32 v1, v3
	s_or_b32 s5, s5, s6
	s_delay_alu instid0(SALU_CYCLE_1)
	s_and_not1_b32 vcc_lo, exec_lo, s5
	s_cbranch_vccnz .LBB159_9
; %bb.8:
	v_lshlrev_b64 v[0:1], 4, v[8:9]
	s_delay_alu instid0(VALU_DEP_1) | instskip(NEXT) | instid1(VALU_DEP_2)
	v_add_co_u32 v0, vcc_lo, s33, v0
	v_add_co_ci_u32_e32 v1, vcc_lo, s34, v1, vcc_lo
	global_load_b128 v[2:5], v[0:1], off
	s_waitcnt vmcnt(0)
	v_mul_f64 v[0:1], s[38:39], v[4:5]
	v_mul_f64 v[4:5], s[36:37], v[4:5]
	s_delay_alu instid0(VALU_DEP_2) | instskip(NEXT) | instid1(VALU_DEP_2)
	v_fma_f64 v[0:1], s[36:37], v[2:3], -v[0:1]
	v_fma_f64 v[2:3], s[38:39], v[2:3], v[4:5]
.LBB159_9:
	s_mov_b32 s5, exec_lo
.LBB159_10:
	s_or_b32 exec_lo, exec_lo, s2
	s_delay_alu instid0(SALU_CYCLE_1) | instskip(SKIP_1) | instid1(SALU_CYCLE_1)
	s_and_b32 s35, s5, exec_lo
	s_or_b32 exec_lo, exec_lo, s4
	s_and_b32 vcc_lo, exec_lo, s3
	s_cbranch_vccnz .LBB159_13
	s_branch .LBB159_32
.LBB159_11:
                                        ; implicit-def: $vgpr2_vgpr3
                                        ; implicit-def: $vgpr8_vgpr9
	s_cbranch_execnz .LBB159_13
	s_branch .LBB159_32
.LBB159_12:
	s_or_b32 exec_lo, exec_lo, s4
	s_delay_alu instid0(SALU_CYCLE_1)
	s_and_b32 vcc_lo, exec_lo, s3
	s_cbranch_vccz .LBB159_32
.LBB159_13:
	s_load_b512 s[16:31], s[0:1], 0x20
	v_mov_b32_e32 v2, 0
	v_dual_mov_b32 v3, 0 :: v_dual_and_b32 v4, 63, v10
	s_ashr_i32 s0, s13, 31
	s_lshl_b32 s14, s14, 6
	s_lshr_b32 s0, s0, 28
	v_lshrrev_b32_e32 v9, 6, v10
	s_add_i32 s0, s13, s0
	v_or_b32_e32 v8, s14, v4
	v_dual_mov_b32 v0, v2 :: v_dual_mov_b32 v1, v3
	s_and_b32 s44, s0, -16
	s_waitcnt lgkmcnt(0)
	s_mul_i32 s0, s15, s23
	s_mul_hi_u32 s1, s15, s22
	s_mul_i32 s4, s15, s31
	s_mul_hi_u32 s5, s15, s30
	s_mul_i32 s2, s15, s22
	s_add_i32 s3, s1, s0
	s_add_i32 s5, s5, s4
	s_mul_i32 s4, s15, s30
	s_mov_b32 s15, exec_lo
	v_cmpx_gt_i32_e64 s44, v9
	s_cbranch_execz .LBB159_19
; %bb.14:
	v_lshrrev_b32_e32 v14, 6, v10
	v_add_nc_u32_e32 v11, s14, v4
	s_lshl_b64 s[6:7], s[26:27], 4
	s_lshl_b64 s[0:1], s[4:5], 4
	s_add_u32 s6, s24, s6
	v_mad_u64_u32 v[0:1], null, s20, v14, 0
	v_mad_u64_u32 v[5:6], null, s28, v14, 0
	s_addc_u32 s7, s25, s7
	s_add_u32 s22, s6, s0
	s_addc_u32 s23, s7, s1
	s_lshl_b64 s[0:1], s[2:3], 4
	s_delay_alu instid0(VALU_DEP_2) | instskip(SKIP_1) | instid1(VALU_DEP_3)
	v_mad_u64_u32 v[12:13], null, s21, v14, v[1:2]
	v_mov_b32_e32 v2, 0
	v_dual_mov_b32 v3, 0 :: v_dual_mov_b32 v4, v6
	s_lshl_b64 s[10:11], s[18:19], 4
	s_lshl_b64 s[6:7], s[28:29], 8
	s_add_u32 s0, s10, s0
	s_delay_alu instid0(VALU_DEP_3) | instskip(SKIP_3) | instid1(VALU_DEP_3)
	v_mov_b32_e32 v1, v12
	v_mad_u64_u32 v[6:7], null, s29, v14, v[4:5]
	v_ashrrev_i32_e32 v12, 31, v11
	s_addc_u32 s1, s11, s1
	v_lshlrev_b64 v[0:1], 4, v[0:1]
	v_cmp_gt_i32_e32 vcc_lo, s12, v8
	s_lshl_b64 s[10:11], s[20:21], 8
	v_lshlrev_b64 v[11:12], 4, v[11:12]
	s_delay_alu instid0(VALU_DEP_3) | instskip(NEXT) | instid1(VALU_DEP_1)
	v_add_co_u32 v4, s0, s0, v0
	v_add_co_ci_u32_e64 v7, s0, s1, v1, s0
	v_lshlrev_b64 v[0:1], 4, v[5:6]
	s_delay_alu instid0(VALU_DEP_3) | instskip(NEXT) | instid1(VALU_DEP_1)
	v_add_co_u32 v4, s0, v4, v11
	v_add_co_ci_u32_e64 v5, s0, v7, v12, s0
	s_delay_alu instid0(VALU_DEP_3) | instskip(NEXT) | instid1(VALU_DEP_1)
	v_add_co_u32 v0, s0, s22, v0
	v_add_co_ci_u32_e64 v1, s0, s23, v1, s0
	s_delay_alu instid0(VALU_DEP_4) | instskip(NEXT) | instid1(VALU_DEP_1)
	v_add_co_u32 v6, s0, v4, s16
	v_add_co_ci_u32_e64 v7, s0, s17, v5, s0
	s_delay_alu instid0(VALU_DEP_4) | instskip(NEXT) | instid1(VALU_DEP_1)
	;; [unrolled: 3-line block ×3, first 2 shown]
	v_add_co_u32 v6, s0, v6, 8
	v_add_co_ci_u32_e64 v7, s0, 0, v7, s0
	v_dual_mov_b32 v0, v2 :: v_dual_mov_b32 v1, v3
	s_mov_b32 s22, 0
	s_set_inst_prefetch_distance 0x1
	s_branch .LBB159_16
	.p2align	6
.LBB159_15:                             ;   in Loop: Header=BB159_16 Depth=1
	s_or_b32 exec_lo, exec_lo, s0
	v_add_nc_u32_e32 v9, 16, v9
	v_add_co_u32 v4, s0, v4, s6
	s_delay_alu instid0(VALU_DEP_1) | instskip(NEXT) | instid1(VALU_DEP_3)
	v_add_co_ci_u32_e64 v5, s0, s7, v5, s0
	v_cmp_le_i32_e64 s0, s44, v9
	v_add_co_u32 v6, s1, v6, s10
	s_delay_alu instid0(VALU_DEP_1) | instskip(NEXT) | instid1(VALU_DEP_3)
	v_add_co_ci_u32_e64 v7, s1, s11, v7, s1
	s_or_b32 s22, s0, s22
	s_delay_alu instid0(SALU_CYCLE_1)
	s_and_not1_b32 exec_lo, exec_lo, s22
	s_cbranch_execz .LBB159_18
.LBB159_16:                             ; =>This Inner Loop Header: Depth=1
	s_and_saveexec_b32 s0, vcc_lo
	s_cbranch_execz .LBB159_15
; %bb.17:                               ;   in Loop: Header=BB159_16 Depth=1
	global_load_b128 v[11:14], v[4:5], off offset:-8
	global_load_b128 v[15:18], v[6:7], off offset:-8
	s_waitcnt vmcnt(0)
	v_mul_f64 v[19:20], v[13:14], v[17:18]
	v_mul_f64 v[17:18], v[11:12], v[17:18]
	s_delay_alu instid0(VALU_DEP_2) | instskip(NEXT) | instid1(VALU_DEP_2)
	v_fma_f64 v[11:12], v[11:12], v[15:16], -v[19:20]
	v_fma_f64 v[13:14], v[13:14], v[15:16], v[17:18]
	s_delay_alu instid0(VALU_DEP_2) | instskip(NEXT) | instid1(VALU_DEP_2)
	v_add_f64 v[0:1], v[0:1], v[11:12]
	v_add_f64 v[2:3], v[2:3], v[13:14]
	s_branch .LBB159_15
.LBB159_18:
	s_set_inst_prefetch_distance 0x2
	s_or_b32 exec_lo, exec_lo, s22
.LBB159_19:
	s_delay_alu instid0(SALU_CYCLE_1) | instskip(SKIP_1) | instid1(SALU_CYCLE_1)
	s_or_b32 exec_lo, exec_lo, s15
	s_sub_i32 s0, s13, s44
	s_cmp_lt_i32 s0, 1
	s_cbranch_scc1 .LBB159_25
; %bb.20:
	v_mov_b32_e32 v4, 0
	v_mov_b32_e32 v5, 0
	v_cmp_gt_i32_e32 vcc_lo, s13, v9
	s_delay_alu instid0(VALU_DEP_2)
	v_dual_mov_b32 v7, v5 :: v_dual_mov_b32 v6, v4
	s_and_saveexec_b32 s1, vcc_lo
	s_cbranch_execz .LBB159_22
; %bb.21:
	v_mad_u64_u32 v[4:5], null, v9, s28, 0
	s_lshl_b64 s[4:5], s[4:5], 4
	s_delay_alu instid0(SALU_CYCLE_1) | instskip(SKIP_2) | instid1(SALU_CYCLE_1)
	s_add_u32 s0, s24, s4
	s_addc_u32 s6, s25, s5
	s_lshl_b64 s[4:5], s[26:27], 4
	s_add_u32 s0, s0, s4
	s_delay_alu instid0(VALU_DEP_1) | instskip(SKIP_1) | instid1(VALU_DEP_1)
	v_mad_u64_u32 v[6:7], null, v9, s29, v[5:6]
	s_addc_u32 s4, s6, s5
	v_mov_b32_e32 v5, v6
	s_delay_alu instid0(VALU_DEP_1) | instskip(NEXT) | instid1(VALU_DEP_1)
	v_lshlrev_b64 v[4:5], 4, v[4:5]
	v_add_co_u32 v4, s0, s0, v4
	s_delay_alu instid0(VALU_DEP_1)
	v_add_co_ci_u32_e64 v5, s0, s4, v5, s0
	global_load_b128 v[4:7], v[4:5], off
.LBB159_22:
	s_or_b32 exec_lo, exec_lo, s1
	s_delay_alu instid0(SALU_CYCLE_1)
	s_mov_b32 s1, exec_lo
	v_cmpx_gt_i32_e64 s12, v8
	s_cbranch_execz .LBB159_24
; %bb.23:
	v_mad_u64_u32 v[11:12], null, v9, s20, 0
	s_lshl_b64 s[2:3], s[2:3], 4
	s_delay_alu instid0(SALU_CYCLE_1) | instskip(SKIP_2) | instid1(SALU_CYCLE_1)
	s_add_u32 s0, s16, s2
	s_addc_u32 s4, s17, s3
	s_lshl_b64 s[2:3], s[18:19], 4
	s_add_u32 s0, s0, s2
	s_delay_alu instid0(VALU_DEP_1) | instskip(NEXT) | instid1(VALU_DEP_2)
	v_mad_u64_u32 v[13:14], null, v9, s21, v[12:13]
	v_cndmask_b32_e32 v11, 0, v11, vcc_lo
	v_ashrrev_i32_e32 v9, 31, v8
	s_addc_u32 s2, s4, s3
	s_delay_alu instid0(VALU_DEP_3) | instskip(NEXT) | instid1(VALU_DEP_2)
	v_cndmask_b32_e32 v12, 0, v13, vcc_lo
	v_lshlrev_b64 v[8:9], 4, v[8:9]
	s_delay_alu instid0(VALU_DEP_2) | instskip(NEXT) | instid1(VALU_DEP_1)
	v_lshlrev_b64 v[11:12], 4, v[11:12]
	v_add_co_u32 v11, vcc_lo, s0, v11
	s_delay_alu instid0(VALU_DEP_2) | instskip(NEXT) | instid1(VALU_DEP_2)
	v_add_co_ci_u32_e32 v12, vcc_lo, s2, v12, vcc_lo
	v_add_co_u32 v8, vcc_lo, v11, v8
	s_delay_alu instid0(VALU_DEP_2) | instskip(SKIP_4) | instid1(VALU_DEP_2)
	v_add_co_ci_u32_e32 v9, vcc_lo, v12, v9, vcc_lo
	global_load_b128 v[11:14], v[8:9], off
	s_waitcnt vmcnt(0)
	v_mul_f64 v[8:9], v[6:7], v[13:14]
	v_mul_f64 v[13:14], v[4:5], v[13:14]
	v_fma_f64 v[4:5], v[4:5], v[11:12], -v[8:9]
	s_delay_alu instid0(VALU_DEP_2) | instskip(NEXT) | instid1(VALU_DEP_2)
	v_fma_f64 v[6:7], v[6:7], v[11:12], v[13:14]
	v_add_f64 v[0:1], v[0:1], v[4:5]
	s_delay_alu instid0(VALU_DEP_2)
	v_add_f64 v[2:3], v[2:3], v[6:7]
.LBB159_24:
	s_or_b32 exec_lo, exec_lo, s1
.LBB159_25:
	v_lshlrev_b32_e32 v11, 4, v10
	s_mov_b32 s0, exec_lo
                                        ; implicit-def: $vgpr8_vgpr9
	ds_store_b128 v11, v[0:3]
	s_waitcnt vmcnt(0) lgkmcnt(0)
	s_barrier
	buffer_gl0_inv
                                        ; implicit-def: $vgpr2_vgpr3
	v_cmpx_gt_u32_e32 64, v10
	s_cbranch_execz .LBB159_31
; %bb.26:
	ds_load_b128 v[0:3], v11
	ds_load_b128 v[4:7], v11 offset:1024
	v_or_b32_e32 v10, s14, v10
	s_mov_b32 s2, s35
	s_mov_b32 s1, exec_lo
	s_waitcnt lgkmcnt(0)
	v_add_f64 v[8:9], v[0:1], v[4:5]
	v_add_f64 v[12:13], v[2:3], v[6:7]
	ds_load_b128 v[0:3], v11 offset:2048
	ds_load_b128 v[4:7], v11 offset:3072
	s_waitcnt lgkmcnt(1)
	v_add_f64 v[0:1], v[8:9], v[0:1]
	v_add_f64 v[2:3], v[12:13], v[2:3]
	s_waitcnt lgkmcnt(0)
	s_delay_alu instid0(VALU_DEP_2) | instskip(NEXT) | instid1(VALU_DEP_2)
	v_add_f64 v[8:9], v[0:1], v[4:5]
	v_add_f64 v[12:13], v[2:3], v[6:7]
	ds_load_b128 v[0:3], v11 offset:4096
	ds_load_b128 v[4:7], v11 offset:5120
	s_waitcnt lgkmcnt(1)
	v_add_f64 v[0:1], v[8:9], v[0:1]
	v_add_f64 v[2:3], v[12:13], v[2:3]
	s_waitcnt lgkmcnt(0)
	s_delay_alu instid0(VALU_DEP_2) | instskip(NEXT) | instid1(VALU_DEP_2)
	;; [unrolled: 9-line block ×6, first 2 shown]
	v_add_f64 v[8:9], v[0:1], v[4:5]
	v_add_f64 v[12:13], v[2:3], v[6:7]
	ds_load_b128 v[0:3], v11 offset:14336
	ds_load_b128 v[4:7], v11 offset:15360
	s_waitcnt lgkmcnt(1)
	v_add_f64 v[0:1], v[8:9], v[0:1]
	v_add_f64 v[2:3], v[12:13], v[2:3]
                                        ; implicit-def: $vgpr8_vgpr9
	s_waitcnt lgkmcnt(0)
	s_delay_alu instid0(VALU_DEP_2) | instskip(NEXT) | instid1(VALU_DEP_2)
	v_add_f64 v[4:5], v[0:1], v[4:5]
	v_add_f64 v[6:7], v[2:3], v[6:7]
                                        ; implicit-def: $vgpr2_vgpr3
	ds_store_b128 v11, v[4:7]
	v_cmpx_gt_i32_e64 s12, v10
	s_cbranch_execz .LBB159_30
; %bb.27:
	v_mul_f64 v[0:1], s[42:43], v[6:7]
	v_mul_f64 v[2:3], s[40:41], v[6:7]
	v_cmp_neq_f64_e64 s2, s[36:37], 0
	v_cmp_neq_f64_e64 s3, s[38:39], 0
	v_mad_u64_u32 v[8:9], null, v10, s8, 0
	v_fma_f64 v[0:1], s[40:41], v[4:5], -v[0:1]
	v_fma_f64 v[2:3], s[42:43], v[4:5], v[2:3]
	v_ashrrev_i32_e32 v4, 31, v10
	v_mul_lo_u32 v5, v10, s9
	s_or_b32 s2, s2, s3
	s_delay_alu instid0(SALU_CYCLE_1) | instskip(NEXT) | instid1(VALU_DEP_2)
	s_and_not1_b32 vcc_lo, exec_lo, s2
	v_mul_lo_u32 v4, v4, s8
	s_delay_alu instid0(VALU_DEP_1)
	v_add3_u32 v9, v9, v5, v4
	s_cbranch_vccnz .LBB159_29
; %bb.28:
	s_delay_alu instid0(VALU_DEP_1) | instskip(NEXT) | instid1(VALU_DEP_1)
	v_lshlrev_b64 v[4:5], 4, v[8:9]
	v_add_co_u32 v4, vcc_lo, s33, v4
	s_delay_alu instid0(VALU_DEP_2) | instskip(SKIP_4) | instid1(VALU_DEP_2)
	v_add_co_ci_u32_e32 v5, vcc_lo, s34, v5, vcc_lo
	global_load_b128 v[4:7], v[4:5], off
	s_waitcnt vmcnt(0)
	v_mul_f64 v[10:11], s[38:39], v[6:7]
	v_mul_f64 v[6:7], s[36:37], v[6:7]
	v_fma_f64 v[10:11], s[36:37], v[4:5], -v[10:11]
	s_delay_alu instid0(VALU_DEP_2) | instskip(NEXT) | instid1(VALU_DEP_2)
	v_fma_f64 v[4:5], s[38:39], v[4:5], v[6:7]
	v_add_f64 v[0:1], v[0:1], v[10:11]
	s_delay_alu instid0(VALU_DEP_2)
	v_add_f64 v[2:3], v[2:3], v[4:5]
.LBB159_29:
	s_or_b32 s2, s35, exec_lo
.LBB159_30:
	s_or_b32 exec_lo, exec_lo, s1
	s_delay_alu instid0(SALU_CYCLE_1) | instskip(SKIP_1) | instid1(SALU_CYCLE_1)
	s_and_not1_b32 s1, s35, exec_lo
	s_and_b32 s2, s2, exec_lo
	s_or_b32 s35, s1, s2
.LBB159_31:
	s_or_b32 exec_lo, exec_lo, s0
.LBB159_32:
	s_and_saveexec_b32 s0, s35
	s_cbranch_execz .LBB159_34
; %bb.33:
	v_lshlrev_b64 v[4:5], 4, v[8:9]
	s_delay_alu instid0(VALU_DEP_1) | instskip(NEXT) | instid1(VALU_DEP_2)
	v_add_co_u32 v4, vcc_lo, s33, v4
	v_add_co_ci_u32_e32 v5, vcc_lo, s34, v5, vcc_lo
	global_store_b128 v[4:5], v[0:3], off
.LBB159_34:
	s_nop 0
	s_sendmsg sendmsg(MSG_DEALLOC_VGPRS)
	s_endpgm
	.section	.rodata,"a",@progbits
	.p2align	6, 0x0
	.amdhsa_kernel _ZL20rocblas_gemvn_kernelILi64ELi16El19rocblas_complex_numIdES1_S1_EviiT3_lPKT2_lT1_lS5_lS6_lS2_lPT4_lS6_li
		.amdhsa_group_segment_fixed_size 16384
		.amdhsa_private_segment_fixed_size 0
		.amdhsa_kernarg_size 416
		.amdhsa_user_sgpr_count 14
		.amdhsa_user_sgpr_dispatch_ptr 0
		.amdhsa_user_sgpr_queue_ptr 0
		.amdhsa_user_sgpr_kernarg_segment_ptr 1
		.amdhsa_user_sgpr_dispatch_id 0
		.amdhsa_user_sgpr_private_segment_size 0
		.amdhsa_wavefront_size32 1
		.amdhsa_uses_dynamic_stack 0
		.amdhsa_enable_private_segment 0
		.amdhsa_system_sgpr_workgroup_id_x 1
		.amdhsa_system_sgpr_workgroup_id_y 0
		.amdhsa_system_sgpr_workgroup_id_z 1
		.amdhsa_system_sgpr_workgroup_info 0
		.amdhsa_system_vgpr_workitem_id 1
		.amdhsa_next_free_vgpr 21
		.amdhsa_next_free_sgpr 45
		.amdhsa_reserve_vcc 1
		.amdhsa_float_round_mode_32 0
		.amdhsa_float_round_mode_16_64 0
		.amdhsa_float_denorm_mode_32 3
		.amdhsa_float_denorm_mode_16_64 3
		.amdhsa_dx10_clamp 1
		.amdhsa_ieee_mode 1
		.amdhsa_fp16_overflow 0
		.amdhsa_workgroup_processor_mode 1
		.amdhsa_memory_ordered 1
		.amdhsa_forward_progress 0
		.amdhsa_shared_vgpr_count 0
		.amdhsa_exception_fp_ieee_invalid_op 0
		.amdhsa_exception_fp_denorm_src 0
		.amdhsa_exception_fp_ieee_div_zero 0
		.amdhsa_exception_fp_ieee_overflow 0
		.amdhsa_exception_fp_ieee_underflow 0
		.amdhsa_exception_fp_ieee_inexact 0
		.amdhsa_exception_int_div_zero 0
	.end_amdhsa_kernel
	.section	.text._ZL20rocblas_gemvn_kernelILi64ELi16El19rocblas_complex_numIdES1_S1_EviiT3_lPKT2_lT1_lS5_lS6_lS2_lPT4_lS6_li,"axG",@progbits,_ZL20rocblas_gemvn_kernelILi64ELi16El19rocblas_complex_numIdES1_S1_EviiT3_lPKT2_lT1_lS5_lS6_lS2_lPT4_lS6_li,comdat
.Lfunc_end159:
	.size	_ZL20rocblas_gemvn_kernelILi64ELi16El19rocblas_complex_numIdES1_S1_EviiT3_lPKT2_lT1_lS5_lS6_lS2_lPT4_lS6_li, .Lfunc_end159-_ZL20rocblas_gemvn_kernelILi64ELi16El19rocblas_complex_numIdES1_S1_EviiT3_lPKT2_lT1_lS5_lS6_lS2_lPT4_lS6_li
                                        ; -- End function
	.section	.AMDGPU.csdata,"",@progbits
; Kernel info:
; codeLenInByte = 2252
; NumSgprs: 47
; NumVgprs: 21
; ScratchSize: 0
; MemoryBound: 0
; FloatMode: 240
; IeeeMode: 1
; LDSByteSize: 16384 bytes/workgroup (compile time only)
; SGPRBlocks: 5
; VGPRBlocks: 2
; NumSGPRsForWavesPerEU: 47
; NumVGPRsForWavesPerEU: 21
; Occupancy: 16
; WaveLimiterHint : 1
; COMPUTE_PGM_RSRC2:SCRATCH_EN: 0
; COMPUTE_PGM_RSRC2:USER_SGPR: 14
; COMPUTE_PGM_RSRC2:TRAP_HANDLER: 0
; COMPUTE_PGM_RSRC2:TGID_X_EN: 1
; COMPUTE_PGM_RSRC2:TGID_Y_EN: 0
; COMPUTE_PGM_RSRC2:TGID_Z_EN: 1
; COMPUTE_PGM_RSRC2:TIDIG_COMP_CNT: 1
	.section	.text._ZL22rocblas_gemvtsm_kernelILb0ELi256E19rocblas_complex_numIdEPKS1_S1_EviiT2_lPKT1_lilS7_lilS4_lPT3_lil,"axG",@progbits,_ZL22rocblas_gemvtsm_kernelILb0ELi256E19rocblas_complex_numIdEPKS1_S1_EviiT2_lPKT1_lilS7_lilS4_lPT3_lil,comdat
	.globl	_ZL22rocblas_gemvtsm_kernelILb0ELi256E19rocblas_complex_numIdEPKS1_S1_EviiT2_lPKT1_lilS7_lilS4_lPT3_lil ; -- Begin function _ZL22rocblas_gemvtsm_kernelILb0ELi256E19rocblas_complex_numIdEPKS1_S1_EviiT2_lPKT1_lilS7_lilS4_lPT3_lil
	.p2align	8
	.type	_ZL22rocblas_gemvtsm_kernelILb0ELi256E19rocblas_complex_numIdEPKS1_S1_EviiT2_lPKT1_lilS7_lilS4_lPT3_lil,@function
_ZL22rocblas_gemvtsm_kernelILb0ELi256E19rocblas_complex_numIdEPKS1_S1_EviiT2_lPKT1_lilS7_lilS4_lPT3_lil: ; @_ZL22rocblas_gemvtsm_kernelILb0ELi256E19rocblas_complex_numIdEPKS1_S1_EviiT2_lPKT1_lilS7_lilS4_lPT3_lil
; %bb.0:
	s_load_b256 s[4:11], s[0:1], 0x8
	s_waitcnt lgkmcnt(0)
	s_mul_i32 s3, s15, s7
	s_mul_hi_u32 s7, s15, s6
	s_mul_i32 s2, s15, s6
	s_add_i32 s3, s7, s3
	s_delay_alu instid0(SALU_CYCLE_1) | instskip(NEXT) | instid1(SALU_CYCLE_1)
	s_lshl_b64 s[2:3], s[2:3], 4
	s_add_u32 s2, s4, s2
	s_addc_u32 s3, s5, s3
	s_load_b128 s[24:27], s[2:3], 0x0
	s_load_b256 s[16:23], s[0:1], 0x50
	s_waitcnt lgkmcnt(0)
	v_cmp_neq_f64_e64 s12, s[24:25], 0
	v_cmp_neq_f64_e64 s13, s[26:27], 0
	s_mul_i32 s2, s15, s21
	s_mul_hi_u32 s3, s15, s20
	s_delay_alu instid0(SALU_CYCLE_1) | instskip(SKIP_1) | instid1(SALU_CYCLE_1)
	s_add_i32 s3, s3, s2
	s_mul_i32 s2, s15, s20
	s_lshl_b64 s[2:3], s[2:3], 4
	s_delay_alu instid0(SALU_CYCLE_1) | instskip(SKIP_3) | instid1(VALU_DEP_1)
	s_add_u32 s2, s18, s2
	s_addc_u32 s3, s19, s3
	s_load_b128 s[4:7], s[2:3], 0x0
	s_mov_b32 s2, -1
	s_or_b32 s3, s12, s13
	s_delay_alu instid0(SALU_CYCLE_1)
	s_and_b32 vcc_lo, exec_lo, s3
	s_cbranch_vccnz .LBB160_2
; %bb.1:
	s_waitcnt lgkmcnt(0)
	v_cmp_neq_f64_e64 s2, s[4:5], 1.0
	v_cmp_neq_f64_e64 s12, s[6:7], 0
	s_delay_alu instid0(VALU_DEP_1)
	s_or_b32 s2, s2, s12
.LBB160_2:
	s_delay_alu instid0(SALU_CYCLE_1)
	s_and_not1_b32 vcc_lo, exec_lo, s2
	s_cbranch_vccnz .LBB160_36
; %bb.3:
	s_clause 0x3
	s_load_b64 s[20:21], s[0:1], 0x80
	s_load_b32 s2, s[0:1], 0x78
	s_load_b64 s[18:19], s[0:1], 0x70
	s_load_b64 s[12:13], s[0:1], 0x0
	s_xor_b32 s3, s3, -1
	s_delay_alu instid0(SALU_CYCLE_1)
	s_and_not1_b32 vcc_lo, exec_lo, s3
	s_waitcnt lgkmcnt(0)
	s_mul_i32 s3, s15, s21
	s_mul_hi_u32 s14, s15, s20
	s_mul_i32 s20, s15, s20
	s_add_i32 s21, s14, s3
	s_mov_b32 s3, -1
	s_cbranch_vccnz .LBB160_18
; %bb.4:
	v_cmp_neq_f64_e64 s3, s[4:5], 0
	v_cmp_neq_f64_e64 s14, s[6:7], 0
	s_delay_alu instid0(VALU_DEP_1)
	s_or_b32 s3, s3, s14
	s_cmp_gt_i32 s13, 0
	s_cselect_b32 s14, -1, 0
	s_and_b32 vcc_lo, exec_lo, s3
	s_mov_b32 s3, -1
	s_cbranch_vccnz .LBB160_11
; %bb.5:
	s_and_not1_b32 vcc_lo, exec_lo, s14
	s_cbranch_vccnz .LBB160_10
; %bb.6:
	v_mad_i64_i32 v[1:2], null, s2, v0, 0
	s_lshl_b64 s[30:31], s[18:19], 4
	s_ashr_i32 s3, s2, 31
	s_lshl_b64 s[28:29], s[20:21], 4
	s_add_u32 s30, s22, s30
	s_addc_u32 s31, s23, s31
	s_add_u32 s28, s30, s28
	s_delay_alu instid0(VALU_DEP_1) | instskip(SKIP_1) | instid1(VALU_DEP_1)
	v_lshlrev_b64 v[1:2], 4, v[1:2]
	s_addc_u32 s29, s31, s29
	v_add_co_u32 v1, vcc_lo, s28, v1
	s_delay_alu instid0(VALU_DEP_2) | instskip(SKIP_1) | instid1(VALU_DEP_2)
	v_add_co_ci_u32_e32 v2, vcc_lo, s29, v2, vcc_lo
	s_lshl_b64 s[28:29], s[2:3], 12
	v_add_co_u32 v5, vcc_lo, v1, 8
	s_delay_alu instid0(VALU_DEP_2)
	v_add_co_ci_u32_e32 v6, vcc_lo, 0, v2, vcc_lo
	v_mov_b32_e32 v1, 0
	s_mov_b32 s3, 0
	s_branch .LBB160_8
	.p2align	6
.LBB160_7:                              ;   in Loop: Header=BB160_8 Depth=1
	s_or_b32 exec_lo, exec_lo, s30
	v_add_co_u32 v5, vcc_lo, v5, s28
	v_add_co_ci_u32_e32 v6, vcc_lo, s29, v6, vcc_lo
	s_addk_i32 s3, 0x100
	s_delay_alu instid0(SALU_CYCLE_1)
	s_cmp_ge_i32 s3, s13
	s_cbranch_scc1 .LBB160_10
.LBB160_8:                              ; =>This Inner Loop Header: Depth=1
	v_add_nc_u32_e32 v2, s3, v0
	s_mov_b32 s30, exec_lo
	s_delay_alu instid0(VALU_DEP_1)
	v_cmpx_gt_i32_e64 s13, v2
	s_cbranch_execz .LBB160_7
; %bb.9:                                ;   in Loop: Header=BB160_8 Depth=1
	v_mov_b32_e32 v2, v1
	v_mov_b32_e32 v3, v1
	;; [unrolled: 1-line block ×3, first 2 shown]
	global_store_b128 v[5:6], v[1:4], off offset:-8
	s_branch .LBB160_7
.LBB160_10:
	s_mov_b32 s3, 0
.LBB160_11:
	s_delay_alu instid0(SALU_CYCLE_1)
	s_and_not1_b32 vcc_lo, exec_lo, s3
	s_cbranch_vccnz .LBB160_17
; %bb.12:
	s_and_not1_b32 vcc_lo, exec_lo, s14
	s_cbranch_vccnz .LBB160_17
; %bb.13:
	v_mad_i64_i32 v[1:2], null, s2, v0, 0
	s_lshl_b64 s[30:31], s[18:19], 4
	s_ashr_i32 s3, s2, 31
	s_lshl_b64 s[28:29], s[20:21], 4
	s_add_u32 s14, s22, s30
	s_addc_u32 s30, s23, s31
	s_add_u32 s14, s14, s28
	s_delay_alu instid0(VALU_DEP_1) | instskip(SKIP_1) | instid1(VALU_DEP_1)
	v_lshlrev_b64 v[1:2], 4, v[1:2]
	s_addc_u32 s28, s30, s29
	v_add_co_u32 v1, vcc_lo, s14, v1
	s_delay_alu instid0(VALU_DEP_2) | instskip(SKIP_1) | instid1(VALU_DEP_2)
	v_add_co_ci_u32_e32 v2, vcc_lo, s28, v2, vcc_lo
	s_lshl_b64 s[28:29], s[2:3], 12
	v_add_co_u32 v1, vcc_lo, v1, 8
	s_delay_alu instid0(VALU_DEP_2)
	v_add_co_ci_u32_e32 v2, vcc_lo, 0, v2, vcc_lo
	s_mov_b32 s3, 0
	s_set_inst_prefetch_distance 0x1
	s_branch .LBB160_15
	.p2align	6
.LBB160_14:                             ;   in Loop: Header=BB160_15 Depth=1
	s_or_b32 exec_lo, exec_lo, s14
	v_add_co_u32 v1, vcc_lo, v1, s28
	v_add_co_ci_u32_e32 v2, vcc_lo, s29, v2, vcc_lo
	s_addk_i32 s3, 0x100
	s_delay_alu instid0(SALU_CYCLE_1)
	s_cmp_ge_i32 s3, s13
	s_cbranch_scc1 .LBB160_17
.LBB160_15:                             ; =>This Inner Loop Header: Depth=1
	v_add_nc_u32_e32 v3, s3, v0
	s_mov_b32 s14, exec_lo
	s_delay_alu instid0(VALU_DEP_1)
	v_cmpx_gt_i32_e64 s13, v3
	s_cbranch_execz .LBB160_14
; %bb.16:                               ;   in Loop: Header=BB160_15 Depth=1
	global_load_b128 v[3:6], v[1:2], off offset:-8
	s_waitcnt vmcnt(0)
	v_mul_f64 v[7:8], s[6:7], v[5:6]
	v_mul_f64 v[9:10], s[4:5], v[5:6]
	s_delay_alu instid0(VALU_DEP_2) | instskip(NEXT) | instid1(VALU_DEP_2)
	v_fma_f64 v[5:6], s[4:5], v[3:4], -v[7:8]
	v_fma_f64 v[7:8], s[6:7], v[3:4], v[9:10]
	global_store_b128 v[1:2], v[5:8], off offset:-8
	s_branch .LBB160_14
.LBB160_17:
	s_set_inst_prefetch_distance 0x2
	s_mov_b32 s3, 0
.LBB160_18:
	s_delay_alu instid0(SALU_CYCLE_1)
	s_and_not1_b32 vcc_lo, exec_lo, s3
	s_cbranch_vccnz .LBB160_36
; %bb.19:
	s_clause 0x1
	s_load_b128 s[28:31], s[0:1], 0x30
	s_load_b64 s[34:35], s[0:1], 0x40
	s_mov_b32 s3, exec_lo
	v_cmpx_gt_i32_e64 s12, v0
	s_cbranch_execz .LBB160_21
; %bb.20:
	s_load_b32 s14, s[0:1], 0x48
	s_mul_i32 s17, s15, s17
	s_mul_hi_u32 s33, s15, s16
	s_mul_i32 s16, s15, s16
	s_add_i32 s17, s33, s17
	s_delay_alu instid0(SALU_CYCLE_1)
	s_lshl_b64 s[16:17], s[16:17], 4
	s_waitcnt lgkmcnt(0)
	v_mad_i64_i32 v[1:2], null, s14, v0, 0
	s_add_u32 s14, s30, s16
	s_addc_u32 s30, s31, s17
	s_lshl_b64 s[16:17], s[34:35], 4
	s_delay_alu instid0(SALU_CYCLE_1) | instskip(SKIP_1) | instid1(VALU_DEP_1)
	s_add_u32 s14, s14, s16
	s_addc_u32 s16, s30, s17
	v_lshlrev_b64 v[1:2], 4, v[1:2]
	s_delay_alu instid0(VALU_DEP_1) | instskip(NEXT) | instid1(VALU_DEP_2)
	v_add_co_u32 v1, vcc_lo, s14, v1
	v_add_co_ci_u32_e32 v2, vcc_lo, s16, v2, vcc_lo
	global_load_b128 v[1:4], v[1:2], off
	s_waitcnt vmcnt(0)
	v_mul_f64 v[5:6], s[26:27], v[3:4]
	v_mul_f64 v[7:8], s[24:25], v[3:4]
	s_delay_alu instid0(VALU_DEP_2) | instskip(NEXT) | instid1(VALU_DEP_2)
	v_fma_f64 v[3:4], s[24:25], v[1:2], -v[5:6]
	v_fma_f64 v[5:6], s[26:27], v[1:2], v[7:8]
	v_lshlrev_b32_e32 v1, 4, v0
	ds_store_b128 v1, v[3:6]
.LBB160_21:
	s_or_b32 exec_lo, exec_lo, s3
	s_cmp_lt_i32 s13, 1
	s_waitcnt lgkmcnt(0)
	s_waitcnt_vscnt null, 0x0
	s_barrier
	buffer_gl0_inv
	s_cbranch_scc1 .LBB160_36
; %bb.22:
	v_cmp_neq_f64_e64 s17, s[4:5], 0
	v_cmp_neq_f64_e64 s26, s[6:7], 0
	s_load_b32 s24, s[0:1], 0x28
	s_lshl_b64 s[0:1], s[20:21], 4
	s_mul_i32 s21, s29, s15
	s_add_u32 s3, s22, s0
	s_addc_u32 s14, s23, s1
	s_lshl_b64 s[0:1], s[18:19], 4
	s_mul_hi_u32 s22, s28, s15
	s_add_u32 s3, s3, s0
	s_addc_u32 s14, s14, s1
	s_ashr_i32 s16, s2, 31
	s_mul_i32 s0, s28, s15
	s_waitcnt lgkmcnt(0)
	s_ashr_i32 s25, s24, 31
	v_mad_i64_i32 v[1:2], null, s24, v0, 0
	s_delay_alu instid0(VALU_DEP_1) | instskip(NEXT) | instid1(VALU_DEP_3)
	v_lshlrev_b64 v[1:2], 4, v[1:2]
	s_or_b32 s17, s17, s26
	s_cmp_gt_i32 s12, 0
	s_cselect_b32 s15, -1, 0
	s_and_b32 s18, s12, 7
	s_cmp_gt_u32 s12, 7
	s_cselect_b32 s19, -1, 0
	s_and_b32 s12, s12, 0x7ffffff8
	s_cmp_lg_u32 s18, 0
	s_cselect_b32 s20, -1, 0
	s_add_i32 s1, s22, s21
	s_lshl_b64 s[10:11], s[10:11], 4
	s_lshl_b64 s[0:1], s[0:1], 4
	s_add_u32 s8, s8, s10
	s_addc_u32 s9, s9, s11
	s_add_u32 s0, s8, s0
	s_addc_u32 s1, s9, s1
	v_add_co_u32 v11, vcc_lo, s0, v1
	v_add_co_ci_u32_e32 v12, vcc_lo, s1, v2, vcc_lo
	s_mov_b32 s1, 0
	s_delay_alu instid0(VALU_DEP_2) | instskip(NEXT) | instid1(VALU_DEP_2)
	v_add_co_u32 v5, vcc_lo, 0x78, v11
	v_add_co_ci_u32_e32 v6, vcc_lo, 0, v12, vcc_lo
	s_lshl_b64 s[8:9], s[24:25], 12
	s_mov_b32 s10, 0
	s_branch .LBB160_25
.LBB160_23:                             ;   in Loop: Header=BB160_25 Depth=1
	s_delay_alu instid0(VALU_DEP_2)
	v_add_co_u32 v7, vcc_lo, s3, v7
	v_add_co_ci_u32_e32 v8, vcc_lo, s14, v8, vcc_lo
	global_store_b128 v[7:8], v[1:4], off
.LBB160_24:                             ;   in Loop: Header=BB160_25 Depth=1
	s_or_b32 exec_lo, exec_lo, s11
	v_add_co_u32 v5, vcc_lo, v5, s8
	v_add_co_ci_u32_e32 v6, vcc_lo, s9, v6, vcc_lo
	v_add_co_u32 v11, vcc_lo, v11, s8
	v_add_co_ci_u32_e32 v12, vcc_lo, s9, v12, vcc_lo
	s_addk_i32 s10, 0x100
	s_delay_alu instid0(SALU_CYCLE_1)
	s_cmp_ge_i32 s10, s13
	s_cbranch_scc1 .LBB160_36
.LBB160_25:                             ; =>This Loop Header: Depth=1
                                        ;     Child Loop BB160_31 Depth 2
                                        ;     Child Loop BB160_35 Depth 2
	v_add_nc_u32_e32 v1, s10, v0
	s_mov_b32 s11, exec_lo
	s_delay_alu instid0(VALU_DEP_1)
	v_cmpx_gt_i32_e64 s13, v1
	s_cbranch_execz .LBB160_24
; %bb.26:                               ;   in Loop: Header=BB160_25 Depth=1
	v_mad_u64_u32 v[3:4], null, v1, s2, 0
	s_and_not1_b32 vcc_lo, exec_lo, s17
	s_delay_alu instid0(VALU_DEP_1) | instskip(NEXT) | instid1(VALU_DEP_1)
	v_mov_b32_e32 v2, v4
	v_mad_u64_u32 v[7:8], null, v1, s16, v[2:3]
	v_mov_b32_e32 v1, 0
	v_mov_b32_e32 v2, 0
	s_delay_alu instid0(VALU_DEP_3) | instskip(NEXT) | instid1(VALU_DEP_1)
	v_mov_b32_e32 v4, v7
	v_lshlrev_b64 v[7:8], 4, v[3:4]
	s_delay_alu instid0(VALU_DEP_3)
	v_dual_mov_b32 v4, v2 :: v_dual_mov_b32 v3, v1
	s_cbranch_vccnz .LBB160_28
; %bb.27:                               ;   in Loop: Header=BB160_25 Depth=1
	s_delay_alu instid0(VALU_DEP_2) | instskip(NEXT) | instid1(VALU_DEP_3)
	v_add_co_u32 v1, vcc_lo, s3, v7
	v_add_co_ci_u32_e32 v2, vcc_lo, s14, v8, vcc_lo
	global_load_b128 v[13:16], v[1:2], off
	s_waitcnt vmcnt(0)
	v_mul_f64 v[1:2], s[6:7], v[15:16]
	v_mul_f64 v[3:4], s[4:5], v[15:16]
	s_delay_alu instid0(VALU_DEP_2) | instskip(NEXT) | instid1(VALU_DEP_2)
	v_fma_f64 v[1:2], s[4:5], v[13:14], -v[1:2]
	v_fma_f64 v[3:4], s[6:7], v[13:14], v[3:4]
.LBB160_28:                             ;   in Loop: Header=BB160_25 Depth=1
	s_and_not1_b32 vcc_lo, exec_lo, s15
	s_cbranch_vccnz .LBB160_23
; %bb.29:                               ;   in Loop: Header=BB160_25 Depth=1
	s_and_not1_b32 vcc_lo, exec_lo, s19
	s_cbranch_vccnz .LBB160_33
; %bb.30:                               ;   in Loop: Header=BB160_25 Depth=1
	v_dual_mov_b32 v10, v6 :: v_dual_mov_b32 v9, v5
	s_mov_b32 s0, 0
	s_mov_b32 s21, 0
.LBB160_31:                             ;   Parent Loop BB160_25 Depth=1
                                        ; =>  This Inner Loop Header: Depth=2
	s_clause 0x7
	global_load_b128 v[13:16], v[9:10], off offset:-120
	global_load_b128 v[17:20], v[9:10], off offset:-104
	;; [unrolled: 1-line block ×8, first 2 shown]
	v_mov_b32_e32 v61, s0
	v_add_co_u32 v9, vcc_lo, 0x80, v9
	v_add_co_ci_u32_e32 v10, vcc_lo, 0, v10, vcc_lo
	ds_load_b128 v[45:48], v61
	ds_load_b128 v[49:52], v61 offset:16
	s_add_i32 s21, s21, 8
	s_addk_i32 s0, 0x80
	s_cmp_eq_u32 s12, s21
	s_waitcnt vmcnt(7) lgkmcnt(1)
	v_mul_f64 v[53:54], v[15:16], v[47:48]
	v_mul_f64 v[47:48], v[13:14], v[47:48]
	s_waitcnt vmcnt(6) lgkmcnt(0)
	v_mul_f64 v[55:56], v[19:20], v[51:52]
	v_mul_f64 v[51:52], v[17:18], v[51:52]
	s_delay_alu instid0(VALU_DEP_4) | instskip(NEXT) | instid1(VALU_DEP_4)
	v_fma_f64 v[53:54], v[13:14], v[45:46], -v[53:54]
	v_fma_f64 v[57:58], v[15:16], v[45:46], v[47:48]
	ds_load_b128 v[13:16], v61 offset:32
	ds_load_b128 v[45:48], v61 offset:48
	v_fma_f64 v[17:18], v[17:18], v[49:50], -v[55:56]
	v_fma_f64 v[19:20], v[19:20], v[49:50], v[51:52]
	s_waitcnt vmcnt(5) lgkmcnt(1)
	v_mul_f64 v[59:60], v[23:24], v[15:16]
	v_mul_f64 v[15:16], v[21:22], v[15:16]
	s_waitcnt vmcnt(4) lgkmcnt(0)
	v_mul_f64 v[49:50], v[27:28], v[47:48]
	v_mul_f64 v[47:48], v[25:26], v[47:48]
	v_add_f64 v[1:2], v[1:2], v[53:54]
	v_add_f64 v[3:4], v[3:4], v[57:58]
	v_fma_f64 v[21:22], v[21:22], v[13:14], -v[59:60]
	v_fma_f64 v[23:24], v[23:24], v[13:14], v[15:16]
	v_fma_f64 v[25:26], v[25:26], v[45:46], -v[49:50]
	v_fma_f64 v[27:28], v[27:28], v[45:46], v[47:48]
	v_add_f64 v[17:18], v[1:2], v[17:18]
	v_add_f64 v[19:20], v[3:4], v[19:20]
	ds_load_b128 v[1:4], v61 offset:64
	ds_load_b128 v[13:16], v61 offset:80
	s_waitcnt vmcnt(3) lgkmcnt(1)
	v_mul_f64 v[51:52], v[31:32], v[3:4]
	v_mul_f64 v[3:4], v[29:30], v[3:4]
	v_add_f64 v[17:18], v[17:18], v[21:22]
	v_add_f64 v[19:20], v[19:20], v[23:24]
	s_waitcnt vmcnt(2) lgkmcnt(0)
	v_mul_f64 v[21:22], v[35:36], v[15:16]
	v_mul_f64 v[23:24], v[33:34], v[15:16]
	v_fma_f64 v[29:30], v[29:30], v[1:2], -v[51:52]
	v_fma_f64 v[31:32], v[31:32], v[1:2], v[3:4]
	v_add_f64 v[25:26], v[17:18], v[25:26]
	v_add_f64 v[19:20], v[19:20], v[27:28]
	ds_load_b128 v[1:4], v61 offset:96
	ds_load_b128 v[15:18], v61 offset:112
	v_fma_f64 v[21:22], v[33:34], v[13:14], -v[21:22]
	v_fma_f64 v[13:14], v[35:36], v[13:14], v[23:24]
	s_waitcnt vmcnt(1) lgkmcnt(1)
	v_mul_f64 v[27:28], v[39:40], v[3:4]
	v_mul_f64 v[3:4], v[37:38], v[3:4]
	v_add_f64 v[23:24], v[25:26], v[29:30]
	v_add_f64 v[19:20], v[19:20], v[31:32]
	s_waitcnt vmcnt(0) lgkmcnt(0)
	v_mul_f64 v[25:26], v[43:44], v[17:18]
	v_mul_f64 v[17:18], v[41:42], v[17:18]
	v_fma_f64 v[27:28], v[37:38], v[1:2], -v[27:28]
	v_fma_f64 v[1:2], v[39:40], v[1:2], v[3:4]
	v_add_f64 v[3:4], v[23:24], v[21:22]
	v_add_f64 v[13:14], v[19:20], v[13:14]
	v_fma_f64 v[19:20], v[41:42], v[15:16], -v[25:26]
	v_fma_f64 v[15:16], v[43:44], v[15:16], v[17:18]
	s_delay_alu instid0(VALU_DEP_4) | instskip(NEXT) | instid1(VALU_DEP_4)
	v_add_f64 v[3:4], v[3:4], v[27:28]
	v_add_f64 v[13:14], v[13:14], v[1:2]
	s_delay_alu instid0(VALU_DEP_2) | instskip(NEXT) | instid1(VALU_DEP_2)
	v_add_f64 v[1:2], v[3:4], v[19:20]
	v_add_f64 v[3:4], v[13:14], v[15:16]
	s_cbranch_scc0 .LBB160_31
; %bb.32:                               ;   in Loop: Header=BB160_25 Depth=1
	s_mov_b32 s0, s12
	s_and_not1_b32 vcc_lo, exec_lo, s20
	s_cbranch_vccz .LBB160_34
	s_branch .LBB160_23
.LBB160_33:                             ;   in Loop: Header=BB160_25 Depth=1
	s_mov_b32 s0, 0
	s_and_not1_b32 vcc_lo, exec_lo, s20
	s_cbranch_vccnz .LBB160_23
.LBB160_34:                             ;   in Loop: Header=BB160_25 Depth=1
	s_lshl_b64 s[22:23], s[0:1], 4
	s_lshl_b32 s0, s0, 4
	v_add_co_u32 v9, vcc_lo, v11, s22
	v_add_co_ci_u32_e32 v10, vcc_lo, s23, v12, vcc_lo
	s_mov_b32 s21, s18
	.p2align	6
.LBB160_35:                             ;   Parent Loop BB160_25 Depth=1
                                        ; =>  This Inner Loop Header: Depth=2
	global_load_b128 v[13:16], v[9:10], off
	v_mov_b32_e32 v17, s0
	v_add_co_u32 v9, vcc_lo, v9, 16
	v_add_co_ci_u32_e32 v10, vcc_lo, 0, v10, vcc_lo
	ds_load_b128 v[17:20], v17
	s_add_i32 s21, s21, -1
	s_add_i32 s0, s0, 16
	s_cmp_lg_u32 s21, 0
	s_waitcnt vmcnt(0) lgkmcnt(0)
	v_mul_f64 v[21:22], v[15:16], v[19:20]
	v_mul_f64 v[19:20], v[13:14], v[19:20]
	s_delay_alu instid0(VALU_DEP_2) | instskip(NEXT) | instid1(VALU_DEP_2)
	v_fma_f64 v[13:14], v[13:14], v[17:18], -v[21:22]
	v_fma_f64 v[15:16], v[15:16], v[17:18], v[19:20]
	s_delay_alu instid0(VALU_DEP_2) | instskip(NEXT) | instid1(VALU_DEP_2)
	v_add_f64 v[1:2], v[1:2], v[13:14]
	v_add_f64 v[3:4], v[3:4], v[15:16]
	s_cbranch_scc1 .LBB160_35
	s_branch .LBB160_23
.LBB160_36:
	s_nop 0
	s_sendmsg sendmsg(MSG_DEALLOC_VGPRS)
	s_endpgm
	.section	.rodata,"a",@progbits
	.p2align	6, 0x0
	.amdhsa_kernel _ZL22rocblas_gemvtsm_kernelILb0ELi256E19rocblas_complex_numIdEPKS1_S1_EviiT2_lPKT1_lilS7_lilS4_lPT3_lil
		.amdhsa_group_segment_fixed_size 1024
		.amdhsa_private_segment_fixed_size 0
		.amdhsa_kernarg_size 136
		.amdhsa_user_sgpr_count 15
		.amdhsa_user_sgpr_dispatch_ptr 0
		.amdhsa_user_sgpr_queue_ptr 0
		.amdhsa_user_sgpr_kernarg_segment_ptr 1
		.amdhsa_user_sgpr_dispatch_id 0
		.amdhsa_user_sgpr_private_segment_size 0
		.amdhsa_wavefront_size32 1
		.amdhsa_uses_dynamic_stack 0
		.amdhsa_enable_private_segment 0
		.amdhsa_system_sgpr_workgroup_id_x 1
		.amdhsa_system_sgpr_workgroup_id_y 0
		.amdhsa_system_sgpr_workgroup_id_z 0
		.amdhsa_system_sgpr_workgroup_info 0
		.amdhsa_system_vgpr_workitem_id 0
		.amdhsa_next_free_vgpr 62
		.amdhsa_next_free_sgpr 36
		.amdhsa_reserve_vcc 1
		.amdhsa_float_round_mode_32 0
		.amdhsa_float_round_mode_16_64 0
		.amdhsa_float_denorm_mode_32 3
		.amdhsa_float_denorm_mode_16_64 3
		.amdhsa_dx10_clamp 1
		.amdhsa_ieee_mode 1
		.amdhsa_fp16_overflow 0
		.amdhsa_workgroup_processor_mode 1
		.amdhsa_memory_ordered 1
		.amdhsa_forward_progress 0
		.amdhsa_shared_vgpr_count 0
		.amdhsa_exception_fp_ieee_invalid_op 0
		.amdhsa_exception_fp_denorm_src 0
		.amdhsa_exception_fp_ieee_div_zero 0
		.amdhsa_exception_fp_ieee_overflow 0
		.amdhsa_exception_fp_ieee_underflow 0
		.amdhsa_exception_fp_ieee_inexact 0
		.amdhsa_exception_int_div_zero 0
	.end_amdhsa_kernel
	.section	.text._ZL22rocblas_gemvtsm_kernelILb0ELi256E19rocblas_complex_numIdEPKS1_S1_EviiT2_lPKT1_lilS7_lilS4_lPT3_lil,"axG",@progbits,_ZL22rocblas_gemvtsm_kernelILb0ELi256E19rocblas_complex_numIdEPKS1_S1_EviiT2_lPKT1_lilS7_lilS4_lPT3_lil,comdat
.Lfunc_end160:
	.size	_ZL22rocblas_gemvtsm_kernelILb0ELi256E19rocblas_complex_numIdEPKS1_S1_EviiT2_lPKT1_lilS7_lilS4_lPT3_lil, .Lfunc_end160-_ZL22rocblas_gemvtsm_kernelILb0ELi256E19rocblas_complex_numIdEPKS1_S1_EviiT2_lPKT1_lilS7_lilS4_lPT3_lil
                                        ; -- End function
	.section	.AMDGPU.csdata,"",@progbits
; Kernel info:
; codeLenInByte = 2200
; NumSgprs: 38
; NumVgprs: 62
; ScratchSize: 0
; MemoryBound: 0
; FloatMode: 240
; IeeeMode: 1
; LDSByteSize: 1024 bytes/workgroup (compile time only)
; SGPRBlocks: 4
; VGPRBlocks: 7
; NumSGPRsForWavesPerEU: 38
; NumVGPRsForWavesPerEU: 62
; Occupancy: 16
; WaveLimiterHint : 1
; COMPUTE_PGM_RSRC2:SCRATCH_EN: 0
; COMPUTE_PGM_RSRC2:USER_SGPR: 15
; COMPUTE_PGM_RSRC2:TRAP_HANDLER: 0
; COMPUTE_PGM_RSRC2:TGID_X_EN: 1
; COMPUTE_PGM_RSRC2:TGID_Y_EN: 0
; COMPUTE_PGM_RSRC2:TGID_Z_EN: 0
; COMPUTE_PGM_RSRC2:TIDIG_COMP_CNT: 0
	.section	.text._ZL22rocblas_gemvtsm_kernelILb0ELi256E19rocblas_complex_numIdES1_S1_EviiT2_lPKT1_lilS5_lilS2_lPT3_lil,"axG",@progbits,_ZL22rocblas_gemvtsm_kernelILb0ELi256E19rocblas_complex_numIdES1_S1_EviiT2_lPKT1_lilS5_lilS2_lPT3_lil,comdat
	.globl	_ZL22rocblas_gemvtsm_kernelILb0ELi256E19rocblas_complex_numIdES1_S1_EviiT2_lPKT1_lilS5_lilS2_lPT3_lil ; -- Begin function _ZL22rocblas_gemvtsm_kernelILb0ELi256E19rocblas_complex_numIdES1_S1_EviiT2_lPKT1_lilS5_lilS2_lPT3_lil
	.p2align	8
	.type	_ZL22rocblas_gemvtsm_kernelILb0ELi256E19rocblas_complex_numIdES1_S1_EviiT2_lPKT1_lilS5_lilS2_lPT3_lil,@function
_ZL22rocblas_gemvtsm_kernelILb0ELi256E19rocblas_complex_numIdES1_S1_EviiT2_lPKT1_lilS5_lilS2_lPT3_lil: ; @_ZL22rocblas_gemvtsm_kernelILb0ELi256E19rocblas_complex_numIdES1_S1_EviiT2_lPKT1_lilS5_lilS2_lPT3_lil
; %bb.0:
	s_clause 0x2
	s_load_b128 s[16:19], s[0:1], 0x8
	s_load_b128 s[4:7], s[0:1], 0x58
	s_load_b64 s[12:13], s[0:1], 0x68
	s_waitcnt lgkmcnt(0)
	v_cmp_neq_f64_e64 s2, s[16:17], 0
	v_cmp_neq_f64_e64 s3, s[18:19], 0
	s_delay_alu instid0(VALU_DEP_1)
	s_or_b32 s2, s2, s3
	s_mov_b32 s3, -1
	s_and_b32 vcc_lo, exec_lo, s2
	s_cbranch_vccnz .LBB161_2
; %bb.1:
	v_cmp_neq_f64_e64 s3, s[6:7], 1.0
	v_cmp_neq_f64_e64 s8, s[12:13], 0
	s_delay_alu instid0(VALU_DEP_1)
	s_or_b32 s3, s3, s8
.LBB161_2:
	s_delay_alu instid0(SALU_CYCLE_1)
	s_and_not1_b32 vcc_lo, exec_lo, s3
	s_cbranch_vccnz .LBB161_36
; %bb.3:
	s_clause 0x3
	s_load_b64 s[20:21], s[0:1], 0x90
	s_load_b32 s24, s[0:1], 0x88
	s_load_b64 s[26:27], s[0:1], 0x0
	s_load_b128 s[8:11], s[0:1], 0x78
	s_xor_b32 s2, s2, -1
	s_delay_alu instid0(SALU_CYCLE_1)
	s_and_not1_b32 vcc_lo, exec_lo, s2
	s_waitcnt lgkmcnt(0)
	s_mul_i32 s2, s15, s21
	s_mul_hi_u32 s3, s15, s20
	s_mul_i32 s28, s15, s20
	s_add_i32 s29, s3, s2
	s_mov_b32 s2, -1
	s_cbranch_vccnz .LBB161_18
; %bb.4:
	v_cmp_neq_f64_e64 s2, s[6:7], 0
	v_cmp_neq_f64_e64 s3, s[12:13], 0
	s_delay_alu instid0(VALU_DEP_1)
	s_or_b32 s2, s2, s3
	s_cmp_gt_i32 s27, 0
	s_cselect_b32 s14, -1, 0
	s_and_b32 vcc_lo, exec_lo, s2
	s_mov_b32 s2, -1
	s_cbranch_vccnz .LBB161_11
; %bb.5:
	s_and_not1_b32 vcc_lo, exec_lo, s14
	s_cbranch_vccnz .LBB161_10
; %bb.6:
	v_mad_i64_i32 v[1:2], null, s24, v0, 0
	s_lshl_b64 s[20:21], s[10:11], 4
	s_ashr_i32 s25, s24, 31
	s_lshl_b64 s[2:3], s[28:29], 4
	s_add_u32 s20, s8, s20
	s_addc_u32 s21, s9, s21
	s_add_u32 s2, s20, s2
	s_delay_alu instid0(VALU_DEP_1) | instskip(SKIP_2) | instid1(VALU_DEP_1)
	v_lshlrev_b64 v[1:2], 4, v[1:2]
	s_addc_u32 s3, s21, s3
	s_mov_b32 s20, 0
	v_add_co_u32 v1, vcc_lo, s2, v1
	s_delay_alu instid0(VALU_DEP_2) | instskip(SKIP_1) | instid1(VALU_DEP_2)
	v_add_co_ci_u32_e32 v2, vcc_lo, s3, v2, vcc_lo
	s_lshl_b64 s[2:3], s[24:25], 12
	v_add_co_u32 v5, vcc_lo, v1, 8
	s_delay_alu instid0(VALU_DEP_2)
	v_add_co_ci_u32_e32 v6, vcc_lo, 0, v2, vcc_lo
	v_mov_b32_e32 v1, 0
	s_branch .LBB161_8
	.p2align	6
.LBB161_7:                              ;   in Loop: Header=BB161_8 Depth=1
	s_or_b32 exec_lo, exec_lo, s21
	v_add_co_u32 v5, vcc_lo, v5, s2
	v_add_co_ci_u32_e32 v6, vcc_lo, s3, v6, vcc_lo
	s_addk_i32 s20, 0x100
	s_delay_alu instid0(SALU_CYCLE_1)
	s_cmp_ge_i32 s20, s27
	s_cbranch_scc1 .LBB161_10
.LBB161_8:                              ; =>This Inner Loop Header: Depth=1
	v_add_nc_u32_e32 v2, s20, v0
	s_mov_b32 s21, exec_lo
	s_delay_alu instid0(VALU_DEP_1)
	v_cmpx_gt_i32_e64 s27, v2
	s_cbranch_execz .LBB161_7
; %bb.9:                                ;   in Loop: Header=BB161_8 Depth=1
	v_mov_b32_e32 v2, v1
	v_mov_b32_e32 v3, v1
	;; [unrolled: 1-line block ×3, first 2 shown]
	global_store_b128 v[5:6], v[1:4], off offset:-8
	s_branch .LBB161_7
.LBB161_10:
	s_mov_b32 s2, 0
.LBB161_11:
	s_delay_alu instid0(SALU_CYCLE_1)
	s_and_not1_b32 vcc_lo, exec_lo, s2
	s_cbranch_vccnz .LBB161_17
; %bb.12:
	s_and_not1_b32 vcc_lo, exec_lo, s14
	s_cbranch_vccnz .LBB161_17
; %bb.13:
	v_mad_i64_i32 v[1:2], null, s24, v0, 0
	s_lshl_b64 s[20:21], s[10:11], 4
	s_ashr_i32 s25, s24, 31
	s_lshl_b64 s[2:3], s[28:29], 4
	s_add_u32 s14, s8, s20
	s_addc_u32 s20, s9, s21
	s_add_u32 s2, s14, s2
	s_delay_alu instid0(VALU_DEP_1) | instskip(SKIP_2) | instid1(VALU_DEP_1)
	v_lshlrev_b64 v[1:2], 4, v[1:2]
	s_addc_u32 s3, s20, s3
	s_mov_b32 s14, 0
	v_add_co_u32 v1, vcc_lo, s2, v1
	s_delay_alu instid0(VALU_DEP_2) | instskip(SKIP_1) | instid1(VALU_DEP_2)
	v_add_co_ci_u32_e32 v2, vcc_lo, s3, v2, vcc_lo
	s_lshl_b64 s[2:3], s[24:25], 12
	v_add_co_u32 v1, vcc_lo, v1, 8
	s_delay_alu instid0(VALU_DEP_2)
	v_add_co_ci_u32_e32 v2, vcc_lo, 0, v2, vcc_lo
	s_set_inst_prefetch_distance 0x1
	s_branch .LBB161_15
	.p2align	6
.LBB161_14:                             ;   in Loop: Header=BB161_15 Depth=1
	s_or_b32 exec_lo, exec_lo, s20
	v_add_co_u32 v1, vcc_lo, v1, s2
	v_add_co_ci_u32_e32 v2, vcc_lo, s3, v2, vcc_lo
	s_addk_i32 s14, 0x100
	s_delay_alu instid0(SALU_CYCLE_1)
	s_cmp_ge_i32 s14, s27
	s_cbranch_scc1 .LBB161_17
.LBB161_15:                             ; =>This Inner Loop Header: Depth=1
	v_add_nc_u32_e32 v3, s14, v0
	s_mov_b32 s20, exec_lo
	s_delay_alu instid0(VALU_DEP_1)
	v_cmpx_gt_i32_e64 s27, v3
	s_cbranch_execz .LBB161_14
; %bb.16:                               ;   in Loop: Header=BB161_15 Depth=1
	global_load_b128 v[3:6], v[1:2], off offset:-8
	s_waitcnt vmcnt(0)
	v_mul_f64 v[7:8], s[12:13], v[5:6]
	v_mul_f64 v[9:10], s[6:7], v[5:6]
	s_delay_alu instid0(VALU_DEP_2) | instskip(NEXT) | instid1(VALU_DEP_2)
	v_fma_f64 v[5:6], s[6:7], v[3:4], -v[7:8]
	v_fma_f64 v[7:8], s[12:13], v[3:4], v[9:10]
	global_store_b128 v[1:2], v[5:8], off offset:-8
	s_branch .LBB161_14
.LBB161_17:
	s_set_inst_prefetch_distance 0x2
	s_mov_b32 s2, 0
.LBB161_18:
	s_delay_alu instid0(SALU_CYCLE_1)
	s_and_not1_b32 vcc_lo, exec_lo, s2
	s_cbranch_vccnz .LBB161_36
; %bb.19:
	s_clause 0x1
	s_load_b128 s[20:23], s[0:1], 0x38
	s_load_b64 s[2:3], s[0:1], 0x48
	s_mov_b32 s14, exec_lo
	v_cmpx_gt_i32_e64 s26, v0
	s_cbranch_execz .LBB161_21
; %bb.20:
	s_load_b32 s25, s[0:1], 0x50
	s_mul_i32 s5, s15, s5
	s_mul_hi_u32 s30, s15, s4
	s_mul_i32 s4, s15, s4
	s_add_i32 s5, s30, s5
	s_delay_alu instid0(SALU_CYCLE_1) | instskip(SKIP_4) | instid1(SALU_CYCLE_1)
	s_lshl_b64 s[4:5], s[4:5], 4
	s_waitcnt lgkmcnt(0)
	s_add_u32 s4, s22, s4
	s_addc_u32 s5, s23, s5
	s_lshl_b64 s[2:3], s[2:3], 4
	s_add_u32 s2, s4, s2
	s_addc_u32 s3, s5, s3
	v_mad_i64_i32 v[1:2], null, s25, v0, 0
	s_delay_alu instid0(VALU_DEP_1) | instskip(NEXT) | instid1(VALU_DEP_1)
	v_lshlrev_b64 v[1:2], 4, v[1:2]
	v_add_co_u32 v1, vcc_lo, s2, v1
	s_delay_alu instid0(VALU_DEP_2) | instskip(SKIP_4) | instid1(VALU_DEP_2)
	v_add_co_ci_u32_e32 v2, vcc_lo, s3, v2, vcc_lo
	global_load_b128 v[1:4], v[1:2], off
	s_waitcnt vmcnt(0)
	v_mul_f64 v[5:6], s[18:19], v[3:4]
	v_mul_f64 v[7:8], s[16:17], v[3:4]
	v_fma_f64 v[3:4], s[16:17], v[1:2], -v[5:6]
	s_delay_alu instid0(VALU_DEP_2)
	v_fma_f64 v[5:6], s[18:19], v[1:2], v[7:8]
	v_lshlrev_b32_e32 v1, 4, v0
	ds_store_b128 v1, v[3:6]
.LBB161_21:
	s_or_b32 exec_lo, exec_lo, s14
	s_cmp_lt_i32 s27, 1
	s_waitcnt lgkmcnt(0)
	s_waitcnt_vscnt null, 0x0
	s_barrier
	buffer_gl0_inv
	s_cbranch_scc1 .LBB161_36
; %bb.22:
	v_cmp_neq_f64_e64 s14, s[6:7], 0
	v_cmp_neq_f64_e64 s16, s[12:13], 0
	s_clause 0x1
	s_load_b32 s18, s[0:1], 0x30
	s_load_b128 s[0:3], s[0:1], 0x20
	s_lshl_b64 s[4:5], s[28:29], 4
	s_mul_i32 s17, s21, s15
	s_add_u32 s8, s8, s4
	s_addc_u32 s9, s9, s5
	s_lshl_b64 s[4:5], s[10:11], 4
	s_mul_hi_u32 s21, s20, s15
	s_add_u32 s4, s8, s4
	s_addc_u32 s5, s9, s5
	s_ashr_i32 s8, s24, 31
	s_mul_i32 s20, s20, s15
	s_waitcnt lgkmcnt(0)
	s_ashr_i32 s19, s18, 31
	v_mad_i64_i32 v[1:2], null, s18, v0, 0
	s_delay_alu instid0(VALU_DEP_1) | instskip(NEXT) | instid1(VALU_DEP_3)
	v_lshlrev_b64 v[1:2], 4, v[1:2]
	s_or_b32 s9, s14, s16
	s_cmp_gt_i32 s26, 0
	s_cselect_b32 s10, -1, 0
	s_and_b32 s11, s26, 7
	s_cmp_gt_u32 s26, 7
	s_cselect_b32 s14, -1, 0
	s_and_b32 s15, s26, 0x7ffffff8
	s_cmp_lg_u32 s11, 0
	s_cselect_b32 s16, -1, 0
	s_add_i32 s21, s21, s17
	s_lshl_b64 s[2:3], s[2:3], 4
	s_lshl_b64 s[20:21], s[20:21], 4
	s_add_u32 s0, s0, s2
	s_addc_u32 s1, s1, s3
	s_add_u32 s0, s0, s20
	s_addc_u32 s1, s1, s21
	v_add_co_u32 v11, vcc_lo, s0, v1
	v_add_co_ci_u32_e32 v12, vcc_lo, s1, v2, vcc_lo
	s_mov_b32 s1, 0
	s_delay_alu instid0(VALU_DEP_2) | instskip(NEXT) | instid1(VALU_DEP_2)
	v_add_co_u32 v5, vcc_lo, 0x78, v11
	v_add_co_ci_u32_e32 v6, vcc_lo, 0, v12, vcc_lo
	s_lshl_b64 s[2:3], s[18:19], 12
	s_mov_b32 s17, 0
	s_branch .LBB161_25
.LBB161_23:                             ;   in Loop: Header=BB161_25 Depth=1
	s_delay_alu instid0(VALU_DEP_2)
	v_add_co_u32 v7, vcc_lo, s4, v7
	v_add_co_ci_u32_e32 v8, vcc_lo, s5, v8, vcc_lo
	global_store_b128 v[7:8], v[1:4], off
.LBB161_24:                             ;   in Loop: Header=BB161_25 Depth=1
	s_or_b32 exec_lo, exec_lo, s18
	v_add_co_u32 v5, vcc_lo, v5, s2
	v_add_co_ci_u32_e32 v6, vcc_lo, s3, v6, vcc_lo
	v_add_co_u32 v11, vcc_lo, v11, s2
	v_add_co_ci_u32_e32 v12, vcc_lo, s3, v12, vcc_lo
	s_addk_i32 s17, 0x100
	s_delay_alu instid0(SALU_CYCLE_1)
	s_cmp_ge_i32 s17, s27
	s_cbranch_scc1 .LBB161_36
.LBB161_25:                             ; =>This Loop Header: Depth=1
                                        ;     Child Loop BB161_31 Depth 2
                                        ;     Child Loop BB161_35 Depth 2
	v_add_nc_u32_e32 v1, s17, v0
	s_mov_b32 s18, exec_lo
	s_delay_alu instid0(VALU_DEP_1)
	v_cmpx_gt_i32_e64 s27, v1
	s_cbranch_execz .LBB161_24
; %bb.26:                               ;   in Loop: Header=BB161_25 Depth=1
	v_mad_u64_u32 v[3:4], null, v1, s24, 0
	s_and_not1_b32 vcc_lo, exec_lo, s9
	s_delay_alu instid0(VALU_DEP_1) | instskip(NEXT) | instid1(VALU_DEP_1)
	v_mov_b32_e32 v2, v4
	v_mad_u64_u32 v[7:8], null, v1, s8, v[2:3]
	v_mov_b32_e32 v1, 0
	v_mov_b32_e32 v2, 0
	s_delay_alu instid0(VALU_DEP_3) | instskip(NEXT) | instid1(VALU_DEP_1)
	v_mov_b32_e32 v4, v7
	v_lshlrev_b64 v[7:8], 4, v[3:4]
	s_delay_alu instid0(VALU_DEP_3)
	v_dual_mov_b32 v4, v2 :: v_dual_mov_b32 v3, v1
	s_cbranch_vccnz .LBB161_28
; %bb.27:                               ;   in Loop: Header=BB161_25 Depth=1
	s_delay_alu instid0(VALU_DEP_2) | instskip(NEXT) | instid1(VALU_DEP_3)
	v_add_co_u32 v1, vcc_lo, s4, v7
	v_add_co_ci_u32_e32 v2, vcc_lo, s5, v8, vcc_lo
	global_load_b128 v[13:16], v[1:2], off
	s_waitcnt vmcnt(0)
	v_mul_f64 v[1:2], s[12:13], v[15:16]
	v_mul_f64 v[3:4], s[6:7], v[15:16]
	s_delay_alu instid0(VALU_DEP_2) | instskip(NEXT) | instid1(VALU_DEP_2)
	v_fma_f64 v[1:2], s[6:7], v[13:14], -v[1:2]
	v_fma_f64 v[3:4], s[12:13], v[13:14], v[3:4]
.LBB161_28:                             ;   in Loop: Header=BB161_25 Depth=1
	s_and_not1_b32 vcc_lo, exec_lo, s10
	s_cbranch_vccnz .LBB161_23
; %bb.29:                               ;   in Loop: Header=BB161_25 Depth=1
	s_and_not1_b32 vcc_lo, exec_lo, s14
	s_cbranch_vccnz .LBB161_33
; %bb.30:                               ;   in Loop: Header=BB161_25 Depth=1
	v_dual_mov_b32 v10, v6 :: v_dual_mov_b32 v9, v5
	s_mov_b32 s0, 0
	s_mov_b32 s19, 0
.LBB161_31:                             ;   Parent Loop BB161_25 Depth=1
                                        ; =>  This Inner Loop Header: Depth=2
	s_clause 0x7
	global_load_b128 v[13:16], v[9:10], off offset:-120
	global_load_b128 v[17:20], v[9:10], off offset:-104
	global_load_b128 v[21:24], v[9:10], off offset:-88
	global_load_b128 v[25:28], v[9:10], off offset:-72
	global_load_b128 v[29:32], v[9:10], off offset:-56
	global_load_b128 v[33:36], v[9:10], off offset:-40
	global_load_b128 v[37:40], v[9:10], off offset:-24
	global_load_b128 v[41:44], v[9:10], off offset:-8
	v_mov_b32_e32 v61, s0
	v_add_co_u32 v9, vcc_lo, 0x80, v9
	v_add_co_ci_u32_e32 v10, vcc_lo, 0, v10, vcc_lo
	ds_load_b128 v[45:48], v61
	ds_load_b128 v[49:52], v61 offset:16
	s_add_i32 s19, s19, 8
	s_addk_i32 s0, 0x80
	s_cmp_eq_u32 s15, s19
	s_waitcnt vmcnt(7) lgkmcnt(1)
	v_mul_f64 v[53:54], v[15:16], v[47:48]
	v_mul_f64 v[47:48], v[13:14], v[47:48]
	s_waitcnt vmcnt(6) lgkmcnt(0)
	v_mul_f64 v[55:56], v[19:20], v[51:52]
	v_mul_f64 v[51:52], v[17:18], v[51:52]
	s_delay_alu instid0(VALU_DEP_4) | instskip(NEXT) | instid1(VALU_DEP_4)
	v_fma_f64 v[53:54], v[13:14], v[45:46], -v[53:54]
	v_fma_f64 v[57:58], v[15:16], v[45:46], v[47:48]
	ds_load_b128 v[13:16], v61 offset:32
	ds_load_b128 v[45:48], v61 offset:48
	v_fma_f64 v[17:18], v[17:18], v[49:50], -v[55:56]
	v_fma_f64 v[19:20], v[19:20], v[49:50], v[51:52]
	s_waitcnt vmcnt(5) lgkmcnt(1)
	v_mul_f64 v[59:60], v[23:24], v[15:16]
	v_mul_f64 v[15:16], v[21:22], v[15:16]
	s_waitcnt vmcnt(4) lgkmcnt(0)
	v_mul_f64 v[49:50], v[27:28], v[47:48]
	v_mul_f64 v[47:48], v[25:26], v[47:48]
	v_add_f64 v[1:2], v[1:2], v[53:54]
	v_add_f64 v[3:4], v[3:4], v[57:58]
	v_fma_f64 v[21:22], v[21:22], v[13:14], -v[59:60]
	v_fma_f64 v[23:24], v[23:24], v[13:14], v[15:16]
	v_fma_f64 v[25:26], v[25:26], v[45:46], -v[49:50]
	v_fma_f64 v[27:28], v[27:28], v[45:46], v[47:48]
	v_add_f64 v[17:18], v[1:2], v[17:18]
	v_add_f64 v[19:20], v[3:4], v[19:20]
	ds_load_b128 v[1:4], v61 offset:64
	ds_load_b128 v[13:16], v61 offset:80
	s_waitcnt vmcnt(3) lgkmcnt(1)
	v_mul_f64 v[51:52], v[31:32], v[3:4]
	v_mul_f64 v[3:4], v[29:30], v[3:4]
	v_add_f64 v[17:18], v[17:18], v[21:22]
	v_add_f64 v[19:20], v[19:20], v[23:24]
	s_waitcnt vmcnt(2) lgkmcnt(0)
	v_mul_f64 v[21:22], v[35:36], v[15:16]
	v_mul_f64 v[23:24], v[33:34], v[15:16]
	v_fma_f64 v[29:30], v[29:30], v[1:2], -v[51:52]
	v_fma_f64 v[31:32], v[31:32], v[1:2], v[3:4]
	v_add_f64 v[25:26], v[17:18], v[25:26]
	v_add_f64 v[19:20], v[19:20], v[27:28]
	ds_load_b128 v[1:4], v61 offset:96
	ds_load_b128 v[15:18], v61 offset:112
	v_fma_f64 v[21:22], v[33:34], v[13:14], -v[21:22]
	v_fma_f64 v[13:14], v[35:36], v[13:14], v[23:24]
	s_waitcnt vmcnt(1) lgkmcnt(1)
	v_mul_f64 v[27:28], v[39:40], v[3:4]
	v_mul_f64 v[3:4], v[37:38], v[3:4]
	v_add_f64 v[23:24], v[25:26], v[29:30]
	v_add_f64 v[19:20], v[19:20], v[31:32]
	s_waitcnt vmcnt(0) lgkmcnt(0)
	v_mul_f64 v[25:26], v[43:44], v[17:18]
	v_mul_f64 v[17:18], v[41:42], v[17:18]
	v_fma_f64 v[27:28], v[37:38], v[1:2], -v[27:28]
	v_fma_f64 v[1:2], v[39:40], v[1:2], v[3:4]
	v_add_f64 v[3:4], v[23:24], v[21:22]
	v_add_f64 v[13:14], v[19:20], v[13:14]
	v_fma_f64 v[19:20], v[41:42], v[15:16], -v[25:26]
	v_fma_f64 v[15:16], v[43:44], v[15:16], v[17:18]
	s_delay_alu instid0(VALU_DEP_4) | instskip(NEXT) | instid1(VALU_DEP_4)
	v_add_f64 v[3:4], v[3:4], v[27:28]
	v_add_f64 v[13:14], v[13:14], v[1:2]
	s_delay_alu instid0(VALU_DEP_2) | instskip(NEXT) | instid1(VALU_DEP_2)
	v_add_f64 v[1:2], v[3:4], v[19:20]
	v_add_f64 v[3:4], v[13:14], v[15:16]
	s_cbranch_scc0 .LBB161_31
; %bb.32:                               ;   in Loop: Header=BB161_25 Depth=1
	s_mov_b32 s0, s15
	s_and_not1_b32 vcc_lo, exec_lo, s16
	s_cbranch_vccz .LBB161_34
	s_branch .LBB161_23
.LBB161_33:                             ;   in Loop: Header=BB161_25 Depth=1
	s_mov_b32 s0, 0
	s_and_not1_b32 vcc_lo, exec_lo, s16
	s_cbranch_vccnz .LBB161_23
.LBB161_34:                             ;   in Loop: Header=BB161_25 Depth=1
	s_lshl_b64 s[20:21], s[0:1], 4
	s_lshl_b32 s0, s0, 4
	v_add_co_u32 v9, vcc_lo, v11, s20
	v_add_co_ci_u32_e32 v10, vcc_lo, s21, v12, vcc_lo
	s_mov_b32 s19, s11
	.p2align	6
.LBB161_35:                             ;   Parent Loop BB161_25 Depth=1
                                        ; =>  This Inner Loop Header: Depth=2
	global_load_b128 v[13:16], v[9:10], off
	v_mov_b32_e32 v17, s0
	v_add_co_u32 v9, vcc_lo, v9, 16
	v_add_co_ci_u32_e32 v10, vcc_lo, 0, v10, vcc_lo
	ds_load_b128 v[17:20], v17
	s_add_i32 s19, s19, -1
	s_add_i32 s0, s0, 16
	s_cmp_lg_u32 s19, 0
	s_waitcnt vmcnt(0) lgkmcnt(0)
	v_mul_f64 v[21:22], v[15:16], v[19:20]
	v_mul_f64 v[19:20], v[13:14], v[19:20]
	s_delay_alu instid0(VALU_DEP_2) | instskip(NEXT) | instid1(VALU_DEP_2)
	v_fma_f64 v[13:14], v[13:14], v[17:18], -v[21:22]
	v_fma_f64 v[15:16], v[15:16], v[17:18], v[19:20]
	s_delay_alu instid0(VALU_DEP_2) | instskip(NEXT) | instid1(VALU_DEP_2)
	v_add_f64 v[1:2], v[1:2], v[13:14]
	v_add_f64 v[3:4], v[3:4], v[15:16]
	s_cbranch_scc1 .LBB161_35
	s_branch .LBB161_23
.LBB161_36:
	s_nop 0
	s_sendmsg sendmsg(MSG_DEALLOC_VGPRS)
	s_endpgm
	.section	.rodata,"a",@progbits
	.p2align	6, 0x0
	.amdhsa_kernel _ZL22rocblas_gemvtsm_kernelILb0ELi256E19rocblas_complex_numIdES1_S1_EviiT2_lPKT1_lilS5_lilS2_lPT3_lil
		.amdhsa_group_segment_fixed_size 1024
		.amdhsa_private_segment_fixed_size 0
		.amdhsa_kernarg_size 152
		.amdhsa_user_sgpr_count 15
		.amdhsa_user_sgpr_dispatch_ptr 0
		.amdhsa_user_sgpr_queue_ptr 0
		.amdhsa_user_sgpr_kernarg_segment_ptr 1
		.amdhsa_user_sgpr_dispatch_id 0
		.amdhsa_user_sgpr_private_segment_size 0
		.amdhsa_wavefront_size32 1
		.amdhsa_uses_dynamic_stack 0
		.amdhsa_enable_private_segment 0
		.amdhsa_system_sgpr_workgroup_id_x 1
		.amdhsa_system_sgpr_workgroup_id_y 0
		.amdhsa_system_sgpr_workgroup_id_z 0
		.amdhsa_system_sgpr_workgroup_info 0
		.amdhsa_system_vgpr_workitem_id 0
		.amdhsa_next_free_vgpr 62
		.amdhsa_next_free_sgpr 31
		.amdhsa_reserve_vcc 1
		.amdhsa_float_round_mode_32 0
		.amdhsa_float_round_mode_16_64 0
		.amdhsa_float_denorm_mode_32 3
		.amdhsa_float_denorm_mode_16_64 3
		.amdhsa_dx10_clamp 1
		.amdhsa_ieee_mode 1
		.amdhsa_fp16_overflow 0
		.amdhsa_workgroup_processor_mode 1
		.amdhsa_memory_ordered 1
		.amdhsa_forward_progress 0
		.amdhsa_shared_vgpr_count 0
		.amdhsa_exception_fp_ieee_invalid_op 0
		.amdhsa_exception_fp_denorm_src 0
		.amdhsa_exception_fp_ieee_div_zero 0
		.amdhsa_exception_fp_ieee_overflow 0
		.amdhsa_exception_fp_ieee_underflow 0
		.amdhsa_exception_fp_ieee_inexact 0
		.amdhsa_exception_int_div_zero 0
	.end_amdhsa_kernel
	.section	.text._ZL22rocblas_gemvtsm_kernelILb0ELi256E19rocblas_complex_numIdES1_S1_EviiT2_lPKT1_lilS5_lilS2_lPT3_lil,"axG",@progbits,_ZL22rocblas_gemvtsm_kernelILb0ELi256E19rocblas_complex_numIdES1_S1_EviiT2_lPKT1_lilS5_lilS2_lPT3_lil,comdat
.Lfunc_end161:
	.size	_ZL22rocblas_gemvtsm_kernelILb0ELi256E19rocblas_complex_numIdES1_S1_EviiT2_lPKT1_lilS5_lilS2_lPT3_lil, .Lfunc_end161-_ZL22rocblas_gemvtsm_kernelILb0ELi256E19rocblas_complex_numIdES1_S1_EviiT2_lPKT1_lilS5_lilS2_lPT3_lil
                                        ; -- End function
	.section	.AMDGPU.csdata,"",@progbits
; Kernel info:
; codeLenInByte = 2132
; NumSgprs: 33
; NumVgprs: 62
; ScratchSize: 0
; MemoryBound: 0
; FloatMode: 240
; IeeeMode: 1
; LDSByteSize: 1024 bytes/workgroup (compile time only)
; SGPRBlocks: 4
; VGPRBlocks: 7
; NumSGPRsForWavesPerEU: 33
; NumVGPRsForWavesPerEU: 62
; Occupancy: 16
; WaveLimiterHint : 1
; COMPUTE_PGM_RSRC2:SCRATCH_EN: 0
; COMPUTE_PGM_RSRC2:USER_SGPR: 15
; COMPUTE_PGM_RSRC2:TRAP_HANDLER: 0
; COMPUTE_PGM_RSRC2:TGID_X_EN: 1
; COMPUTE_PGM_RSRC2:TGID_Y_EN: 0
; COMPUTE_PGM_RSRC2:TGID_Z_EN: 0
; COMPUTE_PGM_RSRC2:TIDIG_COMP_CNT: 0
	.section	.text._ZL23rocblas_gemvt_sn_kernelILb0ELi256ELi4Ei19rocblas_complex_numIdEPKS1_S1_EviiT4_lPKT3_lilS7_lilPT5_i,"axG",@progbits,_ZL23rocblas_gemvt_sn_kernelILb0ELi256ELi4Ei19rocblas_complex_numIdEPKS1_S1_EviiT4_lPKT3_lilS7_lilPT5_i,comdat
	.globl	_ZL23rocblas_gemvt_sn_kernelILb0ELi256ELi4Ei19rocblas_complex_numIdEPKS1_S1_EviiT4_lPKT3_lilS7_lilPT5_i ; -- Begin function _ZL23rocblas_gemvt_sn_kernelILb0ELi256ELi4Ei19rocblas_complex_numIdEPKS1_S1_EviiT4_lPKT3_lilS7_lilPT5_i
	.p2align	8
	.type	_ZL23rocblas_gemvt_sn_kernelILb0ELi256ELi4Ei19rocblas_complex_numIdEPKS1_S1_EviiT4_lPKT3_lilS7_lilPT5_i,@function
_ZL23rocblas_gemvt_sn_kernelILb0ELi256ELi4Ei19rocblas_complex_numIdEPKS1_S1_EviiT4_lPKT3_lilS7_lilPT5_i: ; @_ZL23rocblas_gemvt_sn_kernelILb0ELi256ELi4Ei19rocblas_complex_numIdEPKS1_S1_EviiT4_lPKT3_lilS7_lilPT5_i
; %bb.0:
	s_load_b256 s[4:11], s[0:1], 0x8
	s_mov_b32 s25, 0
	s_waitcnt lgkmcnt(0)
	s_mul_i32 s3, s15, s7
	s_mul_hi_u32 s7, s15, s6
	s_mul_i32 s2, s15, s6
	s_add_i32 s3, s7, s3
	s_delay_alu instid0(SALU_CYCLE_1) | instskip(NEXT) | instid1(SALU_CYCLE_1)
	s_lshl_b64 s[2:3], s[2:3], 4
	s_add_u32 s2, s4, s2
	s_addc_u32 s3, s5, s3
	s_load_b128 s[16:19], s[2:3], 0x0
	s_clause 0x2
	s_load_b64 s[12:13], s[0:1], 0x0
	s_load_b32 s24, s[0:1], 0x68
	s_load_b128 s[4:7], s[0:1], 0x50
	s_waitcnt lgkmcnt(0)
	s_ashr_i32 s28, s13, 31
	v_cmp_neq_f64_e64 s2, s[16:17], 0
	v_cmp_neq_f64_e64 s3, s[18:19], 0
	s_mul_hi_u32 s20, s13, s15
	s_mul_i32 s22, s28, s15
	s_mul_i32 s21, s13, s15
	s_add_i32 s20, s20, s22
	s_mul_hi_u32 s23, s21, s24
	s_mul_i32 s20, s20, s24
	s_mul_i32 s26, s21, s24
	s_add_i32 s27, s23, s20
	s_delay_alu instid0(VALU_DEP_1)
	s_or_b32 s2, s2, s3
	s_mov_b32 s3, -1
	s_and_b32 vcc_lo, exec_lo, s2
	v_cmp_eq_u32_e64 s2, 0, v0
	s_cbranch_vccnz .LBB162_5
; %bb.1:
	s_cmp_gt_i32 s13, 0
	s_cselect_b32 s3, -1, 0
	s_delay_alu instid0(VALU_DEP_1) | instid1(SALU_CYCLE_1)
	s_and_b32 s2, s2, s3
	s_delay_alu instid0(SALU_CYCLE_1)
	s_and_saveexec_b32 s22, s2
	s_cbranch_execz .LBB162_4
; %bb.2:
	s_mov_b32 s2, s15
	s_mov_b32 s15, 0
	v_mov_b32_e32 v1, 0
	s_lshl_b64 s[20:21], s[26:27], 4
	s_lshl_b64 s[30:31], s[14:15], 4
	s_mov_b32 s15, s2
	s_add_u32 s2, s20, s30
	s_addc_u32 s3, s21, s31
	s_add_u32 s2, s2, s6
	v_mov_b32_e32 v2, v1
	v_mov_b32_e32 v3, v1
	;; [unrolled: 1-line block ×3, first 2 shown]
	s_addc_u32 s3, s3, s7
	s_add_u32 s2, s2, 8
	s_addc_u32 s3, s3, 0
	s_lshl_b64 s[20:21], s[24:25], 4
	s_mov_b32 s23, s13
.LBB162_3:                              ; =>This Inner Loop Header: Depth=1
	s_delay_alu instid0(SALU_CYCLE_1)
	s_add_i32 s23, s23, -1
	global_store_b128 v1, v[1:4], s[2:3] offset:-8
	s_add_u32 s2, s2, s20
	s_addc_u32 s3, s3, s21
	s_cmp_eq_u32 s23, 0
	s_cbranch_scc0 .LBB162_3
.LBB162_4:
	s_or_b32 exec_lo, exec_lo, s22
	s_mov_b32 s3, 0
.LBB162_5:
	s_delay_alu instid0(SALU_CYCLE_1)
	s_and_not1_b32 vcc_lo, exec_lo, s3
	s_cbranch_vccnz .LBB162_76
; %bb.6:
	s_clause 0x3
	s_load_b128 s[20:23], s[0:1], 0x30
	s_load_b64 s[2:3], s[0:1], 0x40
	s_load_b32 s25, s[0:1], 0x28
	s_load_b32 s33, s[0:1], 0x48
	s_mul_i32 s0, s15, s5
	s_mul_hi_u32 s1, s15, s4
	s_mul_i32 s4, s15, s4
	s_add_i32 s5, s1, s0
	v_and_b32_e32 v22, 31, v0
	s_lshl_b64 s[4:5], s[4:5], 4
	v_cmp_gt_u32_e64 s0, 32, v0
	v_mbcnt_lo_u32_b32 v42, -1, 0
	v_lshrrev_b32_e32 v43, 1, v0
	v_add_nc_u32_e64 v36, 0, 16
	v_add_nc_u32_e64 v37, 0, 32
	;; [unrolled: 1-line block ×3, first 2 shown]
	v_or_b32_e64 v41, 0, 8
	s_waitcnt lgkmcnt(0)
	s_add_u32 s1, s22, s4
	s_addc_u32 s4, s23, s5
	s_lshl_b64 s[2:3], s[2:3], 4
	s_mul_i32 s21, s15, s21
	s_add_u32 s34, s1, s2
	s_addc_u32 s35, s4, s3
	s_lshl_b64 s[2:3], s[26:27], 4
	s_mul_hi_u32 s5, s15, s20
	s_add_u32 s38, s6, s2
	s_mul_i32 s4, s15, s20
	s_addc_u32 s39, s7, s3
	s_add_i32 s5, s5, s21
	v_cmp_gt_u32_e64 s1, 8, v0
	s_lshl_b64 s[6:7], s[4:5], 4
	s_delay_alu instid0(SALU_CYCLE_1) | instskip(SKIP_2) | instid1(SALU_CYCLE_1)
	s_add_u32 s2, s8, s6
	s_addc_u32 s3, s9, s7
	s_lshl_b64 s[10:11], s[10:11], 4
	s_add_u32 s2, s2, s10
	s_addc_u32 s3, s3, s11
	s_lshl_b32 s4, s14, 10
	s_lshr_b32 s5, s28, 30
	v_lshl_or_b32 v1, v0, 2, s4
	s_ashr_i32 s4, s12, 31
	s_add_i32 s5, s13, s5
	s_lshr_b32 s4, s4, 30
	s_and_b32 s15, s5, -4
	v_ashrrev_i32_e32 v2, 31, v1
	s_add_i32 s4, s12, s4
	v_mul_lo_u32 v21, v1, s33
	s_and_b32 s4, s4, -4
	v_add_nc_u32_e32 v44, 4, v1
	v_lshlrev_b64 v[23:24], 4, v[1:2]
	s_sub_i32 s36, s12, s4
	s_cmp_lt_i32 s15, 1
	v_add_nc_u32_e32 v45, s36, v1
	s_delay_alu instid0(VALU_DEP_2) | instskip(NEXT) | instid1(VALU_DEP_3)
	v_add_co_u32 v39, vcc_lo, s2, v23
	v_add_co_ci_u32_e32 v40, vcc_lo, s3, v24, vcc_lo
	s_cbranch_scc1 .LBB162_53
; %bb.7:
	v_cmp_gt_u32_e32 vcc_lo, 16, v42
	v_mul_lo_u32 v25, v1, s33
	s_cmp_gt_i32 s36, 0
	v_cmp_ge_i32_e64 s2, s12, v44
	s_cselect_b32 s40, -1, 0
	v_cndmask_b32_e64 v2, 0, 1, vcc_lo
	v_cmp_gt_u32_e32 vcc_lo, 24, v42
	s_lshl_b32 s41, s25, 2
	s_lshl_b32 s42, s25, 1
	v_ashrrev_i32_e32 v26, 31, v25
	v_lshlrev_b32_e32 v2, 4, v2
	v_cndmask_b32_e64 v3, 0, 1, vcc_lo
	v_cmp_gt_u32_e32 vcc_lo, 28, v42
	s_add_u32 s20, s6, s10
	s_addc_u32 s22, s7, s11
	v_add_lshl_u32 v46, v2, v42, 2
	v_lshlrev_b32_e32 v2, 3, v3
	v_cndmask_b32_e64 v4, 0, 1, vcc_lo
	v_cmp_gt_u32_e32 vcc_lo, 30, v42
	s_add_u32 s20, s8, s20
	s_addc_u32 s22, s9, s22
	v_add_lshl_u32 v47, v2, v42, 2
	v_lshlrev_b32_e32 v3, 2, v4
	v_cndmask_b32_e64 v5, 0, 1, vcc_lo
	v_cmp_ne_u32_e32 vcc_lo, 31, v42
	v_cmp_ge_i32_e64 s3, s12, v45
	v_cmp_eq_u32_e64 s4, 0, v22
	v_add_lshl_u32 v48, v3, v42, 2
	v_lshlrev_b32_e32 v1, 1, v5
	v_add_co_ci_u32_e32 v4, vcc_lo, 0, v42, vcc_lo
	v_lshlrev_b64 v[5:6], 4, v[25:26]
	v_lshlrev_b32_e32 v51, 4, v22
	s_delay_alu instid0(VALU_DEP_4) | instskip(SKIP_4) | instid1(VALU_DEP_4)
	v_add_lshl_u32 v49, v1, v42, 2
	v_add_nc_u32_e32 v1, s33, v25
	v_lshlrev_b32_e32 v50, 2, v4
	v_and_b32_e32 v52, 0x70, v43
	v_add_co_u32 v26, vcc_lo, s34, v5
	v_add_nc_u32_e32 v3, s33, v1
	v_ashrrev_i32_e32 v2, 31, v1
	v_add_co_ci_u32_e32 v27, vcc_lo, s35, v6, vcc_lo
	v_cmp_eq_u32_e64 s5, 0, v0
	s_delay_alu instid0(VALU_DEP_4) | instskip(NEXT) | instid1(VALU_DEP_4)
	v_add_nc_u32_e32 v7, s33, v3
	v_lshlrev_b64 v[1:2], 4, v[1:2]
	v_ashrrev_i32_e32 v4, 31, v3
	v_or_b32_e64 v53, 0, 8
	s_mov_b32 s21, 0
	v_ashrrev_i32_e32 v8, 31, v7
	s_mul_i32 s43, s25, 3
	v_lshlrev_b64 v[3:4], 4, v[3:4]
	v_add_co_u32 v28, vcc_lo, s34, v1
	v_add_co_ci_u32_e32 v29, vcc_lo, s35, v2, vcc_lo
	v_lshlrev_b64 v[1:2], 4, v[7:8]
	s_delay_alu instid0(VALU_DEP_4) | instskip(SKIP_2) | instid1(VALU_DEP_3)
	v_add_co_u32 v30, vcc_lo, s34, v3
	v_add_co_ci_u32_e32 v31, vcc_lo, s35, v4, vcc_lo
	s_mov_b32 s44, s25
	v_add_co_u32 v32, vcc_lo, s34, v1
	s_delay_alu instid0(VALU_DEP_4) | instskip(SKIP_3) | instid1(VALU_DEP_2)
	v_add_co_ci_u32_e32 v33, vcc_lo, s35, v2, vcc_lo
	v_add_co_u32 v1, vcc_lo, s20, v23
	v_add_co_ci_u32_e32 v2, vcc_lo, s22, v24, vcc_lo
	s_mov_b32 s22, s21
	v_add_co_u32 v54, vcc_lo, v1, 8
	v_mov_b32_e32 v1, 0
	s_delay_alu instid0(VALU_DEP_3)
	v_add_co_ci_u32_e32 v55, vcc_lo, 0, v2, vcc_lo
	s_mov_b32 s37, 0
	s_branch .LBB162_9
.LBB162_8:                              ;   in Loop: Header=BB162_9 Depth=1
	s_or_b32 exec_lo, exec_lo, s23
	s_add_i32 s37, s37, 4
	s_add_i32 s44, s44, s41
	;; [unrolled: 1-line block ×5, first 2 shown]
	s_cmp_ge_i32 s37, s15
	s_cbranch_scc1 .LBB162_54
.LBB162_9:                              ; =>This Loop Header: Depth=1
                                        ;     Child Loop BB162_40 Depth 2
                                        ;     Child Loop BB162_42 Depth 2
                                        ; implicit-def: $vgpr17_vgpr18
                                        ; implicit-def: $vgpr19_vgpr20
                                        ; implicit-def: $vgpr13_vgpr14
                                        ; implicit-def: $vgpr15_vgpr16
                                        ; implicit-def: $vgpr9_vgpr10
                                        ; implicit-def: $vgpr11_vgpr12
                                        ; implicit-def: $vgpr7_vgpr8
                                        ; implicit-def: $vgpr5_vgpr6
	s_and_saveexec_b32 s20, s2
	s_delay_alu instid0(SALU_CYCLE_1)
	s_xor_b32 s20, exec_lo, s20
	s_cbranch_execnz .LBB162_36
; %bb.10:                               ;   in Loop: Header=BB162_9 Depth=1
	s_and_not1_saveexec_b32 s20, s20
	s_cbranch_execnz .LBB162_37
.LBB162_11:                             ;   in Loop: Header=BB162_9 Depth=1
	s_or_b32 exec_lo, exec_lo, s20
	s_and_saveexec_b32 s20, s0
	s_cbranch_execz .LBB162_13
.LBB162_12:                             ;   in Loop: Header=BB162_9 Depth=1
	v_mov_b32_e32 v2, v1
	v_mov_b32_e32 v3, v1
	;; [unrolled: 1-line block ×3, first 2 shown]
	ds_store_b128 v51, v[1:4]
.LBB162_13:                             ;   in Loop: Header=BB162_9 Depth=1
	s_or_b32 exec_lo, exec_lo, s20
	ds_bpermute_b32 v2, v46, v7
	ds_bpermute_b32 v3, v46, v8
	;; [unrolled: 1-line block ×4, first 2 shown]
	s_waitcnt lgkmcnt(0)
	s_waitcnt_vscnt null, 0x0
	s_barrier
	buffer_gl0_inv
	v_add_f64 v[2:3], v[7:8], v[2:3]
	v_add_f64 v[4:5], v[5:6], v[34:35]
	ds_bpermute_b32 v6, v47, v2
	ds_bpermute_b32 v7, v47, v3
	ds_bpermute_b32 v34, v47, v4
	ds_bpermute_b32 v35, v47, v5
	s_waitcnt lgkmcnt(2)
	v_add_f64 v[2:3], v[2:3], v[6:7]
	s_waitcnt lgkmcnt(0)
	v_add_f64 v[4:5], v[4:5], v[34:35]
	ds_bpermute_b32 v6, v48, v2
	ds_bpermute_b32 v7, v48, v3
	ds_bpermute_b32 v34, v48, v4
	ds_bpermute_b32 v35, v48, v5
	s_waitcnt lgkmcnt(2)
	v_add_f64 v[2:3], v[2:3], v[6:7]
	s_waitcnt lgkmcnt(0)
	;; [unrolled: 8-line block ×3, first 2 shown]
	v_add_f64 v[6:7], v[4:5], v[34:35]
	ds_bpermute_b32 v4, v50, v2
	ds_bpermute_b32 v5, v50, v3
	;; [unrolled: 1-line block ×4, first 2 shown]
	s_and_saveexec_b32 s20, s4
	s_cbranch_execz .LBB162_15
; %bb.14:                               ;   in Loop: Header=BB162_9 Depth=1
	s_waitcnt lgkmcnt(0)
	v_add_f64 v[6:7], v[6:7], v[34:35]
	v_add_f64 v[4:5], v[2:3], v[4:5]
	ds_store_b128 v52, v[4:7]
.LBB162_15:                             ;   in Loop: Header=BB162_9 Depth=1
	s_or_b32 exec_lo, exec_lo, s20
	v_mov_b32_e32 v7, 0
	v_mov_b32_e32 v8, 0
	s_waitcnt lgkmcnt(2)
	s_delay_alu instid0(VALU_DEP_2)
	v_mov_b32_e32 v5, v7
	s_waitcnt lgkmcnt(0)
	s_barrier
	buffer_gl0_inv
	v_mov_b32_e32 v6, v8
	s_and_saveexec_b32 s20, s1
	s_cbranch_execnz .LBB162_44
; %bb.16:                               ;   in Loop: Header=BB162_9 Depth=1
	s_or_b32 exec_lo, exec_lo, s20
	s_and_saveexec_b32 s20, s0
	s_cbranch_execnz .LBB162_45
.LBB162_17:                             ;   in Loop: Header=BB162_9 Depth=1
	s_or_b32 exec_lo, exec_lo, s20
	s_and_saveexec_b32 s20, s0
	s_cbranch_execz .LBB162_19
.LBB162_18:                             ;   in Loop: Header=BB162_9 Depth=1
	v_mov_b32_e32 v2, v1
	v_mov_b32_e32 v3, v1
	;; [unrolled: 1-line block ×3, first 2 shown]
	ds_store_b128 v51, v[1:4]
.LBB162_19:                             ;   in Loop: Header=BB162_9 Depth=1
	s_or_b32 exec_lo, exec_lo, s20
	ds_bpermute_b32 v2, v46, v9
	ds_bpermute_b32 v3, v46, v10
	;; [unrolled: 1-line block ×4, first 2 shown]
	s_waitcnt lgkmcnt(0)
	s_barrier
	buffer_gl0_inv
	v_add_f64 v[2:3], v[9:10], v[2:3]
	v_add_f64 v[9:10], v[11:12], v[34:35]
	ds_bpermute_b32 v11, v47, v2
	ds_bpermute_b32 v12, v47, v3
	ds_bpermute_b32 v34, v47, v9
	ds_bpermute_b32 v35, v47, v10
	s_waitcnt lgkmcnt(2)
	v_add_f64 v[2:3], v[2:3], v[11:12]
	s_waitcnt lgkmcnt(0)
	v_add_f64 v[9:10], v[9:10], v[34:35]
	ds_bpermute_b32 v11, v48, v2
	ds_bpermute_b32 v12, v48, v3
	ds_bpermute_b32 v34, v48, v9
	ds_bpermute_b32 v35, v48, v10
	s_waitcnt lgkmcnt(2)
	v_add_f64 v[2:3], v[2:3], v[11:12]
	s_waitcnt lgkmcnt(0)
	;; [unrolled: 8-line block ×3, first 2 shown]
	v_add_f64 v[11:12], v[9:10], v[34:35]
	ds_bpermute_b32 v9, v50, v2
	ds_bpermute_b32 v10, v50, v3
	;; [unrolled: 1-line block ×4, first 2 shown]
	s_and_saveexec_b32 s20, s4
	s_cbranch_execz .LBB162_21
; %bb.20:                               ;   in Loop: Header=BB162_9 Depth=1
	s_waitcnt lgkmcnt(0)
	v_add_f64 v[11:12], v[11:12], v[34:35]
	v_add_f64 v[9:10], v[2:3], v[9:10]
	ds_store_b128 v52, v[9:12]
.LBB162_21:                             ;   in Loop: Header=BB162_9 Depth=1
	s_or_b32 exec_lo, exec_lo, s20
	v_mov_b32_e32 v11, 0
	v_mov_b32_e32 v12, 0
	s_waitcnt lgkmcnt(2)
	s_delay_alu instid0(VALU_DEP_2)
	v_mov_b32_e32 v9, v11
	s_waitcnt lgkmcnt(0)
	s_barrier
	buffer_gl0_inv
	v_mov_b32_e32 v10, v12
	s_and_saveexec_b32 s20, s1
	s_cbranch_execnz .LBB162_46
; %bb.22:                               ;   in Loop: Header=BB162_9 Depth=1
	s_or_b32 exec_lo, exec_lo, s20
	s_and_saveexec_b32 s20, s0
	s_cbranch_execnz .LBB162_47
.LBB162_23:                             ;   in Loop: Header=BB162_9 Depth=1
	s_or_b32 exec_lo, exec_lo, s20
	s_and_saveexec_b32 s20, s0
	s_cbranch_execz .LBB162_25
.LBB162_24:                             ;   in Loop: Header=BB162_9 Depth=1
	v_mov_b32_e32 v2, v1
	v_mov_b32_e32 v3, v1
	;; [unrolled: 1-line block ×3, first 2 shown]
	ds_store_b128 v51, v[1:4]
.LBB162_25:                             ;   in Loop: Header=BB162_9 Depth=1
	s_or_b32 exec_lo, exec_lo, s20
	ds_bpermute_b32 v2, v46, v13
	ds_bpermute_b32 v3, v46, v14
	;; [unrolled: 1-line block ×4, first 2 shown]
	s_waitcnt lgkmcnt(0)
	s_barrier
	buffer_gl0_inv
	v_add_f64 v[2:3], v[13:14], v[2:3]
	v_add_f64 v[13:14], v[15:16], v[34:35]
	ds_bpermute_b32 v15, v47, v2
	ds_bpermute_b32 v16, v47, v3
	ds_bpermute_b32 v34, v47, v13
	ds_bpermute_b32 v35, v47, v14
	s_waitcnt lgkmcnt(2)
	v_add_f64 v[2:3], v[2:3], v[15:16]
	s_waitcnt lgkmcnt(0)
	v_add_f64 v[13:14], v[13:14], v[34:35]
	ds_bpermute_b32 v15, v48, v2
	ds_bpermute_b32 v16, v48, v3
	ds_bpermute_b32 v34, v48, v13
	ds_bpermute_b32 v35, v48, v14
	s_waitcnt lgkmcnt(2)
	v_add_f64 v[2:3], v[2:3], v[15:16]
	s_waitcnt lgkmcnt(0)
	;; [unrolled: 8-line block ×3, first 2 shown]
	v_add_f64 v[15:16], v[13:14], v[34:35]
	ds_bpermute_b32 v13, v50, v2
	ds_bpermute_b32 v14, v50, v3
	;; [unrolled: 1-line block ×4, first 2 shown]
	s_and_saveexec_b32 s20, s4
	s_cbranch_execz .LBB162_27
; %bb.26:                               ;   in Loop: Header=BB162_9 Depth=1
	s_waitcnt lgkmcnt(0)
	v_add_f64 v[15:16], v[15:16], v[34:35]
	v_add_f64 v[13:14], v[2:3], v[13:14]
	ds_store_b128 v52, v[13:16]
.LBB162_27:                             ;   in Loop: Header=BB162_9 Depth=1
	s_or_b32 exec_lo, exec_lo, s20
	v_mov_b32_e32 v15, 0
	v_mov_b32_e32 v16, 0
	s_waitcnt lgkmcnt(2)
	s_delay_alu instid0(VALU_DEP_2)
	v_mov_b32_e32 v13, v15
	s_waitcnt lgkmcnt(0)
	s_barrier
	buffer_gl0_inv
	v_mov_b32_e32 v14, v16
	s_and_saveexec_b32 s20, s1
	s_cbranch_execnz .LBB162_48
; %bb.28:                               ;   in Loop: Header=BB162_9 Depth=1
	s_or_b32 exec_lo, exec_lo, s20
	s_and_saveexec_b32 s20, s0
	s_cbranch_execnz .LBB162_49
.LBB162_29:                             ;   in Loop: Header=BB162_9 Depth=1
	s_or_b32 exec_lo, exec_lo, s20
	s_and_saveexec_b32 s20, s0
	s_cbranch_execz .LBB162_31
.LBB162_30:                             ;   in Loop: Header=BB162_9 Depth=1
	v_mov_b32_e32 v2, v1
	v_mov_b32_e32 v3, v1
	v_mov_b32_e32 v4, v1
	ds_store_b128 v51, v[1:4]
.LBB162_31:                             ;   in Loop: Header=BB162_9 Depth=1
	s_or_b32 exec_lo, exec_lo, s20
	ds_bpermute_b32 v2, v46, v17
	ds_bpermute_b32 v3, v46, v18
	ds_bpermute_b32 v34, v46, v19
	ds_bpermute_b32 v35, v46, v20
	s_waitcnt lgkmcnt(0)
	s_barrier
	buffer_gl0_inv
	v_add_f64 v[2:3], v[17:18], v[2:3]
	v_add_f64 v[17:18], v[19:20], v[34:35]
	ds_bpermute_b32 v19, v47, v2
	ds_bpermute_b32 v20, v47, v3
	ds_bpermute_b32 v34, v47, v17
	ds_bpermute_b32 v35, v47, v18
	s_waitcnt lgkmcnt(2)
	v_add_f64 v[2:3], v[2:3], v[19:20]
	s_waitcnt lgkmcnt(0)
	v_add_f64 v[17:18], v[17:18], v[34:35]
	ds_bpermute_b32 v19, v48, v2
	ds_bpermute_b32 v20, v48, v3
	ds_bpermute_b32 v34, v48, v17
	ds_bpermute_b32 v35, v48, v18
	s_waitcnt lgkmcnt(2)
	v_add_f64 v[2:3], v[2:3], v[19:20]
	s_waitcnt lgkmcnt(0)
	;; [unrolled: 8-line block ×3, first 2 shown]
	v_add_f64 v[19:20], v[17:18], v[34:35]
	ds_bpermute_b32 v17, v50, v2
	ds_bpermute_b32 v18, v50, v3
	;; [unrolled: 1-line block ×4, first 2 shown]
	s_and_saveexec_b32 s20, s4
	s_cbranch_execz .LBB162_33
; %bb.32:                               ;   in Loop: Header=BB162_9 Depth=1
	s_waitcnt lgkmcnt(0)
	v_add_f64 v[19:20], v[19:20], v[34:35]
	v_add_f64 v[17:18], v[2:3], v[17:18]
	ds_store_b128 v52, v[17:20]
.LBB162_33:                             ;   in Loop: Header=BB162_9 Depth=1
	s_or_b32 exec_lo, exec_lo, s20
	v_mov_b32_e32 v19, 0
	v_mov_b32_e32 v20, 0
	s_waitcnt lgkmcnt(2)
	s_delay_alu instid0(VALU_DEP_2)
	v_mov_b32_e32 v17, v19
	s_waitcnt lgkmcnt(0)
	s_barrier
	buffer_gl0_inv
	v_mov_b32_e32 v18, v20
	s_and_saveexec_b32 s20, s1
	s_cbranch_execnz .LBB162_50
; %bb.34:                               ;   in Loop: Header=BB162_9 Depth=1
	s_or_b32 exec_lo, exec_lo, s20
	s_and_saveexec_b32 s20, s0
	s_cbranch_execnz .LBB162_51
.LBB162_35:                             ;   in Loop: Header=BB162_9 Depth=1
	s_or_b32 exec_lo, exec_lo, s20
	s_and_saveexec_b32 s23, s5
	s_cbranch_execz .LBB162_8
	s_branch .LBB162_52
.LBB162_36:                             ;   in Loop: Header=BB162_9 Depth=1
	s_clause 0x2
	global_load_b128 v[2:5], v[28:29], off
	global_load_b128 v[6:9], v[30:31], off
	;; [unrolled: 1-line block ×3, first 2 shown]
	s_mul_i32 s26, s37, s25
	global_load_b128 v[56:59], v[26:27], off
	s_ashr_i32 s27, s26, 31
	s_add_i32 s28, s26, s25
	s_lshl_b64 s[26:27], s[26:27], 4
	s_ashr_i32 s29, s28, 31
	s_waitcnt lgkmcnt(0)
	v_add_co_u32 v18, vcc_lo, v39, s26
	s_add_i32 s30, s28, s25
	v_add_co_ci_u32_e32 v19, vcc_lo, s27, v40, vcc_lo
	s_lshl_b64 s[26:27], s[28:29], 4
	s_ashr_i32 s31, s30, 31
	s_add_i32 s28, s30, s25
	v_add_co_u32 v34, vcc_lo, v39, s26
	s_lshl_b64 s[30:31], s[30:31], 4
	v_add_co_ci_u32_e32 v35, vcc_lo, s27, v40, vcc_lo
	s_ashr_i32 s29, s28, 31
	v_add_co_u32 v112, vcc_lo, v39, s30
	s_lshl_b64 s[26:27], s[28:29], 4
	v_add_co_ci_u32_e32 v113, vcc_lo, s31, v40, vcc_lo
	v_add_co_u32 v116, vcc_lo, v39, s26
	v_add_co_ci_u32_e32 v117, vcc_lo, s27, v40, vcc_lo
	s_clause 0x4
	global_load_b128 v[14:17], v[18:19], off
	global_load_b128 v[60:63], v[34:35], off
	global_load_b128 v[64:67], v[112:113], off
	global_load_b128 v[68:71], v[116:117], off
	global_load_b128 v[72:75], v[18:19], off offset:16
	s_waitcnt vmcnt(8)
	scratch_store_b128 v36, v[2:5], off
	scratch_load_b128 v[2:5], off, off offset:16
	s_clause 0x2
	global_load_b128 v[76:79], v[34:35], off offset:16
	global_load_b128 v[80:83], v[112:113], off offset:16
	;; [unrolled: 1-line block ×3, first 2 shown]
	s_waitcnt vmcnt(11)
	scratch_store_b128 v37, v[6:9], off
	scratch_load_b128 v[6:9], off, off offset:32
	s_clause 0x4
	global_load_b128 v[88:91], v[18:19], off offset:32
	global_load_b128 v[92:95], v[34:35], off offset:32
	;; [unrolled: 1-line block ×5, first 2 shown]
	s_waitcnt vmcnt(16)
	scratch_store_b128 v38, v[10:13], off
	scratch_load_b128 v[10:13], off, off offset:48
	s_clause 0x2
	global_load_b128 v[108:111], v[34:35], off offset:48
	global_load_b128 v[112:115], v[112:113], off offset:48
	;; [unrolled: 1-line block ×3, first 2 shown]
	s_waitcnt vmcnt(19)
	scratch_store_b128 off, v[56:59], off
	s_waitcnt vmcnt(18)
	v_mul_f64 v[18:19], v[58:59], v[16:17]
	v_mul_f64 v[16:17], v[56:57], v[16:17]
	s_waitcnt vmcnt(17)
	v_mul_f64 v[34:35], v[58:59], v[62:63]
	v_mul_f64 v[62:63], v[56:57], v[62:63]
	;; [unrolled: 3-line block ×4, first 2 shown]
	v_fma_f64 v[18:19], v[56:57], v[14:15], -v[18:19]
	v_fma_f64 v[14:15], v[58:59], v[14:15], v[16:17]
	v_fma_f64 v[34:35], v[56:57], v[60:61], -v[34:35]
	v_fma_f64 v[60:61], v[58:59], v[60:61], v[62:63]
	;; [unrolled: 2-line block ×4, first 2 shown]
	v_add_f64 v[18:19], v[18:19], 0
	v_add_f64 v[14:15], v[14:15], 0
	;; [unrolled: 1-line block ×7, first 2 shown]
	s_waitcnt vmcnt(13)
	v_mul_f64 v[16:17], v[4:5], v[74:75]
	v_mul_f64 v[74:75], v[2:3], v[74:75]
	s_waitcnt vmcnt(12)
	v_mul_f64 v[124:125], v[4:5], v[78:79]
	v_mul_f64 v[78:79], v[2:3], v[78:79]
	;; [unrolled: 3-line block ×5, first 2 shown]
	s_waitcnt vmcnt(7)
	v_mul_f64 v[126:127], v[8:9], v[94:95]
	v_fma_f64 v[16:17], v[2:3], v[72:73], -v[16:17]
	v_fma_f64 v[72:73], v[4:5], v[72:73], v[74:75]
	v_mul_f64 v[74:75], v[6:7], v[94:95]
	s_waitcnt vmcnt(6)
	v_mul_f64 v[94:95], v[8:9], v[98:99]
	v_fma_f64 v[124:125], v[2:3], v[76:77], -v[124:125]
	v_fma_f64 v[76:77], v[4:5], v[76:77], v[78:79]
	v_mul_f64 v[78:79], v[6:7], v[98:99]
	;; [unrolled: 5-line block ×3, first 2 shown]
	v_add_f64 v[102:103], v[120:121], 0
	v_fma_f64 v[2:3], v[2:3], v[84:85], -v[70:71]
	v_fma_f64 v[4:5], v[4:5], v[84:85], v[86:87]
	s_waitcnt vmcnt(3)
	v_mul_f64 v[70:71], v[12:13], v[106:107]
	v_mul_f64 v[84:85], v[10:11], v[106:107]
	s_waitcnt vmcnt(2)
	v_mul_f64 v[86:87], v[12:13], v[110:111]
	v_mul_f64 v[106:107], v[10:11], v[110:111]
	s_waitcnt vmcnt(1)
	v_mul_f64 v[110:111], v[12:13], v[114:115]
	v_fma_f64 v[120:121], v[6:7], v[88:89], -v[122:123]
	v_fma_f64 v[88:89], v[8:9], v[88:89], v[90:91]
	v_mul_f64 v[90:91], v[10:11], v[114:115]
	s_waitcnt vmcnt(0)
	v_mul_f64 v[114:115], v[12:13], v[118:119]
	v_fma_f64 v[122:123], v[6:7], v[92:93], -v[126:127]
	v_add_f64 v[16:17], v[18:19], v[16:17]
	v_add_f64 v[14:15], v[14:15], v[72:73]
	v_fma_f64 v[74:75], v[8:9], v[92:93], v[74:75]
	v_mul_f64 v[92:93], v[10:11], v[118:119]
	v_fma_f64 v[94:95], v[6:7], v[96:97], -v[94:95]
	v_add_f64 v[18:19], v[34:35], v[124:125]
	v_fma_f64 v[78:79], v[8:9], v[96:97], v[78:79]
	v_fma_f64 v[6:7], v[6:7], v[100:101], -v[98:99]
	v_add_f64 v[34:35], v[60:61], v[76:77]
	v_fma_f64 v[8:9], v[8:9], v[100:101], v[82:83]
	v_add_f64 v[60:61], v[102:103], v[62:63]
	v_add_f64 v[62:63], v[64:65], v[80:81]
	;; [unrolled: 1-line block ×4, first 2 shown]
	v_fma_f64 v[64:65], v[10:11], v[104:105], -v[70:71]
	v_fma_f64 v[66:67], v[12:13], v[104:105], v[84:85]
	v_fma_f64 v[68:69], v[10:11], v[108:109], -v[86:87]
	v_fma_f64 v[70:71], v[12:13], v[108:109], v[106:107]
	;; [unrolled: 2-line block ×3, first 2 shown]
	v_fma_f64 v[80:81], v[10:11], v[116:117], -v[114:115]
	v_add_f64 v[10:11], v[16:17], v[120:121]
	v_fma_f64 v[82:83], v[12:13], v[116:117], v[92:93]
	v_add_f64 v[12:13], v[14:15], v[88:89]
	v_add_f64 v[14:15], v[18:19], v[122:123]
	;; [unrolled: 1-line block ×15, first 2 shown]
	s_and_not1_saveexec_b32 s20, s20
	s_cbranch_execz .LBB162_11
.LBB162_37:                             ;   in Loop: Header=BB162_9 Depth=1
	s_waitcnt lgkmcnt(0)
	v_mov_b32_e32 v17, 0
	v_mov_b32_e32 v18, 0
	s_delay_alu instid0(VALU_DEP_2) | instskip(SKIP_2) | instid1(VALU_DEP_4)
	v_mov_b32_e32 v13, v17
	v_mov_b32_e32 v15, v17
	;; [unrolled: 1-line block ×3, first 2 shown]
	v_dual_mov_b32 v11, v17 :: v_dual_mov_b32 v12, v18
	v_dual_mov_b32 v20, v18 :: v_dual_mov_b32 v19, v17
	v_mov_b32_e32 v14, v18
	v_mov_b32_e32 v16, v18
	v_dual_mov_b32 v10, v18 :: v_dual_mov_b32 v7, v17
	v_dual_mov_b32 v8, v18 :: v_dual_mov_b32 v5, v17
	v_mov_b32_e32 v6, v18
	s_and_saveexec_b32 s45, s3
	s_cbranch_execz .LBB162_43
; %bb.38:                               ;   in Loop: Header=BB162_9 Depth=1
	v_mov_b32_e32 v17, 0
	v_mov_b32_e32 v18, 0
	s_delay_alu instid0(VALU_DEP_2) | instskip(SKIP_2) | instid1(VALU_DEP_4)
	v_mov_b32_e32 v13, v17
	v_mov_b32_e32 v15, v17
	;; [unrolled: 1-line block ×3, first 2 shown]
	v_dual_mov_b32 v11, v17 :: v_dual_mov_b32 v12, v18
	v_dual_mov_b32 v20, v18 :: v_dual_mov_b32 v19, v17
	v_mov_b32_e32 v14, v18
	v_mov_b32_e32 v16, v18
	v_dual_mov_b32 v10, v18 :: v_dual_mov_b32 v7, v17
	v_dual_mov_b32 v8, v18 :: v_dual_mov_b32 v5, v17
	v_mov_b32_e32 v6, v18
	s_and_not1_b32 vcc_lo, exec_lo, s40
	s_cbranch_vccnz .LBB162_43
; %bb.39:                               ;   in Loop: Header=BB162_9 Depth=1
	v_mov_b32_e32 v4, 0
	v_mov_b32_e32 v2, v25
	s_mov_b32 s23, s36
.LBB162_40:                             ;   Parent Loop BB162_9 Depth=1
                                        ; =>  This Inner Loop Header: Depth=2
	s_delay_alu instid0(VALU_DEP_1) | instskip(SKIP_1) | instid1(SALU_CYCLE_1)
	v_ashrrev_i32_e32 v3, 31, v2
	s_add_i32 s23, s23, -1
	s_cmp_eq_u32 s23, 0
	s_delay_alu instid0(VALU_DEP_1) | instskip(SKIP_1) | instid1(VALU_DEP_2)
	v_lshlrev_b64 v[5:6], 4, v[2:3]
	v_add_nc_u32_e32 v2, s33, v2
	v_add_co_u32 v5, vcc_lo, s34, v5
	s_delay_alu instid0(VALU_DEP_3)
	v_add_co_ci_u32_e32 v6, vcc_lo, s35, v6, vcc_lo
	global_load_b128 v[5:8], v[5:6], off
	s_waitcnt vmcnt(0)
	scratch_store_b128 v4, v[5:8], off
	v_add_nc_u32_e32 v4, 16, v4
	s_cbranch_scc0 .LBB162_40
; %bb.41:                               ;   in Loop: Header=BB162_9 Depth=1
	s_ashr_i32 s23, s22, 31
	v_dual_mov_b32 v5, 0 :: v_dual_mov_b32 v4, v53
	v_mov_b32_e32 v6, 0
	s_lshl_b64 s[26:27], s[22:23], 4
	s_mov_b32 s28, s42
	v_add_co_u32 v2, vcc_lo, v54, s26
	v_add_co_ci_u32_e32 v3, vcc_lo, s27, v55, vcc_lo
	v_dual_mov_b32 v8, v6 :: v_dual_mov_b32 v7, v5
	v_dual_mov_b32 v12, v6 :: v_dual_mov_b32 v11, v5
	;; [unrolled: 1-line block ×7, first 2 shown]
	s_mov_b32 s26, s43
	s_mov_b32 s30, s44
	;; [unrolled: 1-line block ×3, first 2 shown]
.LBB162_42:                             ;   Parent Loop BB162_9 Depth=1
                                        ; =>  This Inner Loop Header: Depth=2
	s_ashr_i32 s31, s30, 31
	s_ashr_i32 s29, s28, 31
	s_lshl_b64 s[46:47], s[30:31], 4
	s_lshl_b64 s[48:49], s[28:29], 4
	v_add_co_u32 v34, vcc_lo, v39, s46
	s_ashr_i32 s27, s26, 31
	v_add_co_ci_u32_e32 v35, vcc_lo, s47, v40, vcc_lo
	v_add_co_u32 v68, vcc_lo, v39, s48
	s_lshl_b64 s[50:51], s[26:27], 4
	v_add_co_ci_u32_e32 v69, vcc_lo, s49, v40, vcc_lo
	v_add_co_u32 v72, vcc_lo, v39, s50
	v_add_co_ci_u32_e32 v73, vcc_lo, s51, v40, vcc_lo
	scratch_load_b128 v[56:59], v4, off offset:-8
	global_load_b128 v[60:63], v[2:3], off offset:-8
	s_clause 0x2
	global_load_b128 v[64:67], v[34:35], off
	global_load_b128 v[68:71], v[68:69], off
	;; [unrolled: 1-line block ×3, first 2 shown]
	v_add_co_u32 v2, vcc_lo, v2, 16
	v_add_nc_u32_e32 v4, 16, v4
	v_add_co_ci_u32_e32 v3, vcc_lo, 0, v3, vcc_lo
	s_add_i32 s23, s23, -1
	s_add_i32 s30, s30, 1
	s_add_i32 s28, s28, 1
	;; [unrolled: 1-line block ×3, first 2 shown]
	s_cmp_lg_u32 s23, 0
	s_waitcnt vmcnt(2)
	v_mul_f64 v[76:77], v[58:59], v[66:67]
	v_mul_f64 v[34:35], v[58:59], v[62:63]
	;; [unrolled: 1-line block ×4, first 2 shown]
	s_waitcnt vmcnt(1)
	v_mul_f64 v[78:79], v[58:59], v[70:71]
	v_mul_f64 v[70:71], v[56:57], v[70:71]
	s_waitcnt vmcnt(0)
	v_mul_f64 v[80:81], v[58:59], v[74:75]
	v_mul_f64 v[74:75], v[56:57], v[74:75]
	v_fma_f64 v[34:35], v[56:57], v[60:61], -v[34:35]
	v_fma_f64 v[60:61], v[58:59], v[60:61], v[62:63]
	v_fma_f64 v[62:63], v[56:57], v[64:65], -v[76:77]
	v_fma_f64 v[64:65], v[58:59], v[64:65], v[66:67]
	;; [unrolled: 2-line block ×4, first 2 shown]
	v_add_f64 v[7:8], v[7:8], v[34:35]
	v_add_f64 v[5:6], v[5:6], v[60:61]
	;; [unrolled: 1-line block ×8, first 2 shown]
	s_cbranch_scc1 .LBB162_42
.LBB162_43:                             ;   in Loop: Header=BB162_9 Depth=1
	s_or_b32 exec_lo, exec_lo, s45
	s_delay_alu instid0(SALU_CYCLE_1)
	s_or_b32 exec_lo, exec_lo, s20
	s_and_saveexec_b32 s20, s0
	s_cbranch_execnz .LBB162_12
	s_branch .LBB162_13
.LBB162_44:                             ;   in Loop: Header=BB162_9 Depth=1
	ds_load_b128 v[5:8], v51
	s_or_b32 exec_lo, exec_lo, s20
	s_and_saveexec_b32 s20, s0
	s_cbranch_execz .LBB162_17
.LBB162_45:                             ;   in Loop: Header=BB162_9 Depth=1
	s_waitcnt lgkmcnt(0)
	ds_bpermute_b32 v2, v48, v5
	ds_bpermute_b32 v3, v48, v6
	ds_bpermute_b32 v34, v48, v7
	ds_bpermute_b32 v35, v48, v8
	s_waitcnt lgkmcnt(2)
	v_add_f64 v[2:3], v[5:6], v[2:3]
	s_waitcnt lgkmcnt(0)
	v_add_f64 v[4:5], v[7:8], v[34:35]
	ds_bpermute_b32 v6, v49, v2
	ds_bpermute_b32 v7, v49, v3
	ds_bpermute_b32 v34, v49, v4
	ds_bpermute_b32 v35, v49, v5
	s_waitcnt lgkmcnt(2)
	v_add_f64 v[2:3], v[2:3], v[6:7]
	s_waitcnt lgkmcnt(0)
	v_add_f64 v[7:8], v[4:5], v[34:35]
	;; [unrolled: 8-line block ×3, first 2 shown]
	s_or_b32 exec_lo, exec_lo, s20
	s_and_saveexec_b32 s20, s0
	s_cbranch_execnz .LBB162_18
	s_branch .LBB162_19
.LBB162_46:                             ;   in Loop: Header=BB162_9 Depth=1
	ds_load_b128 v[9:12], v51
	s_or_b32 exec_lo, exec_lo, s20
	s_and_saveexec_b32 s20, s0
	s_cbranch_execz .LBB162_23
.LBB162_47:                             ;   in Loop: Header=BB162_9 Depth=1
	s_waitcnt lgkmcnt(0)
	ds_bpermute_b32 v2, v48, v9
	ds_bpermute_b32 v3, v48, v10
	ds_bpermute_b32 v34, v48, v11
	ds_bpermute_b32 v35, v48, v12
	s_waitcnt lgkmcnt(2)
	v_add_f64 v[2:3], v[9:10], v[2:3]
	s_waitcnt lgkmcnt(0)
	v_add_f64 v[9:10], v[11:12], v[34:35]
	ds_bpermute_b32 v11, v49, v2
	ds_bpermute_b32 v12, v49, v3
	ds_bpermute_b32 v34, v49, v9
	ds_bpermute_b32 v35, v49, v10
	s_waitcnt lgkmcnt(2)
	v_add_f64 v[2:3], v[2:3], v[11:12]
	s_waitcnt lgkmcnt(0)
	v_add_f64 v[11:12], v[9:10], v[34:35]
	;; [unrolled: 8-line block ×3, first 2 shown]
	s_or_b32 exec_lo, exec_lo, s20
	s_and_saveexec_b32 s20, s0
	s_cbranch_execnz .LBB162_24
	s_branch .LBB162_25
.LBB162_48:                             ;   in Loop: Header=BB162_9 Depth=1
	ds_load_b128 v[13:16], v51
	s_or_b32 exec_lo, exec_lo, s20
	s_and_saveexec_b32 s20, s0
	s_cbranch_execz .LBB162_29
.LBB162_49:                             ;   in Loop: Header=BB162_9 Depth=1
	s_waitcnt lgkmcnt(0)
	ds_bpermute_b32 v2, v48, v13
	ds_bpermute_b32 v3, v48, v14
	ds_bpermute_b32 v34, v48, v15
	ds_bpermute_b32 v35, v48, v16
	s_waitcnt lgkmcnt(2)
	v_add_f64 v[2:3], v[13:14], v[2:3]
	s_waitcnt lgkmcnt(0)
	v_add_f64 v[13:14], v[15:16], v[34:35]
	ds_bpermute_b32 v15, v49, v2
	ds_bpermute_b32 v16, v49, v3
	ds_bpermute_b32 v34, v49, v13
	ds_bpermute_b32 v35, v49, v14
	s_waitcnt lgkmcnt(2)
	v_add_f64 v[2:3], v[2:3], v[15:16]
	s_waitcnt lgkmcnt(0)
	v_add_f64 v[15:16], v[13:14], v[34:35]
	;; [unrolled: 8-line block ×3, first 2 shown]
	s_or_b32 exec_lo, exec_lo, s20
	s_and_saveexec_b32 s20, s0
	s_cbranch_execnz .LBB162_30
	s_branch .LBB162_31
.LBB162_50:                             ;   in Loop: Header=BB162_9 Depth=1
	ds_load_b128 v[17:20], v51
	s_or_b32 exec_lo, exec_lo, s20
	s_and_saveexec_b32 s20, s0
	s_cbranch_execz .LBB162_35
.LBB162_51:                             ;   in Loop: Header=BB162_9 Depth=1
	s_waitcnt lgkmcnt(0)
	ds_bpermute_b32 v2, v48, v17
	ds_bpermute_b32 v3, v48, v18
	ds_bpermute_b32 v34, v48, v19
	ds_bpermute_b32 v35, v48, v20
	s_waitcnt lgkmcnt(2)
	v_add_f64 v[2:3], v[17:18], v[2:3]
	s_waitcnt lgkmcnt(0)
	v_add_f64 v[17:18], v[19:20], v[34:35]
	ds_bpermute_b32 v19, v49, v2
	ds_bpermute_b32 v20, v49, v3
	ds_bpermute_b32 v34, v49, v17
	ds_bpermute_b32 v35, v49, v18
	s_waitcnt lgkmcnt(2)
	v_add_f64 v[2:3], v[2:3], v[19:20]
	s_waitcnt lgkmcnt(0)
	v_add_f64 v[19:20], v[17:18], v[34:35]
	;; [unrolled: 8-line block ×3, first 2 shown]
	s_or_b32 exec_lo, exec_lo, s20
	s_and_saveexec_b32 s23, s5
	s_cbranch_execz .LBB162_8
.LBB162_52:                             ;   in Loop: Header=BB162_9 Depth=1
	v_mul_f64 v[2:3], s[18:19], v[7:8]
	v_mul_f64 v[7:8], s[16:17], v[7:8]
	;; [unrolled: 1-line block ×6, first 2 shown]
	s_waitcnt lgkmcnt(0)
	v_mul_f64 v[58:59], s[18:19], v[19:20]
	v_mul_f64 v[19:20], s[16:17], v[19:20]
	s_mul_i32 s20, s37, s24
	s_delay_alu instid0(SALU_CYCLE_1) | instskip(NEXT) | instid1(SALU_CYCLE_1)
	s_add_i32 s20, s20, s14
	s_lshl_b64 s[26:27], s[20:21], 4
	s_delay_alu instid0(SALU_CYCLE_1) | instskip(SKIP_2) | instid1(SALU_CYCLE_1)
	s_add_u32 s26, s38, s26
	s_addc_u32 s27, s39, s27
	s_add_i32 s20, s20, s24
	s_lshl_b64 s[28:29], s[20:21], 4
	s_delay_alu instid0(SALU_CYCLE_1) | instskip(SKIP_2) | instid1(SALU_CYCLE_1)
	s_add_u32 s28, s38, s28
	s_addc_u32 s29, s39, s29
	;; [unrolled: 5-line block ×3, first 2 shown]
	s_add_i32 s20, s20, s24
	s_lshl_b64 s[46:47], s[20:21], 4
	s_delay_alu instid0(SALU_CYCLE_1)
	s_add_u32 s46, s38, s46
	s_addc_u32 s47, s39, s47
	v_fma_f64 v[2:3], s[16:17], v[5:6], -v[2:3]
	v_fma_f64 v[4:5], s[18:19], v[5:6], v[7:8]
	v_fma_f64 v[6:7], s[16:17], v[9:10], -v[34:35]
	v_fma_f64 v[8:9], s[18:19], v[9:10], v[11:12]
	;; [unrolled: 2-line block ×4, first 2 shown]
	s_clause 0x3
	global_store_b128 v1, v[2:5], s[26:27]
	global_store_b128 v1, v[6:9], s[28:29]
	;; [unrolled: 1-line block ×4, first 2 shown]
	s_branch .LBB162_8
.LBB162_53:
	s_mov_b32 s37, 0
.LBB162_54:
	s_delay_alu instid0(SALU_CYCLE_1)
	s_cmp_ge_i32 s37, s13
	s_cbranch_scc1 .LBB162_76
; %bb.55:
	v_cmp_gt_u32_e64 s1, 16, v42
	s_waitcnt lgkmcnt(0)
	v_lshlrev_b32_e32 v17, 4, v22
	v_cmp_gt_u32_e64 s0, 32, v0
	v_cmp_gt_u32_e64 s2, 8, v0
	v_cmp_eq_u32_e64 s3, 0, v0
	v_cndmask_b32_e64 v1, 0, 1, s1
	v_cmp_gt_u32_e64 s1, 24, v42
	v_cmp_ge_i32_e64 s4, s12, v45
	s_cmp_gt_i32 s36, 0
	s_mov_b32 s15, 0
	v_lshlrev_b32_e32 v1, 4, v1
	v_cndmask_b32_e64 v2, 0, 1, s1
	v_cmp_gt_u32_e64 s1, 28, v42
	s_cselect_b32 s20, -1, 0
	s_lshl_b64 s[14:15], s[14:15], 4
	v_add_lshl_u32 v18, v1, v42, 2
	v_lshlrev_b32_e32 v2, 3, v2
	v_cndmask_b32_e64 v3, 0, 1, s1
	v_cmp_gt_u32_e64 s1, 30, v42
	v_add_nc_u32_e32 v1, s33, v21
	v_cmp_ge_i32_e32 vcc_lo, s12, v44
	v_add_lshl_u32 v19, v2, v42, 2
	v_lshlrev_b32_e32 v3, 2, v3
	v_cndmask_b32_e64 v4, 0, 1, s1
	v_cmp_ne_u32_e64 s1, 31, v42
	v_ashrrev_i32_e32 v2, 31, v1
	v_add_nc_u32_e32 v0, s33, v1
	v_add_lshl_u32 v20, v3, v42, 2
	v_lshlrev_b32_e32 v4, 1, v4
	v_add_co_ci_u32_e64 v5, s1, 0, v42, s1
	v_cmp_eq_u32_e64 s1, 0, v22
	v_ashrrev_i32_e32 v22, 31, v21
	s_delay_alu instid0(VALU_DEP_4)
	v_add_lshl_u32 v25, v4, v42, 2
	v_lshlrev_b64 v[7:8], 4, v[1:2]
	v_ashrrev_i32_e32 v1, 31, v0
	v_lshlrev_b32_e32 v26, 2, v5
	v_lshlrev_b64 v[3:4], 4, v[21:22]
	s_add_u32 s12, s38, s14
	s_addc_u32 s14, s39, s15
	v_lshlrev_b64 v[1:2], 4, v[0:1]
	v_and_b32_e32 v27, 0x70, v43
	s_delay_alu instid0(VALU_DEP_3) | instskip(SKIP_3) | instid1(VALU_DEP_1)
	v_add_co_u32 v5, s5, s34, v3
	v_add_nc_u32_e32 v3, s33, v0
	v_add_co_ci_u32_e64 v6, s5, s35, v4, s5
	v_add_co_u32 v7, s5, s34, v7
	v_add_co_ci_u32_e64 v8, s5, s35, v8, s5
	s_delay_alu instid0(VALU_DEP_4) | instskip(SKIP_1) | instid1(VALU_DEP_1)
	v_ashrrev_i32_e32 v4, 31, v3
	v_add_co_u32 v9, s5, s34, v1
	v_add_co_ci_u32_e64 v10, s5, s35, v2, s5
	s_and_b32 s5, s20, s4
	s_add_u32 s4, s6, s10
	v_lshlrev_b64 v[0:1], 4, v[3:4]
	s_addc_u32 s6, s7, s11
	s_add_u32 s4, s8, s4
	s_addc_u32 s6, s9, s6
	v_add_co_u32 v2, s4, s4, v23
	s_delay_alu instid0(VALU_DEP_1) | instskip(SKIP_4) | instid1(VALU_DEP_1)
	v_add_co_ci_u32_e64 v3, s4, s6, v24, s4
	v_add_co_u32 v11, s4, s34, v0
	v_mov_b32_e32 v0, 0
	v_add_co_ci_u32_e64 v12, s4, s35, v1, s4
	v_add_co_u32 v22, s4, v2, 8
	v_add_co_ci_u32_e64 v23, s4, 0, v3, s4
	s_mul_i32 s6, s37, s25
	s_branch .LBB162_57
.LBB162_56:                             ;   in Loop: Header=BB162_57 Depth=1
	s_or_b32 exec_lo, exec_lo, s4
	s_add_i32 s37, s37, 1
	s_add_i32 s6, s6, s25
	s_cmp_lt_i32 s37, s13
	s_cbranch_scc0 .LBB162_76
.LBB162_57:                             ; =>This Loop Header: Depth=1
                                        ;     Child Loop BB162_69 Depth 2
                                        ;     Child Loop BB162_71 Depth 2
                                        ; implicit-def: $vgpr13_vgpr14
                                        ; implicit-def: $vgpr15_vgpr16
	s_and_saveexec_b32 s4, vcc_lo
	s_delay_alu instid0(SALU_CYCLE_1)
	s_xor_b32 s7, exec_lo, s4
	s_cbranch_execnz .LBB162_66
; %bb.58:                               ;   in Loop: Header=BB162_57 Depth=1
	s_and_not1_saveexec_b32 s8, s7
	s_cbranch_execnz .LBB162_67
.LBB162_59:                             ;   in Loop: Header=BB162_57 Depth=1
	s_or_b32 exec_lo, exec_lo, s8
	s_and_saveexec_b32 s4, s0
	s_cbranch_execz .LBB162_61
.LBB162_60:                             ;   in Loop: Header=BB162_57 Depth=1
	s_waitcnt lgkmcnt(0)
	v_mov_b32_e32 v1, v0
	v_mov_b32_e32 v2, v0
	;; [unrolled: 1-line block ×3, first 2 shown]
	ds_store_b128 v17, v[0:3]
.LBB162_61:                             ;   in Loop: Header=BB162_57 Depth=1
	s_or_b32 exec_lo, exec_lo, s4
	s_waitcnt lgkmcnt(0)
	ds_bpermute_b32 v1, v18, v13
	ds_bpermute_b32 v2, v18, v14
	;; [unrolled: 1-line block ×4, first 2 shown]
	s_waitcnt lgkmcnt(0)
	s_waitcnt_vscnt null, 0x0
	s_barrier
	buffer_gl0_inv
	v_add_f64 v[1:2], v[13:14], v[1:2]
	v_add_f64 v[3:4], v[15:16], v[3:4]
	ds_bpermute_b32 v13, v19, v1
	ds_bpermute_b32 v14, v19, v2
	ds_bpermute_b32 v15, v19, v3
	ds_bpermute_b32 v16, v19, v4
	s_waitcnt lgkmcnt(2)
	v_add_f64 v[1:2], v[1:2], v[13:14]
	s_waitcnt lgkmcnt(0)
	v_add_f64 v[3:4], v[3:4], v[15:16]
	ds_bpermute_b32 v13, v20, v1
	ds_bpermute_b32 v14, v20, v2
	ds_bpermute_b32 v15, v20, v3
	ds_bpermute_b32 v16, v20, v4
	s_waitcnt lgkmcnt(2)
	v_add_f64 v[1:2], v[1:2], v[13:14]
	s_waitcnt lgkmcnt(0)
	;; [unrolled: 8-line block ×3, first 2 shown]
	v_add_f64 v[13:14], v[3:4], v[15:16]
	ds_bpermute_b32 v3, v26, v1
	ds_bpermute_b32 v4, v26, v2
	;; [unrolled: 1-line block ×4, first 2 shown]
	s_and_saveexec_b32 s4, s1
	s_cbranch_execz .LBB162_63
; %bb.62:                               ;   in Loop: Header=BB162_57 Depth=1
	s_waitcnt lgkmcnt(0)
	v_add_f64 v[15:16], v[13:14], v[15:16]
	v_add_f64 v[13:14], v[1:2], v[3:4]
	ds_store_b128 v27, v[13:16]
.LBB162_63:                             ;   in Loop: Header=BB162_57 Depth=1
	s_or_b32 exec_lo, exec_lo, s4
	s_waitcnt lgkmcnt(2)
	v_mov_b32_e32 v3, 0
	v_mov_b32_e32 v4, 0
	s_delay_alu instid0(VALU_DEP_2)
	v_mov_b32_e32 v1, v3
	s_waitcnt lgkmcnt(0)
	s_barrier
	buffer_gl0_inv
	v_mov_b32_e32 v2, v4
	s_and_saveexec_b32 s4, s2
	s_cbranch_execnz .LBB162_73
; %bb.64:                               ;   in Loop: Header=BB162_57 Depth=1
	s_or_b32 exec_lo, exec_lo, s4
	s_and_saveexec_b32 s4, s0
	s_cbranch_execnz .LBB162_74
.LBB162_65:                             ;   in Loop: Header=BB162_57 Depth=1
	s_or_b32 exec_lo, exec_lo, s4
	s_and_saveexec_b32 s4, s3
	s_cbranch_execz .LBB162_56
	s_branch .LBB162_75
.LBB162_66:                             ;   in Loop: Header=BB162_57 Depth=1
	s_waitcnt lgkmcnt(0)
	s_clause 0x2
	global_load_b128 v[1:4], v[7:8], off
	global_load_b128 v[13:16], v[9:10], off
	;; [unrolled: 1-line block ×3, first 2 shown]
	s_mul_i32 s8, s37, s25
	s_delay_alu instid0(SALU_CYCLE_1) | instskip(NEXT) | instid1(SALU_CYCLE_1)
	s_ashr_i32 s9, s8, 31
	s_lshl_b64 s[8:9], s[8:9], 4
	s_delay_alu instid0(SALU_CYCLE_1) | instskip(NEXT) | instid1(VALU_DEP_1)
	v_add_co_u32 v54, s4, v39, s8
	v_add_co_ci_u32_e64 v55, s4, s9, v40, s4
	global_load_b128 v[32:35], v[5:6], off
	s_clause 0x1
	global_load_b128 v[42:45], v[54:55], off
	global_load_b128 v[46:49], v[54:55], off offset:16
	s_waitcnt vmcnt(5)
	scratch_store_b128 v36, v[1:4], off
	scratch_load_b128 v[1:4], off, off offset:16
	global_load_b128 v[50:53], v[54:55], off offset:32
	s_waitcnt vmcnt(6)
	scratch_store_b128 v37, v[13:16], off
	scratch_load_b128 v[13:16], off, off offset:32
	;; [unrolled: 4-line block ×3, first 2 shown]
	s_waitcnt vmcnt(7)
	scratch_store_b128 off, v[32:35], off
	s_waitcnt vmcnt(6)
	v_mul_f64 v[58:59], v[44:45], v[34:35]
	v_mul_f64 v[60:61], v[42:43], v[34:35]
	s_delay_alu instid0(VALU_DEP_2) | instskip(NEXT) | instid1(VALU_DEP_2)
	v_fma_f64 v[42:43], v[42:43], v[32:33], -v[58:59]
	v_fma_f64 v[44:45], v[44:45], v[32:33], v[60:61]
	s_delay_alu instid0(VALU_DEP_2) | instskip(NEXT) | instid1(VALU_DEP_2)
	v_add_f64 v[42:43], v[42:43], 0
	v_add_f64 v[44:45], v[44:45], 0
	s_waitcnt vmcnt(4)
	v_mul_f64 v[58:59], v[48:49], v[3:4]
	v_mul_f64 v[3:4], v[46:47], v[3:4]
	s_waitcnt vmcnt(2)
	v_mul_f64 v[60:61], v[52:53], v[15:16]
	v_mul_f64 v[15:16], v[50:51], v[15:16]
	s_delay_alu instid0(VALU_DEP_4) | instskip(NEXT) | instid1(VALU_DEP_4)
	v_fma_f64 v[46:47], v[46:47], v[1:2], -v[58:59]
	v_fma_f64 v[1:2], v[48:49], v[1:2], v[3:4]
	s_waitcnt vmcnt(0)
	v_mul_f64 v[3:4], v[56:57], v[30:31]
	v_mul_f64 v[30:31], v[54:55], v[30:31]
	v_fma_f64 v[48:49], v[50:51], v[13:14], -v[60:61]
	v_fma_f64 v[13:14], v[52:53], v[13:14], v[15:16]
	v_add_f64 v[15:16], v[42:43], v[46:47]
	v_add_f64 v[1:2], v[44:45], v[1:2]
	v_fma_f64 v[3:4], v[54:55], v[28:29], -v[3:4]
	v_fma_f64 v[28:29], v[56:57], v[28:29], v[30:31]
	s_delay_alu instid0(VALU_DEP_4) | instskip(NEXT) | instid1(VALU_DEP_4)
	v_add_f64 v[15:16], v[15:16], v[48:49]
	v_add_f64 v[1:2], v[1:2], v[13:14]
	s_delay_alu instid0(VALU_DEP_2) | instskip(NEXT) | instid1(VALU_DEP_2)
	v_add_f64 v[13:14], v[15:16], v[3:4]
	v_add_f64 v[15:16], v[1:2], v[28:29]
	s_and_not1_saveexec_b32 s8, s7
	s_cbranch_execz .LBB162_59
.LBB162_67:                             ;   in Loop: Header=BB162_57 Depth=1
	v_mov_b32_e32 v13, 0
	v_mov_b32_e32 v14, 0
	s_delay_alu instid0(VALU_DEP_1)
	v_dual_mov_b32 v16, v14 :: v_dual_mov_b32 v15, v13
	s_and_saveexec_b32 s9, s5
	s_cbranch_execz .LBB162_72
; %bb.68:                               ;   in Loop: Header=BB162_57 Depth=1
	s_waitcnt lgkmcnt(0)
	v_mov_b32_e32 v3, 0
	v_mov_b32_e32 v1, v21
	s_mov_b32 s7, s36
.LBB162_69:                             ;   Parent Loop BB162_57 Depth=1
                                        ; =>  This Inner Loop Header: Depth=2
	s_delay_alu instid0(VALU_DEP_1) | instskip(SKIP_1) | instid1(SALU_CYCLE_1)
	v_ashrrev_i32_e32 v2, 31, v1
	s_add_i32 s7, s7, -1
	s_cmp_eq_u32 s7, 0
	s_delay_alu instid0(VALU_DEP_1) | instskip(SKIP_1) | instid1(VALU_DEP_2)
	v_lshlrev_b64 v[13:14], 4, v[1:2]
	v_add_nc_u32_e32 v1, s33, v1
	v_add_co_u32 v13, s4, s34, v13
	s_delay_alu instid0(VALU_DEP_1)
	v_add_co_ci_u32_e64 v14, s4, s35, v14, s4
	global_load_b128 v[13:16], v[13:14], off
	s_waitcnt vmcnt(0)
	scratch_store_b128 v3, v[13:16], off
	v_add_nc_u32_e32 v3, 16, v3
	s_cbranch_scc0 .LBB162_69
; %bb.70:                               ;   in Loop: Header=BB162_57 Depth=1
	s_ashr_i32 s7, s6, 31
	v_mov_b32_e32 v13, 0
	v_dual_mov_b32 v14, 0 :: v_dual_mov_b32 v3, v41
	s_lshl_b64 s[10:11], s[6:7], 4
	s_mov_b32 s7, s36
	v_add_co_u32 v1, s4, v22, s10
	s_delay_alu instid0(VALU_DEP_1)
	v_add_co_ci_u32_e64 v2, s4, s11, v23, s4
	v_dual_mov_b32 v16, v14 :: v_dual_mov_b32 v15, v13
	.p2align	6
.LBB162_71:                             ;   Parent Loop BB162_57 Depth=1
                                        ; =>  This Inner Loop Header: Depth=2
	global_load_b128 v[28:31], v[1:2], off offset:-8
	scratch_load_b128 v[32:35], v3, off offset:-8
	v_add_co_u32 v1, s4, v1, 16
	v_add_nc_u32_e32 v3, 16, v3
	v_add_co_ci_u32_e64 v2, s4, 0, v2, s4
	s_add_i32 s7, s7, -1
	s_delay_alu instid0(SALU_CYCLE_1) | instskip(SKIP_3) | instid1(VALU_DEP_2)
	s_cmp_lg_u32 s7, 0
	s_waitcnt vmcnt(0)
	v_mul_f64 v[42:43], v[30:31], v[34:35]
	v_mul_f64 v[34:35], v[28:29], v[34:35]
	v_fma_f64 v[28:29], v[28:29], v[32:33], -v[42:43]
	s_delay_alu instid0(VALU_DEP_2) | instskip(NEXT) | instid1(VALU_DEP_2)
	v_fma_f64 v[30:31], v[30:31], v[32:33], v[34:35]
	v_add_f64 v[13:14], v[13:14], v[28:29]
	s_delay_alu instid0(VALU_DEP_2)
	v_add_f64 v[15:16], v[15:16], v[30:31]
	s_cbranch_scc1 .LBB162_71
.LBB162_72:                             ;   in Loop: Header=BB162_57 Depth=1
	s_or_b32 exec_lo, exec_lo, s9
	s_delay_alu instid0(SALU_CYCLE_1)
	s_or_b32 exec_lo, exec_lo, s8
	s_and_saveexec_b32 s4, s0
	s_cbranch_execnz .LBB162_60
	s_branch .LBB162_61
.LBB162_73:                             ;   in Loop: Header=BB162_57 Depth=1
	ds_load_b128 v[1:4], v17
	s_or_b32 exec_lo, exec_lo, s4
	s_and_saveexec_b32 s4, s0
	s_cbranch_execz .LBB162_65
.LBB162_74:                             ;   in Loop: Header=BB162_57 Depth=1
	s_waitcnt lgkmcnt(0)
	ds_bpermute_b32 v13, v20, v1
	ds_bpermute_b32 v14, v20, v2
	ds_bpermute_b32 v15, v20, v3
	ds_bpermute_b32 v16, v20, v4
	s_waitcnt lgkmcnt(2)
	v_add_f64 v[1:2], v[1:2], v[13:14]
	s_waitcnt lgkmcnt(0)
	v_add_f64 v[3:4], v[3:4], v[15:16]
	ds_bpermute_b32 v13, v25, v1
	ds_bpermute_b32 v14, v25, v2
	ds_bpermute_b32 v15, v25, v3
	ds_bpermute_b32 v16, v25, v4
	s_waitcnt lgkmcnt(2)
	v_add_f64 v[1:2], v[1:2], v[13:14]
	s_waitcnt lgkmcnt(0)
	v_add_f64 v[3:4], v[3:4], v[15:16]
	;; [unrolled: 8-line block ×3, first 2 shown]
	s_or_b32 exec_lo, exec_lo, s4
	s_and_saveexec_b32 s4, s3
	s_cbranch_execz .LBB162_56
.LBB162_75:                             ;   in Loop: Header=BB162_57 Depth=1
	s_waitcnt lgkmcnt(0)
	s_delay_alu instid0(VALU_DEP_1) | instskip(SKIP_3) | instid1(SALU_CYCLE_1)
	v_mul_f64 v[13:14], s[18:19], v[3:4]
	v_mul_f64 v[3:4], s[16:17], v[3:4]
	s_mul_hi_u32 s9, s37, s24
	s_mul_i32 s8, s37, s24
	s_lshl_b64 s[8:9], s[8:9], 4
	s_delay_alu instid0(SALU_CYCLE_1) | instskip(SKIP_1) | instid1(VALU_DEP_2)
	s_add_u32 s8, s12, s8
	s_addc_u32 s9, s14, s9
	v_fma_f64 v[13:14], s[16:17], v[1:2], -v[13:14]
	s_delay_alu instid0(VALU_DEP_2)
	v_fma_f64 v[15:16], s[18:19], v[1:2], v[3:4]
	global_store_b128 v0, v[13:16], s[8:9]
	s_branch .LBB162_56
.LBB162_76:
	s_nop 0
	s_sendmsg sendmsg(MSG_DEALLOC_VGPRS)
	s_endpgm
	.section	.rodata,"a",@progbits
	.p2align	6, 0x0
	.amdhsa_kernel _ZL23rocblas_gemvt_sn_kernelILb0ELi256ELi4Ei19rocblas_complex_numIdEPKS1_S1_EviiT4_lPKT3_lilS7_lilPT5_i
		.amdhsa_group_segment_fixed_size 512
		.amdhsa_private_segment_fixed_size 80
		.amdhsa_kernarg_size 360
		.amdhsa_user_sgpr_count 14
		.amdhsa_user_sgpr_dispatch_ptr 0
		.amdhsa_user_sgpr_queue_ptr 0
		.amdhsa_user_sgpr_kernarg_segment_ptr 1
		.amdhsa_user_sgpr_dispatch_id 0
		.amdhsa_user_sgpr_private_segment_size 0
		.amdhsa_wavefront_size32 1
		.amdhsa_uses_dynamic_stack 0
		.amdhsa_enable_private_segment 1
		.amdhsa_system_sgpr_workgroup_id_x 1
		.amdhsa_system_sgpr_workgroup_id_y 0
		.amdhsa_system_sgpr_workgroup_id_z 1
		.amdhsa_system_sgpr_workgroup_info 0
		.amdhsa_system_vgpr_workitem_id 0
		.amdhsa_next_free_vgpr 128
		.amdhsa_next_free_sgpr 52
		.amdhsa_reserve_vcc 1
		.amdhsa_float_round_mode_32 0
		.amdhsa_float_round_mode_16_64 0
		.amdhsa_float_denorm_mode_32 3
		.amdhsa_float_denorm_mode_16_64 3
		.amdhsa_dx10_clamp 1
		.amdhsa_ieee_mode 1
		.amdhsa_fp16_overflow 0
		.amdhsa_workgroup_processor_mode 1
		.amdhsa_memory_ordered 1
		.amdhsa_forward_progress 0
		.amdhsa_shared_vgpr_count 0
		.amdhsa_exception_fp_ieee_invalid_op 0
		.amdhsa_exception_fp_denorm_src 0
		.amdhsa_exception_fp_ieee_div_zero 0
		.amdhsa_exception_fp_ieee_overflow 0
		.amdhsa_exception_fp_ieee_underflow 0
		.amdhsa_exception_fp_ieee_inexact 0
		.amdhsa_exception_int_div_zero 0
	.end_amdhsa_kernel
	.section	.text._ZL23rocblas_gemvt_sn_kernelILb0ELi256ELi4Ei19rocblas_complex_numIdEPKS1_S1_EviiT4_lPKT3_lilS7_lilPT5_i,"axG",@progbits,_ZL23rocblas_gemvt_sn_kernelILb0ELi256ELi4Ei19rocblas_complex_numIdEPKS1_S1_EviiT4_lPKT3_lilS7_lilPT5_i,comdat
.Lfunc_end162:
	.size	_ZL23rocblas_gemvt_sn_kernelILb0ELi256ELi4Ei19rocblas_complex_numIdEPKS1_S1_EviiT4_lPKT3_lilS7_lilPT5_i, .Lfunc_end162-_ZL23rocblas_gemvt_sn_kernelILb0ELi256ELi4Ei19rocblas_complex_numIdEPKS1_S1_EviiT4_lPKT3_lilS7_lilPT5_i
                                        ; -- End function
	.section	.AMDGPU.csdata,"",@progbits
; Kernel info:
; codeLenInByte = 7604
; NumSgprs: 54
; NumVgprs: 128
; ScratchSize: 80
; MemoryBound: 0
; FloatMode: 240
; IeeeMode: 1
; LDSByteSize: 512 bytes/workgroup (compile time only)
; SGPRBlocks: 6
; VGPRBlocks: 15
; NumSGPRsForWavesPerEU: 54
; NumVGPRsForWavesPerEU: 128
; Occupancy: 10
; WaveLimiterHint : 1
; COMPUTE_PGM_RSRC2:SCRATCH_EN: 1
; COMPUTE_PGM_RSRC2:USER_SGPR: 14
; COMPUTE_PGM_RSRC2:TRAP_HANDLER: 0
; COMPUTE_PGM_RSRC2:TGID_X_EN: 1
; COMPUTE_PGM_RSRC2:TGID_Y_EN: 0
; COMPUTE_PGM_RSRC2:TGID_Z_EN: 1
; COMPUTE_PGM_RSRC2:TIDIG_COMP_CNT: 0
	.section	.text._ZL23rocblas_gemvt_sn_kernelILb0ELi256ELi4El19rocblas_complex_numIdEPKS1_S1_EviiT4_lPKT3_lilS7_lilPT5_i,"axG",@progbits,_ZL23rocblas_gemvt_sn_kernelILb0ELi256ELi4El19rocblas_complex_numIdEPKS1_S1_EviiT4_lPKT3_lilS7_lilPT5_i,comdat
	.globl	_ZL23rocblas_gemvt_sn_kernelILb0ELi256ELi4El19rocblas_complex_numIdEPKS1_S1_EviiT4_lPKT3_lilS7_lilPT5_i ; -- Begin function _ZL23rocblas_gemvt_sn_kernelILb0ELi256ELi4El19rocblas_complex_numIdEPKS1_S1_EviiT4_lPKT3_lilS7_lilPT5_i
	.p2align	8
	.type	_ZL23rocblas_gemvt_sn_kernelILb0ELi256ELi4El19rocblas_complex_numIdEPKS1_S1_EviiT4_lPKT3_lilS7_lilPT5_i,@function
_ZL23rocblas_gemvt_sn_kernelILb0ELi256ELi4El19rocblas_complex_numIdEPKS1_S1_EviiT4_lPKT3_lilS7_lilPT5_i: ; @_ZL23rocblas_gemvt_sn_kernelILb0ELi256ELi4El19rocblas_complex_numIdEPKS1_S1_EviiT4_lPKT3_lilS7_lilPT5_i
; %bb.0:
	s_load_b256 s[4:11], s[0:1], 0x8
	s_mov_b32 s25, 0
	s_waitcnt lgkmcnt(0)
	s_mul_i32 s3, s15, s7
	s_mul_hi_u32 s7, s15, s6
	s_mul_i32 s2, s15, s6
	s_add_i32 s3, s7, s3
	s_delay_alu instid0(SALU_CYCLE_1) | instskip(NEXT) | instid1(SALU_CYCLE_1)
	s_lshl_b64 s[2:3], s[2:3], 4
	s_add_u32 s2, s4, s2
	s_addc_u32 s3, s5, s3
	s_load_b128 s[16:19], s[2:3], 0x0
	s_clause 0x2
	s_load_b64 s[12:13], s[0:1], 0x0
	s_load_b32 s24, s[0:1], 0x68
	s_load_b128 s[20:23], s[0:1], 0x50
	s_waitcnt lgkmcnt(0)
	s_ashr_i32 s36, s13, 31
	v_cmp_neq_f64_e64 s2, s[16:17], 0
	v_cmp_neq_f64_e64 s3, s[18:19], 0
	s_mul_hi_u32 s4, s13, s15
	s_mul_i32 s6, s36, s15
	s_mul_i32 s5, s13, s15
	s_add_i32 s4, s4, s6
	s_mul_hi_u32 s7, s5, s24
	s_mul_i32 s4, s4, s24
	s_mul_i32 s34, s5, s24
	s_add_i32 s35, s7, s4
	s_delay_alu instid0(VALU_DEP_1)
	s_or_b32 s2, s2, s3
	s_mov_b32 s3, -1
	s_and_b32 vcc_lo, exec_lo, s2
	v_cmp_eq_u32_e64 s2, 0, v0
	s_cbranch_vccnz .LBB163_5
; %bb.1:
	s_cmp_gt_i32 s13, 0
	s_cselect_b32 s3, -1, 0
	s_delay_alu instid0(VALU_DEP_1) | instid1(SALU_CYCLE_1)
	s_and_b32 s2, s2, s3
	s_delay_alu instid0(SALU_CYCLE_1)
	s_and_saveexec_b32 s6, s2
	s_cbranch_execz .LBB163_4
; %bb.2:
	s_mov_b32 s2, s15
	s_mov_b32 s15, 0
	v_mov_b32_e32 v1, 0
	s_lshl_b64 s[4:5], s[34:35], 4
	s_lshl_b64 s[26:27], s[14:15], 4
	s_mov_b32 s15, s2
	s_add_u32 s2, s4, s26
	s_addc_u32 s3, s5, s27
	s_add_u32 s2, s2, s22
	v_mov_b32_e32 v2, v1
	v_mov_b32_e32 v3, v1
	;; [unrolled: 1-line block ×3, first 2 shown]
	s_addc_u32 s3, s3, s23
	s_add_u32 s2, s2, 8
	s_addc_u32 s3, s3, 0
	s_lshl_b64 s[4:5], s[24:25], 4
	s_mov_b32 s7, s13
.LBB163_3:                              ; =>This Inner Loop Header: Depth=1
	s_delay_alu instid0(SALU_CYCLE_1)
	s_add_i32 s7, s7, -1
	global_store_b128 v1, v[1:4], s[2:3] offset:-8
	s_add_u32 s2, s2, s4
	s_addc_u32 s3, s3, s5
	s_cmp_eq_u32 s7, 0
	s_cbranch_scc0 .LBB163_3
.LBB163_4:
	s_or_b32 exec_lo, exec_lo, s6
	s_mov_b32 s3, 0
.LBB163_5:
	s_delay_alu instid0(SALU_CYCLE_1)
	s_and_not1_b32 vcc_lo, exec_lo, s3
	s_cbranch_vccnz .LBB163_76
; %bb.6:
	s_clause 0x3
	s_load_b32 s26, s[0:1], 0x28
	s_load_b32 s28, s[0:1], 0x48
	s_load_b128 s[4:7], s[0:1], 0x30
	s_load_b64 s[2:3], s[0:1], 0x40
	s_mul_i32 s0, s15, s21
	s_mul_hi_u32 s1, s15, s20
	s_mul_i32 s20, s15, s20
	s_add_i32 s21, s1, s0
	v_and_b32_e32 v44, 31, v0
	s_lshl_b64 s[20:21], s[20:21], 4
	v_cmp_gt_u32_e64 s0, 32, v0
	v_mbcnt_lo_u32_b32 v48, -1, 0
	v_lshrrev_b32_e32 v47, 1, v0
	v_add_nc_u32_e64 v40, 0, 16
	v_add_nc_u32_e64 v41, 0, 32
	;; [unrolled: 1-line block ×3, first 2 shown]
	v_or_b32_e64 v43, 0, 8
	s_waitcnt lgkmcnt(0)
	s_ashr_i32 s27, s26, 31
	s_ashr_i32 s29, s28, 31
	s_mul_i32 s1, s15, s5
	s_add_u32 s5, s6, s20
	s_addc_u32 s25, s7, s21
	s_lshl_b64 s[30:31], s[2:3], 4
	s_mul_hi_u32 s37, s15, s4
	s_add_u32 s33, s5, s30
	s_addc_u32 s40, s25, s31
	s_lshl_b64 s[2:3], s[34:35], 4
	s_mul_i32 s4, s15, s4
	s_add_u32 s41, s22, s2
	s_addc_u32 s42, s23, s3
	s_add_i32 s5, s37, s1
	v_cmp_gt_u32_e64 s1, 8, v0
	s_lshl_b64 s[22:23], s[4:5], 4
	s_delay_alu instid0(SALU_CYCLE_1) | instskip(SKIP_2) | instid1(SALU_CYCLE_1)
	s_add_u32 s2, s8, s22
	s_addc_u32 s3, s9, s23
	s_lshl_b64 s[10:11], s[10:11], 4
	s_add_u32 s2, s2, s10
	s_addc_u32 s3, s3, s11
	s_lshl_b32 s4, s14, 10
	s_ashr_i32 s5, s12, 31
	v_lshl_or_b32 v25, v0, 2, s4
	s_lshr_b32 s4, s36, 30
	s_lshr_b32 s5, s5, 30
	s_add_i32 s4, s13, s4
	s_add_i32 s5, s12, s5
	v_ashrrev_i32_e32 v26, 31, v25
	s_and_b32 s43, s4, -4
	s_and_b32 s4, s5, -4
	v_add_nc_u32_e32 v50, 4, v25
	s_sub_i32 s25, s12, s4
	v_lshlrev_b64 v[23:24], 4, v[25:26]
	v_or_b32_e32 v49, 1, v25
	v_or_b32_e32 v46, 2, v25
	v_add_nc_u32_e32 v51, s25, v25
	v_or_b32_e32 v45, 3, v25
	s_cmp_lt_i32 s43, 1
	v_add_co_u32 v21, vcc_lo, s2, v23
	v_add_co_ci_u32_e32 v22, vcc_lo, s3, v24, vcc_lo
	s_cbranch_scc1 .LBB163_53
; %bb.7:
	v_cmp_gt_u32_e32 vcc_lo, 16, v48
	v_mad_i64_i32 v[7:8], null, s28, v45, 0
	s_mov_b32 s15, 0
	s_cmp_gt_i32 s25, 0
	v_cndmask_b32_e64 v1, 0, 1, vcc_lo
	v_cmp_gt_u32_e32 vcc_lo, 24, v48
	s_cselect_b32 s44, -1, 0
	s_lshl_b64 s[34:35], s[14:15], 4
	v_cmp_ge_i32_e64 s2, s12, v50
	v_lshlrev_b32_e32 v1, 4, v1
	v_cndmask_b32_e64 v2, 0, 1, vcc_lo
	v_cmp_gt_u32_e32 vcc_lo, 28, v48
	s_add_u32 s45, s41, s34
	s_addc_u32 s46, s42, s35
	s_add_u32 s34, s6, s30
	v_lshlrev_b32_e32 v2, 3, v2
	v_cndmask_b32_e64 v3, 0, 1, vcc_lo
	v_cmp_gt_u32_e32 vcc_lo, 30, v48
	s_addc_u32 s35, s7, s31
	s_add_u32 s34, s34, s20
	v_add_lshl_u32 v53, v2, v48, 2
	v_lshlrev_b32_e32 v3, 2, v3
	v_cndmask_b32_e64 v4, 0, 1, vcc_lo
	v_cmp_ne_u32_e32 vcc_lo, 31, v48
	v_dual_mov_b32 v37, v22 :: v_dual_mov_b32 v36, v21
	v_add_lshl_u32 v52, v1, v48, 2
	s_delay_alu instid0(VALU_DEP_4) | instskip(SKIP_3) | instid1(VALU_DEP_4)
	v_lshlrev_b32_e32 v4, 1, v4
	v_mad_i64_i32 v[1:2], null, s28, v25, 0
	v_add_co_ci_u32_e32 v5, vcc_lo, 0, v48, vcc_lo
	v_add_lshl_u32 v54, v3, v48, 2
	v_add_lshl_u32 v55, v4, v48, 2
	v_mad_i64_i32 v[3:4], null, s28, v49, 0
	s_delay_alu instid0(VALU_DEP_4)
	v_lshlrev_b32_e32 v56, 2, v5
	v_lshlrev_b64 v[1:2], 4, v[1:2]
	v_mad_i64_i32 v[5:6], null, s28, v46, 0
	s_addc_u32 s35, s35, s21
	v_cmp_ge_i32_e64 s3, s12, v51
	v_lshlrev_b64 v[3:4], 4, v[3:4]
	s_delay_alu instid0(VALU_DEP_4) | instskip(SKIP_2) | instid1(VALU_DEP_4)
	v_add_co_u32 v26, vcc_lo, s33, v1
	v_add_co_ci_u32_e32 v27, vcc_lo, s40, v2, vcc_lo
	v_lshlrev_b64 v[5:6], 4, v[5:6]
	v_add_co_u32 v28, vcc_lo, s33, v3
	v_add_co_ci_u32_e32 v29, vcc_lo, s40, v4, vcc_lo
	v_lshlrev_b64 v[3:4], 4, v[7:8]
	s_delay_alu instid0(VALU_DEP_4) | instskip(SKIP_2) | instid1(VALU_DEP_4)
	v_add_co_u32 v30, vcc_lo, s33, v5
	v_add_co_ci_u32_e32 v31, vcc_lo, s40, v6, vcc_lo
	v_cmp_eq_u32_e64 s4, 0, v44
	v_add_co_u32 v32, vcc_lo, s33, v3
	v_add_co_ci_u32_e32 v33, vcc_lo, s40, v4, vcc_lo
	v_add_co_u32 v34, vcc_lo, s34, v1
	v_lshlrev_b32_e32 v57, 4, v44
	v_and_b32_e32 v58, 0x70, v47
	v_cmp_eq_u32_e64 s5, 0, v0
	v_or_b32_e64 v59, 0, 8
	v_add_co_ci_u32_e32 v35, vcc_lo, s35, v2, vcc_lo
	v_mov_b32_e32 v1, 0
	s_lshl_b64 s[34:35], s[28:29], 4
	s_lshl_b64 s[36:37], s[26:27], 6
	;; [unrolled: 1-line block ×3, first 2 shown]
	s_branch .LBB163_9
.LBB163_8:                              ;   in Loop: Header=BB163_9 Depth=1
	s_or_b32 exec_lo, exec_lo, s47
	v_add_co_u32 v36, vcc_lo, v36, s36
	v_add_co_ci_u32_e32 v37, vcc_lo, s37, v37, vcc_lo
	s_add_i32 s15, s15, 4
	s_delay_alu instid0(SALU_CYCLE_1)
	s_cmp_ge_i32 s15, s43
	s_cbranch_scc1 .LBB163_54
.LBB163_9:                              ; =>This Loop Header: Depth=1
                                        ;     Child Loop BB163_40 Depth 2
                                        ;     Child Loop BB163_42 Depth 2
                                        ; implicit-def: $vgpr17_vgpr18
                                        ; implicit-def: $vgpr19_vgpr20
                                        ; implicit-def: $vgpr13_vgpr14
                                        ; implicit-def: $vgpr15_vgpr16
                                        ; implicit-def: $vgpr9_vgpr10
                                        ; implicit-def: $vgpr11_vgpr12
                                        ; implicit-def: $vgpr7_vgpr8
                                        ; implicit-def: $vgpr5_vgpr6
	s_and_saveexec_b32 s47, s2
	s_delay_alu instid0(SALU_CYCLE_1)
	s_xor_b32 s47, exec_lo, s47
	s_cbranch_execnz .LBB163_36
; %bb.10:                               ;   in Loop: Header=BB163_9 Depth=1
	s_and_not1_saveexec_b32 s47, s47
	s_cbranch_execnz .LBB163_37
.LBB163_11:                             ;   in Loop: Header=BB163_9 Depth=1
	s_or_b32 exec_lo, exec_lo, s47
	s_and_saveexec_b32 s47, s0
	s_cbranch_execz .LBB163_13
.LBB163_12:                             ;   in Loop: Header=BB163_9 Depth=1
	v_mov_b32_e32 v2, v1
	v_mov_b32_e32 v3, v1
	;; [unrolled: 1-line block ×3, first 2 shown]
	ds_store_b128 v57, v[1:4]
.LBB163_13:                             ;   in Loop: Header=BB163_9 Depth=1
	s_or_b32 exec_lo, exec_lo, s47
	ds_bpermute_b32 v2, v52, v7
	ds_bpermute_b32 v3, v52, v8
	;; [unrolled: 1-line block ×4, first 2 shown]
	s_waitcnt lgkmcnt(0)
	s_waitcnt_vscnt null, 0x0
	s_barrier
	buffer_gl0_inv
	v_add_f64 v[2:3], v[7:8], v[2:3]
	v_add_f64 v[4:5], v[5:6], v[38:39]
	ds_bpermute_b32 v6, v53, v2
	ds_bpermute_b32 v7, v53, v3
	ds_bpermute_b32 v38, v53, v4
	ds_bpermute_b32 v39, v53, v5
	s_waitcnt lgkmcnt(2)
	v_add_f64 v[2:3], v[2:3], v[6:7]
	s_waitcnt lgkmcnt(0)
	v_add_f64 v[4:5], v[4:5], v[38:39]
	ds_bpermute_b32 v6, v54, v2
	ds_bpermute_b32 v7, v54, v3
	ds_bpermute_b32 v38, v54, v4
	ds_bpermute_b32 v39, v54, v5
	s_waitcnt lgkmcnt(2)
	v_add_f64 v[2:3], v[2:3], v[6:7]
	s_waitcnt lgkmcnt(0)
	;; [unrolled: 8-line block ×3, first 2 shown]
	v_add_f64 v[6:7], v[4:5], v[38:39]
	ds_bpermute_b32 v4, v56, v2
	ds_bpermute_b32 v5, v56, v3
	;; [unrolled: 1-line block ×4, first 2 shown]
	s_and_saveexec_b32 s47, s4
	s_cbranch_execz .LBB163_15
; %bb.14:                               ;   in Loop: Header=BB163_9 Depth=1
	s_waitcnt lgkmcnt(0)
	v_add_f64 v[6:7], v[6:7], v[38:39]
	v_add_f64 v[4:5], v[2:3], v[4:5]
	ds_store_b128 v58, v[4:7]
.LBB163_15:                             ;   in Loop: Header=BB163_9 Depth=1
	s_or_b32 exec_lo, exec_lo, s47
	v_mov_b32_e32 v7, 0
	v_mov_b32_e32 v8, 0
	s_waitcnt lgkmcnt(2)
	s_delay_alu instid0(VALU_DEP_2)
	v_mov_b32_e32 v5, v7
	s_waitcnt lgkmcnt(0)
	s_barrier
	buffer_gl0_inv
	v_mov_b32_e32 v6, v8
	s_and_saveexec_b32 s47, s1
	s_cbranch_execnz .LBB163_44
; %bb.16:                               ;   in Loop: Header=BB163_9 Depth=1
	s_or_b32 exec_lo, exec_lo, s47
	s_and_saveexec_b32 s47, s0
	s_cbranch_execnz .LBB163_45
.LBB163_17:                             ;   in Loop: Header=BB163_9 Depth=1
	s_or_b32 exec_lo, exec_lo, s47
	s_and_saveexec_b32 s47, s0
	s_cbranch_execz .LBB163_19
.LBB163_18:                             ;   in Loop: Header=BB163_9 Depth=1
	v_mov_b32_e32 v2, v1
	v_mov_b32_e32 v3, v1
	;; [unrolled: 1-line block ×3, first 2 shown]
	ds_store_b128 v57, v[1:4]
.LBB163_19:                             ;   in Loop: Header=BB163_9 Depth=1
	s_or_b32 exec_lo, exec_lo, s47
	ds_bpermute_b32 v2, v52, v9
	ds_bpermute_b32 v3, v52, v10
	;; [unrolled: 1-line block ×4, first 2 shown]
	s_waitcnt lgkmcnt(0)
	s_barrier
	buffer_gl0_inv
	v_add_f64 v[2:3], v[9:10], v[2:3]
	v_add_f64 v[9:10], v[11:12], v[38:39]
	ds_bpermute_b32 v11, v53, v2
	ds_bpermute_b32 v12, v53, v3
	ds_bpermute_b32 v38, v53, v9
	ds_bpermute_b32 v39, v53, v10
	s_waitcnt lgkmcnt(2)
	v_add_f64 v[2:3], v[2:3], v[11:12]
	s_waitcnt lgkmcnt(0)
	v_add_f64 v[9:10], v[9:10], v[38:39]
	ds_bpermute_b32 v11, v54, v2
	ds_bpermute_b32 v12, v54, v3
	ds_bpermute_b32 v38, v54, v9
	ds_bpermute_b32 v39, v54, v10
	s_waitcnt lgkmcnt(2)
	v_add_f64 v[2:3], v[2:3], v[11:12]
	s_waitcnt lgkmcnt(0)
	;; [unrolled: 8-line block ×3, first 2 shown]
	v_add_f64 v[11:12], v[9:10], v[38:39]
	ds_bpermute_b32 v9, v56, v2
	ds_bpermute_b32 v10, v56, v3
	ds_bpermute_b32 v38, v56, v11
	ds_bpermute_b32 v39, v56, v12
	s_and_saveexec_b32 s47, s4
	s_cbranch_execz .LBB163_21
; %bb.20:                               ;   in Loop: Header=BB163_9 Depth=1
	s_waitcnt lgkmcnt(0)
	v_add_f64 v[11:12], v[11:12], v[38:39]
	v_add_f64 v[9:10], v[2:3], v[9:10]
	ds_store_b128 v58, v[9:12]
.LBB163_21:                             ;   in Loop: Header=BB163_9 Depth=1
	s_or_b32 exec_lo, exec_lo, s47
	v_mov_b32_e32 v11, 0
	v_mov_b32_e32 v12, 0
	s_waitcnt lgkmcnt(2)
	s_delay_alu instid0(VALU_DEP_2)
	v_mov_b32_e32 v9, v11
	s_waitcnt lgkmcnt(0)
	s_barrier
	buffer_gl0_inv
	v_mov_b32_e32 v10, v12
	s_and_saveexec_b32 s47, s1
	s_cbranch_execnz .LBB163_46
; %bb.22:                               ;   in Loop: Header=BB163_9 Depth=1
	s_or_b32 exec_lo, exec_lo, s47
	s_and_saveexec_b32 s47, s0
	s_cbranch_execnz .LBB163_47
.LBB163_23:                             ;   in Loop: Header=BB163_9 Depth=1
	s_or_b32 exec_lo, exec_lo, s47
	s_and_saveexec_b32 s47, s0
	s_cbranch_execz .LBB163_25
.LBB163_24:                             ;   in Loop: Header=BB163_9 Depth=1
	v_mov_b32_e32 v2, v1
	v_mov_b32_e32 v3, v1
	;; [unrolled: 1-line block ×3, first 2 shown]
	ds_store_b128 v57, v[1:4]
.LBB163_25:                             ;   in Loop: Header=BB163_9 Depth=1
	s_or_b32 exec_lo, exec_lo, s47
	ds_bpermute_b32 v2, v52, v13
	ds_bpermute_b32 v3, v52, v14
	;; [unrolled: 1-line block ×4, first 2 shown]
	s_waitcnt lgkmcnt(0)
	s_barrier
	buffer_gl0_inv
	v_add_f64 v[2:3], v[13:14], v[2:3]
	v_add_f64 v[13:14], v[15:16], v[38:39]
	ds_bpermute_b32 v15, v53, v2
	ds_bpermute_b32 v16, v53, v3
	ds_bpermute_b32 v38, v53, v13
	ds_bpermute_b32 v39, v53, v14
	s_waitcnt lgkmcnt(2)
	v_add_f64 v[2:3], v[2:3], v[15:16]
	s_waitcnt lgkmcnt(0)
	v_add_f64 v[13:14], v[13:14], v[38:39]
	ds_bpermute_b32 v15, v54, v2
	ds_bpermute_b32 v16, v54, v3
	ds_bpermute_b32 v38, v54, v13
	ds_bpermute_b32 v39, v54, v14
	s_waitcnt lgkmcnt(2)
	v_add_f64 v[2:3], v[2:3], v[15:16]
	s_waitcnt lgkmcnt(0)
	;; [unrolled: 8-line block ×3, first 2 shown]
	v_add_f64 v[15:16], v[13:14], v[38:39]
	ds_bpermute_b32 v13, v56, v2
	ds_bpermute_b32 v14, v56, v3
	;; [unrolled: 1-line block ×4, first 2 shown]
	s_and_saveexec_b32 s47, s4
	s_cbranch_execz .LBB163_27
; %bb.26:                               ;   in Loop: Header=BB163_9 Depth=1
	s_waitcnt lgkmcnt(0)
	v_add_f64 v[15:16], v[15:16], v[38:39]
	v_add_f64 v[13:14], v[2:3], v[13:14]
	ds_store_b128 v58, v[13:16]
.LBB163_27:                             ;   in Loop: Header=BB163_9 Depth=1
	s_or_b32 exec_lo, exec_lo, s47
	v_mov_b32_e32 v15, 0
	v_mov_b32_e32 v16, 0
	s_waitcnt lgkmcnt(2)
	s_delay_alu instid0(VALU_DEP_2)
	v_mov_b32_e32 v13, v15
	s_waitcnt lgkmcnt(0)
	s_barrier
	buffer_gl0_inv
	v_mov_b32_e32 v14, v16
	s_and_saveexec_b32 s47, s1
	s_cbranch_execnz .LBB163_48
; %bb.28:                               ;   in Loop: Header=BB163_9 Depth=1
	s_or_b32 exec_lo, exec_lo, s47
	s_and_saveexec_b32 s47, s0
	s_cbranch_execnz .LBB163_49
.LBB163_29:                             ;   in Loop: Header=BB163_9 Depth=1
	s_or_b32 exec_lo, exec_lo, s47
	s_and_saveexec_b32 s47, s0
	s_cbranch_execz .LBB163_31
.LBB163_30:                             ;   in Loop: Header=BB163_9 Depth=1
	v_mov_b32_e32 v2, v1
	v_mov_b32_e32 v3, v1
	;; [unrolled: 1-line block ×3, first 2 shown]
	ds_store_b128 v57, v[1:4]
.LBB163_31:                             ;   in Loop: Header=BB163_9 Depth=1
	s_or_b32 exec_lo, exec_lo, s47
	ds_bpermute_b32 v2, v52, v17
	ds_bpermute_b32 v3, v52, v18
	;; [unrolled: 1-line block ×4, first 2 shown]
	s_waitcnt lgkmcnt(0)
	s_barrier
	buffer_gl0_inv
	v_add_f64 v[2:3], v[17:18], v[2:3]
	v_add_f64 v[17:18], v[19:20], v[38:39]
	ds_bpermute_b32 v19, v53, v2
	ds_bpermute_b32 v20, v53, v3
	ds_bpermute_b32 v38, v53, v17
	ds_bpermute_b32 v39, v53, v18
	s_waitcnt lgkmcnt(2)
	v_add_f64 v[2:3], v[2:3], v[19:20]
	s_waitcnt lgkmcnt(0)
	v_add_f64 v[17:18], v[17:18], v[38:39]
	ds_bpermute_b32 v19, v54, v2
	ds_bpermute_b32 v20, v54, v3
	ds_bpermute_b32 v38, v54, v17
	ds_bpermute_b32 v39, v54, v18
	s_waitcnt lgkmcnt(2)
	v_add_f64 v[2:3], v[2:3], v[19:20]
	s_waitcnt lgkmcnt(0)
	;; [unrolled: 8-line block ×3, first 2 shown]
	v_add_f64 v[19:20], v[17:18], v[38:39]
	ds_bpermute_b32 v17, v56, v2
	ds_bpermute_b32 v18, v56, v3
	ds_bpermute_b32 v38, v56, v19
	ds_bpermute_b32 v39, v56, v20
	s_and_saveexec_b32 s47, s4
	s_cbranch_execz .LBB163_33
; %bb.32:                               ;   in Loop: Header=BB163_9 Depth=1
	s_waitcnt lgkmcnt(0)
	v_add_f64 v[19:20], v[19:20], v[38:39]
	v_add_f64 v[17:18], v[2:3], v[17:18]
	ds_store_b128 v58, v[17:20]
.LBB163_33:                             ;   in Loop: Header=BB163_9 Depth=1
	s_or_b32 exec_lo, exec_lo, s47
	v_mov_b32_e32 v19, 0
	v_mov_b32_e32 v20, 0
	s_waitcnt lgkmcnt(2)
	s_delay_alu instid0(VALU_DEP_2)
	v_mov_b32_e32 v17, v19
	s_waitcnt lgkmcnt(0)
	s_barrier
	buffer_gl0_inv
	v_mov_b32_e32 v18, v20
	s_and_saveexec_b32 s47, s1
	s_cbranch_execnz .LBB163_50
; %bb.34:                               ;   in Loop: Header=BB163_9 Depth=1
	s_or_b32 exec_lo, exec_lo, s47
	s_and_saveexec_b32 s47, s0
	s_cbranch_execnz .LBB163_51
.LBB163_35:                             ;   in Loop: Header=BB163_9 Depth=1
	s_or_b32 exec_lo, exec_lo, s47
	s_and_saveexec_b32 s47, s5
	s_cbranch_execz .LBB163_8
	s_branch .LBB163_52
.LBB163_36:                             ;   in Loop: Header=BB163_9 Depth=1
	s_clause 0x2
	global_load_b128 v[2:5], v[28:29], off
	global_load_b128 v[6:9], v[30:31], off
	;; [unrolled: 1-line block ×3, first 2 shown]
	s_mul_i32 s49, s15, s27
	s_mul_hi_u32 s50, s15, s26
	s_mul_i32 s48, s15, s26
	s_or_b32 s51, s15, 1
	s_add_i32 s49, s50, s49
	s_mul_i32 s55, s51, s27
	s_mul_hi_u32 s56, s51, s26
	s_lshl_b64 s[48:49], s[48:49], 4
	s_or_b32 s52, s15, 2
	s_mul_i32 s50, s51, s26
	s_waitcnt lgkmcnt(0)
	v_add_co_u32 v18, vcc_lo, v21, s48
	s_add_i32 s51, s56, s55
	s_or_b32 s53, s15, 3
	s_mul_i32 s57, s52, s27
	s_mul_hi_u32 s58, s52, s26
	v_add_co_ci_u32_e32 v19, vcc_lo, s49, v22, vcc_lo
	s_lshl_b64 s[48:49], s[50:51], 4
	s_mul_i32 s52, s52, s26
	s_mul_i32 s59, s53, s27
	s_mul_hi_u32 s60, s53, s26
	s_mul_i32 s54, s53, s26
	s_add_i32 s53, s58, s57
	v_add_co_u32 v38, vcc_lo, v21, s48
	s_lshl_b64 s[50:51], s[52:53], 4
	s_add_i32 s55, s60, s59
	v_add_co_ci_u32_e32 v39, vcc_lo, s49, v22, vcc_lo
	v_add_co_u32 v116, vcc_lo, v21, s50
	s_lshl_b64 s[52:53], s[54:55], 4
	v_add_co_ci_u32_e32 v117, vcc_lo, s51, v22, vcc_lo
	v_add_co_u32 v120, vcc_lo, v21, s52
	v_add_co_ci_u32_e32 v121, vcc_lo, s53, v22, vcc_lo
	global_load_b128 v[60:63], v[26:27], off
	s_clause 0x4
	global_load_b128 v[14:17], v[18:19], off
	global_load_b128 v[64:67], v[38:39], off
	;; [unrolled: 1-line block ×4, first 2 shown]
	global_load_b128 v[76:79], v[18:19], off offset:16
	s_waitcnt vmcnt(8)
	scratch_store_b128 v40, v[2:5], off
	scratch_load_b128 v[2:5], off, off offset:16
	s_clause 0x2
	global_load_b128 v[80:83], v[38:39], off offset:16
	global_load_b128 v[84:87], v[116:117], off offset:16
	;; [unrolled: 1-line block ×3, first 2 shown]
	s_waitcnt vmcnt(11)
	scratch_store_b128 v41, v[6:9], off
	scratch_load_b128 v[6:9], off, off offset:32
	s_clause 0x4
	global_load_b128 v[92:95], v[18:19], off offset:32
	global_load_b128 v[96:99], v[38:39], off offset:32
	global_load_b128 v[100:103], v[116:117], off offset:32
	global_load_b128 v[104:107], v[120:121], off offset:32
	global_load_b128 v[108:111], v[18:19], off offset:48
	s_waitcnt vmcnt(16)
	scratch_store_b128 v42, v[10:13], off
	scratch_load_b128 v[10:13], off, off offset:48
	s_clause 0x2
	global_load_b128 v[112:115], v[38:39], off offset:48
	global_load_b128 v[116:119], v[116:117], off offset:48
	global_load_b128 v[120:123], v[120:121], off offset:48
	s_waitcnt vmcnt(19)
	scratch_store_b128 off, v[60:63], off
	s_waitcnt vmcnt(18)
	v_mul_f64 v[18:19], v[62:63], v[16:17]
	v_mul_f64 v[16:17], v[60:61], v[16:17]
	s_waitcnt vmcnt(17)
	v_mul_f64 v[38:39], v[62:63], v[66:67]
	v_mul_f64 v[66:67], v[60:61], v[66:67]
	;; [unrolled: 3-line block ×4, first 2 shown]
	v_fma_f64 v[18:19], v[60:61], v[14:15], -v[18:19]
	v_fma_f64 v[14:15], v[62:63], v[14:15], v[16:17]
	v_fma_f64 v[38:39], v[60:61], v[64:65], -v[38:39]
	v_fma_f64 v[64:65], v[62:63], v[64:65], v[66:67]
	;; [unrolled: 2-line block ×4, first 2 shown]
	v_add_f64 v[18:19], v[18:19], 0
	v_add_f64 v[14:15], v[14:15], 0
	;; [unrolled: 1-line block ×7, first 2 shown]
	s_waitcnt vmcnt(13)
	v_mul_f64 v[16:17], v[4:5], v[78:79]
	v_mul_f64 v[78:79], v[2:3], v[78:79]
	s_waitcnt vmcnt(12)
	v_mul_f64 v[128:129], v[4:5], v[82:83]
	v_mul_f64 v[82:83], v[2:3], v[82:83]
	;; [unrolled: 3-line block ×5, first 2 shown]
	s_waitcnt vmcnt(7)
	v_mul_f64 v[130:131], v[8:9], v[98:99]
	v_fma_f64 v[16:17], v[2:3], v[76:77], -v[16:17]
	v_fma_f64 v[76:77], v[4:5], v[76:77], v[78:79]
	v_mul_f64 v[78:79], v[6:7], v[98:99]
	s_waitcnt vmcnt(6)
	v_mul_f64 v[98:99], v[8:9], v[102:103]
	v_fma_f64 v[128:129], v[2:3], v[80:81], -v[128:129]
	v_fma_f64 v[80:81], v[4:5], v[80:81], v[82:83]
	v_mul_f64 v[82:83], v[6:7], v[102:103]
	;; [unrolled: 5-line block ×3, first 2 shown]
	v_add_f64 v[106:107], v[124:125], 0
	v_fma_f64 v[2:3], v[2:3], v[88:89], -v[74:75]
	v_fma_f64 v[4:5], v[4:5], v[88:89], v[90:91]
	s_waitcnt vmcnt(3)
	v_mul_f64 v[74:75], v[12:13], v[110:111]
	v_mul_f64 v[88:89], v[10:11], v[110:111]
	s_waitcnt vmcnt(2)
	v_mul_f64 v[90:91], v[12:13], v[114:115]
	v_mul_f64 v[110:111], v[10:11], v[114:115]
	s_waitcnt vmcnt(1)
	v_mul_f64 v[114:115], v[12:13], v[118:119]
	v_fma_f64 v[124:125], v[6:7], v[92:93], -v[126:127]
	v_fma_f64 v[92:93], v[8:9], v[92:93], v[94:95]
	v_mul_f64 v[94:95], v[10:11], v[118:119]
	s_waitcnt vmcnt(0)
	v_mul_f64 v[118:119], v[12:13], v[122:123]
	v_fma_f64 v[126:127], v[6:7], v[96:97], -v[130:131]
	v_add_f64 v[16:17], v[18:19], v[16:17]
	v_add_f64 v[14:15], v[14:15], v[76:77]
	v_fma_f64 v[78:79], v[8:9], v[96:97], v[78:79]
	v_mul_f64 v[96:97], v[10:11], v[122:123]
	v_fma_f64 v[98:99], v[6:7], v[100:101], -v[98:99]
	v_add_f64 v[18:19], v[38:39], v[128:129]
	v_fma_f64 v[82:83], v[8:9], v[100:101], v[82:83]
	v_fma_f64 v[6:7], v[6:7], v[104:105], -v[102:103]
	v_add_f64 v[38:39], v[64:65], v[80:81]
	v_fma_f64 v[8:9], v[8:9], v[104:105], v[86:87]
	v_add_f64 v[64:65], v[106:107], v[66:67]
	v_add_f64 v[66:67], v[68:69], v[84:85]
	;; [unrolled: 1-line block ×4, first 2 shown]
	v_fma_f64 v[68:69], v[10:11], v[108:109], -v[74:75]
	v_fma_f64 v[70:71], v[12:13], v[108:109], v[88:89]
	v_fma_f64 v[72:73], v[10:11], v[112:113], -v[90:91]
	v_fma_f64 v[74:75], v[12:13], v[112:113], v[110:111]
	;; [unrolled: 2-line block ×3, first 2 shown]
	v_fma_f64 v[84:85], v[10:11], v[120:121], -v[118:119]
	v_add_f64 v[10:11], v[16:17], v[124:125]
	v_fma_f64 v[86:87], v[12:13], v[120:121], v[96:97]
	v_add_f64 v[12:13], v[14:15], v[92:93]
	v_add_f64 v[14:15], v[18:19], v[126:127]
	;; [unrolled: 1-line block ×15, first 2 shown]
	s_and_not1_saveexec_b32 s47, s47
	s_cbranch_execz .LBB163_11
.LBB163_37:                             ;   in Loop: Header=BB163_9 Depth=1
	s_waitcnt lgkmcnt(0)
	v_mov_b32_e32 v17, 0
	v_mov_b32_e32 v18, 0
	s_delay_alu instid0(VALU_DEP_2) | instskip(SKIP_2) | instid1(VALU_DEP_4)
	v_mov_b32_e32 v13, v17
	v_mov_b32_e32 v15, v17
	;; [unrolled: 1-line block ×3, first 2 shown]
	v_dual_mov_b32 v11, v17 :: v_dual_mov_b32 v12, v18
	v_dual_mov_b32 v20, v18 :: v_dual_mov_b32 v19, v17
	v_mov_b32_e32 v14, v18
	v_mov_b32_e32 v16, v18
	v_dual_mov_b32 v10, v18 :: v_dual_mov_b32 v7, v17
	v_dual_mov_b32 v8, v18 :: v_dual_mov_b32 v5, v17
	v_mov_b32_e32 v6, v18
	s_and_saveexec_b32 s48, s3
	s_cbranch_execz .LBB163_43
; %bb.38:                               ;   in Loop: Header=BB163_9 Depth=1
	v_mov_b32_e32 v17, 0
	v_mov_b32_e32 v18, 0
	s_delay_alu instid0(VALU_DEP_2) | instskip(SKIP_2) | instid1(VALU_DEP_4)
	v_mov_b32_e32 v13, v17
	v_mov_b32_e32 v15, v17
	;; [unrolled: 1-line block ×3, first 2 shown]
	v_dual_mov_b32 v11, v17 :: v_dual_mov_b32 v12, v18
	v_dual_mov_b32 v20, v18 :: v_dual_mov_b32 v19, v17
	v_mov_b32_e32 v14, v18
	v_mov_b32_e32 v16, v18
	v_dual_mov_b32 v10, v18 :: v_dual_mov_b32 v7, v17
	v_dual_mov_b32 v8, v18 :: v_dual_mov_b32 v5, v17
	v_mov_b32_e32 v6, v18
	s_and_not1_b32 vcc_lo, exec_lo, s44
	s_cbranch_vccnz .LBB163_43
; %bb.39:                               ;   in Loop: Header=BB163_9 Depth=1
	v_mov_b32_e32 v2, v34
	v_dual_mov_b32 v4, 0 :: v_dual_mov_b32 v3, v35
	s_mov_b32 s49, s25
.LBB163_40:                             ;   Parent Loop BB163_9 Depth=1
                                        ; =>  This Inner Loop Header: Depth=2
	global_load_b128 v[5:8], v[2:3], off
	v_add_co_u32 v2, vcc_lo, v2, s34
	v_add_co_ci_u32_e32 v3, vcc_lo, s35, v3, vcc_lo
	s_add_i32 s49, s49, -1
	s_delay_alu instid0(SALU_CYCLE_1)
	s_cmp_eq_u32 s49, 0
	s_waitcnt vmcnt(0)
	scratch_store_b128 v4, v[5:8], off
	v_add_nc_u32_e32 v4, 16, v4
	s_cbranch_scc0 .LBB163_40
; %bb.41:                               ;   in Loop: Header=BB163_9 Depth=1
	v_dual_mov_b32 v5, 0 :: v_dual_mov_b32 v2, v36
	v_dual_mov_b32 v6, 0 :: v_dual_mov_b32 v3, v37
	v_mov_b32_e32 v4, v59
	s_mov_b32 s49, s25
	s_delay_alu instid0(VALU_DEP_2)
	v_mov_b32_e32 v8, v6
	v_mov_b32_e32 v12, v6
	;; [unrolled: 1-line block ×6, first 2 shown]
	v_dual_mov_b32 v18, v6 :: v_dual_mov_b32 v17, v5
	v_mov_b32_e32 v7, v5
	v_mov_b32_e32 v11, v5
	;; [unrolled: 1-line block ×6, first 2 shown]
.LBB163_42:                             ;   Parent Loop BB163_9 Depth=1
                                        ; =>  This Inner Loop Header: Depth=2
	v_add_co_u32 v38, vcc_lo, v2, s38
	v_add_co_ci_u32_e32 v39, vcc_lo, s39, v3, vcc_lo
	scratch_load_b128 v[60:63], v4, off offset:-8
	v_add_co_u32 v72, vcc_lo, v38, s38
	v_add_co_ci_u32_e32 v73, vcc_lo, s39, v39, vcc_lo
	global_load_b128 v[64:67], v[2:3], off
	v_add_co_u32 v76, vcc_lo, v72, s38
	v_add_co_ci_u32_e32 v77, vcc_lo, s39, v73, vcc_lo
	v_add_co_u32 v2, vcc_lo, v2, 16
	s_clause 0x2
	global_load_b128 v[68:71], v[38:39], off
	global_load_b128 v[72:75], v[72:73], off
	;; [unrolled: 1-line block ×3, first 2 shown]
	v_add_nc_u32_e32 v4, 16, v4
	v_add_co_ci_u32_e32 v3, vcc_lo, 0, v3, vcc_lo
	s_add_i32 s49, s49, -1
	s_delay_alu instid0(SALU_CYCLE_1)
	s_cmp_lg_u32 s49, 0
	s_waitcnt vmcnt(3)
	v_mul_f64 v[38:39], v[62:63], v[66:67]
	v_mul_f64 v[66:67], v[60:61], v[66:67]
	s_waitcnt vmcnt(2)
	v_mul_f64 v[80:81], v[62:63], v[70:71]
	v_mul_f64 v[70:71], v[60:61], v[70:71]
	;; [unrolled: 3-line block ×4, first 2 shown]
	v_fma_f64 v[38:39], v[60:61], v[64:65], -v[38:39]
	v_fma_f64 v[64:65], v[62:63], v[64:65], v[66:67]
	v_fma_f64 v[66:67], v[60:61], v[68:69], -v[80:81]
	v_fma_f64 v[68:69], v[62:63], v[68:69], v[70:71]
	;; [unrolled: 2-line block ×4, first 2 shown]
	v_add_f64 v[7:8], v[7:8], v[38:39]
	v_add_f64 v[5:6], v[5:6], v[64:65]
	;; [unrolled: 1-line block ×8, first 2 shown]
	s_cbranch_scc1 .LBB163_42
.LBB163_43:                             ;   in Loop: Header=BB163_9 Depth=1
	s_or_b32 exec_lo, exec_lo, s48
	s_delay_alu instid0(SALU_CYCLE_1)
	s_or_b32 exec_lo, exec_lo, s47
	s_and_saveexec_b32 s47, s0
	s_cbranch_execnz .LBB163_12
	s_branch .LBB163_13
.LBB163_44:                             ;   in Loop: Header=BB163_9 Depth=1
	ds_load_b128 v[5:8], v57
	s_or_b32 exec_lo, exec_lo, s47
	s_and_saveexec_b32 s47, s0
	s_cbranch_execz .LBB163_17
.LBB163_45:                             ;   in Loop: Header=BB163_9 Depth=1
	s_waitcnt lgkmcnt(0)
	ds_bpermute_b32 v2, v54, v5
	ds_bpermute_b32 v3, v54, v6
	ds_bpermute_b32 v38, v54, v7
	ds_bpermute_b32 v39, v54, v8
	s_waitcnt lgkmcnt(2)
	v_add_f64 v[2:3], v[5:6], v[2:3]
	s_waitcnt lgkmcnt(0)
	v_add_f64 v[4:5], v[7:8], v[38:39]
	ds_bpermute_b32 v6, v55, v2
	ds_bpermute_b32 v7, v55, v3
	ds_bpermute_b32 v38, v55, v4
	ds_bpermute_b32 v39, v55, v5
	s_waitcnt lgkmcnt(2)
	v_add_f64 v[2:3], v[2:3], v[6:7]
	s_waitcnt lgkmcnt(0)
	v_add_f64 v[7:8], v[4:5], v[38:39]
	;; [unrolled: 8-line block ×3, first 2 shown]
	s_or_b32 exec_lo, exec_lo, s47
	s_and_saveexec_b32 s47, s0
	s_cbranch_execnz .LBB163_18
	s_branch .LBB163_19
.LBB163_46:                             ;   in Loop: Header=BB163_9 Depth=1
	ds_load_b128 v[9:12], v57
	s_or_b32 exec_lo, exec_lo, s47
	s_and_saveexec_b32 s47, s0
	s_cbranch_execz .LBB163_23
.LBB163_47:                             ;   in Loop: Header=BB163_9 Depth=1
	s_waitcnt lgkmcnt(0)
	ds_bpermute_b32 v2, v54, v9
	ds_bpermute_b32 v3, v54, v10
	ds_bpermute_b32 v38, v54, v11
	ds_bpermute_b32 v39, v54, v12
	s_waitcnt lgkmcnt(2)
	v_add_f64 v[2:3], v[9:10], v[2:3]
	s_waitcnt lgkmcnt(0)
	v_add_f64 v[9:10], v[11:12], v[38:39]
	ds_bpermute_b32 v11, v55, v2
	ds_bpermute_b32 v12, v55, v3
	ds_bpermute_b32 v38, v55, v9
	ds_bpermute_b32 v39, v55, v10
	s_waitcnt lgkmcnt(2)
	v_add_f64 v[2:3], v[2:3], v[11:12]
	s_waitcnt lgkmcnt(0)
	v_add_f64 v[11:12], v[9:10], v[38:39]
	;; [unrolled: 8-line block ×3, first 2 shown]
	s_or_b32 exec_lo, exec_lo, s47
	s_and_saveexec_b32 s47, s0
	s_cbranch_execnz .LBB163_24
	s_branch .LBB163_25
.LBB163_48:                             ;   in Loop: Header=BB163_9 Depth=1
	ds_load_b128 v[13:16], v57
	s_or_b32 exec_lo, exec_lo, s47
	s_and_saveexec_b32 s47, s0
	s_cbranch_execz .LBB163_29
.LBB163_49:                             ;   in Loop: Header=BB163_9 Depth=1
	s_waitcnt lgkmcnt(0)
	ds_bpermute_b32 v2, v54, v13
	ds_bpermute_b32 v3, v54, v14
	ds_bpermute_b32 v38, v54, v15
	ds_bpermute_b32 v39, v54, v16
	s_waitcnt lgkmcnt(2)
	v_add_f64 v[2:3], v[13:14], v[2:3]
	s_waitcnt lgkmcnt(0)
	v_add_f64 v[13:14], v[15:16], v[38:39]
	ds_bpermute_b32 v15, v55, v2
	ds_bpermute_b32 v16, v55, v3
	ds_bpermute_b32 v38, v55, v13
	ds_bpermute_b32 v39, v55, v14
	s_waitcnt lgkmcnt(2)
	v_add_f64 v[2:3], v[2:3], v[15:16]
	s_waitcnt lgkmcnt(0)
	v_add_f64 v[15:16], v[13:14], v[38:39]
	;; [unrolled: 8-line block ×3, first 2 shown]
	s_or_b32 exec_lo, exec_lo, s47
	s_and_saveexec_b32 s47, s0
	s_cbranch_execnz .LBB163_30
	s_branch .LBB163_31
.LBB163_50:                             ;   in Loop: Header=BB163_9 Depth=1
	ds_load_b128 v[17:20], v57
	s_or_b32 exec_lo, exec_lo, s47
	s_and_saveexec_b32 s47, s0
	s_cbranch_execz .LBB163_35
.LBB163_51:                             ;   in Loop: Header=BB163_9 Depth=1
	s_waitcnt lgkmcnt(0)
	ds_bpermute_b32 v2, v54, v17
	ds_bpermute_b32 v3, v54, v18
	ds_bpermute_b32 v38, v54, v19
	ds_bpermute_b32 v39, v54, v20
	s_waitcnt lgkmcnt(2)
	v_add_f64 v[2:3], v[17:18], v[2:3]
	s_waitcnt lgkmcnt(0)
	v_add_f64 v[17:18], v[19:20], v[38:39]
	ds_bpermute_b32 v19, v55, v2
	ds_bpermute_b32 v20, v55, v3
	ds_bpermute_b32 v38, v55, v17
	ds_bpermute_b32 v39, v55, v18
	s_waitcnt lgkmcnt(2)
	v_add_f64 v[2:3], v[2:3], v[19:20]
	s_waitcnt lgkmcnt(0)
	v_add_f64 v[19:20], v[17:18], v[38:39]
	;; [unrolled: 8-line block ×3, first 2 shown]
	s_or_b32 exec_lo, exec_lo, s47
	s_and_saveexec_b32 s47, s5
	s_cbranch_execz .LBB163_8
.LBB163_52:                             ;   in Loop: Header=BB163_9 Depth=1
	v_mul_f64 v[2:3], s[18:19], v[7:8]
	v_mul_f64 v[7:8], s[16:17], v[7:8]
	v_mul_f64 v[38:39], s[18:19], v[11:12]
	v_mul_f64 v[11:12], s[16:17], v[11:12]
	v_mul_f64 v[60:61], s[18:19], v[15:16]
	v_mul_f64 v[15:16], s[16:17], v[15:16]
	s_waitcnt lgkmcnt(0)
	v_mul_f64 v[62:63], s[18:19], v[19:20]
	v_mul_f64 v[19:20], s[16:17], v[19:20]
	s_mul_hi_u32 s49, s15, s24
	s_mul_i32 s48, s15, s24
	s_delay_alu instid0(SALU_CYCLE_1) | instskip(NEXT) | instid1(SALU_CYCLE_1)
	s_lshl_b64 s[48:49], s[48:49], 4
	s_add_u32 s48, s45, s48
	s_addc_u32 s49, s46, s49
	s_or_b32 s50, s15, 1
	s_delay_alu instid0(SALU_CYCLE_1) | instskip(SKIP_1) | instid1(SALU_CYCLE_1)
	s_mul_hi_u32 s51, s50, s24
	s_mul_i32 s50, s50, s24
	s_lshl_b64 s[50:51], s[50:51], 4
	s_delay_alu instid0(SALU_CYCLE_1) | instskip(SKIP_2) | instid1(SALU_CYCLE_1)
	s_add_u32 s50, s45, s50
	s_addc_u32 s51, s46, s51
	s_or_b32 s52, s15, 2
	s_mul_hi_u32 s53, s52, s24
	s_mul_i32 s52, s52, s24
	s_delay_alu instid0(SALU_CYCLE_1) | instskip(NEXT) | instid1(SALU_CYCLE_1)
	s_lshl_b64 s[52:53], s[52:53], 4
	s_add_u32 s52, s45, s52
	s_addc_u32 s53, s46, s53
	s_or_b32 s54, s15, 3
	s_delay_alu instid0(SALU_CYCLE_1) | instskip(SKIP_1) | instid1(SALU_CYCLE_1)
	s_mul_hi_u32 s55, s54, s24
	s_mul_i32 s54, s54, s24
	s_lshl_b64 s[54:55], s[54:55], 4
	v_fma_f64 v[2:3], s[16:17], v[5:6], -v[2:3]
	v_fma_f64 v[4:5], s[18:19], v[5:6], v[7:8]
	v_fma_f64 v[6:7], s[16:17], v[9:10], -v[38:39]
	v_fma_f64 v[8:9], s[18:19], v[9:10], v[11:12]
	;; [unrolled: 2-line block ×4, first 2 shown]
	s_add_u32 s54, s45, s54
	s_addc_u32 s55, s46, s55
	s_clause 0x3
	global_store_b128 v1, v[2:5], s[48:49]
	global_store_b128 v1, v[6:9], s[50:51]
	;; [unrolled: 1-line block ×4, first 2 shown]
	s_branch .LBB163_8
.LBB163_53:
	s_mov_b32 s15, 0
.LBB163_54:
	s_delay_alu instid0(SALU_CYCLE_1)
	s_cmp_ge_i32 s15, s13
	s_cbranch_scc1 .LBB163_76
; %bb.55:
	v_cmp_gt_u32_e64 s1, 16, v48
	v_mad_i64_i32 v[7:8], null, s28, v46, 0
	v_cmp_gt_u32_e64 s0, 32, v0
	v_cmp_gt_u32_e64 s2, 8, v0
	s_delay_alu instid0(VALU_DEP_4) | instskip(SKIP_3) | instid1(VALU_DEP_4)
	v_cndmask_b32_e64 v1, 0, 1, s1
	v_cmp_gt_u32_e64 s1, 24, v48
	v_cmp_eq_u32_e64 s3, 0, v0
	v_mad_i64_i32 v[11:12], null, s28, v45, 0
	v_lshlrev_b32_e32 v1, 4, v1
	s_delay_alu instid0(VALU_DEP_4)
	v_cndmask_b32_e64 v2, 0, 1, s1
	v_cmp_gt_u32_e64 s1, 28, v48
	v_lshlrev_b64 v[9:10], 4, v[7:8]
	v_cmp_ge_i32_e64 s4, s12, v51
	v_add_lshl_u32 v27, v1, v48, 2
	v_lshlrev_b32_e32 v2, 3, v2
	v_cndmask_b32_e64 v3, 0, 1, s1
	v_cmp_gt_u32_e64 s1, 30, v48
	s_cmp_gt_i32 s25, 0
	s_mov_b32 s35, 0
	v_add_lshl_u32 v28, v2, v48, 2
	v_lshlrev_b32_e32 v3, 2, v3
	v_cndmask_b32_e64 v4, 0, 1, s1
	v_mad_i64_i32 v[1:2], null, s28, v25, 0
	v_cmp_ne_u32_e64 s1, 31, v48
	s_delay_alu instid0(VALU_DEP_4) | instskip(NEXT) | instid1(VALU_DEP_4)
	v_add_lshl_u32 v29, v3, v48, 2
	v_lshlrev_b32_e32 v4, 1, v4
	s_mov_b32 s34, s14
	s_cselect_b32 s36, -1, 0
	v_add_co_ci_u32_e64 v5, s1, 0, v48, s1
	s_delay_alu instid0(VALU_DEP_2) | instskip(SKIP_2) | instid1(VALU_DEP_4)
	v_add_lshl_u32 v30, v4, v48, 2
	v_mad_i64_i32 v[3:4], null, s28, v49, 0
	v_lshlrev_b64 v[0:1], 4, v[1:2]
	v_lshlrev_b32_e32 v31, 2, v5
	s_lshl_b64 s[34:35], s[34:35], 4
	v_cmp_ge_i32_e32 vcc_lo, s12, v50
	s_add_u32 s12, s41, s34
	s_addc_u32 s14, s42, s35
	s_delay_alu instid0(VALU_DEP_4) | instskip(SKIP_1) | instid1(VALU_DEP_1)
	v_lshlrev_b64 v[2:3], 4, v[3:4]
	v_add_co_u32 v5, s5, s33, v0
	v_add_co_ci_u32_e64 v6, s5, s40, v1, s5
	v_lshlrev_b32_e32 v26, 4, v44
	s_delay_alu instid0(VALU_DEP_4) | instskip(NEXT) | instid1(VALU_DEP_1)
	v_add_co_u32 v7, s5, s33, v2
	v_add_co_ci_u32_e64 v8, s5, s40, v3, s5
	v_add_co_u32 v9, s5, s33, v9
	s_delay_alu instid0(VALU_DEP_1)
	v_add_co_ci_u32_e64 v10, s5, s40, v10, s5
	v_lshlrev_b64 v[2:3], 4, v[11:12]
	s_and_b32 s5, s36, s4
	s_add_u32 s4, s6, s30
	s_addc_u32 s6, s7, s31
	s_add_u32 s30, s4, s20
	s_mul_i32 s4, s27, s15
	s_mul_hi_u32 s7, s26, s15
	s_addc_u32 s31, s6, s21
	s_add_i32 s7, s7, s4
	s_mul_i32 s6, s26, s15
	v_add_co_u32 v11, s4, s33, v2
	s_lshl_b64 s[20:21], s[6:7], 4
	v_add_co_ci_u32_e64 v12, s4, s40, v3, s4
	s_lshl_b64 s[6:7], s[28:29], 4
	s_add_u32 s4, s22, s20
	s_addc_u32 s20, s23, s21
	s_add_u32 s4, s4, s10
	s_addc_u32 s10, s20, s11
	;; [unrolled: 2-line block ×3, first 2 shown]
	v_add_co_u32 v2, s4, s4, v23
	s_delay_alu instid0(VALU_DEP_1)
	v_add_co_ci_u32_e64 v3, s4, s8, v24, s4
	v_add_co_u32 v13, s4, s30, v0
	v_mov_b32_e32 v0, 0
	v_add_co_ci_u32_e64 v14, s4, s31, v1, s4
	v_add_co_u32 v15, s4, v2, 8
	v_cmp_eq_u32_e64 s1, 0, v44
	v_and_b32_e32 v25, 0x70, v47
	v_add_co_ci_u32_e64 v16, s4, 0, v3, s4
	s_lshl_b64 s[8:9], s[26:27], 4
	s_branch .LBB163_57
.LBB163_56:                             ;   in Loop: Header=BB163_57 Depth=1
	s_or_b32 exec_lo, exec_lo, s4
	v_add_co_u32 v15, s4, v15, s8
	s_delay_alu instid0(VALU_DEP_1) | instskip(SKIP_1) | instid1(SALU_CYCLE_1)
	v_add_co_ci_u32_e64 v16, s4, s9, v16, s4
	s_add_i32 s15, s15, 1
	s_cmp_lt_i32 s15, s13
	s_cbranch_scc0 .LBB163_76
.LBB163_57:                             ; =>This Loop Header: Depth=1
                                        ;     Child Loop BB163_69 Depth 2
                                        ;     Child Loop BB163_71 Depth 2
                                        ; implicit-def: $vgpr17_vgpr18
                                        ; implicit-def: $vgpr19_vgpr20
	s_and_saveexec_b32 s4, vcc_lo
	s_delay_alu instid0(SALU_CYCLE_1)
	s_xor_b32 s10, exec_lo, s4
	s_cbranch_execnz .LBB163_66
; %bb.58:                               ;   in Loop: Header=BB163_57 Depth=1
	s_and_not1_saveexec_b32 s10, s10
	s_cbranch_execnz .LBB163_67
.LBB163_59:                             ;   in Loop: Header=BB163_57 Depth=1
	s_or_b32 exec_lo, exec_lo, s10
	s_and_saveexec_b32 s4, s0
	s_cbranch_execz .LBB163_61
.LBB163_60:                             ;   in Loop: Header=BB163_57 Depth=1
	s_waitcnt lgkmcnt(0)
	v_mov_b32_e32 v1, v0
	v_mov_b32_e32 v2, v0
	v_mov_b32_e32 v3, v0
	ds_store_b128 v26, v[0:3]
.LBB163_61:                             ;   in Loop: Header=BB163_57 Depth=1
	s_or_b32 exec_lo, exec_lo, s4
	s_waitcnt lgkmcnt(0)
	ds_bpermute_b32 v1, v27, v17
	ds_bpermute_b32 v2, v27, v18
	;; [unrolled: 1-line block ×4, first 2 shown]
	s_waitcnt lgkmcnt(0)
	s_waitcnt_vscnt null, 0x0
	s_barrier
	buffer_gl0_inv
	v_add_f64 v[1:2], v[17:18], v[1:2]
	v_add_f64 v[3:4], v[19:20], v[3:4]
	ds_bpermute_b32 v17, v28, v1
	ds_bpermute_b32 v18, v28, v2
	ds_bpermute_b32 v19, v28, v3
	ds_bpermute_b32 v20, v28, v4
	s_waitcnt lgkmcnt(2)
	v_add_f64 v[1:2], v[1:2], v[17:18]
	s_waitcnt lgkmcnt(0)
	v_add_f64 v[3:4], v[3:4], v[19:20]
	ds_bpermute_b32 v17, v29, v1
	ds_bpermute_b32 v18, v29, v2
	ds_bpermute_b32 v19, v29, v3
	ds_bpermute_b32 v20, v29, v4
	s_waitcnt lgkmcnt(2)
	v_add_f64 v[1:2], v[1:2], v[17:18]
	s_waitcnt lgkmcnt(0)
	;; [unrolled: 8-line block ×3, first 2 shown]
	v_add_f64 v[17:18], v[3:4], v[19:20]
	ds_bpermute_b32 v3, v31, v1
	ds_bpermute_b32 v4, v31, v2
	;; [unrolled: 1-line block ×4, first 2 shown]
	s_and_saveexec_b32 s4, s1
	s_cbranch_execz .LBB163_63
; %bb.62:                               ;   in Loop: Header=BB163_57 Depth=1
	s_waitcnt lgkmcnt(0)
	v_add_f64 v[19:20], v[17:18], v[19:20]
	v_add_f64 v[17:18], v[1:2], v[3:4]
	ds_store_b128 v25, v[17:20]
.LBB163_63:                             ;   in Loop: Header=BB163_57 Depth=1
	s_or_b32 exec_lo, exec_lo, s4
	s_waitcnt lgkmcnt(2)
	v_mov_b32_e32 v3, 0
	v_mov_b32_e32 v4, 0
	s_delay_alu instid0(VALU_DEP_2)
	v_mov_b32_e32 v1, v3
	s_waitcnt lgkmcnt(0)
	s_barrier
	buffer_gl0_inv
	v_mov_b32_e32 v2, v4
	s_and_saveexec_b32 s4, s2
	s_cbranch_execnz .LBB163_73
; %bb.64:                               ;   in Loop: Header=BB163_57 Depth=1
	s_or_b32 exec_lo, exec_lo, s4
	s_and_saveexec_b32 s4, s0
	s_cbranch_execnz .LBB163_74
.LBB163_65:                             ;   in Loop: Header=BB163_57 Depth=1
	s_or_b32 exec_lo, exec_lo, s4
	s_and_saveexec_b32 s4, s3
	s_cbranch_execz .LBB163_56
	s_branch .LBB163_75
.LBB163_66:                             ;   in Loop: Header=BB163_57 Depth=1
	s_waitcnt lgkmcnt(0)
	global_load_b128 v[1:4], v[7:8], off
	s_waitcnt lgkmcnt(0)
	s_clause 0x1
	global_load_b128 v[17:20], v[9:10], off
	global_load_b128 v[32:35], v[11:12], off
	s_mul_i32 s4, s15, s27
	s_mul_hi_u32 s11, s15, s26
	s_mul_i32 s20, s15, s26
	s_add_i32 s21, s11, s4
	s_delay_alu instid0(SALU_CYCLE_1) | instskip(NEXT) | instid1(SALU_CYCLE_1)
	s_lshl_b64 s[20:21], s[20:21], 4
	v_add_co_u32 v23, s4, v21, s20
	s_delay_alu instid0(VALU_DEP_1)
	v_add_co_ci_u32_e64 v24, s4, s21, v22, s4
	global_load_b128 v[36:39], v[5:6], off
	s_clause 0x1
	global_load_b128 v[44:47], v[23:24], off
	global_load_b128 v[48:51], v[23:24], off offset:16
	s_waitcnt vmcnt(5)
	scratch_store_b128 v40, v[1:4], off
	scratch_load_b128 v[1:4], off, off offset:16
	global_load_b128 v[52:55], v[23:24], off offset:32
	s_waitcnt vmcnt(6)
	scratch_store_b128 v41, v[17:20], off
	scratch_load_b128 v[17:20], off, off offset:32
	;; [unrolled: 4-line block ×3, first 2 shown]
	s_waitcnt vmcnt(7)
	scratch_store_b128 off, v[36:39], off
	s_waitcnt vmcnt(6)
	v_mul_f64 v[23:24], v[46:47], v[38:39]
	v_mul_f64 v[60:61], v[44:45], v[38:39]
	s_delay_alu instid0(VALU_DEP_2) | instskip(NEXT) | instid1(VALU_DEP_2)
	v_fma_f64 v[23:24], v[44:45], v[36:37], -v[23:24]
	v_fma_f64 v[44:45], v[46:47], v[36:37], v[60:61]
	s_delay_alu instid0(VALU_DEP_2) | instskip(NEXT) | instid1(VALU_DEP_2)
	v_add_f64 v[23:24], v[23:24], 0
	v_add_f64 v[44:45], v[44:45], 0
	s_waitcnt vmcnt(4)
	v_mul_f64 v[46:47], v[50:51], v[3:4]
	v_mul_f64 v[3:4], v[48:49], v[3:4]
	s_waitcnt vmcnt(2)
	v_mul_f64 v[60:61], v[54:55], v[19:20]
	v_mul_f64 v[19:20], v[52:53], v[19:20]
	s_delay_alu instid0(VALU_DEP_4) | instskip(NEXT) | instid1(VALU_DEP_4)
	v_fma_f64 v[46:47], v[48:49], v[1:2], -v[46:47]
	v_fma_f64 v[1:2], v[50:51], v[1:2], v[3:4]
	s_waitcnt vmcnt(0)
	v_mul_f64 v[3:4], v[58:59], v[34:35]
	v_mul_f64 v[34:35], v[56:57], v[34:35]
	v_fma_f64 v[48:49], v[52:53], v[17:18], -v[60:61]
	v_fma_f64 v[17:18], v[54:55], v[17:18], v[19:20]
	v_add_f64 v[19:20], v[23:24], v[46:47]
	v_add_f64 v[1:2], v[44:45], v[1:2]
	v_fma_f64 v[3:4], v[56:57], v[32:33], -v[3:4]
	v_fma_f64 v[23:24], v[58:59], v[32:33], v[34:35]
	s_delay_alu instid0(VALU_DEP_4) | instskip(NEXT) | instid1(VALU_DEP_4)
	v_add_f64 v[19:20], v[19:20], v[48:49]
	v_add_f64 v[1:2], v[1:2], v[17:18]
	s_delay_alu instid0(VALU_DEP_2) | instskip(NEXT) | instid1(VALU_DEP_2)
	v_add_f64 v[17:18], v[19:20], v[3:4]
	v_add_f64 v[19:20], v[1:2], v[23:24]
	s_and_not1_saveexec_b32 s10, s10
	s_cbranch_execz .LBB163_59
.LBB163_67:                             ;   in Loop: Header=BB163_57 Depth=1
	s_waitcnt lgkmcnt(0)
	v_mov_b32_e32 v17, 0
	v_mov_b32_e32 v18, 0
	s_delay_alu instid0(VALU_DEP_1)
	v_dual_mov_b32 v20, v18 :: v_dual_mov_b32 v19, v17
	s_and_saveexec_b32 s11, s5
	s_cbranch_execz .LBB163_72
; %bb.68:                               ;   in Loop: Header=BB163_57 Depth=1
	v_mov_b32_e32 v1, v13
	v_dual_mov_b32 v3, 0 :: v_dual_mov_b32 v2, v14
	s_mov_b32 s20, s25
.LBB163_69:                             ;   Parent Loop BB163_57 Depth=1
                                        ; =>  This Inner Loop Header: Depth=2
	global_load_b128 v[17:20], v[1:2], off
	v_add_co_u32 v1, s4, v1, s6
	s_delay_alu instid0(VALU_DEP_1) | instskip(SKIP_1) | instid1(SALU_CYCLE_1)
	v_add_co_ci_u32_e64 v2, s4, s7, v2, s4
	s_add_i32 s20, s20, -1
	s_cmp_eq_u32 s20, 0
	s_waitcnt vmcnt(0)
	scratch_store_b128 v3, v[17:20], off
	v_add_nc_u32_e32 v3, 16, v3
	s_cbranch_scc0 .LBB163_69
; %bb.70:                               ;   in Loop: Header=BB163_57 Depth=1
	v_mov_b32_e32 v17, 0
	v_dual_mov_b32 v18, 0 :: v_dual_mov_b32 v1, v15
	v_dual_mov_b32 v3, v43 :: v_dual_mov_b32 v2, v16
	s_mov_b32 s20, s25
	s_delay_alu instid0(VALU_DEP_2)
	v_dual_mov_b32 v20, v18 :: v_dual_mov_b32 v19, v17
	.p2align	6
.LBB163_71:                             ;   Parent Loop BB163_57 Depth=1
                                        ; =>  This Inner Loop Header: Depth=2
	global_load_b128 v[32:35], v[1:2], off offset:-8
	scratch_load_b128 v[36:39], v3, off offset:-8
	v_add_co_u32 v1, s4, v1, 16
	v_add_nc_u32_e32 v3, 16, v3
	v_add_co_ci_u32_e64 v2, s4, 0, v2, s4
	s_add_i32 s20, s20, -1
	s_delay_alu instid0(SALU_CYCLE_1) | instskip(SKIP_3) | instid1(VALU_DEP_2)
	s_cmp_lg_u32 s20, 0
	s_waitcnt vmcnt(0)
	v_mul_f64 v[23:24], v[34:35], v[38:39]
	v_mul_f64 v[38:39], v[32:33], v[38:39]
	v_fma_f64 v[23:24], v[32:33], v[36:37], -v[23:24]
	s_delay_alu instid0(VALU_DEP_2) | instskip(NEXT) | instid1(VALU_DEP_2)
	v_fma_f64 v[32:33], v[34:35], v[36:37], v[38:39]
	v_add_f64 v[17:18], v[17:18], v[23:24]
	s_delay_alu instid0(VALU_DEP_2)
	v_add_f64 v[19:20], v[19:20], v[32:33]
	s_cbranch_scc1 .LBB163_71
.LBB163_72:                             ;   in Loop: Header=BB163_57 Depth=1
	s_or_b32 exec_lo, exec_lo, s11
	s_delay_alu instid0(SALU_CYCLE_1)
	s_or_b32 exec_lo, exec_lo, s10
	s_and_saveexec_b32 s4, s0
	s_cbranch_execnz .LBB163_60
	s_branch .LBB163_61
.LBB163_73:                             ;   in Loop: Header=BB163_57 Depth=1
	ds_load_b128 v[1:4], v26
	s_or_b32 exec_lo, exec_lo, s4
	s_and_saveexec_b32 s4, s0
	s_cbranch_execz .LBB163_65
.LBB163_74:                             ;   in Loop: Header=BB163_57 Depth=1
	s_waitcnt lgkmcnt(0)
	ds_bpermute_b32 v17, v29, v1
	ds_bpermute_b32 v18, v29, v2
	ds_bpermute_b32 v19, v29, v3
	ds_bpermute_b32 v20, v29, v4
	s_waitcnt lgkmcnt(2)
	v_add_f64 v[1:2], v[1:2], v[17:18]
	s_waitcnt lgkmcnt(0)
	v_add_f64 v[3:4], v[3:4], v[19:20]
	ds_bpermute_b32 v17, v30, v1
	ds_bpermute_b32 v18, v30, v2
	ds_bpermute_b32 v19, v30, v3
	ds_bpermute_b32 v20, v30, v4
	s_waitcnt lgkmcnt(2)
	v_add_f64 v[1:2], v[1:2], v[17:18]
	s_waitcnt lgkmcnt(0)
	v_add_f64 v[3:4], v[3:4], v[19:20]
	;; [unrolled: 8-line block ×3, first 2 shown]
	s_or_b32 exec_lo, exec_lo, s4
	s_and_saveexec_b32 s4, s3
	s_cbranch_execz .LBB163_56
.LBB163_75:                             ;   in Loop: Header=BB163_57 Depth=1
	s_waitcnt lgkmcnt(0)
	s_delay_alu instid0(VALU_DEP_1) | instskip(SKIP_3) | instid1(SALU_CYCLE_1)
	v_mul_f64 v[17:18], s[18:19], v[3:4]
	v_mul_f64 v[3:4], s[16:17], v[3:4]
	s_mul_hi_u32 s11, s15, s24
	s_mul_i32 s10, s15, s24
	s_lshl_b64 s[10:11], s[10:11], 4
	s_delay_alu instid0(SALU_CYCLE_1) | instskip(SKIP_1) | instid1(VALU_DEP_2)
	s_add_u32 s10, s12, s10
	s_addc_u32 s11, s14, s11
	v_fma_f64 v[17:18], s[16:17], v[1:2], -v[17:18]
	s_delay_alu instid0(VALU_DEP_2)
	v_fma_f64 v[19:20], s[18:19], v[1:2], v[3:4]
	global_store_b128 v0, v[17:20], s[10:11]
	s_branch .LBB163_56
.LBB163_76:
	s_nop 0
	s_sendmsg sendmsg(MSG_DEALLOC_VGPRS)
	s_endpgm
	.section	.rodata,"a",@progbits
	.p2align	6, 0x0
	.amdhsa_kernel _ZL23rocblas_gemvt_sn_kernelILb0ELi256ELi4El19rocblas_complex_numIdEPKS1_S1_EviiT4_lPKT3_lilS7_lilPT5_i
		.amdhsa_group_segment_fixed_size 512
		.amdhsa_private_segment_fixed_size 80
		.amdhsa_kernarg_size 360
		.amdhsa_user_sgpr_count 14
		.amdhsa_user_sgpr_dispatch_ptr 0
		.amdhsa_user_sgpr_queue_ptr 0
		.amdhsa_user_sgpr_kernarg_segment_ptr 1
		.amdhsa_user_sgpr_dispatch_id 0
		.amdhsa_user_sgpr_private_segment_size 0
		.amdhsa_wavefront_size32 1
		.amdhsa_uses_dynamic_stack 0
		.amdhsa_enable_private_segment 1
		.amdhsa_system_sgpr_workgroup_id_x 1
		.amdhsa_system_sgpr_workgroup_id_y 0
		.amdhsa_system_sgpr_workgroup_id_z 1
		.amdhsa_system_sgpr_workgroup_info 0
		.amdhsa_system_vgpr_workitem_id 0
		.amdhsa_next_free_vgpr 132
		.amdhsa_next_free_sgpr 61
		.amdhsa_reserve_vcc 1
		.amdhsa_float_round_mode_32 0
		.amdhsa_float_round_mode_16_64 0
		.amdhsa_float_denorm_mode_32 3
		.amdhsa_float_denorm_mode_16_64 3
		.amdhsa_dx10_clamp 1
		.amdhsa_ieee_mode 1
		.amdhsa_fp16_overflow 0
		.amdhsa_workgroup_processor_mode 1
		.amdhsa_memory_ordered 1
		.amdhsa_forward_progress 0
		.amdhsa_shared_vgpr_count 0
		.amdhsa_exception_fp_ieee_invalid_op 0
		.amdhsa_exception_fp_denorm_src 0
		.amdhsa_exception_fp_ieee_div_zero 0
		.amdhsa_exception_fp_ieee_overflow 0
		.amdhsa_exception_fp_ieee_underflow 0
		.amdhsa_exception_fp_ieee_inexact 0
		.amdhsa_exception_int_div_zero 0
	.end_amdhsa_kernel
	.section	.text._ZL23rocblas_gemvt_sn_kernelILb0ELi256ELi4El19rocblas_complex_numIdEPKS1_S1_EviiT4_lPKT3_lilS7_lilPT5_i,"axG",@progbits,_ZL23rocblas_gemvt_sn_kernelILb0ELi256ELi4El19rocblas_complex_numIdEPKS1_S1_EviiT4_lPKT3_lilS7_lilPT5_i,comdat
.Lfunc_end163:
	.size	_ZL23rocblas_gemvt_sn_kernelILb0ELi256ELi4El19rocblas_complex_numIdEPKS1_S1_EviiT4_lPKT3_lilS7_lilPT5_i, .Lfunc_end163-_ZL23rocblas_gemvt_sn_kernelILb0ELi256ELi4El19rocblas_complex_numIdEPKS1_S1_EviiT4_lPKT3_lilS7_lilPT5_i
                                        ; -- End function
	.section	.AMDGPU.csdata,"",@progbits
; Kernel info:
; codeLenInByte = 7676
; NumSgprs: 63
; NumVgprs: 132
; ScratchSize: 80
; MemoryBound: 0
; FloatMode: 240
; IeeeMode: 1
; LDSByteSize: 512 bytes/workgroup (compile time only)
; SGPRBlocks: 7
; VGPRBlocks: 16
; NumSGPRsForWavesPerEU: 63
; NumVGPRsForWavesPerEU: 132
; Occupancy: 10
; WaveLimiterHint : 1
; COMPUTE_PGM_RSRC2:SCRATCH_EN: 1
; COMPUTE_PGM_RSRC2:USER_SGPR: 14
; COMPUTE_PGM_RSRC2:TRAP_HANDLER: 0
; COMPUTE_PGM_RSRC2:TGID_X_EN: 1
; COMPUTE_PGM_RSRC2:TGID_Y_EN: 0
; COMPUTE_PGM_RSRC2:TGID_Z_EN: 1
; COMPUTE_PGM_RSRC2:TIDIG_COMP_CNT: 0
	.section	.text._ZL23rocblas_gemvt_sn_reduceILi256ELi8E19rocblas_complex_numIdEPKS1_S1_EviT2_lPT3_lilPT1_i,"axG",@progbits,_ZL23rocblas_gemvt_sn_reduceILi256ELi8E19rocblas_complex_numIdEPKS1_S1_EviT2_lPT3_lilPT1_i,comdat
	.globl	_ZL23rocblas_gemvt_sn_reduceILi256ELi8E19rocblas_complex_numIdEPKS1_S1_EviT2_lPT3_lilPT1_i ; -- Begin function _ZL23rocblas_gemvt_sn_reduceILi256ELi8E19rocblas_complex_numIdEPKS1_S1_EviT2_lPT3_lilPT1_i
	.p2align	8
	.type	_ZL23rocblas_gemvt_sn_reduceILi256ELi8E19rocblas_complex_numIdEPKS1_S1_EviT2_lPT3_lilPT1_i,@function
_ZL23rocblas_gemvt_sn_reduceILi256ELi8E19rocblas_complex_numIdEPKS1_S1_EviT2_lPT3_lilPT1_i: ; @_ZL23rocblas_gemvt_sn_reduceILi256ELi8E19rocblas_complex_numIdEPKS1_S1_EviT2_lPT3_lilPT1_i
; %bb.0:
	s_clause 0x2
	s_load_b256 s[4:11], s[0:1], 0x8
	s_load_b32 s18, s[0:1], 0x0
	s_load_b32 s16, s[0:1], 0x4c
	v_mov_b32_e32 v1, 0
	v_dual_mov_b32 v2, 0 :: v_dual_lshlrev_b32 v7, 3, v0
	s_mov_b32 s21, 0
	s_delay_alu instid0(VALU_DEP_1)
	v_dual_mov_b32 v4, v2 :: v_dual_mov_b32 v3, v1
	s_waitcnt lgkmcnt(0)
	s_mul_i32 s2, s15, s7
	s_mul_hi_u32 s3, s15, s6
	s_ashr_i32 s17, s18, 31
	s_add_i32 s3, s3, s2
	s_mul_i32 s2, s15, s6
	s_mul_i32 s16, s16, s15
	s_lshl_b64 s[2:3], s[2:3], 4
	s_delay_alu instid0(SALU_CYCLE_1)
	s_add_u32 s2, s4, s2
	s_addc_u32 s3, s5, s3
	s_load_b64 s[12:13], s[0:1], 0x38
	s_load_b128 s[4:7], s[2:3], 0x0
	s_add_u32 s2, s0, 0x48
	s_addc_u32 s3, s1, 0
	s_add_i32 s16, s16, s14
	s_lshr_b32 s19, s17, 29
	s_mul_i32 s17, s16, s17
	s_add_i32 s19, s18, s19
	s_mul_hi_u32 s20, s16, s18
	s_and_b32 s19, s19, -8
	s_add_i32 s17, s20, s17
	s_mul_i32 s16, s16, s18
	s_mov_b32 s20, exec_lo
	v_cmpx_gt_i32_e64 s19, v7
	s_cbranch_execz .LBB164_4
; %bb.1:
	s_load_b32 s2, s[2:3], 0xc
	v_lshlrev_b32_e32 v3, 7, v0
	s_lshl_b64 s[22:23], s[16:17], 4
	v_mov_b32_e32 v1, 0
	v_mov_b32_e32 v2, 0
	s_waitcnt lgkmcnt(0)
	s_and_b32 s2, s2, 0xffff
	s_delay_alu instid0(SALU_CYCLE_1) | instskip(SKIP_3) | instid1(VALU_DEP_1)
	s_lshl_b32 s3, s2, 3
	s_add_u32 s22, s12, s22
	s_addc_u32 s23, s13, s23
	v_add_co_u32 v3, s22, s22, v3
	v_add_co_ci_u32_e64 v4, null, s23, 0, s22
	s_lshl_b32 s22, s2, 7
	s_delay_alu instid0(VALU_DEP_2) | instskip(NEXT) | instid1(VALU_DEP_2)
	v_add_co_u32 v5, vcc_lo, 0x78, v3
	v_add_co_ci_u32_e32 v6, vcc_lo, 0, v4, vcc_lo
	v_dual_mov_b32 v4, v2 :: v_dual_mov_b32 v3, v1
.LBB164_2:                              ; =>This Inner Loop Header: Depth=1
	s_clause 0x7
	global_load_b128 v[8:11], v[5:6], off offset:-120
	global_load_b128 v[12:15], v[5:6], off offset:-104
	global_load_b128 v[16:19], v[5:6], off offset:-88
	global_load_b128 v[20:23], v[5:6], off offset:-72
	global_load_b128 v[24:27], v[5:6], off offset:-56
	global_load_b128 v[28:31], v[5:6], off offset:-40
	global_load_b128 v[32:35], v[5:6], off offset:-24
	global_load_b128 v[36:39], v[5:6], off offset:-8
	v_add_nc_u32_e32 v7, s3, v7
	v_add_co_u32 v5, s2, v5, s22
	s_delay_alu instid0(VALU_DEP_1) | instskip(NEXT) | instid1(VALU_DEP_3)
	v_add_co_ci_u32_e64 v6, s2, 0, v6, s2
	v_cmp_le_i32_e32 vcc_lo, s19, v7
	s_or_b32 s21, vcc_lo, s21
	s_waitcnt vmcnt(7)
	v_add_f64 v[3:4], v[3:4], v[8:9]
	v_add_f64 v[1:2], v[1:2], v[10:11]
	s_waitcnt vmcnt(6)
	s_delay_alu instid0(VALU_DEP_2) | instskip(NEXT) | instid1(VALU_DEP_2)
	v_add_f64 v[3:4], v[3:4], v[12:13]
	v_add_f64 v[1:2], v[1:2], v[14:15]
	s_waitcnt vmcnt(5)
	s_delay_alu instid0(VALU_DEP_2) | instskip(NEXT) | instid1(VALU_DEP_2)
	;; [unrolled: 4-line block ×7, first 2 shown]
	v_add_f64 v[3:4], v[3:4], v[36:37]
	v_add_f64 v[1:2], v[1:2], v[38:39]
	s_and_not1_b32 exec_lo, exec_lo, s21
	s_cbranch_execnz .LBB164_2
; %bb.3:
	s_or_b32 exec_lo, exec_lo, s21
.LBB164_4:
	s_delay_alu instid0(SALU_CYCLE_1) | instskip(SKIP_1) | instid1(SALU_CYCLE_1)
	s_or_b32 exec_lo, exec_lo, s20
	s_sub_i32 s2, s18, s19
	v_cmp_gt_u32_e32 vcc_lo, s2, v0
	s_and_saveexec_b32 s2, vcc_lo
	s_cbranch_execz .LBB164_6
; %bb.5:
	v_xad_u32 v5, v0, -1, s18
	v_mov_b32_e32 v6, 0
	s_lshl_b64 s[16:17], s[16:17], 4
	s_waitcnt lgkmcnt(0)
	s_add_u32 s3, s12, s16
	s_addc_u32 s12, s13, s17
	v_lshlrev_b64 v[5:6], 4, v[5:6]
	s_delay_alu instid0(VALU_DEP_1) | instskip(NEXT) | instid1(VALU_DEP_2)
	v_add_co_u32 v5, vcc_lo, s3, v5
	v_add_co_ci_u32_e32 v6, vcc_lo, s12, v6, vcc_lo
	global_load_b128 v[5:8], v[5:6], off
	s_waitcnt vmcnt(0)
	v_add_f64 v[3:4], v[3:4], v[5:6]
	v_add_f64 v[1:2], v[1:2], v[7:8]
.LBB164_6:
	s_or_b32 exec_lo, exec_lo, s2
	v_and_b32_e32 v13, 31, v0
	v_cmp_gt_u32_e32 vcc_lo, 32, v0
	s_delay_alu instid0(VALU_DEP_2)
	v_lshlrev_b32_e32 v9, 4, v13
	s_and_saveexec_b32 s2, vcc_lo
	s_cbranch_execz .LBB164_8
; %bb.7:
	v_mov_b32_e32 v5, 0
	s_delay_alu instid0(VALU_DEP_1)
	v_mov_b32_e32 v6, v5
	v_mov_b32_e32 v7, v5
	;; [unrolled: 1-line block ×3, first 2 shown]
	ds_store_b128 v9, v[5:8]
.LBB164_8:
	s_or_b32 exec_lo, exec_lo, s2
	v_mbcnt_lo_u32_b32 v12, -1, 0
	s_mov_b32 s3, exec_lo
	s_waitcnt lgkmcnt(0)
	s_barrier
	buffer_gl0_inv
	v_cmp_gt_u32_e64 s2, 16, v12
	s_delay_alu instid0(VALU_DEP_1) | instskip(SKIP_1) | instid1(VALU_DEP_2)
	v_cndmask_b32_e64 v5, 0, 1, s2
	v_cmp_gt_u32_e64 s2, 24, v12
	v_lshlrev_b32_e32 v5, 4, v5
	s_delay_alu instid0(VALU_DEP_1)
	v_add_lshl_u32 v8, v5, v12, 2
	ds_bpermute_b32 v5, v8, v3
	ds_bpermute_b32 v6, v8, v4
	;; [unrolled: 1-line block ×4, first 2 shown]
	s_waitcnt lgkmcnt(2)
	v_add_f64 v[3:4], v[3:4], v[5:6]
	v_cndmask_b32_e64 v5, 0, 1, s2
	s_waitcnt lgkmcnt(0)
	v_add_f64 v[1:2], v[1:2], v[7:8]
	v_cmp_gt_u32_e64 s2, 28, v12
	s_delay_alu instid0(VALU_DEP_3) | instskip(NEXT) | instid1(VALU_DEP_1)
	v_lshlrev_b32_e32 v5, 3, v5
	v_add_lshl_u32 v8, v5, v12, 2
	ds_bpermute_b32 v5, v8, v3
	ds_bpermute_b32 v6, v8, v4
	;; [unrolled: 1-line block ×4, first 2 shown]
	s_waitcnt lgkmcnt(2)
	v_add_f64 v[3:4], v[3:4], v[5:6]
	v_cndmask_b32_e64 v5, 0, 1, s2
	s_waitcnt lgkmcnt(0)
	v_add_f64 v[1:2], v[1:2], v[7:8]
	v_cmp_gt_u32_e64 s2, 30, v12
	s_delay_alu instid0(VALU_DEP_3) | instskip(NEXT) | instid1(VALU_DEP_1)
	v_lshlrev_b32_e32 v5, 2, v5
	v_add_lshl_u32 v10, v5, v12, 2
	ds_bpermute_b32 v5, v10, v3
	ds_bpermute_b32 v6, v10, v4
	;; [unrolled: 1-line block ×4, first 2 shown]
	s_waitcnt lgkmcnt(2)
	v_add_f64 v[3:4], v[3:4], v[5:6]
	s_waitcnt lgkmcnt(0)
	v_add_f64 v[5:6], v[1:2], v[7:8]
	v_cndmask_b32_e64 v1, 0, 1, s2
	v_cmp_ne_u32_e64 s2, 31, v12
	s_delay_alu instid0(VALU_DEP_2) | instskip(NEXT) | instid1(VALU_DEP_1)
	v_lshlrev_b32_e32 v1, 1, v1
	v_add_lshl_u32 v11, v1, v12, 2
	ds_bpermute_b32 v1, v11, v3
	ds_bpermute_b32 v2, v11, v4
	;; [unrolled: 1-line block ×4, first 2 shown]
	s_waitcnt lgkmcnt(2)
	v_add_f64 v[1:2], v[3:4], v[1:2]
	v_add_co_ci_u32_e64 v3, s2, 0, v12, s2
	s_waitcnt lgkmcnt(0)
	v_add_f64 v[5:6], v[5:6], v[7:8]
	s_delay_alu instid0(VALU_DEP_2)
	v_lshlrev_b32_e32 v12, 2, v3
	ds_bpermute_b32 v3, v12, v1
	ds_bpermute_b32 v4, v12, v2
	;; [unrolled: 1-line block ×4, first 2 shown]
	v_cmpx_eq_u32_e32 0, v13
	s_cbranch_execz .LBB164_10
; %bb.9:
	s_waitcnt lgkmcnt(0)
	v_add_f64 v[5:6], v[5:6], v[7:8]
	v_add_f64 v[3:4], v[1:2], v[3:4]
	v_lshrrev_b32_e32 v1, 1, v0
	s_delay_alu instid0(VALU_DEP_1)
	v_and_b32_e32 v1, 0x70, v1
	ds_store_b128 v1, v[3:6]
.LBB164_10:
	s_or_b32 exec_lo, exec_lo, s3
	s_waitcnt lgkmcnt(2)
	v_mov_b32_e32 v3, 0
	v_mov_b32_e32 v4, 0
	s_delay_alu instid0(VALU_DEP_2)
	v_mov_b32_e32 v1, v3
	s_mov_b32 s3, exec_lo
	s_waitcnt lgkmcnt(0)
	s_barrier
	v_mov_b32_e32 v2, v4
	buffer_gl0_inv
	v_cmpx_gt_u32_e32 8, v0
	s_cbranch_execz .LBB164_12
; %bb.11:
	ds_load_b128 v[1:4], v9
.LBB164_12:
	s_or_b32 exec_lo, exec_lo, s3
	s_and_saveexec_b32 s2, vcc_lo
	s_cbranch_execz .LBB164_14
; %bb.13:
	s_waitcnt lgkmcnt(0)
	ds_bpermute_b32 v5, v10, v1
	ds_bpermute_b32 v6, v10, v2
	ds_bpermute_b32 v7, v10, v3
	ds_bpermute_b32 v8, v10, v4
	s_waitcnt lgkmcnt(2)
	v_add_f64 v[1:2], v[1:2], v[5:6]
	s_waitcnt lgkmcnt(0)
	v_add_f64 v[3:4], v[3:4], v[7:8]
	ds_bpermute_b32 v5, v11, v1
	ds_bpermute_b32 v6, v11, v2
	ds_bpermute_b32 v7, v11, v3
	ds_bpermute_b32 v8, v11, v4
	s_waitcnt lgkmcnt(2)
	v_add_f64 v[1:2], v[1:2], v[5:6]
	s_waitcnt lgkmcnt(0)
	v_add_f64 v[3:4], v[3:4], v[7:8]
	;; [unrolled: 8-line block ×3, first 2 shown]
.LBB164_14:
	s_or_b32 exec_lo, exec_lo, s2
	s_delay_alu instid0(SALU_CYCLE_1)
	s_mov_b32 s2, exec_lo
	v_cmpx_eq_u32_e32 0, v0
	s_cbranch_execz .LBB164_18
; %bb.15:
	v_cmp_neq_f64_e64 s12, s[4:5], 0
	v_cmp_neq_f64_e64 s13, s[6:7], 0
	s_clause 0x1
	s_load_b64 s[2:3], s[0:1], 0x30
	s_load_b32 s16, s[0:1], 0x28
	s_waitcnt lgkmcnt(0)
	s_mul_i32 s1, s15, s3
	s_mul_hi_u32 s3, s15, s2
	s_mul_i32 s0, s15, s2
	s_add_i32 s1, s3, s1
	s_ashr_i32 s15, s16, 31
	s_lshl_b64 s[0:1], s[0:1], 4
	s_mul_i32 s15, s15, s14
	s_add_u32 s2, s8, s0
	s_addc_u32 s3, s9, s1
	s_lshl_b64 s[0:1], s[10:11], 4
	s_delay_alu instid0(SALU_CYCLE_1) | instskip(SKIP_2) | instid1(SALU_CYCLE_1)
	s_add_u32 s2, s2, s0
	s_addc_u32 s3, s3, s1
	s_mul_hi_u32 s1, s16, s14
	s_add_i32 s1, s1, s15
	s_delay_alu instid0(VALU_DEP_1) | instskip(NEXT) | instid1(SALU_CYCLE_1)
	s_or_b32 s0, s12, s13
	s_and_not1_b32 vcc_lo, exec_lo, s0
	s_mul_i32 s0, s16, s14
	s_cbranch_vccnz .LBB164_17
; %bb.16:
	s_lshl_b64 s[8:9], s[0:1], 4
	s_delay_alu instid0(SALU_CYCLE_1)
	s_add_u32 s8, s2, s8
	s_addc_u32 s9, s3, s9
	s_load_b128 s[8:11], s[8:9], 0x0
	s_waitcnt lgkmcnt(0)
	v_mul_f64 v[5:6], s[6:7], s[10:11]
	v_mul_f64 v[7:8], s[4:5], s[10:11]
	s_delay_alu instid0(VALU_DEP_2) | instskip(NEXT) | instid1(VALU_DEP_2)
	v_fma_f64 v[5:6], s[4:5], s[8:9], -v[5:6]
	v_fma_f64 v[7:8], s[6:7], s[8:9], v[7:8]
	s_delay_alu instid0(VALU_DEP_2) | instskip(NEXT) | instid1(VALU_DEP_2)
	v_add_f64 v[1:2], v[1:2], v[5:6]
	v_add_f64 v[3:4], v[3:4], v[7:8]
.LBB164_17:
	s_lshl_b64 s[0:1], s[0:1], 4
	v_mov_b32_e32 v0, 0
	s_add_u32 s0, s2, s0
	s_addc_u32 s1, s3, s1
	global_store_b128 v0, v[1:4], s[0:1]
.LBB164_18:
	s_nop 0
	s_sendmsg sendmsg(MSG_DEALLOC_VGPRS)
	s_endpgm
	.section	.rodata,"a",@progbits
	.p2align	6, 0x0
	.amdhsa_kernel _ZL23rocblas_gemvt_sn_reduceILi256ELi8E19rocblas_complex_numIdEPKS1_S1_EviT2_lPT3_lilPT1_i
		.amdhsa_group_segment_fixed_size 512
		.amdhsa_private_segment_fixed_size 0
		.amdhsa_kernarg_size 328
		.amdhsa_user_sgpr_count 13
		.amdhsa_user_sgpr_dispatch_ptr 0
		.amdhsa_user_sgpr_queue_ptr 0
		.amdhsa_user_sgpr_kernarg_segment_ptr 1
		.amdhsa_user_sgpr_dispatch_id 0
		.amdhsa_user_sgpr_private_segment_size 0
		.amdhsa_wavefront_size32 1
		.amdhsa_uses_dynamic_stack 0
		.amdhsa_enable_private_segment 0
		.amdhsa_system_sgpr_workgroup_id_x 1
		.amdhsa_system_sgpr_workgroup_id_y 1
		.amdhsa_system_sgpr_workgroup_id_z 1
		.amdhsa_system_sgpr_workgroup_info 0
		.amdhsa_system_vgpr_workitem_id 0
		.amdhsa_next_free_vgpr 40
		.amdhsa_next_free_sgpr 24
		.amdhsa_reserve_vcc 1
		.amdhsa_float_round_mode_32 0
		.amdhsa_float_round_mode_16_64 0
		.amdhsa_float_denorm_mode_32 3
		.amdhsa_float_denorm_mode_16_64 3
		.amdhsa_dx10_clamp 1
		.amdhsa_ieee_mode 1
		.amdhsa_fp16_overflow 0
		.amdhsa_workgroup_processor_mode 1
		.amdhsa_memory_ordered 1
		.amdhsa_forward_progress 0
		.amdhsa_shared_vgpr_count 0
		.amdhsa_exception_fp_ieee_invalid_op 0
		.amdhsa_exception_fp_denorm_src 0
		.amdhsa_exception_fp_ieee_div_zero 0
		.amdhsa_exception_fp_ieee_overflow 0
		.amdhsa_exception_fp_ieee_underflow 0
		.amdhsa_exception_fp_ieee_inexact 0
		.amdhsa_exception_int_div_zero 0
	.end_amdhsa_kernel
	.section	.text._ZL23rocblas_gemvt_sn_reduceILi256ELi8E19rocblas_complex_numIdEPKS1_S1_EviT2_lPT3_lilPT1_i,"axG",@progbits,_ZL23rocblas_gemvt_sn_reduceILi256ELi8E19rocblas_complex_numIdEPKS1_S1_EviT2_lPT3_lilPT1_i,comdat
.Lfunc_end164:
	.size	_ZL23rocblas_gemvt_sn_reduceILi256ELi8E19rocblas_complex_numIdEPKS1_S1_EviT2_lPT3_lilPT1_i, .Lfunc_end164-_ZL23rocblas_gemvt_sn_reduceILi256ELi8E19rocblas_complex_numIdEPKS1_S1_EviT2_lPT3_lilPT1_i
                                        ; -- End function
	.section	.AMDGPU.csdata,"",@progbits
; Kernel info:
; codeLenInByte = 1740
; NumSgprs: 26
; NumVgprs: 40
; ScratchSize: 0
; MemoryBound: 1
; FloatMode: 240
; IeeeMode: 1
; LDSByteSize: 512 bytes/workgroup (compile time only)
; SGPRBlocks: 3
; VGPRBlocks: 4
; NumSGPRsForWavesPerEU: 26
; NumVGPRsForWavesPerEU: 40
; Occupancy: 16
; WaveLimiterHint : 0
; COMPUTE_PGM_RSRC2:SCRATCH_EN: 0
; COMPUTE_PGM_RSRC2:USER_SGPR: 13
; COMPUTE_PGM_RSRC2:TRAP_HANDLER: 0
; COMPUTE_PGM_RSRC2:TGID_X_EN: 1
; COMPUTE_PGM_RSRC2:TGID_Y_EN: 1
; COMPUTE_PGM_RSRC2:TGID_Z_EN: 1
; COMPUTE_PGM_RSRC2:TIDIG_COMP_CNT: 0
	.section	.text._ZL23rocblas_gemvt_sn_kernelILb0ELi256ELi4Ei19rocblas_complex_numIdES1_S1_EviiT4_lPKT3_lilS5_lilPT5_i,"axG",@progbits,_ZL23rocblas_gemvt_sn_kernelILb0ELi256ELi4Ei19rocblas_complex_numIdES1_S1_EviiT4_lPKT3_lilS5_lilPT5_i,comdat
	.globl	_ZL23rocblas_gemvt_sn_kernelILb0ELi256ELi4Ei19rocblas_complex_numIdES1_S1_EviiT4_lPKT3_lilS5_lilPT5_i ; -- Begin function _ZL23rocblas_gemvt_sn_kernelILb0ELi256ELi4Ei19rocblas_complex_numIdES1_S1_EviiT4_lPKT3_lilS5_lilPT5_i
	.p2align	8
	.type	_ZL23rocblas_gemvt_sn_kernelILb0ELi256ELi4Ei19rocblas_complex_numIdES1_S1_EviiT4_lPKT3_lilS5_lilPT5_i,@function
_ZL23rocblas_gemvt_sn_kernelILb0ELi256ELi4Ei19rocblas_complex_numIdES1_S1_EviiT4_lPKT3_lilS5_lilPT5_i: ; @_ZL23rocblas_gemvt_sn_kernelILb0ELi256ELi4Ei19rocblas_complex_numIdES1_S1_EviiT4_lPKT3_lilS5_lilPT5_i
; %bb.0:
	s_clause 0x3
	s_load_b128 s[8:11], s[0:1], 0x8
	s_load_b64 s[12:13], s[0:1], 0x0
	s_load_b32 s24, s[0:1], 0x70
	s_load_b128 s[4:7], s[0:1], 0x58
	s_mov_b32 s25, 0
	s_waitcnt lgkmcnt(0)
	s_ashr_i32 s28, s13, 31
	v_cmp_neq_f64_e64 s2, s[8:9], 0
	v_cmp_neq_f64_e64 s3, s[10:11], 0
	s_mul_hi_u32 s16, s13, s15
	s_mul_i32 s18, s28, s15
	s_mul_i32 s17, s13, s15
	s_add_i32 s16, s16, s18
	s_mul_hi_u32 s19, s17, s24
	s_mul_i32 s16, s16, s24
	s_mul_i32 s26, s17, s24
	s_add_i32 s27, s19, s16
	s_delay_alu instid0(VALU_DEP_1)
	s_or_b32 s2, s2, s3
	s_mov_b32 s3, -1
	s_and_b32 vcc_lo, exec_lo, s2
	v_cmp_eq_u32_e64 s2, 0, v0
	s_cbranch_vccnz .LBB165_5
; %bb.1:
	s_cmp_gt_i32 s13, 0
	s_cselect_b32 s3, -1, 0
	s_delay_alu instid0(VALU_DEP_1) | instid1(SALU_CYCLE_1)
	s_and_b32 s2, s2, s3
	s_delay_alu instid0(SALU_CYCLE_1)
	s_and_saveexec_b32 s18, s2
	s_cbranch_execz .LBB165_4
; %bb.2:
	s_mov_b32 s2, s15
	s_mov_b32 s15, 0
	v_mov_b32_e32 v1, 0
	s_lshl_b64 s[16:17], s[26:27], 4
	s_lshl_b64 s[20:21], s[14:15], 4
	s_mov_b32 s15, s2
	s_add_u32 s2, s16, s20
	s_addc_u32 s3, s17, s21
	s_add_u32 s2, s2, s6
	v_mov_b32_e32 v2, v1
	v_mov_b32_e32 v3, v1
	;; [unrolled: 1-line block ×3, first 2 shown]
	s_addc_u32 s3, s3, s7
	s_add_u32 s2, s2, 8
	s_addc_u32 s3, s3, 0
	s_lshl_b64 s[16:17], s[24:25], 4
	s_mov_b32 s19, s13
.LBB165_3:                              ; =>This Inner Loop Header: Depth=1
	s_delay_alu instid0(SALU_CYCLE_1)
	s_add_i32 s19, s19, -1
	global_store_b128 v1, v[1:4], s[2:3] offset:-8
	s_add_u32 s2, s2, s16
	s_addc_u32 s3, s3, s17
	s_cmp_eq_u32 s19, 0
	s_cbranch_scc0 .LBB165_3
.LBB165_4:
	s_or_b32 exec_lo, exec_lo, s18
	s_mov_b32 s3, 0
.LBB165_5:
	s_delay_alu instid0(SALU_CYCLE_1)
	s_and_not1_b32 vcc_lo, exec_lo, s3
	s_cbranch_vccnz .LBB165_76
; %bb.6:
	s_clause 0x4
	s_load_b128 s[20:23], s[0:1], 0x38
	s_load_b64 s[2:3], s[0:1], 0x48
	s_load_b128 s[16:19], s[0:1], 0x20
	s_load_b32 s25, s[0:1], 0x30
	s_load_b32 s33, s[0:1], 0x50
	s_mul_i32 s1, s15, s5
	s_mul_hi_u32 s5, s15, s4
	s_mul_i32 s0, s15, s4
	s_add_i32 s1, s5, s1
	v_and_b32_e32 v22, 31, v0
	s_lshl_b64 s[4:5], s[0:1], 4
	v_cmp_gt_u32_e64 s0, 32, v0
	v_mbcnt_lo_u32_b32 v42, -1, 0
	v_lshrrev_b32_e32 v43, 1, v0
	v_add_nc_u32_e64 v36, 0, 16
	v_add_nc_u32_e64 v37, 0, 32
	;; [unrolled: 1-line block ×3, first 2 shown]
	v_or_b32_e64 v41, 0, 8
	s_waitcnt lgkmcnt(0)
	s_add_u32 s1, s22, s4
	s_addc_u32 s4, s23, s5
	s_lshl_b64 s[2:3], s[2:3], 4
	s_mul_i32 s21, s15, s21
	s_add_u32 s34, s1, s2
	s_addc_u32 s35, s4, s3
	s_lshl_b64 s[2:3], s[26:27], 4
	s_mul_hi_u32 s5, s15, s20
	s_add_u32 s38, s6, s2
	s_mul_i32 s4, s15, s20
	s_addc_u32 s39, s7, s3
	s_add_i32 s5, s5, s21
	v_cmp_gt_u32_e64 s1, 8, v0
	s_lshl_b64 s[6:7], s[4:5], 4
	s_delay_alu instid0(SALU_CYCLE_1) | instskip(SKIP_2) | instid1(SALU_CYCLE_1)
	s_add_u32 s2, s16, s6
	s_addc_u32 s3, s17, s7
	s_lshl_b64 s[18:19], s[18:19], 4
	s_add_u32 s2, s2, s18
	s_addc_u32 s3, s3, s19
	s_lshl_b32 s4, s14, 10
	s_lshr_b32 s5, s28, 30
	v_lshl_or_b32 v1, v0, 2, s4
	s_ashr_i32 s4, s12, 31
	s_add_i32 s5, s13, s5
	s_lshr_b32 s4, s4, 30
	s_and_b32 s15, s5, -4
	v_ashrrev_i32_e32 v2, 31, v1
	s_add_i32 s4, s12, s4
	v_mul_lo_u32 v21, v1, s33
	s_and_b32 s4, s4, -4
	v_add_nc_u32_e32 v44, 4, v1
	v_lshlrev_b64 v[23:24], 4, v[1:2]
	s_sub_i32 s36, s12, s4
	s_cmp_lt_i32 s15, 1
	v_add_nc_u32_e32 v45, s36, v1
	s_delay_alu instid0(VALU_DEP_2) | instskip(NEXT) | instid1(VALU_DEP_3)
	v_add_co_u32 v38, vcc_lo, s2, v23
	v_add_co_ci_u32_e32 v39, vcc_lo, s3, v24, vcc_lo
	s_cbranch_scc1 .LBB165_53
; %bb.7:
	v_cmp_gt_u32_e32 vcc_lo, 16, v42
	v_mul_lo_u32 v25, v1, s33
	s_cmp_gt_i32 s36, 0
	v_cmp_ge_i32_e64 s2, s12, v44
	s_cselect_b32 s40, -1, 0
	v_cndmask_b32_e64 v2, 0, 1, vcc_lo
	v_cmp_gt_u32_e32 vcc_lo, 24, v42
	s_lshl_b32 s41, s25, 2
	s_lshl_b32 s42, s25, 1
	v_ashrrev_i32_e32 v26, 31, v25
	v_lshlrev_b32_e32 v2, 4, v2
	v_cndmask_b32_e64 v3, 0, 1, vcc_lo
	v_cmp_gt_u32_e32 vcc_lo, 28, v42
	s_add_u32 s20, s6, s18
	s_addc_u32 s22, s7, s19
	v_add_lshl_u32 v46, v2, v42, 2
	v_lshlrev_b32_e32 v2, 3, v3
	v_cndmask_b32_e64 v4, 0, 1, vcc_lo
	v_cmp_gt_u32_e32 vcc_lo, 30, v42
	s_add_u32 s20, s16, s20
	s_addc_u32 s22, s17, s22
	v_add_lshl_u32 v47, v2, v42, 2
	v_lshlrev_b32_e32 v3, 2, v4
	v_cndmask_b32_e64 v5, 0, 1, vcc_lo
	v_cmp_ne_u32_e32 vcc_lo, 31, v42
	v_cmp_ge_i32_e64 s3, s12, v45
	v_cmp_eq_u32_e64 s4, 0, v22
	v_add_lshl_u32 v48, v3, v42, 2
	v_lshlrev_b32_e32 v1, 1, v5
	v_add_co_ci_u32_e32 v4, vcc_lo, 0, v42, vcc_lo
	v_lshlrev_b64 v[5:6], 4, v[25:26]
	v_lshlrev_b32_e32 v51, 4, v22
	s_delay_alu instid0(VALU_DEP_4) | instskip(SKIP_4) | instid1(VALU_DEP_4)
	v_add_lshl_u32 v49, v1, v42, 2
	v_add_nc_u32_e32 v1, s33, v25
	v_lshlrev_b32_e32 v50, 2, v4
	v_and_b32_e32 v52, 0x70, v43
	v_add_co_u32 v26, vcc_lo, s34, v5
	v_add_nc_u32_e32 v3, s33, v1
	v_ashrrev_i32_e32 v2, 31, v1
	v_add_co_ci_u32_e32 v27, vcc_lo, s35, v6, vcc_lo
	v_cmp_eq_u32_e64 s5, 0, v0
	s_delay_alu instid0(VALU_DEP_4) | instskip(NEXT) | instid1(VALU_DEP_4)
	v_add_nc_u32_e32 v7, s33, v3
	v_lshlrev_b64 v[1:2], 4, v[1:2]
	v_ashrrev_i32_e32 v4, 31, v3
	v_or_b32_e64 v53, 0, 8
	s_mov_b32 s21, 0
	v_ashrrev_i32_e32 v8, 31, v7
	s_mul_i32 s43, s25, 3
	v_lshlrev_b64 v[3:4], 4, v[3:4]
	v_add_co_u32 v28, vcc_lo, s34, v1
	v_add_co_ci_u32_e32 v29, vcc_lo, s35, v2, vcc_lo
	v_lshlrev_b64 v[1:2], 4, v[7:8]
	s_delay_alu instid0(VALU_DEP_4) | instskip(SKIP_2) | instid1(VALU_DEP_3)
	v_add_co_u32 v30, vcc_lo, s34, v3
	v_add_co_ci_u32_e32 v31, vcc_lo, s35, v4, vcc_lo
	s_mov_b32 s44, s25
	v_add_co_u32 v32, vcc_lo, s34, v1
	s_delay_alu instid0(VALU_DEP_4) | instskip(SKIP_3) | instid1(VALU_DEP_2)
	v_add_co_ci_u32_e32 v33, vcc_lo, s35, v2, vcc_lo
	v_add_co_u32 v1, vcc_lo, s20, v23
	v_add_co_ci_u32_e32 v2, vcc_lo, s22, v24, vcc_lo
	s_mov_b32 s22, s21
	v_add_co_u32 v54, vcc_lo, v1, 8
	v_mov_b32_e32 v1, 0
	s_delay_alu instid0(VALU_DEP_3)
	v_add_co_ci_u32_e32 v55, vcc_lo, 0, v2, vcc_lo
	s_mov_b32 s37, 0
	s_branch .LBB165_9
.LBB165_8:                              ;   in Loop: Header=BB165_9 Depth=1
	s_or_b32 exec_lo, exec_lo, s23
	s_add_i32 s37, s37, 4
	s_add_i32 s44, s44, s41
	;; [unrolled: 1-line block ×5, first 2 shown]
	s_cmp_ge_i32 s37, s15
	s_cbranch_scc1 .LBB165_54
.LBB165_9:                              ; =>This Loop Header: Depth=1
                                        ;     Child Loop BB165_40 Depth 2
                                        ;     Child Loop BB165_42 Depth 2
                                        ; implicit-def: $vgpr17_vgpr18
                                        ; implicit-def: $vgpr19_vgpr20
                                        ; implicit-def: $vgpr13_vgpr14
                                        ; implicit-def: $vgpr15_vgpr16
                                        ; implicit-def: $vgpr9_vgpr10
                                        ; implicit-def: $vgpr11_vgpr12
                                        ; implicit-def: $vgpr7_vgpr8
                                        ; implicit-def: $vgpr5_vgpr6
	s_and_saveexec_b32 s20, s2
	s_delay_alu instid0(SALU_CYCLE_1)
	s_xor_b32 s20, exec_lo, s20
	s_cbranch_execnz .LBB165_36
; %bb.10:                               ;   in Loop: Header=BB165_9 Depth=1
	s_and_not1_saveexec_b32 s20, s20
	s_cbranch_execnz .LBB165_37
.LBB165_11:                             ;   in Loop: Header=BB165_9 Depth=1
	s_or_b32 exec_lo, exec_lo, s20
	s_and_saveexec_b32 s20, s0
	s_cbranch_execz .LBB165_13
.LBB165_12:                             ;   in Loop: Header=BB165_9 Depth=1
	v_mov_b32_e32 v2, v1
	v_mov_b32_e32 v3, v1
	;; [unrolled: 1-line block ×3, first 2 shown]
	ds_store_b128 v51, v[1:4]
.LBB165_13:                             ;   in Loop: Header=BB165_9 Depth=1
	s_or_b32 exec_lo, exec_lo, s20
	ds_bpermute_b32 v2, v46, v7
	ds_bpermute_b32 v3, v46, v8
	;; [unrolled: 1-line block ×4, first 2 shown]
	s_waitcnt lgkmcnt(0)
	s_waitcnt_vscnt null, 0x0
	s_barrier
	buffer_gl0_inv
	v_add_f64 v[2:3], v[7:8], v[2:3]
	v_add_f64 v[4:5], v[5:6], v[34:35]
	ds_bpermute_b32 v6, v47, v2
	ds_bpermute_b32 v7, v47, v3
	ds_bpermute_b32 v34, v47, v4
	ds_bpermute_b32 v35, v47, v5
	s_waitcnt lgkmcnt(2)
	v_add_f64 v[2:3], v[2:3], v[6:7]
	s_waitcnt lgkmcnt(0)
	v_add_f64 v[4:5], v[4:5], v[34:35]
	ds_bpermute_b32 v6, v48, v2
	ds_bpermute_b32 v7, v48, v3
	ds_bpermute_b32 v34, v48, v4
	ds_bpermute_b32 v35, v48, v5
	s_waitcnt lgkmcnt(2)
	v_add_f64 v[2:3], v[2:3], v[6:7]
	s_waitcnt lgkmcnt(0)
	;; [unrolled: 8-line block ×3, first 2 shown]
	v_add_f64 v[6:7], v[4:5], v[34:35]
	ds_bpermute_b32 v4, v50, v2
	ds_bpermute_b32 v5, v50, v3
	;; [unrolled: 1-line block ×4, first 2 shown]
	s_and_saveexec_b32 s20, s4
	s_cbranch_execz .LBB165_15
; %bb.14:                               ;   in Loop: Header=BB165_9 Depth=1
	s_waitcnt lgkmcnt(0)
	v_add_f64 v[6:7], v[6:7], v[34:35]
	v_add_f64 v[4:5], v[2:3], v[4:5]
	ds_store_b128 v52, v[4:7]
.LBB165_15:                             ;   in Loop: Header=BB165_9 Depth=1
	s_or_b32 exec_lo, exec_lo, s20
	v_mov_b32_e32 v7, 0
	v_mov_b32_e32 v8, 0
	s_waitcnt lgkmcnt(2)
	s_delay_alu instid0(VALU_DEP_2)
	v_mov_b32_e32 v5, v7
	s_waitcnt lgkmcnt(0)
	s_barrier
	buffer_gl0_inv
	v_mov_b32_e32 v6, v8
	s_and_saveexec_b32 s20, s1
	s_cbranch_execnz .LBB165_44
; %bb.16:                               ;   in Loop: Header=BB165_9 Depth=1
	s_or_b32 exec_lo, exec_lo, s20
	s_and_saveexec_b32 s20, s0
	s_cbranch_execnz .LBB165_45
.LBB165_17:                             ;   in Loop: Header=BB165_9 Depth=1
	s_or_b32 exec_lo, exec_lo, s20
	s_and_saveexec_b32 s20, s0
	s_cbranch_execz .LBB165_19
.LBB165_18:                             ;   in Loop: Header=BB165_9 Depth=1
	v_mov_b32_e32 v2, v1
	v_mov_b32_e32 v3, v1
	;; [unrolled: 1-line block ×3, first 2 shown]
	ds_store_b128 v51, v[1:4]
.LBB165_19:                             ;   in Loop: Header=BB165_9 Depth=1
	s_or_b32 exec_lo, exec_lo, s20
	ds_bpermute_b32 v2, v46, v9
	ds_bpermute_b32 v3, v46, v10
	;; [unrolled: 1-line block ×4, first 2 shown]
	s_waitcnt lgkmcnt(0)
	s_barrier
	buffer_gl0_inv
	v_add_f64 v[2:3], v[9:10], v[2:3]
	v_add_f64 v[9:10], v[11:12], v[34:35]
	ds_bpermute_b32 v11, v47, v2
	ds_bpermute_b32 v12, v47, v3
	ds_bpermute_b32 v34, v47, v9
	ds_bpermute_b32 v35, v47, v10
	s_waitcnt lgkmcnt(2)
	v_add_f64 v[2:3], v[2:3], v[11:12]
	s_waitcnt lgkmcnt(0)
	v_add_f64 v[9:10], v[9:10], v[34:35]
	ds_bpermute_b32 v11, v48, v2
	ds_bpermute_b32 v12, v48, v3
	ds_bpermute_b32 v34, v48, v9
	ds_bpermute_b32 v35, v48, v10
	s_waitcnt lgkmcnt(2)
	v_add_f64 v[2:3], v[2:3], v[11:12]
	s_waitcnt lgkmcnt(0)
	;; [unrolled: 8-line block ×3, first 2 shown]
	v_add_f64 v[11:12], v[9:10], v[34:35]
	ds_bpermute_b32 v9, v50, v2
	ds_bpermute_b32 v10, v50, v3
	;; [unrolled: 1-line block ×4, first 2 shown]
	s_and_saveexec_b32 s20, s4
	s_cbranch_execz .LBB165_21
; %bb.20:                               ;   in Loop: Header=BB165_9 Depth=1
	s_waitcnt lgkmcnt(0)
	v_add_f64 v[11:12], v[11:12], v[34:35]
	v_add_f64 v[9:10], v[2:3], v[9:10]
	ds_store_b128 v52, v[9:12]
.LBB165_21:                             ;   in Loop: Header=BB165_9 Depth=1
	s_or_b32 exec_lo, exec_lo, s20
	v_mov_b32_e32 v11, 0
	v_mov_b32_e32 v12, 0
	s_waitcnt lgkmcnt(2)
	s_delay_alu instid0(VALU_DEP_2)
	v_mov_b32_e32 v9, v11
	s_waitcnt lgkmcnt(0)
	s_barrier
	buffer_gl0_inv
	v_mov_b32_e32 v10, v12
	s_and_saveexec_b32 s20, s1
	s_cbranch_execnz .LBB165_46
; %bb.22:                               ;   in Loop: Header=BB165_9 Depth=1
	s_or_b32 exec_lo, exec_lo, s20
	s_and_saveexec_b32 s20, s0
	s_cbranch_execnz .LBB165_47
.LBB165_23:                             ;   in Loop: Header=BB165_9 Depth=1
	s_or_b32 exec_lo, exec_lo, s20
	s_and_saveexec_b32 s20, s0
	s_cbranch_execz .LBB165_25
.LBB165_24:                             ;   in Loop: Header=BB165_9 Depth=1
	v_mov_b32_e32 v2, v1
	v_mov_b32_e32 v3, v1
	;; [unrolled: 1-line block ×3, first 2 shown]
	ds_store_b128 v51, v[1:4]
.LBB165_25:                             ;   in Loop: Header=BB165_9 Depth=1
	s_or_b32 exec_lo, exec_lo, s20
	ds_bpermute_b32 v2, v46, v13
	ds_bpermute_b32 v3, v46, v14
	ds_bpermute_b32 v34, v46, v15
	ds_bpermute_b32 v35, v46, v16
	s_waitcnt lgkmcnt(0)
	s_barrier
	buffer_gl0_inv
	v_add_f64 v[2:3], v[13:14], v[2:3]
	v_add_f64 v[13:14], v[15:16], v[34:35]
	ds_bpermute_b32 v15, v47, v2
	ds_bpermute_b32 v16, v47, v3
	ds_bpermute_b32 v34, v47, v13
	ds_bpermute_b32 v35, v47, v14
	s_waitcnt lgkmcnt(2)
	v_add_f64 v[2:3], v[2:3], v[15:16]
	s_waitcnt lgkmcnt(0)
	v_add_f64 v[13:14], v[13:14], v[34:35]
	ds_bpermute_b32 v15, v48, v2
	ds_bpermute_b32 v16, v48, v3
	ds_bpermute_b32 v34, v48, v13
	ds_bpermute_b32 v35, v48, v14
	s_waitcnt lgkmcnt(2)
	v_add_f64 v[2:3], v[2:3], v[15:16]
	s_waitcnt lgkmcnt(0)
	;; [unrolled: 8-line block ×3, first 2 shown]
	v_add_f64 v[15:16], v[13:14], v[34:35]
	ds_bpermute_b32 v13, v50, v2
	ds_bpermute_b32 v14, v50, v3
	;; [unrolled: 1-line block ×4, first 2 shown]
	s_and_saveexec_b32 s20, s4
	s_cbranch_execz .LBB165_27
; %bb.26:                               ;   in Loop: Header=BB165_9 Depth=1
	s_waitcnt lgkmcnt(0)
	v_add_f64 v[15:16], v[15:16], v[34:35]
	v_add_f64 v[13:14], v[2:3], v[13:14]
	ds_store_b128 v52, v[13:16]
.LBB165_27:                             ;   in Loop: Header=BB165_9 Depth=1
	s_or_b32 exec_lo, exec_lo, s20
	v_mov_b32_e32 v15, 0
	v_mov_b32_e32 v16, 0
	s_waitcnt lgkmcnt(2)
	s_delay_alu instid0(VALU_DEP_2)
	v_mov_b32_e32 v13, v15
	s_waitcnt lgkmcnt(0)
	s_barrier
	buffer_gl0_inv
	v_mov_b32_e32 v14, v16
	s_and_saveexec_b32 s20, s1
	s_cbranch_execnz .LBB165_48
; %bb.28:                               ;   in Loop: Header=BB165_9 Depth=1
	s_or_b32 exec_lo, exec_lo, s20
	s_and_saveexec_b32 s20, s0
	s_cbranch_execnz .LBB165_49
.LBB165_29:                             ;   in Loop: Header=BB165_9 Depth=1
	s_or_b32 exec_lo, exec_lo, s20
	s_and_saveexec_b32 s20, s0
	s_cbranch_execz .LBB165_31
.LBB165_30:                             ;   in Loop: Header=BB165_9 Depth=1
	v_mov_b32_e32 v2, v1
	v_mov_b32_e32 v3, v1
	v_mov_b32_e32 v4, v1
	ds_store_b128 v51, v[1:4]
.LBB165_31:                             ;   in Loop: Header=BB165_9 Depth=1
	s_or_b32 exec_lo, exec_lo, s20
	ds_bpermute_b32 v2, v46, v17
	ds_bpermute_b32 v3, v46, v18
	;; [unrolled: 1-line block ×4, first 2 shown]
	s_waitcnt lgkmcnt(0)
	s_barrier
	buffer_gl0_inv
	v_add_f64 v[2:3], v[17:18], v[2:3]
	v_add_f64 v[17:18], v[19:20], v[34:35]
	ds_bpermute_b32 v19, v47, v2
	ds_bpermute_b32 v20, v47, v3
	ds_bpermute_b32 v34, v47, v17
	ds_bpermute_b32 v35, v47, v18
	s_waitcnt lgkmcnt(2)
	v_add_f64 v[2:3], v[2:3], v[19:20]
	s_waitcnt lgkmcnt(0)
	v_add_f64 v[17:18], v[17:18], v[34:35]
	ds_bpermute_b32 v19, v48, v2
	ds_bpermute_b32 v20, v48, v3
	ds_bpermute_b32 v34, v48, v17
	ds_bpermute_b32 v35, v48, v18
	s_waitcnt lgkmcnt(2)
	v_add_f64 v[2:3], v[2:3], v[19:20]
	s_waitcnt lgkmcnt(0)
	;; [unrolled: 8-line block ×3, first 2 shown]
	v_add_f64 v[19:20], v[17:18], v[34:35]
	ds_bpermute_b32 v17, v50, v2
	ds_bpermute_b32 v18, v50, v3
	;; [unrolled: 1-line block ×4, first 2 shown]
	s_and_saveexec_b32 s20, s4
	s_cbranch_execz .LBB165_33
; %bb.32:                               ;   in Loop: Header=BB165_9 Depth=1
	s_waitcnt lgkmcnt(0)
	v_add_f64 v[19:20], v[19:20], v[34:35]
	v_add_f64 v[17:18], v[2:3], v[17:18]
	ds_store_b128 v52, v[17:20]
.LBB165_33:                             ;   in Loop: Header=BB165_9 Depth=1
	s_or_b32 exec_lo, exec_lo, s20
	v_mov_b32_e32 v19, 0
	v_mov_b32_e32 v20, 0
	s_waitcnt lgkmcnt(2)
	s_delay_alu instid0(VALU_DEP_2)
	v_mov_b32_e32 v17, v19
	s_waitcnt lgkmcnt(0)
	s_barrier
	buffer_gl0_inv
	v_mov_b32_e32 v18, v20
	s_and_saveexec_b32 s20, s1
	s_cbranch_execnz .LBB165_50
; %bb.34:                               ;   in Loop: Header=BB165_9 Depth=1
	s_or_b32 exec_lo, exec_lo, s20
	s_and_saveexec_b32 s20, s0
	s_cbranch_execnz .LBB165_51
.LBB165_35:                             ;   in Loop: Header=BB165_9 Depth=1
	s_or_b32 exec_lo, exec_lo, s20
	s_and_saveexec_b32 s23, s5
	s_cbranch_execz .LBB165_8
	s_branch .LBB165_52
.LBB165_36:                             ;   in Loop: Header=BB165_9 Depth=1
	s_clause 0x2
	global_load_b128 v[2:5], v[28:29], off
	global_load_b128 v[6:9], v[30:31], off
	;; [unrolled: 1-line block ×3, first 2 shown]
	s_mul_i32 s26, s37, s25
	global_load_b128 v[56:59], v[26:27], off
	s_ashr_i32 s27, s26, 31
	s_add_i32 s28, s26, s25
	s_lshl_b64 s[26:27], s[26:27], 4
	s_ashr_i32 s29, s28, 31
	s_waitcnt lgkmcnt(0)
	v_add_co_u32 v18, vcc_lo, v38, s26
	s_add_i32 s30, s28, s25
	v_add_co_ci_u32_e32 v19, vcc_lo, s27, v39, vcc_lo
	s_lshl_b64 s[26:27], s[28:29], 4
	s_ashr_i32 s31, s30, 31
	s_add_i32 s28, s30, s25
	v_add_co_u32 v34, vcc_lo, v38, s26
	s_lshl_b64 s[30:31], s[30:31], 4
	v_add_co_ci_u32_e32 v35, vcc_lo, s27, v39, vcc_lo
	s_ashr_i32 s29, s28, 31
	v_add_co_u32 v112, vcc_lo, v38, s30
	s_lshl_b64 s[26:27], s[28:29], 4
	v_add_co_ci_u32_e32 v113, vcc_lo, s31, v39, vcc_lo
	v_add_co_u32 v116, vcc_lo, v38, s26
	v_add_co_ci_u32_e32 v117, vcc_lo, s27, v39, vcc_lo
	s_clause 0x4
	global_load_b128 v[14:17], v[18:19], off
	global_load_b128 v[60:63], v[34:35], off
	;; [unrolled: 1-line block ×4, first 2 shown]
	global_load_b128 v[72:75], v[18:19], off offset:16
	s_waitcnt vmcnt(8)
	scratch_store_b128 v36, v[2:5], off
	scratch_load_b128 v[2:5], off, off offset:16
	s_clause 0x2
	global_load_b128 v[76:79], v[34:35], off offset:16
	global_load_b128 v[80:83], v[112:113], off offset:16
	;; [unrolled: 1-line block ×3, first 2 shown]
	s_waitcnt vmcnt(11)
	scratch_store_b128 v37, v[6:9], off
	scratch_load_b128 v[6:9], off, off offset:32
	s_clause 0x4
	global_load_b128 v[88:91], v[18:19], off offset:32
	global_load_b128 v[92:95], v[34:35], off offset:32
	;; [unrolled: 1-line block ×5, first 2 shown]
	s_waitcnt vmcnt(16)
	scratch_store_b128 v40, v[10:13], off
	scratch_load_b128 v[10:13], off, off offset:48
	s_clause 0x2
	global_load_b128 v[108:111], v[34:35], off offset:48
	global_load_b128 v[112:115], v[112:113], off offset:48
	;; [unrolled: 1-line block ×3, first 2 shown]
	s_waitcnt vmcnt(19)
	scratch_store_b128 off, v[56:59], off
	s_waitcnt vmcnt(18)
	v_mul_f64 v[18:19], v[58:59], v[16:17]
	v_mul_f64 v[16:17], v[56:57], v[16:17]
	s_waitcnt vmcnt(17)
	v_mul_f64 v[34:35], v[58:59], v[62:63]
	v_mul_f64 v[62:63], v[56:57], v[62:63]
	;; [unrolled: 3-line block ×4, first 2 shown]
	v_fma_f64 v[18:19], v[56:57], v[14:15], -v[18:19]
	v_fma_f64 v[14:15], v[58:59], v[14:15], v[16:17]
	v_fma_f64 v[34:35], v[56:57], v[60:61], -v[34:35]
	v_fma_f64 v[60:61], v[58:59], v[60:61], v[62:63]
	;; [unrolled: 2-line block ×4, first 2 shown]
	v_add_f64 v[18:19], v[18:19], 0
	v_add_f64 v[14:15], v[14:15], 0
	;; [unrolled: 1-line block ×7, first 2 shown]
	s_waitcnt vmcnt(13)
	v_mul_f64 v[16:17], v[4:5], v[74:75]
	v_mul_f64 v[74:75], v[2:3], v[74:75]
	s_waitcnt vmcnt(12)
	v_mul_f64 v[124:125], v[4:5], v[78:79]
	v_mul_f64 v[78:79], v[2:3], v[78:79]
	;; [unrolled: 3-line block ×5, first 2 shown]
	s_waitcnt vmcnt(7)
	v_mul_f64 v[126:127], v[8:9], v[94:95]
	v_fma_f64 v[16:17], v[2:3], v[72:73], -v[16:17]
	v_fma_f64 v[72:73], v[4:5], v[72:73], v[74:75]
	v_mul_f64 v[74:75], v[6:7], v[94:95]
	s_waitcnt vmcnt(6)
	v_mul_f64 v[94:95], v[8:9], v[98:99]
	v_fma_f64 v[124:125], v[2:3], v[76:77], -v[124:125]
	v_fma_f64 v[76:77], v[4:5], v[76:77], v[78:79]
	v_mul_f64 v[78:79], v[6:7], v[98:99]
	;; [unrolled: 5-line block ×3, first 2 shown]
	v_add_f64 v[102:103], v[120:121], 0
	v_fma_f64 v[2:3], v[2:3], v[84:85], -v[70:71]
	v_fma_f64 v[4:5], v[4:5], v[84:85], v[86:87]
	s_waitcnt vmcnt(3)
	v_mul_f64 v[70:71], v[12:13], v[106:107]
	v_mul_f64 v[84:85], v[10:11], v[106:107]
	s_waitcnt vmcnt(2)
	v_mul_f64 v[86:87], v[12:13], v[110:111]
	v_mul_f64 v[106:107], v[10:11], v[110:111]
	s_waitcnt vmcnt(1)
	v_mul_f64 v[110:111], v[12:13], v[114:115]
	v_fma_f64 v[120:121], v[6:7], v[88:89], -v[122:123]
	v_fma_f64 v[88:89], v[8:9], v[88:89], v[90:91]
	v_mul_f64 v[90:91], v[10:11], v[114:115]
	s_waitcnt vmcnt(0)
	v_mul_f64 v[114:115], v[12:13], v[118:119]
	v_fma_f64 v[122:123], v[6:7], v[92:93], -v[126:127]
	v_add_f64 v[16:17], v[18:19], v[16:17]
	v_add_f64 v[14:15], v[14:15], v[72:73]
	v_fma_f64 v[74:75], v[8:9], v[92:93], v[74:75]
	v_mul_f64 v[92:93], v[10:11], v[118:119]
	v_fma_f64 v[94:95], v[6:7], v[96:97], -v[94:95]
	v_add_f64 v[18:19], v[34:35], v[124:125]
	v_fma_f64 v[78:79], v[8:9], v[96:97], v[78:79]
	v_fma_f64 v[6:7], v[6:7], v[100:101], -v[98:99]
	v_add_f64 v[34:35], v[60:61], v[76:77]
	v_fma_f64 v[8:9], v[8:9], v[100:101], v[82:83]
	v_add_f64 v[60:61], v[102:103], v[62:63]
	v_add_f64 v[62:63], v[64:65], v[80:81]
	;; [unrolled: 1-line block ×4, first 2 shown]
	v_fma_f64 v[64:65], v[10:11], v[104:105], -v[70:71]
	v_fma_f64 v[66:67], v[12:13], v[104:105], v[84:85]
	v_fma_f64 v[68:69], v[10:11], v[108:109], -v[86:87]
	v_fma_f64 v[70:71], v[12:13], v[108:109], v[106:107]
	;; [unrolled: 2-line block ×3, first 2 shown]
	v_fma_f64 v[80:81], v[10:11], v[116:117], -v[114:115]
	v_add_f64 v[10:11], v[16:17], v[120:121]
	v_fma_f64 v[82:83], v[12:13], v[116:117], v[92:93]
	v_add_f64 v[12:13], v[14:15], v[88:89]
	v_add_f64 v[14:15], v[18:19], v[122:123]
	;; [unrolled: 1-line block ×15, first 2 shown]
	s_and_not1_saveexec_b32 s20, s20
	s_cbranch_execz .LBB165_11
.LBB165_37:                             ;   in Loop: Header=BB165_9 Depth=1
	s_waitcnt lgkmcnt(0)
	v_mov_b32_e32 v17, 0
	v_mov_b32_e32 v18, 0
	s_delay_alu instid0(VALU_DEP_2) | instskip(SKIP_2) | instid1(VALU_DEP_4)
	v_mov_b32_e32 v13, v17
	v_mov_b32_e32 v15, v17
	;; [unrolled: 1-line block ×3, first 2 shown]
	v_dual_mov_b32 v11, v17 :: v_dual_mov_b32 v12, v18
	v_dual_mov_b32 v20, v18 :: v_dual_mov_b32 v19, v17
	v_mov_b32_e32 v14, v18
	v_mov_b32_e32 v16, v18
	v_dual_mov_b32 v10, v18 :: v_dual_mov_b32 v7, v17
	v_dual_mov_b32 v8, v18 :: v_dual_mov_b32 v5, v17
	v_mov_b32_e32 v6, v18
	s_and_saveexec_b32 s45, s3
	s_cbranch_execz .LBB165_43
; %bb.38:                               ;   in Loop: Header=BB165_9 Depth=1
	v_mov_b32_e32 v17, 0
	v_mov_b32_e32 v18, 0
	s_delay_alu instid0(VALU_DEP_2) | instskip(SKIP_2) | instid1(VALU_DEP_4)
	v_mov_b32_e32 v13, v17
	v_mov_b32_e32 v15, v17
	;; [unrolled: 1-line block ×3, first 2 shown]
	v_dual_mov_b32 v11, v17 :: v_dual_mov_b32 v12, v18
	v_dual_mov_b32 v20, v18 :: v_dual_mov_b32 v19, v17
	v_mov_b32_e32 v14, v18
	v_mov_b32_e32 v16, v18
	v_dual_mov_b32 v10, v18 :: v_dual_mov_b32 v7, v17
	v_dual_mov_b32 v8, v18 :: v_dual_mov_b32 v5, v17
	v_mov_b32_e32 v6, v18
	s_and_not1_b32 vcc_lo, exec_lo, s40
	s_cbranch_vccnz .LBB165_43
; %bb.39:                               ;   in Loop: Header=BB165_9 Depth=1
	v_mov_b32_e32 v4, 0
	v_mov_b32_e32 v2, v25
	s_mov_b32 s23, s36
.LBB165_40:                             ;   Parent Loop BB165_9 Depth=1
                                        ; =>  This Inner Loop Header: Depth=2
	s_delay_alu instid0(VALU_DEP_1) | instskip(SKIP_1) | instid1(SALU_CYCLE_1)
	v_ashrrev_i32_e32 v3, 31, v2
	s_add_i32 s23, s23, -1
	s_cmp_eq_u32 s23, 0
	s_delay_alu instid0(VALU_DEP_1) | instskip(SKIP_1) | instid1(VALU_DEP_2)
	v_lshlrev_b64 v[5:6], 4, v[2:3]
	v_add_nc_u32_e32 v2, s33, v2
	v_add_co_u32 v5, vcc_lo, s34, v5
	s_delay_alu instid0(VALU_DEP_3)
	v_add_co_ci_u32_e32 v6, vcc_lo, s35, v6, vcc_lo
	global_load_b128 v[5:8], v[5:6], off
	s_waitcnt vmcnt(0)
	scratch_store_b128 v4, v[5:8], off
	v_add_nc_u32_e32 v4, 16, v4
	s_cbranch_scc0 .LBB165_40
; %bb.41:                               ;   in Loop: Header=BB165_9 Depth=1
	s_ashr_i32 s23, s22, 31
	v_dual_mov_b32 v5, 0 :: v_dual_mov_b32 v4, v53
	v_mov_b32_e32 v6, 0
	s_lshl_b64 s[26:27], s[22:23], 4
	s_mov_b32 s28, s42
	v_add_co_u32 v2, vcc_lo, v54, s26
	v_add_co_ci_u32_e32 v3, vcc_lo, s27, v55, vcc_lo
	v_dual_mov_b32 v8, v6 :: v_dual_mov_b32 v7, v5
	v_dual_mov_b32 v12, v6 :: v_dual_mov_b32 v11, v5
	;; [unrolled: 1-line block ×7, first 2 shown]
	s_mov_b32 s26, s43
	s_mov_b32 s30, s44
	;; [unrolled: 1-line block ×3, first 2 shown]
.LBB165_42:                             ;   Parent Loop BB165_9 Depth=1
                                        ; =>  This Inner Loop Header: Depth=2
	s_ashr_i32 s31, s30, 31
	s_ashr_i32 s29, s28, 31
	s_lshl_b64 s[46:47], s[30:31], 4
	s_lshl_b64 s[48:49], s[28:29], 4
	v_add_co_u32 v34, vcc_lo, v38, s46
	s_ashr_i32 s27, s26, 31
	v_add_co_ci_u32_e32 v35, vcc_lo, s47, v39, vcc_lo
	v_add_co_u32 v68, vcc_lo, v38, s48
	s_lshl_b64 s[50:51], s[26:27], 4
	v_add_co_ci_u32_e32 v69, vcc_lo, s49, v39, vcc_lo
	v_add_co_u32 v72, vcc_lo, v38, s50
	v_add_co_ci_u32_e32 v73, vcc_lo, s51, v39, vcc_lo
	scratch_load_b128 v[56:59], v4, off offset:-8
	global_load_b128 v[60:63], v[2:3], off offset:-8
	s_clause 0x2
	global_load_b128 v[64:67], v[34:35], off
	global_load_b128 v[68:71], v[68:69], off
	;; [unrolled: 1-line block ×3, first 2 shown]
	v_add_co_u32 v2, vcc_lo, v2, 16
	v_add_nc_u32_e32 v4, 16, v4
	v_add_co_ci_u32_e32 v3, vcc_lo, 0, v3, vcc_lo
	s_add_i32 s23, s23, -1
	s_add_i32 s30, s30, 1
	s_add_i32 s28, s28, 1
	s_add_i32 s26, s26, 1
	s_cmp_lg_u32 s23, 0
	s_waitcnt vmcnt(2)
	v_mul_f64 v[76:77], v[58:59], v[66:67]
	v_mul_f64 v[34:35], v[58:59], v[62:63]
	;; [unrolled: 1-line block ×4, first 2 shown]
	s_waitcnt vmcnt(1)
	v_mul_f64 v[78:79], v[58:59], v[70:71]
	v_mul_f64 v[70:71], v[56:57], v[70:71]
	s_waitcnt vmcnt(0)
	v_mul_f64 v[80:81], v[58:59], v[74:75]
	v_mul_f64 v[74:75], v[56:57], v[74:75]
	v_fma_f64 v[34:35], v[56:57], v[60:61], -v[34:35]
	v_fma_f64 v[60:61], v[58:59], v[60:61], v[62:63]
	v_fma_f64 v[62:63], v[56:57], v[64:65], -v[76:77]
	v_fma_f64 v[64:65], v[58:59], v[64:65], v[66:67]
	;; [unrolled: 2-line block ×4, first 2 shown]
	v_add_f64 v[7:8], v[7:8], v[34:35]
	v_add_f64 v[5:6], v[5:6], v[60:61]
	;; [unrolled: 1-line block ×8, first 2 shown]
	s_cbranch_scc1 .LBB165_42
.LBB165_43:                             ;   in Loop: Header=BB165_9 Depth=1
	s_or_b32 exec_lo, exec_lo, s45
	s_delay_alu instid0(SALU_CYCLE_1)
	s_or_b32 exec_lo, exec_lo, s20
	s_and_saveexec_b32 s20, s0
	s_cbranch_execnz .LBB165_12
	s_branch .LBB165_13
.LBB165_44:                             ;   in Loop: Header=BB165_9 Depth=1
	ds_load_b128 v[5:8], v51
	s_or_b32 exec_lo, exec_lo, s20
	s_and_saveexec_b32 s20, s0
	s_cbranch_execz .LBB165_17
.LBB165_45:                             ;   in Loop: Header=BB165_9 Depth=1
	s_waitcnt lgkmcnt(0)
	ds_bpermute_b32 v2, v48, v5
	ds_bpermute_b32 v3, v48, v6
	ds_bpermute_b32 v34, v48, v7
	ds_bpermute_b32 v35, v48, v8
	s_waitcnt lgkmcnt(2)
	v_add_f64 v[2:3], v[5:6], v[2:3]
	s_waitcnt lgkmcnt(0)
	v_add_f64 v[4:5], v[7:8], v[34:35]
	ds_bpermute_b32 v6, v49, v2
	ds_bpermute_b32 v7, v49, v3
	ds_bpermute_b32 v34, v49, v4
	ds_bpermute_b32 v35, v49, v5
	s_waitcnt lgkmcnt(2)
	v_add_f64 v[2:3], v[2:3], v[6:7]
	s_waitcnt lgkmcnt(0)
	v_add_f64 v[7:8], v[4:5], v[34:35]
	;; [unrolled: 8-line block ×3, first 2 shown]
	s_or_b32 exec_lo, exec_lo, s20
	s_and_saveexec_b32 s20, s0
	s_cbranch_execnz .LBB165_18
	s_branch .LBB165_19
.LBB165_46:                             ;   in Loop: Header=BB165_9 Depth=1
	ds_load_b128 v[9:12], v51
	s_or_b32 exec_lo, exec_lo, s20
	s_and_saveexec_b32 s20, s0
	s_cbranch_execz .LBB165_23
.LBB165_47:                             ;   in Loop: Header=BB165_9 Depth=1
	s_waitcnt lgkmcnt(0)
	ds_bpermute_b32 v2, v48, v9
	ds_bpermute_b32 v3, v48, v10
	ds_bpermute_b32 v34, v48, v11
	ds_bpermute_b32 v35, v48, v12
	s_waitcnt lgkmcnt(2)
	v_add_f64 v[2:3], v[9:10], v[2:3]
	s_waitcnt lgkmcnt(0)
	v_add_f64 v[9:10], v[11:12], v[34:35]
	ds_bpermute_b32 v11, v49, v2
	ds_bpermute_b32 v12, v49, v3
	ds_bpermute_b32 v34, v49, v9
	ds_bpermute_b32 v35, v49, v10
	s_waitcnt lgkmcnt(2)
	v_add_f64 v[2:3], v[2:3], v[11:12]
	s_waitcnt lgkmcnt(0)
	v_add_f64 v[11:12], v[9:10], v[34:35]
	;; [unrolled: 8-line block ×3, first 2 shown]
	s_or_b32 exec_lo, exec_lo, s20
	s_and_saveexec_b32 s20, s0
	s_cbranch_execnz .LBB165_24
	s_branch .LBB165_25
.LBB165_48:                             ;   in Loop: Header=BB165_9 Depth=1
	ds_load_b128 v[13:16], v51
	s_or_b32 exec_lo, exec_lo, s20
	s_and_saveexec_b32 s20, s0
	s_cbranch_execz .LBB165_29
.LBB165_49:                             ;   in Loop: Header=BB165_9 Depth=1
	s_waitcnt lgkmcnt(0)
	ds_bpermute_b32 v2, v48, v13
	ds_bpermute_b32 v3, v48, v14
	ds_bpermute_b32 v34, v48, v15
	ds_bpermute_b32 v35, v48, v16
	s_waitcnt lgkmcnt(2)
	v_add_f64 v[2:3], v[13:14], v[2:3]
	s_waitcnt lgkmcnt(0)
	v_add_f64 v[13:14], v[15:16], v[34:35]
	ds_bpermute_b32 v15, v49, v2
	ds_bpermute_b32 v16, v49, v3
	ds_bpermute_b32 v34, v49, v13
	ds_bpermute_b32 v35, v49, v14
	s_waitcnt lgkmcnt(2)
	v_add_f64 v[2:3], v[2:3], v[15:16]
	s_waitcnt lgkmcnt(0)
	v_add_f64 v[15:16], v[13:14], v[34:35]
	;; [unrolled: 8-line block ×3, first 2 shown]
	s_or_b32 exec_lo, exec_lo, s20
	s_and_saveexec_b32 s20, s0
	s_cbranch_execnz .LBB165_30
	s_branch .LBB165_31
.LBB165_50:                             ;   in Loop: Header=BB165_9 Depth=1
	ds_load_b128 v[17:20], v51
	s_or_b32 exec_lo, exec_lo, s20
	s_and_saveexec_b32 s20, s0
	s_cbranch_execz .LBB165_35
.LBB165_51:                             ;   in Loop: Header=BB165_9 Depth=1
	s_waitcnt lgkmcnt(0)
	ds_bpermute_b32 v2, v48, v17
	ds_bpermute_b32 v3, v48, v18
	ds_bpermute_b32 v34, v48, v19
	ds_bpermute_b32 v35, v48, v20
	s_waitcnt lgkmcnt(2)
	v_add_f64 v[2:3], v[17:18], v[2:3]
	s_waitcnt lgkmcnt(0)
	v_add_f64 v[17:18], v[19:20], v[34:35]
	ds_bpermute_b32 v19, v49, v2
	ds_bpermute_b32 v20, v49, v3
	ds_bpermute_b32 v34, v49, v17
	ds_bpermute_b32 v35, v49, v18
	s_waitcnt lgkmcnt(2)
	v_add_f64 v[2:3], v[2:3], v[19:20]
	s_waitcnt lgkmcnt(0)
	v_add_f64 v[19:20], v[17:18], v[34:35]
	;; [unrolled: 8-line block ×3, first 2 shown]
	s_or_b32 exec_lo, exec_lo, s20
	s_and_saveexec_b32 s23, s5
	s_cbranch_execz .LBB165_8
.LBB165_52:                             ;   in Loop: Header=BB165_9 Depth=1
	v_mul_f64 v[2:3], s[10:11], v[7:8]
	v_mul_f64 v[7:8], s[8:9], v[7:8]
	v_mul_f64 v[34:35], s[10:11], v[11:12]
	v_mul_f64 v[11:12], s[8:9], v[11:12]
	v_mul_f64 v[56:57], s[10:11], v[15:16]
	v_mul_f64 v[15:16], s[8:9], v[15:16]
	s_waitcnt lgkmcnt(0)
	v_mul_f64 v[58:59], s[10:11], v[19:20]
	v_mul_f64 v[19:20], s[8:9], v[19:20]
	s_mul_i32 s20, s37, s24
	s_delay_alu instid0(SALU_CYCLE_1) | instskip(NEXT) | instid1(SALU_CYCLE_1)
	s_add_i32 s20, s20, s14
	s_lshl_b64 s[26:27], s[20:21], 4
	s_delay_alu instid0(SALU_CYCLE_1) | instskip(SKIP_2) | instid1(SALU_CYCLE_1)
	s_add_u32 s26, s38, s26
	s_addc_u32 s27, s39, s27
	s_add_i32 s20, s20, s24
	s_lshl_b64 s[28:29], s[20:21], 4
	s_delay_alu instid0(SALU_CYCLE_1) | instskip(SKIP_2) | instid1(SALU_CYCLE_1)
	s_add_u32 s28, s38, s28
	s_addc_u32 s29, s39, s29
	;; [unrolled: 5-line block ×3, first 2 shown]
	s_add_i32 s20, s20, s24
	s_lshl_b64 s[46:47], s[20:21], 4
	s_delay_alu instid0(SALU_CYCLE_1)
	s_add_u32 s46, s38, s46
	s_addc_u32 s47, s39, s47
	v_fma_f64 v[2:3], s[8:9], v[5:6], -v[2:3]
	v_fma_f64 v[4:5], s[10:11], v[5:6], v[7:8]
	v_fma_f64 v[6:7], s[8:9], v[9:10], -v[34:35]
	v_fma_f64 v[8:9], s[10:11], v[9:10], v[11:12]
	;; [unrolled: 2-line block ×4, first 2 shown]
	s_clause 0x3
	global_store_b128 v1, v[2:5], s[26:27]
	global_store_b128 v1, v[6:9], s[28:29]
	;; [unrolled: 1-line block ×4, first 2 shown]
	s_branch .LBB165_8
.LBB165_53:
	s_mov_b32 s37, 0
.LBB165_54:
	s_delay_alu instid0(SALU_CYCLE_1)
	s_cmp_ge_i32 s37, s13
	s_cbranch_scc1 .LBB165_76
; %bb.55:
	v_cmp_gt_u32_e64 s1, 16, v42
	s_waitcnt lgkmcnt(0)
	v_lshlrev_b32_e32 v17, 4, v22
	v_cmp_gt_u32_e64 s0, 32, v0
	v_cmp_gt_u32_e64 s2, 8, v0
	v_cmp_eq_u32_e64 s3, 0, v0
	v_cndmask_b32_e64 v1, 0, 1, s1
	v_cmp_gt_u32_e64 s1, 24, v42
	v_cmp_ge_i32_e64 s4, s12, v45
	s_cmp_gt_i32 s36, 0
	s_mov_b32 s15, 0
	v_lshlrev_b32_e32 v1, 4, v1
	v_cndmask_b32_e64 v2, 0, 1, s1
	v_cmp_gt_u32_e64 s1, 28, v42
	s_cselect_b32 s20, -1, 0
	s_lshl_b64 s[14:15], s[14:15], 4
	v_add_lshl_u32 v18, v1, v42, 2
	v_lshlrev_b32_e32 v2, 3, v2
	v_cndmask_b32_e64 v3, 0, 1, s1
	v_cmp_gt_u32_e64 s1, 30, v42
	v_add_nc_u32_e32 v1, s33, v21
	v_cmp_ge_i32_e32 vcc_lo, s12, v44
	v_add_lshl_u32 v19, v2, v42, 2
	v_lshlrev_b32_e32 v3, 2, v3
	v_cndmask_b32_e64 v4, 0, 1, s1
	v_cmp_ne_u32_e64 s1, 31, v42
	v_ashrrev_i32_e32 v2, 31, v1
	v_add_nc_u32_e32 v0, s33, v1
	v_add_lshl_u32 v20, v3, v42, 2
	v_lshlrev_b32_e32 v4, 1, v4
	v_add_co_ci_u32_e64 v5, s1, 0, v42, s1
	v_cmp_eq_u32_e64 s1, 0, v22
	v_ashrrev_i32_e32 v22, 31, v21
	s_delay_alu instid0(VALU_DEP_4)
	v_add_lshl_u32 v25, v4, v42, 2
	v_lshlrev_b64 v[7:8], 4, v[1:2]
	v_ashrrev_i32_e32 v1, 31, v0
	v_lshlrev_b32_e32 v26, 2, v5
	v_lshlrev_b64 v[3:4], 4, v[21:22]
	s_add_u32 s12, s38, s14
	s_addc_u32 s14, s39, s15
	v_lshlrev_b64 v[1:2], 4, v[0:1]
	v_and_b32_e32 v27, 0x70, v43
	s_delay_alu instid0(VALU_DEP_3) | instskip(SKIP_3) | instid1(VALU_DEP_1)
	v_add_co_u32 v5, s5, s34, v3
	v_add_nc_u32_e32 v3, s33, v0
	v_add_co_ci_u32_e64 v6, s5, s35, v4, s5
	v_add_co_u32 v7, s5, s34, v7
	v_add_co_ci_u32_e64 v8, s5, s35, v8, s5
	s_delay_alu instid0(VALU_DEP_4) | instskip(SKIP_1) | instid1(VALU_DEP_1)
	v_ashrrev_i32_e32 v4, 31, v3
	v_add_co_u32 v9, s5, s34, v1
	v_add_co_ci_u32_e64 v10, s5, s35, v2, s5
	s_and_b32 s5, s20, s4
	s_add_u32 s4, s6, s18
	v_lshlrev_b64 v[0:1], 4, v[3:4]
	s_addc_u32 s6, s7, s19
	s_add_u32 s4, s16, s4
	s_addc_u32 s6, s17, s6
	v_add_co_u32 v2, s4, s4, v23
	s_delay_alu instid0(VALU_DEP_1) | instskip(SKIP_4) | instid1(VALU_DEP_1)
	v_add_co_ci_u32_e64 v3, s4, s6, v24, s4
	v_add_co_u32 v11, s4, s34, v0
	v_mov_b32_e32 v0, 0
	v_add_co_ci_u32_e64 v12, s4, s35, v1, s4
	v_add_co_u32 v22, s4, v2, 8
	v_add_co_ci_u32_e64 v23, s4, 0, v3, s4
	s_mul_i32 s6, s37, s25
	s_branch .LBB165_57
.LBB165_56:                             ;   in Loop: Header=BB165_57 Depth=1
	s_or_b32 exec_lo, exec_lo, s4
	s_add_i32 s37, s37, 1
	s_add_i32 s6, s6, s25
	s_cmp_lt_i32 s37, s13
	s_cbranch_scc0 .LBB165_76
.LBB165_57:                             ; =>This Loop Header: Depth=1
                                        ;     Child Loop BB165_69 Depth 2
                                        ;     Child Loop BB165_71 Depth 2
                                        ; implicit-def: $vgpr13_vgpr14
                                        ; implicit-def: $vgpr15_vgpr16
	s_and_saveexec_b32 s4, vcc_lo
	s_delay_alu instid0(SALU_CYCLE_1)
	s_xor_b32 s7, exec_lo, s4
	s_cbranch_execnz .LBB165_66
; %bb.58:                               ;   in Loop: Header=BB165_57 Depth=1
	s_and_not1_saveexec_b32 s15, s7
	s_cbranch_execnz .LBB165_67
.LBB165_59:                             ;   in Loop: Header=BB165_57 Depth=1
	s_or_b32 exec_lo, exec_lo, s15
	s_and_saveexec_b32 s4, s0
	s_cbranch_execz .LBB165_61
.LBB165_60:                             ;   in Loop: Header=BB165_57 Depth=1
	s_waitcnt lgkmcnt(0)
	v_mov_b32_e32 v1, v0
	v_mov_b32_e32 v2, v0
	;; [unrolled: 1-line block ×3, first 2 shown]
	ds_store_b128 v17, v[0:3]
.LBB165_61:                             ;   in Loop: Header=BB165_57 Depth=1
	s_or_b32 exec_lo, exec_lo, s4
	s_waitcnt lgkmcnt(0)
	ds_bpermute_b32 v1, v18, v13
	ds_bpermute_b32 v2, v18, v14
	;; [unrolled: 1-line block ×4, first 2 shown]
	s_waitcnt lgkmcnt(0)
	s_waitcnt_vscnt null, 0x0
	s_barrier
	buffer_gl0_inv
	v_add_f64 v[1:2], v[13:14], v[1:2]
	v_add_f64 v[3:4], v[15:16], v[3:4]
	ds_bpermute_b32 v13, v19, v1
	ds_bpermute_b32 v14, v19, v2
	ds_bpermute_b32 v15, v19, v3
	ds_bpermute_b32 v16, v19, v4
	s_waitcnt lgkmcnt(2)
	v_add_f64 v[1:2], v[1:2], v[13:14]
	s_waitcnt lgkmcnt(0)
	v_add_f64 v[3:4], v[3:4], v[15:16]
	ds_bpermute_b32 v13, v20, v1
	ds_bpermute_b32 v14, v20, v2
	ds_bpermute_b32 v15, v20, v3
	ds_bpermute_b32 v16, v20, v4
	s_waitcnt lgkmcnt(2)
	v_add_f64 v[1:2], v[1:2], v[13:14]
	s_waitcnt lgkmcnt(0)
	;; [unrolled: 8-line block ×3, first 2 shown]
	v_add_f64 v[13:14], v[3:4], v[15:16]
	ds_bpermute_b32 v3, v26, v1
	ds_bpermute_b32 v4, v26, v2
	ds_bpermute_b32 v15, v26, v13
	ds_bpermute_b32 v16, v26, v14
	s_and_saveexec_b32 s4, s1
	s_cbranch_execz .LBB165_63
; %bb.62:                               ;   in Loop: Header=BB165_57 Depth=1
	s_waitcnt lgkmcnt(0)
	v_add_f64 v[15:16], v[13:14], v[15:16]
	v_add_f64 v[13:14], v[1:2], v[3:4]
	ds_store_b128 v27, v[13:16]
.LBB165_63:                             ;   in Loop: Header=BB165_57 Depth=1
	s_or_b32 exec_lo, exec_lo, s4
	s_waitcnt lgkmcnt(2)
	v_mov_b32_e32 v3, 0
	v_mov_b32_e32 v4, 0
	s_delay_alu instid0(VALU_DEP_2)
	v_mov_b32_e32 v1, v3
	s_waitcnt lgkmcnt(0)
	s_barrier
	buffer_gl0_inv
	v_mov_b32_e32 v2, v4
	s_and_saveexec_b32 s4, s2
	s_cbranch_execnz .LBB165_73
; %bb.64:                               ;   in Loop: Header=BB165_57 Depth=1
	s_or_b32 exec_lo, exec_lo, s4
	s_and_saveexec_b32 s4, s0
	s_cbranch_execnz .LBB165_74
.LBB165_65:                             ;   in Loop: Header=BB165_57 Depth=1
	s_or_b32 exec_lo, exec_lo, s4
	s_and_saveexec_b32 s4, s3
	s_cbranch_execz .LBB165_56
	s_branch .LBB165_75
.LBB165_66:                             ;   in Loop: Header=BB165_57 Depth=1
	s_waitcnt lgkmcnt(0)
	s_clause 0x2
	global_load_b128 v[1:4], v[7:8], off
	global_load_b128 v[13:16], v[9:10], off
	global_load_b128 v[28:31], v[11:12], off
	s_mul_i32 s16, s37, s25
	s_delay_alu instid0(SALU_CYCLE_1) | instskip(NEXT) | instid1(SALU_CYCLE_1)
	s_ashr_i32 s17, s16, 31
	s_lshl_b64 s[16:17], s[16:17], 4
	s_delay_alu instid0(SALU_CYCLE_1) | instskip(NEXT) | instid1(VALU_DEP_1)
	v_add_co_u32 v54, s4, v38, s16
	v_add_co_ci_u32_e64 v55, s4, s17, v39, s4
	global_load_b128 v[32:35], v[5:6], off
	s_clause 0x1
	global_load_b128 v[42:45], v[54:55], off
	global_load_b128 v[46:49], v[54:55], off offset:16
	s_waitcnt vmcnt(5)
	scratch_store_b128 v36, v[1:4], off
	scratch_load_b128 v[1:4], off, off offset:16
	global_load_b128 v[50:53], v[54:55], off offset:32
	s_waitcnt vmcnt(6)
	scratch_store_b128 v37, v[13:16], off
	scratch_load_b128 v[13:16], off, off offset:32
	;; [unrolled: 4-line block ×3, first 2 shown]
	s_waitcnt vmcnt(7)
	scratch_store_b128 off, v[32:35], off
	s_waitcnt vmcnt(6)
	v_mul_f64 v[58:59], v[44:45], v[34:35]
	v_mul_f64 v[60:61], v[42:43], v[34:35]
	s_delay_alu instid0(VALU_DEP_2) | instskip(NEXT) | instid1(VALU_DEP_2)
	v_fma_f64 v[42:43], v[42:43], v[32:33], -v[58:59]
	v_fma_f64 v[44:45], v[44:45], v[32:33], v[60:61]
	s_delay_alu instid0(VALU_DEP_2) | instskip(NEXT) | instid1(VALU_DEP_2)
	v_add_f64 v[42:43], v[42:43], 0
	v_add_f64 v[44:45], v[44:45], 0
	s_waitcnt vmcnt(4)
	v_mul_f64 v[58:59], v[48:49], v[3:4]
	v_mul_f64 v[3:4], v[46:47], v[3:4]
	s_waitcnt vmcnt(2)
	v_mul_f64 v[60:61], v[52:53], v[15:16]
	v_mul_f64 v[15:16], v[50:51], v[15:16]
	s_delay_alu instid0(VALU_DEP_4) | instskip(NEXT) | instid1(VALU_DEP_4)
	v_fma_f64 v[46:47], v[46:47], v[1:2], -v[58:59]
	v_fma_f64 v[1:2], v[48:49], v[1:2], v[3:4]
	s_waitcnt vmcnt(0)
	v_mul_f64 v[3:4], v[56:57], v[30:31]
	v_mul_f64 v[30:31], v[54:55], v[30:31]
	v_fma_f64 v[48:49], v[50:51], v[13:14], -v[60:61]
	v_fma_f64 v[13:14], v[52:53], v[13:14], v[15:16]
	v_add_f64 v[15:16], v[42:43], v[46:47]
	v_add_f64 v[1:2], v[44:45], v[1:2]
	v_fma_f64 v[3:4], v[54:55], v[28:29], -v[3:4]
	v_fma_f64 v[28:29], v[56:57], v[28:29], v[30:31]
	s_delay_alu instid0(VALU_DEP_4) | instskip(NEXT) | instid1(VALU_DEP_4)
	v_add_f64 v[15:16], v[15:16], v[48:49]
	v_add_f64 v[1:2], v[1:2], v[13:14]
	s_delay_alu instid0(VALU_DEP_2) | instskip(NEXT) | instid1(VALU_DEP_2)
	v_add_f64 v[13:14], v[15:16], v[3:4]
	v_add_f64 v[15:16], v[1:2], v[28:29]
	s_and_not1_saveexec_b32 s15, s7
	s_cbranch_execz .LBB165_59
.LBB165_67:                             ;   in Loop: Header=BB165_57 Depth=1
	v_mov_b32_e32 v13, 0
	v_mov_b32_e32 v14, 0
	s_delay_alu instid0(VALU_DEP_1)
	v_dual_mov_b32 v16, v14 :: v_dual_mov_b32 v15, v13
	s_and_saveexec_b32 s16, s5
	s_cbranch_execz .LBB165_72
; %bb.68:                               ;   in Loop: Header=BB165_57 Depth=1
	s_waitcnt lgkmcnt(0)
	v_mov_b32_e32 v3, 0
	v_mov_b32_e32 v1, v21
	s_mov_b32 s7, s36
.LBB165_69:                             ;   Parent Loop BB165_57 Depth=1
                                        ; =>  This Inner Loop Header: Depth=2
	s_delay_alu instid0(VALU_DEP_1) | instskip(SKIP_1) | instid1(SALU_CYCLE_1)
	v_ashrrev_i32_e32 v2, 31, v1
	s_add_i32 s7, s7, -1
	s_cmp_eq_u32 s7, 0
	s_delay_alu instid0(VALU_DEP_1) | instskip(SKIP_1) | instid1(VALU_DEP_2)
	v_lshlrev_b64 v[13:14], 4, v[1:2]
	v_add_nc_u32_e32 v1, s33, v1
	v_add_co_u32 v13, s4, s34, v13
	s_delay_alu instid0(VALU_DEP_1)
	v_add_co_ci_u32_e64 v14, s4, s35, v14, s4
	global_load_b128 v[13:16], v[13:14], off
	s_waitcnt vmcnt(0)
	scratch_store_b128 v3, v[13:16], off
	v_add_nc_u32_e32 v3, 16, v3
	s_cbranch_scc0 .LBB165_69
; %bb.70:                               ;   in Loop: Header=BB165_57 Depth=1
	s_ashr_i32 s7, s6, 31
	v_mov_b32_e32 v13, 0
	v_dual_mov_b32 v14, 0 :: v_dual_mov_b32 v3, v41
	s_lshl_b64 s[18:19], s[6:7], 4
	s_mov_b32 s7, s36
	v_add_co_u32 v1, s4, v22, s18
	s_delay_alu instid0(VALU_DEP_1)
	v_add_co_ci_u32_e64 v2, s4, s19, v23, s4
	v_dual_mov_b32 v16, v14 :: v_dual_mov_b32 v15, v13
	.p2align	6
.LBB165_71:                             ;   Parent Loop BB165_57 Depth=1
                                        ; =>  This Inner Loop Header: Depth=2
	global_load_b128 v[28:31], v[1:2], off offset:-8
	scratch_load_b128 v[32:35], v3, off offset:-8
	v_add_co_u32 v1, s4, v1, 16
	v_add_nc_u32_e32 v3, 16, v3
	v_add_co_ci_u32_e64 v2, s4, 0, v2, s4
	s_add_i32 s7, s7, -1
	s_delay_alu instid0(SALU_CYCLE_1) | instskip(SKIP_3) | instid1(VALU_DEP_2)
	s_cmp_lg_u32 s7, 0
	s_waitcnt vmcnt(0)
	v_mul_f64 v[42:43], v[30:31], v[34:35]
	v_mul_f64 v[34:35], v[28:29], v[34:35]
	v_fma_f64 v[28:29], v[28:29], v[32:33], -v[42:43]
	s_delay_alu instid0(VALU_DEP_2) | instskip(NEXT) | instid1(VALU_DEP_2)
	v_fma_f64 v[30:31], v[30:31], v[32:33], v[34:35]
	v_add_f64 v[13:14], v[13:14], v[28:29]
	s_delay_alu instid0(VALU_DEP_2)
	v_add_f64 v[15:16], v[15:16], v[30:31]
	s_cbranch_scc1 .LBB165_71
.LBB165_72:                             ;   in Loop: Header=BB165_57 Depth=1
	s_or_b32 exec_lo, exec_lo, s16
	s_delay_alu instid0(SALU_CYCLE_1)
	s_or_b32 exec_lo, exec_lo, s15
	s_and_saveexec_b32 s4, s0
	s_cbranch_execnz .LBB165_60
	s_branch .LBB165_61
.LBB165_73:                             ;   in Loop: Header=BB165_57 Depth=1
	ds_load_b128 v[1:4], v17
	s_or_b32 exec_lo, exec_lo, s4
	s_and_saveexec_b32 s4, s0
	s_cbranch_execz .LBB165_65
.LBB165_74:                             ;   in Loop: Header=BB165_57 Depth=1
	s_waitcnt lgkmcnt(0)
	ds_bpermute_b32 v13, v20, v1
	ds_bpermute_b32 v14, v20, v2
	ds_bpermute_b32 v15, v20, v3
	ds_bpermute_b32 v16, v20, v4
	s_waitcnt lgkmcnt(2)
	v_add_f64 v[1:2], v[1:2], v[13:14]
	s_waitcnt lgkmcnt(0)
	v_add_f64 v[3:4], v[3:4], v[15:16]
	ds_bpermute_b32 v13, v25, v1
	ds_bpermute_b32 v14, v25, v2
	ds_bpermute_b32 v15, v25, v3
	ds_bpermute_b32 v16, v25, v4
	s_waitcnt lgkmcnt(2)
	v_add_f64 v[1:2], v[1:2], v[13:14]
	s_waitcnt lgkmcnt(0)
	v_add_f64 v[3:4], v[3:4], v[15:16]
	;; [unrolled: 8-line block ×3, first 2 shown]
	s_or_b32 exec_lo, exec_lo, s4
	s_and_saveexec_b32 s4, s3
	s_cbranch_execz .LBB165_56
.LBB165_75:                             ;   in Loop: Header=BB165_57 Depth=1
	s_waitcnt lgkmcnt(0)
	s_delay_alu instid0(VALU_DEP_1) | instskip(SKIP_3) | instid1(SALU_CYCLE_1)
	v_mul_f64 v[13:14], s[10:11], v[3:4]
	v_mul_f64 v[3:4], s[8:9], v[3:4]
	s_mul_hi_u32 s17, s37, s24
	s_mul_i32 s16, s37, s24
	s_lshl_b64 s[16:17], s[16:17], 4
	s_delay_alu instid0(SALU_CYCLE_1) | instskip(SKIP_1) | instid1(VALU_DEP_2)
	s_add_u32 s16, s12, s16
	s_addc_u32 s17, s14, s17
	v_fma_f64 v[13:14], s[8:9], v[1:2], -v[13:14]
	s_delay_alu instid0(VALU_DEP_2)
	v_fma_f64 v[15:16], s[10:11], v[1:2], v[3:4]
	global_store_b128 v0, v[13:16], s[16:17]
	s_branch .LBB165_56
.LBB165_76:
	s_nop 0
	s_sendmsg sendmsg(MSG_DEALLOC_VGPRS)
	s_endpgm
	.section	.rodata,"a",@progbits
	.p2align	6, 0x0
	.amdhsa_kernel _ZL23rocblas_gemvt_sn_kernelILb0ELi256ELi4Ei19rocblas_complex_numIdES1_S1_EviiT4_lPKT3_lilS5_lilPT5_i
		.amdhsa_group_segment_fixed_size 512
		.amdhsa_private_segment_fixed_size 80
		.amdhsa_kernarg_size 368
		.amdhsa_user_sgpr_count 14
		.amdhsa_user_sgpr_dispatch_ptr 0
		.amdhsa_user_sgpr_queue_ptr 0
		.amdhsa_user_sgpr_kernarg_segment_ptr 1
		.amdhsa_user_sgpr_dispatch_id 0
		.amdhsa_user_sgpr_private_segment_size 0
		.amdhsa_wavefront_size32 1
		.amdhsa_uses_dynamic_stack 0
		.amdhsa_enable_private_segment 1
		.amdhsa_system_sgpr_workgroup_id_x 1
		.amdhsa_system_sgpr_workgroup_id_y 0
		.amdhsa_system_sgpr_workgroup_id_z 1
		.amdhsa_system_sgpr_workgroup_info 0
		.amdhsa_system_vgpr_workitem_id 0
		.amdhsa_next_free_vgpr 128
		.amdhsa_next_free_sgpr 52
		.amdhsa_reserve_vcc 1
		.amdhsa_float_round_mode_32 0
		.amdhsa_float_round_mode_16_64 0
		.amdhsa_float_denorm_mode_32 3
		.amdhsa_float_denorm_mode_16_64 3
		.amdhsa_dx10_clamp 1
		.amdhsa_ieee_mode 1
		.amdhsa_fp16_overflow 0
		.amdhsa_workgroup_processor_mode 1
		.amdhsa_memory_ordered 1
		.amdhsa_forward_progress 0
		.amdhsa_shared_vgpr_count 0
		.amdhsa_exception_fp_ieee_invalid_op 0
		.amdhsa_exception_fp_denorm_src 0
		.amdhsa_exception_fp_ieee_div_zero 0
		.amdhsa_exception_fp_ieee_overflow 0
		.amdhsa_exception_fp_ieee_underflow 0
		.amdhsa_exception_fp_ieee_inexact 0
		.amdhsa_exception_int_div_zero 0
	.end_amdhsa_kernel
	.section	.text._ZL23rocblas_gemvt_sn_kernelILb0ELi256ELi4Ei19rocblas_complex_numIdES1_S1_EviiT4_lPKT3_lilS5_lilPT5_i,"axG",@progbits,_ZL23rocblas_gemvt_sn_kernelILb0ELi256ELi4Ei19rocblas_complex_numIdES1_S1_EviiT4_lPKT3_lilS5_lilPT5_i,comdat
.Lfunc_end165:
	.size	_ZL23rocblas_gemvt_sn_kernelILb0ELi256ELi4Ei19rocblas_complex_numIdES1_S1_EviiT4_lPKT3_lilS5_lilPT5_i, .Lfunc_end165-_ZL23rocblas_gemvt_sn_kernelILb0ELi256ELi4Ei19rocblas_complex_numIdES1_S1_EviiT4_lPKT3_lilS5_lilPT5_i
                                        ; -- End function
	.section	.AMDGPU.csdata,"",@progbits
; Kernel info:
; codeLenInByte = 7568
; NumSgprs: 54
; NumVgprs: 128
; ScratchSize: 80
; MemoryBound: 0
; FloatMode: 240
; IeeeMode: 1
; LDSByteSize: 512 bytes/workgroup (compile time only)
; SGPRBlocks: 6
; VGPRBlocks: 15
; NumSGPRsForWavesPerEU: 54
; NumVGPRsForWavesPerEU: 128
; Occupancy: 10
; WaveLimiterHint : 1
; COMPUTE_PGM_RSRC2:SCRATCH_EN: 1
; COMPUTE_PGM_RSRC2:USER_SGPR: 14
; COMPUTE_PGM_RSRC2:TRAP_HANDLER: 0
; COMPUTE_PGM_RSRC2:TGID_X_EN: 1
; COMPUTE_PGM_RSRC2:TGID_Y_EN: 0
; COMPUTE_PGM_RSRC2:TGID_Z_EN: 1
; COMPUTE_PGM_RSRC2:TIDIG_COMP_CNT: 0
	.section	.text._ZL23rocblas_gemvt_sn_kernelILb0ELi256ELi4El19rocblas_complex_numIdES1_S1_EviiT4_lPKT3_lilS5_lilPT5_i,"axG",@progbits,_ZL23rocblas_gemvt_sn_kernelILb0ELi256ELi4El19rocblas_complex_numIdES1_S1_EviiT4_lPKT3_lilS5_lilPT5_i,comdat
	.globl	_ZL23rocblas_gemvt_sn_kernelILb0ELi256ELi4El19rocblas_complex_numIdES1_S1_EviiT4_lPKT3_lilS5_lilPT5_i ; -- Begin function _ZL23rocblas_gemvt_sn_kernelILb0ELi256ELi4El19rocblas_complex_numIdES1_S1_EviiT4_lPKT3_lilS5_lilPT5_i
	.p2align	8
	.type	_ZL23rocblas_gemvt_sn_kernelILb0ELi256ELi4El19rocblas_complex_numIdES1_S1_EviiT4_lPKT3_lilS5_lilPT5_i,@function
_ZL23rocblas_gemvt_sn_kernelILb0ELi256ELi4El19rocblas_complex_numIdES1_S1_EviiT4_lPKT3_lilS5_lilPT5_i: ; @_ZL23rocblas_gemvt_sn_kernelILb0ELi256ELi4El19rocblas_complex_numIdES1_S1_EviiT4_lPKT3_lilS5_lilPT5_i
; %bb.0:
	s_clause 0x3
	s_load_b128 s[8:11], s[0:1], 0x8
	s_load_b64 s[12:13], s[0:1], 0x0
	s_load_b32 s24, s[0:1], 0x70
	s_load_b128 s[20:23], s[0:1], 0x58
	s_mov_b32 s25, 0
	s_waitcnt lgkmcnt(0)
	s_ashr_i32 s36, s13, 31
	v_cmp_neq_f64_e64 s2, s[8:9], 0
	v_cmp_neq_f64_e64 s3, s[10:11], 0
	s_mul_hi_u32 s4, s13, s15
	s_mul_i32 s6, s36, s15
	s_mul_i32 s5, s13, s15
	s_add_i32 s4, s4, s6
	s_mul_hi_u32 s7, s5, s24
	s_mul_i32 s4, s4, s24
	s_mul_i32 s34, s5, s24
	s_add_i32 s35, s7, s4
	s_delay_alu instid0(VALU_DEP_1)
	s_or_b32 s2, s2, s3
	s_mov_b32 s3, -1
	s_and_b32 vcc_lo, exec_lo, s2
	v_cmp_eq_u32_e64 s2, 0, v0
	s_cbranch_vccnz .LBB166_5
; %bb.1:
	s_cmp_gt_i32 s13, 0
	s_cselect_b32 s3, -1, 0
	s_delay_alu instid0(VALU_DEP_1) | instid1(SALU_CYCLE_1)
	s_and_b32 s2, s2, s3
	s_delay_alu instid0(SALU_CYCLE_1)
	s_and_saveexec_b32 s6, s2
	s_cbranch_execz .LBB166_4
; %bb.2:
	s_mov_b32 s2, s15
	s_mov_b32 s15, 0
	v_mov_b32_e32 v1, 0
	s_lshl_b64 s[4:5], s[34:35], 4
	s_lshl_b64 s[16:17], s[14:15], 4
	s_mov_b32 s15, s2
	s_add_u32 s2, s4, s16
	s_addc_u32 s3, s5, s17
	s_add_u32 s2, s2, s22
	v_mov_b32_e32 v2, v1
	v_mov_b32_e32 v3, v1
	;; [unrolled: 1-line block ×3, first 2 shown]
	s_addc_u32 s3, s3, s23
	s_add_u32 s2, s2, 8
	s_addc_u32 s3, s3, 0
	s_lshl_b64 s[4:5], s[24:25], 4
	s_mov_b32 s7, s13
.LBB166_3:                              ; =>This Inner Loop Header: Depth=1
	s_delay_alu instid0(SALU_CYCLE_1)
	s_add_i32 s7, s7, -1
	global_store_b128 v1, v[1:4], s[2:3] offset:-8
	s_add_u32 s2, s2, s4
	s_addc_u32 s3, s3, s5
	s_cmp_eq_u32 s7, 0
	s_cbranch_scc0 .LBB166_3
.LBB166_4:
	s_or_b32 exec_lo, exec_lo, s6
	s_mov_b32 s3, 0
.LBB166_5:
	s_delay_alu instid0(SALU_CYCLE_1)
	s_and_not1_b32 vcc_lo, exec_lo, s3
	s_cbranch_vccnz .LBB166_76
; %bb.6:
	s_clause 0x4
	s_load_b32 s26, s[0:1], 0x30
	s_load_b32 s28, s[0:1], 0x50
	s_load_b128 s[4:7], s[0:1], 0x38
	s_load_b64 s[2:3], s[0:1], 0x48
	s_load_b128 s[16:19], s[0:1], 0x20
	s_mul_i32 s1, s15, s21
	s_mul_hi_u32 s21, s15, s20
	s_mul_i32 s0, s15, s20
	s_add_i32 s1, s21, s1
	v_and_b32_e32 v44, 31, v0
	s_lshl_b64 s[20:21], s[0:1], 4
	v_mbcnt_lo_u32_b32 v48, -1, 0
	v_lshrrev_b32_e32 v47, 1, v0
	v_add_nc_u32_e64 v40, 0, 16
	v_add_nc_u32_e64 v41, 0, 32
	;; [unrolled: 1-line block ×3, first 2 shown]
	v_or_b32_e64 v43, 0, 8
	s_waitcnt lgkmcnt(0)
	s_ashr_i32 s27, s26, 31
	s_ashr_i32 s29, s28, 31
	s_add_u32 s0, s6, s20
	s_addc_u32 s1, s7, s21
	s_lshl_b64 s[30:31], s[2:3], 4
	s_mul_i32 s5, s15, s5
	s_add_u32 s33, s0, s30
	s_addc_u32 s40, s1, s31
	s_lshl_b64 s[0:1], s[34:35], 4
	s_mul_hi_u32 s3, s15, s4
	s_add_u32 s41, s22, s0
	s_mul_i32 s2, s15, s4
	s_addc_u32 s42, s23, s1
	s_add_i32 s3, s3, s5
	v_cmp_gt_u32_e64 s0, 32, v0
	s_lshl_b64 s[22:23], s[2:3], 4
	v_cmp_gt_u32_e64 s1, 8, v0
	s_add_u32 s2, s16, s22
	s_addc_u32 s3, s17, s23
	s_lshl_b64 s[18:19], s[18:19], 4
	s_delay_alu instid0(SALU_CYCLE_1)
	s_add_u32 s2, s2, s18
	s_addc_u32 s3, s3, s19
	s_lshl_b32 s4, s14, 10
	s_lshr_b32 s5, s36, 30
	v_lshl_or_b32 v25, v0, 2, s4
	s_ashr_i32 s4, s12, 31
	s_add_i32 s5, s13, s5
	s_lshr_b32 s4, s4, 30
	s_and_b32 s43, s5, -4
	v_ashrrev_i32_e32 v26, 31, v25
	s_add_i32 s4, s12, s4
	v_add_nc_u32_e32 v50, 4, v25
	s_and_b32 s4, s4, -4
	v_or_b32_e32 v49, 1, v25
	v_lshlrev_b64 v[23:24], 4, v[25:26]
	s_sub_i32 s25, s12, s4
	v_or_b32_e32 v46, 2, v25
	v_add_nc_u32_e32 v51, s25, v25
	v_or_b32_e32 v45, 3, v25
	s_cmp_lt_i32 s43, 1
	v_add_co_u32 v21, vcc_lo, s2, v23
	v_add_co_ci_u32_e32 v22, vcc_lo, s3, v24, vcc_lo
	s_cbranch_scc1 .LBB166_53
; %bb.7:
	v_cmp_gt_u32_e32 vcc_lo, 16, v48
	v_mad_i64_i32 v[7:8], null, s28, v45, 0
	s_mov_b32 s15, 0
	s_cmp_gt_i32 s25, 0
	v_cndmask_b32_e64 v1, 0, 1, vcc_lo
	v_cmp_gt_u32_e32 vcc_lo, 24, v48
	s_cselect_b32 s44, -1, 0
	s_lshl_b64 s[34:35], s[14:15], 4
	v_cmp_ge_i32_e64 s2, s12, v50
	v_lshlrev_b32_e32 v1, 4, v1
	v_cndmask_b32_e64 v2, 0, 1, vcc_lo
	v_cmp_gt_u32_e32 vcc_lo, 28, v48
	s_add_u32 s45, s41, s34
	s_addc_u32 s46, s42, s35
	s_add_u32 s34, s6, s30
	v_lshlrev_b32_e32 v2, 3, v2
	v_cndmask_b32_e64 v3, 0, 1, vcc_lo
	v_cmp_gt_u32_e32 vcc_lo, 30, v48
	s_addc_u32 s35, s7, s31
	s_add_u32 s34, s34, s20
	v_add_lshl_u32 v53, v2, v48, 2
	v_lshlrev_b32_e32 v3, 2, v3
	v_cndmask_b32_e64 v4, 0, 1, vcc_lo
	v_cmp_ne_u32_e32 vcc_lo, 31, v48
	v_dual_mov_b32 v37, v22 :: v_dual_mov_b32 v36, v21
	v_add_lshl_u32 v52, v1, v48, 2
	s_delay_alu instid0(VALU_DEP_4) | instskip(SKIP_3) | instid1(VALU_DEP_4)
	v_lshlrev_b32_e32 v4, 1, v4
	v_mad_i64_i32 v[1:2], null, s28, v25, 0
	v_add_co_ci_u32_e32 v5, vcc_lo, 0, v48, vcc_lo
	v_add_lshl_u32 v54, v3, v48, 2
	v_add_lshl_u32 v55, v4, v48, 2
	v_mad_i64_i32 v[3:4], null, s28, v49, 0
	s_delay_alu instid0(VALU_DEP_4)
	v_lshlrev_b32_e32 v56, 2, v5
	v_lshlrev_b64 v[1:2], 4, v[1:2]
	v_mad_i64_i32 v[5:6], null, s28, v46, 0
	s_addc_u32 s35, s35, s21
	v_cmp_ge_i32_e64 s3, s12, v51
	v_lshlrev_b64 v[3:4], 4, v[3:4]
	s_delay_alu instid0(VALU_DEP_4) | instskip(SKIP_2) | instid1(VALU_DEP_4)
	v_add_co_u32 v26, vcc_lo, s33, v1
	v_add_co_ci_u32_e32 v27, vcc_lo, s40, v2, vcc_lo
	v_lshlrev_b64 v[5:6], 4, v[5:6]
	v_add_co_u32 v28, vcc_lo, s33, v3
	v_add_co_ci_u32_e32 v29, vcc_lo, s40, v4, vcc_lo
	v_lshlrev_b64 v[3:4], 4, v[7:8]
	s_delay_alu instid0(VALU_DEP_4) | instskip(SKIP_2) | instid1(VALU_DEP_4)
	v_add_co_u32 v30, vcc_lo, s33, v5
	v_add_co_ci_u32_e32 v31, vcc_lo, s40, v6, vcc_lo
	v_cmp_eq_u32_e64 s4, 0, v44
	v_add_co_u32 v32, vcc_lo, s33, v3
	v_add_co_ci_u32_e32 v33, vcc_lo, s40, v4, vcc_lo
	v_add_co_u32 v34, vcc_lo, s34, v1
	v_lshlrev_b32_e32 v57, 4, v44
	v_and_b32_e32 v58, 0x70, v47
	v_cmp_eq_u32_e64 s5, 0, v0
	v_or_b32_e64 v59, 0, 8
	v_add_co_ci_u32_e32 v35, vcc_lo, s35, v2, vcc_lo
	v_mov_b32_e32 v1, 0
	s_lshl_b64 s[34:35], s[28:29], 4
	s_lshl_b64 s[36:37], s[26:27], 6
	s_lshl_b64 s[38:39], s[26:27], 4
	s_branch .LBB166_9
.LBB166_8:                              ;   in Loop: Header=BB166_9 Depth=1
	s_or_b32 exec_lo, exec_lo, s47
	v_add_co_u32 v36, vcc_lo, v36, s36
	v_add_co_ci_u32_e32 v37, vcc_lo, s37, v37, vcc_lo
	s_add_i32 s15, s15, 4
	s_delay_alu instid0(SALU_CYCLE_1)
	s_cmp_ge_i32 s15, s43
	s_cbranch_scc1 .LBB166_54
.LBB166_9:                              ; =>This Loop Header: Depth=1
                                        ;     Child Loop BB166_40 Depth 2
                                        ;     Child Loop BB166_42 Depth 2
                                        ; implicit-def: $vgpr17_vgpr18
                                        ; implicit-def: $vgpr19_vgpr20
                                        ; implicit-def: $vgpr13_vgpr14
                                        ; implicit-def: $vgpr15_vgpr16
                                        ; implicit-def: $vgpr9_vgpr10
                                        ; implicit-def: $vgpr11_vgpr12
                                        ; implicit-def: $vgpr7_vgpr8
                                        ; implicit-def: $vgpr5_vgpr6
	s_and_saveexec_b32 s47, s2
	s_delay_alu instid0(SALU_CYCLE_1)
	s_xor_b32 s47, exec_lo, s47
	s_cbranch_execnz .LBB166_36
; %bb.10:                               ;   in Loop: Header=BB166_9 Depth=1
	s_and_not1_saveexec_b32 s47, s47
	s_cbranch_execnz .LBB166_37
.LBB166_11:                             ;   in Loop: Header=BB166_9 Depth=1
	s_or_b32 exec_lo, exec_lo, s47
	s_and_saveexec_b32 s47, s0
	s_cbranch_execz .LBB166_13
.LBB166_12:                             ;   in Loop: Header=BB166_9 Depth=1
	v_mov_b32_e32 v2, v1
	v_mov_b32_e32 v3, v1
	;; [unrolled: 1-line block ×3, first 2 shown]
	ds_store_b128 v57, v[1:4]
.LBB166_13:                             ;   in Loop: Header=BB166_9 Depth=1
	s_or_b32 exec_lo, exec_lo, s47
	ds_bpermute_b32 v2, v52, v7
	ds_bpermute_b32 v3, v52, v8
	;; [unrolled: 1-line block ×4, first 2 shown]
	s_waitcnt lgkmcnt(0)
	s_waitcnt_vscnt null, 0x0
	s_barrier
	buffer_gl0_inv
	v_add_f64 v[2:3], v[7:8], v[2:3]
	v_add_f64 v[4:5], v[5:6], v[38:39]
	ds_bpermute_b32 v6, v53, v2
	ds_bpermute_b32 v7, v53, v3
	ds_bpermute_b32 v38, v53, v4
	ds_bpermute_b32 v39, v53, v5
	s_waitcnt lgkmcnt(2)
	v_add_f64 v[2:3], v[2:3], v[6:7]
	s_waitcnt lgkmcnt(0)
	v_add_f64 v[4:5], v[4:5], v[38:39]
	ds_bpermute_b32 v6, v54, v2
	ds_bpermute_b32 v7, v54, v3
	ds_bpermute_b32 v38, v54, v4
	ds_bpermute_b32 v39, v54, v5
	s_waitcnt lgkmcnt(2)
	v_add_f64 v[2:3], v[2:3], v[6:7]
	s_waitcnt lgkmcnt(0)
	;; [unrolled: 8-line block ×3, first 2 shown]
	v_add_f64 v[6:7], v[4:5], v[38:39]
	ds_bpermute_b32 v4, v56, v2
	ds_bpermute_b32 v5, v56, v3
	;; [unrolled: 1-line block ×4, first 2 shown]
	s_and_saveexec_b32 s47, s4
	s_cbranch_execz .LBB166_15
; %bb.14:                               ;   in Loop: Header=BB166_9 Depth=1
	s_waitcnt lgkmcnt(0)
	v_add_f64 v[6:7], v[6:7], v[38:39]
	v_add_f64 v[4:5], v[2:3], v[4:5]
	ds_store_b128 v58, v[4:7]
.LBB166_15:                             ;   in Loop: Header=BB166_9 Depth=1
	s_or_b32 exec_lo, exec_lo, s47
	v_mov_b32_e32 v7, 0
	v_mov_b32_e32 v8, 0
	s_waitcnt lgkmcnt(2)
	s_delay_alu instid0(VALU_DEP_2)
	v_mov_b32_e32 v5, v7
	s_waitcnt lgkmcnt(0)
	s_barrier
	buffer_gl0_inv
	v_mov_b32_e32 v6, v8
	s_and_saveexec_b32 s47, s1
	s_cbranch_execnz .LBB166_44
; %bb.16:                               ;   in Loop: Header=BB166_9 Depth=1
	s_or_b32 exec_lo, exec_lo, s47
	s_and_saveexec_b32 s47, s0
	s_cbranch_execnz .LBB166_45
.LBB166_17:                             ;   in Loop: Header=BB166_9 Depth=1
	s_or_b32 exec_lo, exec_lo, s47
	s_and_saveexec_b32 s47, s0
	s_cbranch_execz .LBB166_19
.LBB166_18:                             ;   in Loop: Header=BB166_9 Depth=1
	v_mov_b32_e32 v2, v1
	v_mov_b32_e32 v3, v1
	;; [unrolled: 1-line block ×3, first 2 shown]
	ds_store_b128 v57, v[1:4]
.LBB166_19:                             ;   in Loop: Header=BB166_9 Depth=1
	s_or_b32 exec_lo, exec_lo, s47
	ds_bpermute_b32 v2, v52, v9
	ds_bpermute_b32 v3, v52, v10
	;; [unrolled: 1-line block ×4, first 2 shown]
	s_waitcnt lgkmcnt(0)
	s_barrier
	buffer_gl0_inv
	v_add_f64 v[2:3], v[9:10], v[2:3]
	v_add_f64 v[9:10], v[11:12], v[38:39]
	ds_bpermute_b32 v11, v53, v2
	ds_bpermute_b32 v12, v53, v3
	ds_bpermute_b32 v38, v53, v9
	ds_bpermute_b32 v39, v53, v10
	s_waitcnt lgkmcnt(2)
	v_add_f64 v[2:3], v[2:3], v[11:12]
	s_waitcnt lgkmcnt(0)
	v_add_f64 v[9:10], v[9:10], v[38:39]
	ds_bpermute_b32 v11, v54, v2
	ds_bpermute_b32 v12, v54, v3
	ds_bpermute_b32 v38, v54, v9
	ds_bpermute_b32 v39, v54, v10
	s_waitcnt lgkmcnt(2)
	v_add_f64 v[2:3], v[2:3], v[11:12]
	s_waitcnt lgkmcnt(0)
	;; [unrolled: 8-line block ×3, first 2 shown]
	v_add_f64 v[11:12], v[9:10], v[38:39]
	ds_bpermute_b32 v9, v56, v2
	ds_bpermute_b32 v10, v56, v3
	;; [unrolled: 1-line block ×4, first 2 shown]
	s_and_saveexec_b32 s47, s4
	s_cbranch_execz .LBB166_21
; %bb.20:                               ;   in Loop: Header=BB166_9 Depth=1
	s_waitcnt lgkmcnt(0)
	v_add_f64 v[11:12], v[11:12], v[38:39]
	v_add_f64 v[9:10], v[2:3], v[9:10]
	ds_store_b128 v58, v[9:12]
.LBB166_21:                             ;   in Loop: Header=BB166_9 Depth=1
	s_or_b32 exec_lo, exec_lo, s47
	v_mov_b32_e32 v11, 0
	v_mov_b32_e32 v12, 0
	s_waitcnt lgkmcnt(2)
	s_delay_alu instid0(VALU_DEP_2)
	v_mov_b32_e32 v9, v11
	s_waitcnt lgkmcnt(0)
	s_barrier
	buffer_gl0_inv
	v_mov_b32_e32 v10, v12
	s_and_saveexec_b32 s47, s1
	s_cbranch_execnz .LBB166_46
; %bb.22:                               ;   in Loop: Header=BB166_9 Depth=1
	s_or_b32 exec_lo, exec_lo, s47
	s_and_saveexec_b32 s47, s0
	s_cbranch_execnz .LBB166_47
.LBB166_23:                             ;   in Loop: Header=BB166_9 Depth=1
	s_or_b32 exec_lo, exec_lo, s47
	s_and_saveexec_b32 s47, s0
	s_cbranch_execz .LBB166_25
.LBB166_24:                             ;   in Loop: Header=BB166_9 Depth=1
	v_mov_b32_e32 v2, v1
	v_mov_b32_e32 v3, v1
	;; [unrolled: 1-line block ×3, first 2 shown]
	ds_store_b128 v57, v[1:4]
.LBB166_25:                             ;   in Loop: Header=BB166_9 Depth=1
	s_or_b32 exec_lo, exec_lo, s47
	ds_bpermute_b32 v2, v52, v13
	ds_bpermute_b32 v3, v52, v14
	;; [unrolled: 1-line block ×4, first 2 shown]
	s_waitcnt lgkmcnt(0)
	s_barrier
	buffer_gl0_inv
	v_add_f64 v[2:3], v[13:14], v[2:3]
	v_add_f64 v[13:14], v[15:16], v[38:39]
	ds_bpermute_b32 v15, v53, v2
	ds_bpermute_b32 v16, v53, v3
	ds_bpermute_b32 v38, v53, v13
	ds_bpermute_b32 v39, v53, v14
	s_waitcnt lgkmcnt(2)
	v_add_f64 v[2:3], v[2:3], v[15:16]
	s_waitcnt lgkmcnt(0)
	v_add_f64 v[13:14], v[13:14], v[38:39]
	ds_bpermute_b32 v15, v54, v2
	ds_bpermute_b32 v16, v54, v3
	ds_bpermute_b32 v38, v54, v13
	ds_bpermute_b32 v39, v54, v14
	s_waitcnt lgkmcnt(2)
	v_add_f64 v[2:3], v[2:3], v[15:16]
	s_waitcnt lgkmcnt(0)
	;; [unrolled: 8-line block ×3, first 2 shown]
	v_add_f64 v[15:16], v[13:14], v[38:39]
	ds_bpermute_b32 v13, v56, v2
	ds_bpermute_b32 v14, v56, v3
	;; [unrolled: 1-line block ×4, first 2 shown]
	s_and_saveexec_b32 s47, s4
	s_cbranch_execz .LBB166_27
; %bb.26:                               ;   in Loop: Header=BB166_9 Depth=1
	s_waitcnt lgkmcnt(0)
	v_add_f64 v[15:16], v[15:16], v[38:39]
	v_add_f64 v[13:14], v[2:3], v[13:14]
	ds_store_b128 v58, v[13:16]
.LBB166_27:                             ;   in Loop: Header=BB166_9 Depth=1
	s_or_b32 exec_lo, exec_lo, s47
	v_mov_b32_e32 v15, 0
	v_mov_b32_e32 v16, 0
	s_waitcnt lgkmcnt(2)
	s_delay_alu instid0(VALU_DEP_2)
	v_mov_b32_e32 v13, v15
	s_waitcnt lgkmcnt(0)
	s_barrier
	buffer_gl0_inv
	v_mov_b32_e32 v14, v16
	s_and_saveexec_b32 s47, s1
	s_cbranch_execnz .LBB166_48
; %bb.28:                               ;   in Loop: Header=BB166_9 Depth=1
	s_or_b32 exec_lo, exec_lo, s47
	s_and_saveexec_b32 s47, s0
	s_cbranch_execnz .LBB166_49
.LBB166_29:                             ;   in Loop: Header=BB166_9 Depth=1
	s_or_b32 exec_lo, exec_lo, s47
	s_and_saveexec_b32 s47, s0
	s_cbranch_execz .LBB166_31
.LBB166_30:                             ;   in Loop: Header=BB166_9 Depth=1
	v_mov_b32_e32 v2, v1
	v_mov_b32_e32 v3, v1
	v_mov_b32_e32 v4, v1
	ds_store_b128 v57, v[1:4]
.LBB166_31:                             ;   in Loop: Header=BB166_9 Depth=1
	s_or_b32 exec_lo, exec_lo, s47
	ds_bpermute_b32 v2, v52, v17
	ds_bpermute_b32 v3, v52, v18
	;; [unrolled: 1-line block ×4, first 2 shown]
	s_waitcnt lgkmcnt(0)
	s_barrier
	buffer_gl0_inv
	v_add_f64 v[2:3], v[17:18], v[2:3]
	v_add_f64 v[17:18], v[19:20], v[38:39]
	ds_bpermute_b32 v19, v53, v2
	ds_bpermute_b32 v20, v53, v3
	ds_bpermute_b32 v38, v53, v17
	ds_bpermute_b32 v39, v53, v18
	s_waitcnt lgkmcnt(2)
	v_add_f64 v[2:3], v[2:3], v[19:20]
	s_waitcnt lgkmcnt(0)
	v_add_f64 v[17:18], v[17:18], v[38:39]
	ds_bpermute_b32 v19, v54, v2
	ds_bpermute_b32 v20, v54, v3
	ds_bpermute_b32 v38, v54, v17
	ds_bpermute_b32 v39, v54, v18
	s_waitcnt lgkmcnt(2)
	v_add_f64 v[2:3], v[2:3], v[19:20]
	s_waitcnt lgkmcnt(0)
	;; [unrolled: 8-line block ×3, first 2 shown]
	v_add_f64 v[19:20], v[17:18], v[38:39]
	ds_bpermute_b32 v17, v56, v2
	ds_bpermute_b32 v18, v56, v3
	;; [unrolled: 1-line block ×4, first 2 shown]
	s_and_saveexec_b32 s47, s4
	s_cbranch_execz .LBB166_33
; %bb.32:                               ;   in Loop: Header=BB166_9 Depth=1
	s_waitcnt lgkmcnt(0)
	v_add_f64 v[19:20], v[19:20], v[38:39]
	v_add_f64 v[17:18], v[2:3], v[17:18]
	ds_store_b128 v58, v[17:20]
.LBB166_33:                             ;   in Loop: Header=BB166_9 Depth=1
	s_or_b32 exec_lo, exec_lo, s47
	v_mov_b32_e32 v19, 0
	v_mov_b32_e32 v20, 0
	s_waitcnt lgkmcnt(2)
	s_delay_alu instid0(VALU_DEP_2)
	v_mov_b32_e32 v17, v19
	s_waitcnt lgkmcnt(0)
	s_barrier
	buffer_gl0_inv
	v_mov_b32_e32 v18, v20
	s_and_saveexec_b32 s47, s1
	s_cbranch_execnz .LBB166_50
; %bb.34:                               ;   in Loop: Header=BB166_9 Depth=1
	s_or_b32 exec_lo, exec_lo, s47
	s_and_saveexec_b32 s47, s0
	s_cbranch_execnz .LBB166_51
.LBB166_35:                             ;   in Loop: Header=BB166_9 Depth=1
	s_or_b32 exec_lo, exec_lo, s47
	s_and_saveexec_b32 s47, s5
	s_cbranch_execz .LBB166_8
	s_branch .LBB166_52
.LBB166_36:                             ;   in Loop: Header=BB166_9 Depth=1
	s_clause 0x2
	global_load_b128 v[2:5], v[28:29], off
	global_load_b128 v[6:9], v[30:31], off
	;; [unrolled: 1-line block ×3, first 2 shown]
	s_mul_i32 s49, s15, s27
	s_mul_hi_u32 s50, s15, s26
	s_mul_i32 s48, s15, s26
	s_or_b32 s51, s15, 1
	s_add_i32 s49, s50, s49
	s_mul_i32 s55, s51, s27
	s_mul_hi_u32 s56, s51, s26
	s_lshl_b64 s[48:49], s[48:49], 4
	s_or_b32 s52, s15, 2
	s_mul_i32 s50, s51, s26
	s_waitcnt lgkmcnt(0)
	v_add_co_u32 v18, vcc_lo, v21, s48
	s_add_i32 s51, s56, s55
	s_or_b32 s53, s15, 3
	s_mul_i32 s57, s52, s27
	s_mul_hi_u32 s58, s52, s26
	v_add_co_ci_u32_e32 v19, vcc_lo, s49, v22, vcc_lo
	s_lshl_b64 s[48:49], s[50:51], 4
	s_mul_i32 s52, s52, s26
	s_mul_i32 s59, s53, s27
	s_mul_hi_u32 s60, s53, s26
	s_mul_i32 s54, s53, s26
	s_add_i32 s53, s58, s57
	v_add_co_u32 v38, vcc_lo, v21, s48
	s_lshl_b64 s[50:51], s[52:53], 4
	s_add_i32 s55, s60, s59
	v_add_co_ci_u32_e32 v39, vcc_lo, s49, v22, vcc_lo
	v_add_co_u32 v116, vcc_lo, v21, s50
	s_lshl_b64 s[52:53], s[54:55], 4
	v_add_co_ci_u32_e32 v117, vcc_lo, s51, v22, vcc_lo
	v_add_co_u32 v120, vcc_lo, v21, s52
	v_add_co_ci_u32_e32 v121, vcc_lo, s53, v22, vcc_lo
	global_load_b128 v[60:63], v[26:27], off
	s_clause 0x4
	global_load_b128 v[14:17], v[18:19], off
	global_load_b128 v[64:67], v[38:39], off
	;; [unrolled: 1-line block ×4, first 2 shown]
	global_load_b128 v[76:79], v[18:19], off offset:16
	s_waitcnt vmcnt(8)
	scratch_store_b128 v40, v[2:5], off
	scratch_load_b128 v[2:5], off, off offset:16
	s_clause 0x2
	global_load_b128 v[80:83], v[38:39], off offset:16
	global_load_b128 v[84:87], v[116:117], off offset:16
	;; [unrolled: 1-line block ×3, first 2 shown]
	s_waitcnt vmcnt(11)
	scratch_store_b128 v41, v[6:9], off
	scratch_load_b128 v[6:9], off, off offset:32
	s_clause 0x4
	global_load_b128 v[92:95], v[18:19], off offset:32
	global_load_b128 v[96:99], v[38:39], off offset:32
	;; [unrolled: 1-line block ×5, first 2 shown]
	s_waitcnt vmcnt(16)
	scratch_store_b128 v42, v[10:13], off
	scratch_load_b128 v[10:13], off, off offset:48
	s_clause 0x2
	global_load_b128 v[112:115], v[38:39], off offset:48
	global_load_b128 v[116:119], v[116:117], off offset:48
	;; [unrolled: 1-line block ×3, first 2 shown]
	s_waitcnt vmcnt(19)
	scratch_store_b128 off, v[60:63], off
	s_waitcnt vmcnt(18)
	v_mul_f64 v[18:19], v[62:63], v[16:17]
	v_mul_f64 v[16:17], v[60:61], v[16:17]
	s_waitcnt vmcnt(17)
	v_mul_f64 v[38:39], v[62:63], v[66:67]
	v_mul_f64 v[66:67], v[60:61], v[66:67]
	;; [unrolled: 3-line block ×4, first 2 shown]
	v_fma_f64 v[18:19], v[60:61], v[14:15], -v[18:19]
	v_fma_f64 v[14:15], v[62:63], v[14:15], v[16:17]
	v_fma_f64 v[38:39], v[60:61], v[64:65], -v[38:39]
	v_fma_f64 v[64:65], v[62:63], v[64:65], v[66:67]
	;; [unrolled: 2-line block ×4, first 2 shown]
	v_add_f64 v[18:19], v[18:19], 0
	v_add_f64 v[14:15], v[14:15], 0
	;; [unrolled: 1-line block ×7, first 2 shown]
	s_waitcnt vmcnt(13)
	v_mul_f64 v[16:17], v[4:5], v[78:79]
	v_mul_f64 v[78:79], v[2:3], v[78:79]
	s_waitcnt vmcnt(12)
	v_mul_f64 v[128:129], v[4:5], v[82:83]
	v_mul_f64 v[82:83], v[2:3], v[82:83]
	;; [unrolled: 3-line block ×5, first 2 shown]
	s_waitcnt vmcnt(7)
	v_mul_f64 v[130:131], v[8:9], v[98:99]
	v_fma_f64 v[16:17], v[2:3], v[76:77], -v[16:17]
	v_fma_f64 v[76:77], v[4:5], v[76:77], v[78:79]
	v_mul_f64 v[78:79], v[6:7], v[98:99]
	s_waitcnt vmcnt(6)
	v_mul_f64 v[98:99], v[8:9], v[102:103]
	v_fma_f64 v[128:129], v[2:3], v[80:81], -v[128:129]
	v_fma_f64 v[80:81], v[4:5], v[80:81], v[82:83]
	v_mul_f64 v[82:83], v[6:7], v[102:103]
	;; [unrolled: 5-line block ×3, first 2 shown]
	v_add_f64 v[106:107], v[124:125], 0
	v_fma_f64 v[2:3], v[2:3], v[88:89], -v[74:75]
	v_fma_f64 v[4:5], v[4:5], v[88:89], v[90:91]
	s_waitcnt vmcnt(3)
	v_mul_f64 v[74:75], v[12:13], v[110:111]
	v_mul_f64 v[88:89], v[10:11], v[110:111]
	s_waitcnt vmcnt(2)
	v_mul_f64 v[90:91], v[12:13], v[114:115]
	v_mul_f64 v[110:111], v[10:11], v[114:115]
	s_waitcnt vmcnt(1)
	v_mul_f64 v[114:115], v[12:13], v[118:119]
	v_fma_f64 v[124:125], v[6:7], v[92:93], -v[126:127]
	v_fma_f64 v[92:93], v[8:9], v[92:93], v[94:95]
	v_mul_f64 v[94:95], v[10:11], v[118:119]
	s_waitcnt vmcnt(0)
	v_mul_f64 v[118:119], v[12:13], v[122:123]
	v_fma_f64 v[126:127], v[6:7], v[96:97], -v[130:131]
	v_add_f64 v[16:17], v[18:19], v[16:17]
	v_add_f64 v[14:15], v[14:15], v[76:77]
	v_fma_f64 v[78:79], v[8:9], v[96:97], v[78:79]
	v_mul_f64 v[96:97], v[10:11], v[122:123]
	v_fma_f64 v[98:99], v[6:7], v[100:101], -v[98:99]
	v_add_f64 v[18:19], v[38:39], v[128:129]
	v_fma_f64 v[82:83], v[8:9], v[100:101], v[82:83]
	v_fma_f64 v[6:7], v[6:7], v[104:105], -v[102:103]
	v_add_f64 v[38:39], v[64:65], v[80:81]
	v_fma_f64 v[8:9], v[8:9], v[104:105], v[86:87]
	v_add_f64 v[64:65], v[106:107], v[66:67]
	v_add_f64 v[66:67], v[68:69], v[84:85]
	v_add_f64 v[2:3], v[70:71], v[2:3]
	v_add_f64 v[4:5], v[72:73], v[4:5]
	v_fma_f64 v[68:69], v[10:11], v[108:109], -v[74:75]
	v_fma_f64 v[70:71], v[12:13], v[108:109], v[88:89]
	v_fma_f64 v[72:73], v[10:11], v[112:113], -v[90:91]
	v_fma_f64 v[74:75], v[12:13], v[112:113], v[110:111]
	;; [unrolled: 2-line block ×3, first 2 shown]
	v_fma_f64 v[84:85], v[10:11], v[120:121], -v[118:119]
	v_add_f64 v[10:11], v[16:17], v[124:125]
	v_fma_f64 v[86:87], v[12:13], v[120:121], v[96:97]
	v_add_f64 v[12:13], v[14:15], v[92:93]
	v_add_f64 v[14:15], v[18:19], v[126:127]
	;; [unrolled: 1-line block ×15, first 2 shown]
	s_and_not1_saveexec_b32 s47, s47
	s_cbranch_execz .LBB166_11
.LBB166_37:                             ;   in Loop: Header=BB166_9 Depth=1
	s_waitcnt lgkmcnt(0)
	v_mov_b32_e32 v17, 0
	v_mov_b32_e32 v18, 0
	s_delay_alu instid0(VALU_DEP_2) | instskip(SKIP_2) | instid1(VALU_DEP_4)
	v_mov_b32_e32 v13, v17
	v_mov_b32_e32 v15, v17
	;; [unrolled: 1-line block ×3, first 2 shown]
	v_dual_mov_b32 v11, v17 :: v_dual_mov_b32 v12, v18
	v_dual_mov_b32 v20, v18 :: v_dual_mov_b32 v19, v17
	v_mov_b32_e32 v14, v18
	v_mov_b32_e32 v16, v18
	v_dual_mov_b32 v10, v18 :: v_dual_mov_b32 v7, v17
	v_dual_mov_b32 v8, v18 :: v_dual_mov_b32 v5, v17
	v_mov_b32_e32 v6, v18
	s_and_saveexec_b32 s48, s3
	s_cbranch_execz .LBB166_43
; %bb.38:                               ;   in Loop: Header=BB166_9 Depth=1
	v_mov_b32_e32 v17, 0
	v_mov_b32_e32 v18, 0
	s_delay_alu instid0(VALU_DEP_2) | instskip(SKIP_2) | instid1(VALU_DEP_4)
	v_mov_b32_e32 v13, v17
	v_mov_b32_e32 v15, v17
	;; [unrolled: 1-line block ×3, first 2 shown]
	v_dual_mov_b32 v11, v17 :: v_dual_mov_b32 v12, v18
	v_dual_mov_b32 v20, v18 :: v_dual_mov_b32 v19, v17
	v_mov_b32_e32 v14, v18
	v_mov_b32_e32 v16, v18
	v_dual_mov_b32 v10, v18 :: v_dual_mov_b32 v7, v17
	v_dual_mov_b32 v8, v18 :: v_dual_mov_b32 v5, v17
	v_mov_b32_e32 v6, v18
	s_and_not1_b32 vcc_lo, exec_lo, s44
	s_cbranch_vccnz .LBB166_43
; %bb.39:                               ;   in Loop: Header=BB166_9 Depth=1
	v_mov_b32_e32 v2, v34
	v_dual_mov_b32 v4, 0 :: v_dual_mov_b32 v3, v35
	s_mov_b32 s49, s25
.LBB166_40:                             ;   Parent Loop BB166_9 Depth=1
                                        ; =>  This Inner Loop Header: Depth=2
	global_load_b128 v[5:8], v[2:3], off
	v_add_co_u32 v2, vcc_lo, v2, s34
	v_add_co_ci_u32_e32 v3, vcc_lo, s35, v3, vcc_lo
	s_add_i32 s49, s49, -1
	s_delay_alu instid0(SALU_CYCLE_1)
	s_cmp_eq_u32 s49, 0
	s_waitcnt vmcnt(0)
	scratch_store_b128 v4, v[5:8], off
	v_add_nc_u32_e32 v4, 16, v4
	s_cbranch_scc0 .LBB166_40
; %bb.41:                               ;   in Loop: Header=BB166_9 Depth=1
	v_dual_mov_b32 v5, 0 :: v_dual_mov_b32 v2, v36
	v_dual_mov_b32 v6, 0 :: v_dual_mov_b32 v3, v37
	v_mov_b32_e32 v4, v59
	s_mov_b32 s49, s25
	s_delay_alu instid0(VALU_DEP_2)
	v_mov_b32_e32 v8, v6
	v_mov_b32_e32 v12, v6
	;; [unrolled: 1-line block ×6, first 2 shown]
	v_dual_mov_b32 v18, v6 :: v_dual_mov_b32 v17, v5
	v_mov_b32_e32 v7, v5
	v_mov_b32_e32 v11, v5
	;; [unrolled: 1-line block ×6, first 2 shown]
.LBB166_42:                             ;   Parent Loop BB166_9 Depth=1
                                        ; =>  This Inner Loop Header: Depth=2
	v_add_co_u32 v38, vcc_lo, v2, s38
	v_add_co_ci_u32_e32 v39, vcc_lo, s39, v3, vcc_lo
	scratch_load_b128 v[60:63], v4, off offset:-8
	v_add_co_u32 v72, vcc_lo, v38, s38
	v_add_co_ci_u32_e32 v73, vcc_lo, s39, v39, vcc_lo
	global_load_b128 v[64:67], v[2:3], off
	v_add_co_u32 v76, vcc_lo, v72, s38
	v_add_co_ci_u32_e32 v77, vcc_lo, s39, v73, vcc_lo
	v_add_co_u32 v2, vcc_lo, v2, 16
	s_clause 0x2
	global_load_b128 v[68:71], v[38:39], off
	global_load_b128 v[72:75], v[72:73], off
	;; [unrolled: 1-line block ×3, first 2 shown]
	v_add_nc_u32_e32 v4, 16, v4
	v_add_co_ci_u32_e32 v3, vcc_lo, 0, v3, vcc_lo
	s_add_i32 s49, s49, -1
	s_delay_alu instid0(SALU_CYCLE_1)
	s_cmp_lg_u32 s49, 0
	s_waitcnt vmcnt(3)
	v_mul_f64 v[38:39], v[62:63], v[66:67]
	v_mul_f64 v[66:67], v[60:61], v[66:67]
	s_waitcnt vmcnt(2)
	v_mul_f64 v[80:81], v[62:63], v[70:71]
	v_mul_f64 v[70:71], v[60:61], v[70:71]
	;; [unrolled: 3-line block ×4, first 2 shown]
	v_fma_f64 v[38:39], v[60:61], v[64:65], -v[38:39]
	v_fma_f64 v[64:65], v[62:63], v[64:65], v[66:67]
	v_fma_f64 v[66:67], v[60:61], v[68:69], -v[80:81]
	v_fma_f64 v[68:69], v[62:63], v[68:69], v[70:71]
	;; [unrolled: 2-line block ×4, first 2 shown]
	v_add_f64 v[7:8], v[7:8], v[38:39]
	v_add_f64 v[5:6], v[5:6], v[64:65]
	;; [unrolled: 1-line block ×8, first 2 shown]
	s_cbranch_scc1 .LBB166_42
.LBB166_43:                             ;   in Loop: Header=BB166_9 Depth=1
	s_or_b32 exec_lo, exec_lo, s48
	s_delay_alu instid0(SALU_CYCLE_1)
	s_or_b32 exec_lo, exec_lo, s47
	s_and_saveexec_b32 s47, s0
	s_cbranch_execnz .LBB166_12
	s_branch .LBB166_13
.LBB166_44:                             ;   in Loop: Header=BB166_9 Depth=1
	ds_load_b128 v[5:8], v57
	s_or_b32 exec_lo, exec_lo, s47
	s_and_saveexec_b32 s47, s0
	s_cbranch_execz .LBB166_17
.LBB166_45:                             ;   in Loop: Header=BB166_9 Depth=1
	s_waitcnt lgkmcnt(0)
	ds_bpermute_b32 v2, v54, v5
	ds_bpermute_b32 v3, v54, v6
	ds_bpermute_b32 v38, v54, v7
	ds_bpermute_b32 v39, v54, v8
	s_waitcnt lgkmcnt(2)
	v_add_f64 v[2:3], v[5:6], v[2:3]
	s_waitcnt lgkmcnt(0)
	v_add_f64 v[4:5], v[7:8], v[38:39]
	ds_bpermute_b32 v6, v55, v2
	ds_bpermute_b32 v7, v55, v3
	ds_bpermute_b32 v38, v55, v4
	ds_bpermute_b32 v39, v55, v5
	s_waitcnt lgkmcnt(2)
	v_add_f64 v[2:3], v[2:3], v[6:7]
	s_waitcnt lgkmcnt(0)
	v_add_f64 v[7:8], v[4:5], v[38:39]
	;; [unrolled: 8-line block ×3, first 2 shown]
	s_or_b32 exec_lo, exec_lo, s47
	s_and_saveexec_b32 s47, s0
	s_cbranch_execnz .LBB166_18
	s_branch .LBB166_19
.LBB166_46:                             ;   in Loop: Header=BB166_9 Depth=1
	ds_load_b128 v[9:12], v57
	s_or_b32 exec_lo, exec_lo, s47
	s_and_saveexec_b32 s47, s0
	s_cbranch_execz .LBB166_23
.LBB166_47:                             ;   in Loop: Header=BB166_9 Depth=1
	s_waitcnt lgkmcnt(0)
	ds_bpermute_b32 v2, v54, v9
	ds_bpermute_b32 v3, v54, v10
	ds_bpermute_b32 v38, v54, v11
	ds_bpermute_b32 v39, v54, v12
	s_waitcnt lgkmcnt(2)
	v_add_f64 v[2:3], v[9:10], v[2:3]
	s_waitcnt lgkmcnt(0)
	v_add_f64 v[9:10], v[11:12], v[38:39]
	ds_bpermute_b32 v11, v55, v2
	ds_bpermute_b32 v12, v55, v3
	ds_bpermute_b32 v38, v55, v9
	ds_bpermute_b32 v39, v55, v10
	s_waitcnt lgkmcnt(2)
	v_add_f64 v[2:3], v[2:3], v[11:12]
	s_waitcnt lgkmcnt(0)
	v_add_f64 v[11:12], v[9:10], v[38:39]
	;; [unrolled: 8-line block ×3, first 2 shown]
	s_or_b32 exec_lo, exec_lo, s47
	s_and_saveexec_b32 s47, s0
	s_cbranch_execnz .LBB166_24
	s_branch .LBB166_25
.LBB166_48:                             ;   in Loop: Header=BB166_9 Depth=1
	ds_load_b128 v[13:16], v57
	s_or_b32 exec_lo, exec_lo, s47
	s_and_saveexec_b32 s47, s0
	s_cbranch_execz .LBB166_29
.LBB166_49:                             ;   in Loop: Header=BB166_9 Depth=1
	s_waitcnt lgkmcnt(0)
	ds_bpermute_b32 v2, v54, v13
	ds_bpermute_b32 v3, v54, v14
	ds_bpermute_b32 v38, v54, v15
	ds_bpermute_b32 v39, v54, v16
	s_waitcnt lgkmcnt(2)
	v_add_f64 v[2:3], v[13:14], v[2:3]
	s_waitcnt lgkmcnt(0)
	v_add_f64 v[13:14], v[15:16], v[38:39]
	ds_bpermute_b32 v15, v55, v2
	ds_bpermute_b32 v16, v55, v3
	ds_bpermute_b32 v38, v55, v13
	ds_bpermute_b32 v39, v55, v14
	s_waitcnt lgkmcnt(2)
	v_add_f64 v[2:3], v[2:3], v[15:16]
	s_waitcnt lgkmcnt(0)
	v_add_f64 v[15:16], v[13:14], v[38:39]
	;; [unrolled: 8-line block ×3, first 2 shown]
	s_or_b32 exec_lo, exec_lo, s47
	s_and_saveexec_b32 s47, s0
	s_cbranch_execnz .LBB166_30
	s_branch .LBB166_31
.LBB166_50:                             ;   in Loop: Header=BB166_9 Depth=1
	ds_load_b128 v[17:20], v57
	s_or_b32 exec_lo, exec_lo, s47
	s_and_saveexec_b32 s47, s0
	s_cbranch_execz .LBB166_35
.LBB166_51:                             ;   in Loop: Header=BB166_9 Depth=1
	s_waitcnt lgkmcnt(0)
	ds_bpermute_b32 v2, v54, v17
	ds_bpermute_b32 v3, v54, v18
	ds_bpermute_b32 v38, v54, v19
	ds_bpermute_b32 v39, v54, v20
	s_waitcnt lgkmcnt(2)
	v_add_f64 v[2:3], v[17:18], v[2:3]
	s_waitcnt lgkmcnt(0)
	v_add_f64 v[17:18], v[19:20], v[38:39]
	ds_bpermute_b32 v19, v55, v2
	ds_bpermute_b32 v20, v55, v3
	ds_bpermute_b32 v38, v55, v17
	ds_bpermute_b32 v39, v55, v18
	s_waitcnt lgkmcnt(2)
	v_add_f64 v[2:3], v[2:3], v[19:20]
	s_waitcnt lgkmcnt(0)
	v_add_f64 v[19:20], v[17:18], v[38:39]
	ds_bpermute_b32 v17, v56, v2
	ds_bpermute_b32 v18, v56, v3
	ds_bpermute_b32 v38, v56, v19
	ds_bpermute_b32 v39, v56, v20
	s_waitcnt lgkmcnt(2)
	v_add_f64 v[17:18], v[2:3], v[17:18]
	s_waitcnt lgkmcnt(0)
	v_add_f64 v[19:20], v[19:20], v[38:39]
	s_or_b32 exec_lo, exec_lo, s47
	s_and_saveexec_b32 s47, s5
	s_cbranch_execz .LBB166_8
.LBB166_52:                             ;   in Loop: Header=BB166_9 Depth=1
	v_mul_f64 v[2:3], s[10:11], v[7:8]
	v_mul_f64 v[7:8], s[8:9], v[7:8]
	;; [unrolled: 1-line block ×6, first 2 shown]
	s_waitcnt lgkmcnt(0)
	v_mul_f64 v[62:63], s[10:11], v[19:20]
	v_mul_f64 v[19:20], s[8:9], v[19:20]
	s_mul_hi_u32 s49, s15, s24
	s_mul_i32 s48, s15, s24
	s_delay_alu instid0(SALU_CYCLE_1) | instskip(NEXT) | instid1(SALU_CYCLE_1)
	s_lshl_b64 s[48:49], s[48:49], 4
	s_add_u32 s48, s45, s48
	s_addc_u32 s49, s46, s49
	s_or_b32 s50, s15, 1
	s_delay_alu instid0(SALU_CYCLE_1) | instskip(SKIP_1) | instid1(SALU_CYCLE_1)
	s_mul_hi_u32 s51, s50, s24
	s_mul_i32 s50, s50, s24
	s_lshl_b64 s[50:51], s[50:51], 4
	s_delay_alu instid0(SALU_CYCLE_1) | instskip(SKIP_2) | instid1(SALU_CYCLE_1)
	s_add_u32 s50, s45, s50
	s_addc_u32 s51, s46, s51
	s_or_b32 s52, s15, 2
	s_mul_hi_u32 s53, s52, s24
	s_mul_i32 s52, s52, s24
	s_delay_alu instid0(SALU_CYCLE_1) | instskip(NEXT) | instid1(SALU_CYCLE_1)
	s_lshl_b64 s[52:53], s[52:53], 4
	s_add_u32 s52, s45, s52
	s_addc_u32 s53, s46, s53
	s_or_b32 s54, s15, 3
	s_delay_alu instid0(SALU_CYCLE_1) | instskip(SKIP_1) | instid1(SALU_CYCLE_1)
	s_mul_hi_u32 s55, s54, s24
	s_mul_i32 s54, s54, s24
	s_lshl_b64 s[54:55], s[54:55], 4
	v_fma_f64 v[2:3], s[8:9], v[5:6], -v[2:3]
	v_fma_f64 v[4:5], s[10:11], v[5:6], v[7:8]
	v_fma_f64 v[6:7], s[8:9], v[9:10], -v[38:39]
	v_fma_f64 v[8:9], s[10:11], v[9:10], v[11:12]
	;; [unrolled: 2-line block ×4, first 2 shown]
	s_add_u32 s54, s45, s54
	s_addc_u32 s55, s46, s55
	s_clause 0x3
	global_store_b128 v1, v[2:5], s[48:49]
	global_store_b128 v1, v[6:9], s[50:51]
	;; [unrolled: 1-line block ×4, first 2 shown]
	s_branch .LBB166_8
.LBB166_53:
	s_mov_b32 s15, 0
.LBB166_54:
	s_delay_alu instid0(SALU_CYCLE_1)
	s_cmp_ge_i32 s15, s13
	s_cbranch_scc1 .LBB166_76
; %bb.55:
	v_cmp_gt_u32_e64 s1, 16, v48
	v_mad_i64_i32 v[7:8], null, s28, v46, 0
	v_cmp_gt_u32_e64 s0, 32, v0
	v_cmp_gt_u32_e64 s2, 8, v0
	s_delay_alu instid0(VALU_DEP_4) | instskip(SKIP_3) | instid1(VALU_DEP_4)
	v_cndmask_b32_e64 v1, 0, 1, s1
	v_cmp_gt_u32_e64 s1, 24, v48
	v_cmp_eq_u32_e64 s3, 0, v0
	v_mad_i64_i32 v[11:12], null, s28, v45, 0
	v_lshlrev_b32_e32 v1, 4, v1
	s_delay_alu instid0(VALU_DEP_4)
	v_cndmask_b32_e64 v2, 0, 1, s1
	v_cmp_gt_u32_e64 s1, 28, v48
	v_lshlrev_b64 v[9:10], 4, v[7:8]
	v_cmp_ge_i32_e64 s4, s12, v51
	v_add_lshl_u32 v27, v1, v48, 2
	v_lshlrev_b32_e32 v2, 3, v2
	v_cndmask_b32_e64 v3, 0, 1, s1
	v_cmp_gt_u32_e64 s1, 30, v48
	s_cmp_gt_i32 s25, 0
	s_mov_b32 s35, 0
	v_add_lshl_u32 v28, v2, v48, 2
	v_lshlrev_b32_e32 v3, 2, v3
	v_cndmask_b32_e64 v4, 0, 1, s1
	v_mad_i64_i32 v[1:2], null, s28, v25, 0
	v_cmp_ne_u32_e64 s1, 31, v48
	s_delay_alu instid0(VALU_DEP_4) | instskip(NEXT) | instid1(VALU_DEP_4)
	v_add_lshl_u32 v29, v3, v48, 2
	v_lshlrev_b32_e32 v4, 1, v4
	s_mov_b32 s34, s14
	s_cselect_b32 s36, -1, 0
	v_add_co_ci_u32_e64 v5, s1, 0, v48, s1
	s_delay_alu instid0(VALU_DEP_2) | instskip(SKIP_2) | instid1(VALU_DEP_4)
	v_add_lshl_u32 v30, v4, v48, 2
	v_mad_i64_i32 v[3:4], null, s28, v49, 0
	v_lshlrev_b64 v[0:1], 4, v[1:2]
	v_lshlrev_b32_e32 v31, 2, v5
	s_lshl_b64 s[34:35], s[34:35], 4
	v_cmp_ge_i32_e32 vcc_lo, s12, v50
	s_add_u32 s12, s41, s34
	s_addc_u32 s14, s42, s35
	s_delay_alu instid0(VALU_DEP_4) | instskip(SKIP_1) | instid1(VALU_DEP_1)
	v_lshlrev_b64 v[2:3], 4, v[3:4]
	v_add_co_u32 v5, s5, s33, v0
	v_add_co_ci_u32_e64 v6, s5, s40, v1, s5
	v_lshlrev_b32_e32 v26, 4, v44
	s_delay_alu instid0(VALU_DEP_4) | instskip(NEXT) | instid1(VALU_DEP_1)
	v_add_co_u32 v7, s5, s33, v2
	v_add_co_ci_u32_e64 v8, s5, s40, v3, s5
	v_add_co_u32 v9, s5, s33, v9
	s_delay_alu instid0(VALU_DEP_1)
	v_add_co_ci_u32_e64 v10, s5, s40, v10, s5
	v_lshlrev_b64 v[2:3], 4, v[11:12]
	s_and_b32 s5, s36, s4
	s_add_u32 s4, s6, s30
	s_addc_u32 s6, s7, s31
	s_add_u32 s30, s4, s20
	s_mul_i32 s4, s27, s15
	s_mul_hi_u32 s7, s26, s15
	s_addc_u32 s31, s6, s21
	s_add_i32 s7, s7, s4
	s_mul_i32 s6, s26, s15
	v_add_co_u32 v11, s4, s33, v2
	s_lshl_b64 s[20:21], s[6:7], 4
	v_add_co_ci_u32_e64 v12, s4, s40, v3, s4
	s_lshl_b64 s[6:7], s[28:29], 4
	s_add_u32 s4, s22, s20
	s_addc_u32 s20, s23, s21
	s_add_u32 s4, s4, s18
	s_addc_u32 s18, s20, s19
	;; [unrolled: 2-line block ×3, first 2 shown]
	v_add_co_u32 v2, s4, s4, v23
	s_delay_alu instid0(VALU_DEP_1)
	v_add_co_ci_u32_e64 v3, s4, s16, v24, s4
	v_add_co_u32 v13, s4, s30, v0
	v_mov_b32_e32 v0, 0
	v_add_co_ci_u32_e64 v14, s4, s31, v1, s4
	v_add_co_u32 v15, s4, v2, 8
	v_cmp_eq_u32_e64 s1, 0, v44
	v_and_b32_e32 v25, 0x70, v47
	v_add_co_ci_u32_e64 v16, s4, 0, v3, s4
	s_lshl_b64 s[16:17], s[26:27], 4
	s_branch .LBB166_57
.LBB166_56:                             ;   in Loop: Header=BB166_57 Depth=1
	s_or_b32 exec_lo, exec_lo, s4
	v_add_co_u32 v15, s4, v15, s16
	s_delay_alu instid0(VALU_DEP_1) | instskip(SKIP_1) | instid1(SALU_CYCLE_1)
	v_add_co_ci_u32_e64 v16, s4, s17, v16, s4
	s_add_i32 s15, s15, 1
	s_cmp_lt_i32 s15, s13
	s_cbranch_scc0 .LBB166_76
.LBB166_57:                             ; =>This Loop Header: Depth=1
                                        ;     Child Loop BB166_69 Depth 2
                                        ;     Child Loop BB166_71 Depth 2
                                        ; implicit-def: $vgpr17_vgpr18
                                        ; implicit-def: $vgpr19_vgpr20
	s_and_saveexec_b32 s4, vcc_lo
	s_delay_alu instid0(SALU_CYCLE_1)
	s_xor_b32 s18, exec_lo, s4
	s_cbranch_execnz .LBB166_66
; %bb.58:                               ;   in Loop: Header=BB166_57 Depth=1
	s_and_not1_saveexec_b32 s18, s18
	s_cbranch_execnz .LBB166_67
.LBB166_59:                             ;   in Loop: Header=BB166_57 Depth=1
	s_or_b32 exec_lo, exec_lo, s18
	s_and_saveexec_b32 s4, s0
	s_cbranch_execz .LBB166_61
.LBB166_60:                             ;   in Loop: Header=BB166_57 Depth=1
	s_waitcnt lgkmcnt(0)
	v_mov_b32_e32 v1, v0
	v_mov_b32_e32 v2, v0
	;; [unrolled: 1-line block ×3, first 2 shown]
	ds_store_b128 v26, v[0:3]
.LBB166_61:                             ;   in Loop: Header=BB166_57 Depth=1
	s_or_b32 exec_lo, exec_lo, s4
	s_waitcnt lgkmcnt(0)
	ds_bpermute_b32 v1, v27, v17
	ds_bpermute_b32 v2, v27, v18
	;; [unrolled: 1-line block ×4, first 2 shown]
	s_waitcnt lgkmcnt(0)
	s_waitcnt_vscnt null, 0x0
	s_barrier
	buffer_gl0_inv
	v_add_f64 v[1:2], v[17:18], v[1:2]
	v_add_f64 v[3:4], v[19:20], v[3:4]
	ds_bpermute_b32 v17, v28, v1
	ds_bpermute_b32 v18, v28, v2
	ds_bpermute_b32 v19, v28, v3
	ds_bpermute_b32 v20, v28, v4
	s_waitcnt lgkmcnt(2)
	v_add_f64 v[1:2], v[1:2], v[17:18]
	s_waitcnt lgkmcnt(0)
	v_add_f64 v[3:4], v[3:4], v[19:20]
	ds_bpermute_b32 v17, v29, v1
	ds_bpermute_b32 v18, v29, v2
	ds_bpermute_b32 v19, v29, v3
	ds_bpermute_b32 v20, v29, v4
	s_waitcnt lgkmcnt(2)
	v_add_f64 v[1:2], v[1:2], v[17:18]
	s_waitcnt lgkmcnt(0)
	;; [unrolled: 8-line block ×3, first 2 shown]
	v_add_f64 v[17:18], v[3:4], v[19:20]
	ds_bpermute_b32 v3, v31, v1
	ds_bpermute_b32 v4, v31, v2
	;; [unrolled: 1-line block ×4, first 2 shown]
	s_and_saveexec_b32 s4, s1
	s_cbranch_execz .LBB166_63
; %bb.62:                               ;   in Loop: Header=BB166_57 Depth=1
	s_waitcnt lgkmcnt(0)
	v_add_f64 v[19:20], v[17:18], v[19:20]
	v_add_f64 v[17:18], v[1:2], v[3:4]
	ds_store_b128 v25, v[17:20]
.LBB166_63:                             ;   in Loop: Header=BB166_57 Depth=1
	s_or_b32 exec_lo, exec_lo, s4
	s_waitcnt lgkmcnt(2)
	v_mov_b32_e32 v3, 0
	v_mov_b32_e32 v4, 0
	s_delay_alu instid0(VALU_DEP_2)
	v_mov_b32_e32 v1, v3
	s_waitcnt lgkmcnt(0)
	s_barrier
	buffer_gl0_inv
	v_mov_b32_e32 v2, v4
	s_and_saveexec_b32 s4, s2
	s_cbranch_execnz .LBB166_73
; %bb.64:                               ;   in Loop: Header=BB166_57 Depth=1
	s_or_b32 exec_lo, exec_lo, s4
	s_and_saveexec_b32 s4, s0
	s_cbranch_execnz .LBB166_74
.LBB166_65:                             ;   in Loop: Header=BB166_57 Depth=1
	s_or_b32 exec_lo, exec_lo, s4
	s_and_saveexec_b32 s4, s3
	s_cbranch_execz .LBB166_56
	s_branch .LBB166_75
.LBB166_66:                             ;   in Loop: Header=BB166_57 Depth=1
	s_waitcnt lgkmcnt(0)
	global_load_b128 v[1:4], v[7:8], off
	s_waitcnt lgkmcnt(0)
	s_clause 0x1
	global_load_b128 v[17:20], v[9:10], off
	global_load_b128 v[32:35], v[11:12], off
	s_mul_i32 s4, s15, s27
	s_mul_hi_u32 s19, s15, s26
	s_mul_i32 s20, s15, s26
	s_add_i32 s21, s19, s4
	s_delay_alu instid0(SALU_CYCLE_1) | instskip(NEXT) | instid1(SALU_CYCLE_1)
	s_lshl_b64 s[20:21], s[20:21], 4
	v_add_co_u32 v23, s4, v21, s20
	s_delay_alu instid0(VALU_DEP_1)
	v_add_co_ci_u32_e64 v24, s4, s21, v22, s4
	global_load_b128 v[36:39], v[5:6], off
	s_clause 0x1
	global_load_b128 v[44:47], v[23:24], off
	global_load_b128 v[48:51], v[23:24], off offset:16
	s_waitcnt vmcnt(5)
	scratch_store_b128 v40, v[1:4], off
	scratch_load_b128 v[1:4], off, off offset:16
	global_load_b128 v[52:55], v[23:24], off offset:32
	s_waitcnt vmcnt(6)
	scratch_store_b128 v41, v[17:20], off
	scratch_load_b128 v[17:20], off, off offset:32
	;; [unrolled: 4-line block ×3, first 2 shown]
	s_waitcnt vmcnt(7)
	scratch_store_b128 off, v[36:39], off
	s_waitcnt vmcnt(6)
	v_mul_f64 v[23:24], v[46:47], v[38:39]
	v_mul_f64 v[60:61], v[44:45], v[38:39]
	s_delay_alu instid0(VALU_DEP_2) | instskip(NEXT) | instid1(VALU_DEP_2)
	v_fma_f64 v[23:24], v[44:45], v[36:37], -v[23:24]
	v_fma_f64 v[44:45], v[46:47], v[36:37], v[60:61]
	s_delay_alu instid0(VALU_DEP_2) | instskip(NEXT) | instid1(VALU_DEP_2)
	v_add_f64 v[23:24], v[23:24], 0
	v_add_f64 v[44:45], v[44:45], 0
	s_waitcnt vmcnt(4)
	v_mul_f64 v[46:47], v[50:51], v[3:4]
	v_mul_f64 v[3:4], v[48:49], v[3:4]
	s_waitcnt vmcnt(2)
	v_mul_f64 v[60:61], v[54:55], v[19:20]
	v_mul_f64 v[19:20], v[52:53], v[19:20]
	s_delay_alu instid0(VALU_DEP_4) | instskip(NEXT) | instid1(VALU_DEP_4)
	v_fma_f64 v[46:47], v[48:49], v[1:2], -v[46:47]
	v_fma_f64 v[1:2], v[50:51], v[1:2], v[3:4]
	s_waitcnt vmcnt(0)
	v_mul_f64 v[3:4], v[58:59], v[34:35]
	v_mul_f64 v[34:35], v[56:57], v[34:35]
	v_fma_f64 v[48:49], v[52:53], v[17:18], -v[60:61]
	v_fma_f64 v[17:18], v[54:55], v[17:18], v[19:20]
	v_add_f64 v[19:20], v[23:24], v[46:47]
	v_add_f64 v[1:2], v[44:45], v[1:2]
	v_fma_f64 v[3:4], v[56:57], v[32:33], -v[3:4]
	v_fma_f64 v[23:24], v[58:59], v[32:33], v[34:35]
	s_delay_alu instid0(VALU_DEP_4) | instskip(NEXT) | instid1(VALU_DEP_4)
	v_add_f64 v[19:20], v[19:20], v[48:49]
	v_add_f64 v[1:2], v[1:2], v[17:18]
	s_delay_alu instid0(VALU_DEP_2) | instskip(NEXT) | instid1(VALU_DEP_2)
	v_add_f64 v[17:18], v[19:20], v[3:4]
	v_add_f64 v[19:20], v[1:2], v[23:24]
	s_and_not1_saveexec_b32 s18, s18
	s_cbranch_execz .LBB166_59
.LBB166_67:                             ;   in Loop: Header=BB166_57 Depth=1
	s_waitcnt lgkmcnt(0)
	v_mov_b32_e32 v17, 0
	v_mov_b32_e32 v18, 0
	s_delay_alu instid0(VALU_DEP_1)
	v_dual_mov_b32 v20, v18 :: v_dual_mov_b32 v19, v17
	s_and_saveexec_b32 s19, s5
	s_cbranch_execz .LBB166_72
; %bb.68:                               ;   in Loop: Header=BB166_57 Depth=1
	v_mov_b32_e32 v1, v13
	v_dual_mov_b32 v3, 0 :: v_dual_mov_b32 v2, v14
	s_mov_b32 s20, s25
.LBB166_69:                             ;   Parent Loop BB166_57 Depth=1
                                        ; =>  This Inner Loop Header: Depth=2
	global_load_b128 v[17:20], v[1:2], off
	v_add_co_u32 v1, s4, v1, s6
	s_delay_alu instid0(VALU_DEP_1) | instskip(SKIP_1) | instid1(SALU_CYCLE_1)
	v_add_co_ci_u32_e64 v2, s4, s7, v2, s4
	s_add_i32 s20, s20, -1
	s_cmp_eq_u32 s20, 0
	s_waitcnt vmcnt(0)
	scratch_store_b128 v3, v[17:20], off
	v_add_nc_u32_e32 v3, 16, v3
	s_cbranch_scc0 .LBB166_69
; %bb.70:                               ;   in Loop: Header=BB166_57 Depth=1
	v_mov_b32_e32 v17, 0
	v_dual_mov_b32 v18, 0 :: v_dual_mov_b32 v1, v15
	v_dual_mov_b32 v3, v43 :: v_dual_mov_b32 v2, v16
	s_mov_b32 s20, s25
	s_delay_alu instid0(VALU_DEP_2)
	v_dual_mov_b32 v20, v18 :: v_dual_mov_b32 v19, v17
	.p2align	6
.LBB166_71:                             ;   Parent Loop BB166_57 Depth=1
                                        ; =>  This Inner Loop Header: Depth=2
	global_load_b128 v[32:35], v[1:2], off offset:-8
	scratch_load_b128 v[36:39], v3, off offset:-8
	v_add_co_u32 v1, s4, v1, 16
	v_add_nc_u32_e32 v3, 16, v3
	v_add_co_ci_u32_e64 v2, s4, 0, v2, s4
	s_add_i32 s20, s20, -1
	s_delay_alu instid0(SALU_CYCLE_1) | instskip(SKIP_3) | instid1(VALU_DEP_2)
	s_cmp_lg_u32 s20, 0
	s_waitcnt vmcnt(0)
	v_mul_f64 v[23:24], v[34:35], v[38:39]
	v_mul_f64 v[38:39], v[32:33], v[38:39]
	v_fma_f64 v[23:24], v[32:33], v[36:37], -v[23:24]
	s_delay_alu instid0(VALU_DEP_2) | instskip(NEXT) | instid1(VALU_DEP_2)
	v_fma_f64 v[32:33], v[34:35], v[36:37], v[38:39]
	v_add_f64 v[17:18], v[17:18], v[23:24]
	s_delay_alu instid0(VALU_DEP_2)
	v_add_f64 v[19:20], v[19:20], v[32:33]
	s_cbranch_scc1 .LBB166_71
.LBB166_72:                             ;   in Loop: Header=BB166_57 Depth=1
	s_or_b32 exec_lo, exec_lo, s19
	s_delay_alu instid0(SALU_CYCLE_1)
	s_or_b32 exec_lo, exec_lo, s18
	s_and_saveexec_b32 s4, s0
	s_cbranch_execnz .LBB166_60
	s_branch .LBB166_61
.LBB166_73:                             ;   in Loop: Header=BB166_57 Depth=1
	ds_load_b128 v[1:4], v26
	s_or_b32 exec_lo, exec_lo, s4
	s_and_saveexec_b32 s4, s0
	s_cbranch_execz .LBB166_65
.LBB166_74:                             ;   in Loop: Header=BB166_57 Depth=1
	s_waitcnt lgkmcnt(0)
	ds_bpermute_b32 v17, v29, v1
	ds_bpermute_b32 v18, v29, v2
	ds_bpermute_b32 v19, v29, v3
	ds_bpermute_b32 v20, v29, v4
	s_waitcnt lgkmcnt(2)
	v_add_f64 v[1:2], v[1:2], v[17:18]
	s_waitcnt lgkmcnt(0)
	v_add_f64 v[3:4], v[3:4], v[19:20]
	ds_bpermute_b32 v17, v30, v1
	ds_bpermute_b32 v18, v30, v2
	ds_bpermute_b32 v19, v30, v3
	ds_bpermute_b32 v20, v30, v4
	s_waitcnt lgkmcnt(2)
	v_add_f64 v[1:2], v[1:2], v[17:18]
	s_waitcnt lgkmcnt(0)
	v_add_f64 v[3:4], v[3:4], v[19:20]
	;; [unrolled: 8-line block ×3, first 2 shown]
	s_or_b32 exec_lo, exec_lo, s4
	s_and_saveexec_b32 s4, s3
	s_cbranch_execz .LBB166_56
.LBB166_75:                             ;   in Loop: Header=BB166_57 Depth=1
	s_waitcnt lgkmcnt(0)
	s_delay_alu instid0(VALU_DEP_1) | instskip(SKIP_3) | instid1(SALU_CYCLE_1)
	v_mul_f64 v[17:18], s[10:11], v[3:4]
	v_mul_f64 v[3:4], s[8:9], v[3:4]
	s_mul_hi_u32 s19, s15, s24
	s_mul_i32 s18, s15, s24
	s_lshl_b64 s[18:19], s[18:19], 4
	s_delay_alu instid0(SALU_CYCLE_1) | instskip(SKIP_1) | instid1(VALU_DEP_2)
	s_add_u32 s18, s12, s18
	s_addc_u32 s19, s14, s19
	v_fma_f64 v[17:18], s[8:9], v[1:2], -v[17:18]
	s_delay_alu instid0(VALU_DEP_2)
	v_fma_f64 v[19:20], s[10:11], v[1:2], v[3:4]
	global_store_b128 v0, v[17:20], s[18:19]
	s_branch .LBB166_56
.LBB166_76:
	s_nop 0
	s_sendmsg sendmsg(MSG_DEALLOC_VGPRS)
	s_endpgm
	.section	.rodata,"a",@progbits
	.p2align	6, 0x0
	.amdhsa_kernel _ZL23rocblas_gemvt_sn_kernelILb0ELi256ELi4El19rocblas_complex_numIdES1_S1_EviiT4_lPKT3_lilS5_lilPT5_i
		.amdhsa_group_segment_fixed_size 512
		.amdhsa_private_segment_fixed_size 80
		.amdhsa_kernarg_size 368
		.amdhsa_user_sgpr_count 14
		.amdhsa_user_sgpr_dispatch_ptr 0
		.amdhsa_user_sgpr_queue_ptr 0
		.amdhsa_user_sgpr_kernarg_segment_ptr 1
		.amdhsa_user_sgpr_dispatch_id 0
		.amdhsa_user_sgpr_private_segment_size 0
		.amdhsa_wavefront_size32 1
		.amdhsa_uses_dynamic_stack 0
		.amdhsa_enable_private_segment 1
		.amdhsa_system_sgpr_workgroup_id_x 1
		.amdhsa_system_sgpr_workgroup_id_y 0
		.amdhsa_system_sgpr_workgroup_id_z 1
		.amdhsa_system_sgpr_workgroup_info 0
		.amdhsa_system_vgpr_workitem_id 0
		.amdhsa_next_free_vgpr 132
		.amdhsa_next_free_sgpr 61
		.amdhsa_reserve_vcc 1
		.amdhsa_float_round_mode_32 0
		.amdhsa_float_round_mode_16_64 0
		.amdhsa_float_denorm_mode_32 3
		.amdhsa_float_denorm_mode_16_64 3
		.amdhsa_dx10_clamp 1
		.amdhsa_ieee_mode 1
		.amdhsa_fp16_overflow 0
		.amdhsa_workgroup_processor_mode 1
		.amdhsa_memory_ordered 1
		.amdhsa_forward_progress 0
		.amdhsa_shared_vgpr_count 0
		.amdhsa_exception_fp_ieee_invalid_op 0
		.amdhsa_exception_fp_denorm_src 0
		.amdhsa_exception_fp_ieee_div_zero 0
		.amdhsa_exception_fp_ieee_overflow 0
		.amdhsa_exception_fp_ieee_underflow 0
		.amdhsa_exception_fp_ieee_inexact 0
		.amdhsa_exception_int_div_zero 0
	.end_amdhsa_kernel
	.section	.text._ZL23rocblas_gemvt_sn_kernelILb0ELi256ELi4El19rocblas_complex_numIdES1_S1_EviiT4_lPKT3_lilS5_lilPT5_i,"axG",@progbits,_ZL23rocblas_gemvt_sn_kernelILb0ELi256ELi4El19rocblas_complex_numIdES1_S1_EviiT4_lPKT3_lilS5_lilPT5_i,comdat
.Lfunc_end166:
	.size	_ZL23rocblas_gemvt_sn_kernelILb0ELi256ELi4El19rocblas_complex_numIdES1_S1_EviiT4_lPKT3_lilS5_lilPT5_i, .Lfunc_end166-_ZL23rocblas_gemvt_sn_kernelILb0ELi256ELi4El19rocblas_complex_numIdES1_S1_EviiT4_lPKT3_lilS5_lilPT5_i
                                        ; -- End function
	.section	.AMDGPU.csdata,"",@progbits
; Kernel info:
; codeLenInByte = 7640
; NumSgprs: 63
; NumVgprs: 132
; ScratchSize: 80
; MemoryBound: 0
; FloatMode: 240
; IeeeMode: 1
; LDSByteSize: 512 bytes/workgroup (compile time only)
; SGPRBlocks: 7
; VGPRBlocks: 16
; NumSGPRsForWavesPerEU: 63
; NumVGPRsForWavesPerEU: 132
; Occupancy: 10
; WaveLimiterHint : 1
; COMPUTE_PGM_RSRC2:SCRATCH_EN: 1
; COMPUTE_PGM_RSRC2:USER_SGPR: 14
; COMPUTE_PGM_RSRC2:TRAP_HANDLER: 0
; COMPUTE_PGM_RSRC2:TGID_X_EN: 1
; COMPUTE_PGM_RSRC2:TGID_Y_EN: 0
; COMPUTE_PGM_RSRC2:TGID_Z_EN: 1
; COMPUTE_PGM_RSRC2:TIDIG_COMP_CNT: 0
	.section	.text._ZL23rocblas_gemvt_sn_reduceILi256ELi8E19rocblas_complex_numIdES1_S1_EviT2_lPT3_lilPT1_i,"axG",@progbits,_ZL23rocblas_gemvt_sn_reduceILi256ELi8E19rocblas_complex_numIdES1_S1_EviT2_lPT3_lilPT1_i,comdat
	.globl	_ZL23rocblas_gemvt_sn_reduceILi256ELi8E19rocblas_complex_numIdES1_S1_EviT2_lPT3_lilPT1_i ; -- Begin function _ZL23rocblas_gemvt_sn_reduceILi256ELi8E19rocblas_complex_numIdES1_S1_EviT2_lPT3_lilPT1_i
	.p2align	8
	.type	_ZL23rocblas_gemvt_sn_reduceILi256ELi8E19rocblas_complex_numIdES1_S1_EviT2_lPT3_lilPT1_i,@function
_ZL23rocblas_gemvt_sn_reduceILi256ELi8E19rocblas_complex_numIdES1_S1_EviT2_lPT3_lilPT1_i: ; @_ZL23rocblas_gemvt_sn_reduceILi256ELi8E19rocblas_complex_numIdES1_S1_EviT2_lPT3_lilPT1_i
; %bb.0:
	s_clause 0x2
	s_load_b32 s2, s[0:1], 0x54
	s_load_b32 s12, s[0:1], 0x0
	s_load_b64 s[8:9], s[0:1], 0x40
	v_mov_b32_e32 v1, 0
	v_dual_mov_b32 v2, 0 :: v_dual_lshlrev_b32 v7, 3, v0
	s_delay_alu instid0(VALU_DEP_1)
	v_dual_mov_b32 v4, v2 :: v_dual_mov_b32 v3, v1
	s_waitcnt lgkmcnt(0)
	s_mul_i32 s5, s2, s15
	s_ashr_i32 s4, s12, 31
	s_add_u32 s2, s0, 0x50
	s_addc_u32 s3, s1, 0
	s_lshr_b32 s6, s4, 29
	s_add_i32 s5, s5, s14
	s_add_i32 s6, s12, s6
	s_mul_i32 s4, s5, s4
	s_and_b32 s13, s6, -8
	s_mul_hi_u32 s6, s5, s12
	s_mul_i32 s10, s5, s12
	s_add_i32 s11, s6, s4
	s_mov_b32 s4, exec_lo
	v_cmpx_gt_i32_e64 s13, v7
	s_cbranch_execz .LBB167_4
; %bb.1:
	s_load_b32 s2, s[2:3], 0xc
	v_lshlrev_b32_e32 v3, 7, v0
	s_lshl_b64 s[6:7], s[10:11], 4
	v_mov_b32_e32 v1, 0
	v_mov_b32_e32 v2, 0
	s_waitcnt lgkmcnt(0)
	s_and_b32 s2, s2, 0xffff
	s_delay_alu instid0(SALU_CYCLE_1) | instskip(SKIP_3) | instid1(VALU_DEP_1)
	s_lshl_b32 s3, s2, 3
	s_add_u32 s5, s8, s6
	s_addc_u32 s6, s9, s7
	v_add_co_u32 v3, s5, s5, v3
	v_add_co_ci_u32_e64 v4, null, s6, 0, s5
	s_mov_b32 s5, 0
	s_delay_alu instid0(VALU_DEP_2) | instskip(NEXT) | instid1(VALU_DEP_2)
	v_add_co_u32 v5, vcc_lo, 0x78, v3
	v_add_co_ci_u32_e32 v6, vcc_lo, 0, v4, vcc_lo
	v_dual_mov_b32 v4, v2 :: v_dual_mov_b32 v3, v1
	s_lshl_b32 s6, s2, 7
.LBB167_2:                              ; =>This Inner Loop Header: Depth=1
	s_clause 0x7
	global_load_b128 v[8:11], v[5:6], off offset:-120
	global_load_b128 v[12:15], v[5:6], off offset:-104
	;; [unrolled: 1-line block ×8, first 2 shown]
	v_add_nc_u32_e32 v7, s3, v7
	v_add_co_u32 v5, s2, v5, s6
	s_delay_alu instid0(VALU_DEP_1) | instskip(NEXT) | instid1(VALU_DEP_3)
	v_add_co_ci_u32_e64 v6, s2, 0, v6, s2
	v_cmp_le_i32_e32 vcc_lo, s13, v7
	s_or_b32 s5, vcc_lo, s5
	s_waitcnt vmcnt(7)
	v_add_f64 v[3:4], v[3:4], v[8:9]
	v_add_f64 v[1:2], v[1:2], v[10:11]
	s_waitcnt vmcnt(6)
	s_delay_alu instid0(VALU_DEP_2) | instskip(NEXT) | instid1(VALU_DEP_2)
	v_add_f64 v[3:4], v[3:4], v[12:13]
	v_add_f64 v[1:2], v[1:2], v[14:15]
	s_waitcnt vmcnt(5)
	s_delay_alu instid0(VALU_DEP_2) | instskip(NEXT) | instid1(VALU_DEP_2)
	;; [unrolled: 4-line block ×7, first 2 shown]
	v_add_f64 v[3:4], v[3:4], v[36:37]
	v_add_f64 v[1:2], v[1:2], v[38:39]
	s_and_not1_b32 exec_lo, exec_lo, s5
	s_cbranch_execnz .LBB167_2
; %bb.3:
	s_or_b32 exec_lo, exec_lo, s5
.LBB167_4:
	s_delay_alu instid0(SALU_CYCLE_1) | instskip(SKIP_2) | instid1(SALU_CYCLE_1)
	s_or_b32 exec_lo, exec_lo, s4
	s_load_b128 s[4:7], s[0:1], 0x8
	s_sub_i32 s2, s12, s13
	v_cmp_gt_u32_e32 vcc_lo, s2, v0
	s_and_saveexec_b32 s2, vcc_lo
	s_cbranch_execz .LBB167_6
; %bb.5:
	v_xad_u32 v5, v0, -1, s12
	v_mov_b32_e32 v6, 0
	s_lshl_b64 s[10:11], s[10:11], 4
	s_delay_alu instid0(SALU_CYCLE_1) | instskip(SKIP_1) | instid1(VALU_DEP_1)
	s_add_u32 s3, s8, s10
	s_addc_u32 s8, s9, s11
	v_lshlrev_b64 v[5:6], 4, v[5:6]
	s_delay_alu instid0(VALU_DEP_1) | instskip(NEXT) | instid1(VALU_DEP_2)
	v_add_co_u32 v5, vcc_lo, s3, v5
	v_add_co_ci_u32_e32 v6, vcc_lo, s8, v6, vcc_lo
	global_load_b128 v[5:8], v[5:6], off
	s_waitcnt vmcnt(0)
	v_add_f64 v[3:4], v[3:4], v[5:6]
	v_add_f64 v[1:2], v[1:2], v[7:8]
.LBB167_6:
	s_or_b32 exec_lo, exec_lo, s2
	v_and_b32_e32 v13, 31, v0
	v_cmp_gt_u32_e32 vcc_lo, 32, v0
	s_delay_alu instid0(VALU_DEP_2)
	v_lshlrev_b32_e32 v9, 4, v13
	s_and_saveexec_b32 s2, vcc_lo
	s_cbranch_execz .LBB167_8
; %bb.7:
	v_mov_b32_e32 v5, 0
	s_delay_alu instid0(VALU_DEP_1)
	v_mov_b32_e32 v6, v5
	v_mov_b32_e32 v7, v5
	;; [unrolled: 1-line block ×3, first 2 shown]
	ds_store_b128 v9, v[5:8]
.LBB167_8:
	s_or_b32 exec_lo, exec_lo, s2
	v_mbcnt_lo_u32_b32 v12, -1, 0
	s_mov_b32 s3, exec_lo
	s_waitcnt lgkmcnt(0)
	s_barrier
	buffer_gl0_inv
	v_cmp_gt_u32_e64 s2, 16, v12
	s_delay_alu instid0(VALU_DEP_1) | instskip(SKIP_1) | instid1(VALU_DEP_2)
	v_cndmask_b32_e64 v5, 0, 1, s2
	v_cmp_gt_u32_e64 s2, 24, v12
	v_lshlrev_b32_e32 v5, 4, v5
	s_delay_alu instid0(VALU_DEP_1)
	v_add_lshl_u32 v8, v5, v12, 2
	ds_bpermute_b32 v5, v8, v3
	ds_bpermute_b32 v6, v8, v4
	ds_bpermute_b32 v7, v8, v1
	ds_bpermute_b32 v8, v8, v2
	s_waitcnt lgkmcnt(2)
	v_add_f64 v[3:4], v[3:4], v[5:6]
	v_cndmask_b32_e64 v5, 0, 1, s2
	s_waitcnt lgkmcnt(0)
	v_add_f64 v[1:2], v[1:2], v[7:8]
	v_cmp_gt_u32_e64 s2, 28, v12
	s_delay_alu instid0(VALU_DEP_3) | instskip(NEXT) | instid1(VALU_DEP_1)
	v_lshlrev_b32_e32 v5, 3, v5
	v_add_lshl_u32 v8, v5, v12, 2
	ds_bpermute_b32 v5, v8, v3
	ds_bpermute_b32 v6, v8, v4
	;; [unrolled: 1-line block ×4, first 2 shown]
	s_waitcnt lgkmcnt(2)
	v_add_f64 v[3:4], v[3:4], v[5:6]
	v_cndmask_b32_e64 v5, 0, 1, s2
	s_waitcnt lgkmcnt(0)
	v_add_f64 v[1:2], v[1:2], v[7:8]
	v_cmp_gt_u32_e64 s2, 30, v12
	s_delay_alu instid0(VALU_DEP_3) | instskip(NEXT) | instid1(VALU_DEP_1)
	v_lshlrev_b32_e32 v5, 2, v5
	v_add_lshl_u32 v10, v5, v12, 2
	ds_bpermute_b32 v5, v10, v3
	ds_bpermute_b32 v6, v10, v4
	;; [unrolled: 1-line block ×4, first 2 shown]
	s_waitcnt lgkmcnt(2)
	v_add_f64 v[3:4], v[3:4], v[5:6]
	s_waitcnt lgkmcnt(0)
	v_add_f64 v[5:6], v[1:2], v[7:8]
	v_cndmask_b32_e64 v1, 0, 1, s2
	v_cmp_ne_u32_e64 s2, 31, v12
	s_delay_alu instid0(VALU_DEP_2) | instskip(NEXT) | instid1(VALU_DEP_1)
	v_lshlrev_b32_e32 v1, 1, v1
	v_add_lshl_u32 v11, v1, v12, 2
	ds_bpermute_b32 v1, v11, v3
	ds_bpermute_b32 v2, v11, v4
	;; [unrolled: 1-line block ×4, first 2 shown]
	s_waitcnt lgkmcnt(2)
	v_add_f64 v[1:2], v[3:4], v[1:2]
	v_add_co_ci_u32_e64 v3, s2, 0, v12, s2
	s_waitcnt lgkmcnt(0)
	v_add_f64 v[5:6], v[5:6], v[7:8]
	s_delay_alu instid0(VALU_DEP_2)
	v_lshlrev_b32_e32 v12, 2, v3
	ds_bpermute_b32 v3, v12, v1
	ds_bpermute_b32 v4, v12, v2
	;; [unrolled: 1-line block ×4, first 2 shown]
	v_cmpx_eq_u32_e32 0, v13
	s_cbranch_execz .LBB167_10
; %bb.9:
	s_waitcnt lgkmcnt(0)
	v_add_f64 v[5:6], v[5:6], v[7:8]
	v_add_f64 v[3:4], v[1:2], v[3:4]
	v_lshrrev_b32_e32 v1, 1, v0
	s_delay_alu instid0(VALU_DEP_1)
	v_and_b32_e32 v1, 0x70, v1
	ds_store_b128 v1, v[3:6]
.LBB167_10:
	s_or_b32 exec_lo, exec_lo, s3
	s_waitcnt lgkmcnt(2)
	v_mov_b32_e32 v3, 0
	v_mov_b32_e32 v4, 0
	s_delay_alu instid0(VALU_DEP_2)
	v_mov_b32_e32 v1, v3
	s_mov_b32 s3, exec_lo
	s_waitcnt lgkmcnt(0)
	s_barrier
	v_mov_b32_e32 v2, v4
	buffer_gl0_inv
	v_cmpx_gt_u32_e32 8, v0
	s_cbranch_execz .LBB167_12
; %bb.11:
	ds_load_b128 v[1:4], v9
.LBB167_12:
	s_or_b32 exec_lo, exec_lo, s3
	s_and_saveexec_b32 s2, vcc_lo
	s_cbranch_execz .LBB167_14
; %bb.13:
	s_waitcnt lgkmcnt(0)
	ds_bpermute_b32 v5, v10, v1
	ds_bpermute_b32 v6, v10, v2
	ds_bpermute_b32 v7, v10, v3
	ds_bpermute_b32 v8, v10, v4
	s_waitcnt lgkmcnt(2)
	v_add_f64 v[1:2], v[1:2], v[5:6]
	s_waitcnt lgkmcnt(0)
	v_add_f64 v[3:4], v[3:4], v[7:8]
	ds_bpermute_b32 v5, v11, v1
	ds_bpermute_b32 v6, v11, v2
	ds_bpermute_b32 v7, v11, v3
	ds_bpermute_b32 v8, v11, v4
	s_waitcnt lgkmcnt(2)
	v_add_f64 v[1:2], v[1:2], v[5:6]
	s_waitcnt lgkmcnt(0)
	v_add_f64 v[3:4], v[3:4], v[7:8]
	;; [unrolled: 8-line block ×3, first 2 shown]
.LBB167_14:
	s_or_b32 exec_lo, exec_lo, s2
	s_delay_alu instid0(SALU_CYCLE_1)
	s_mov_b32 s2, exec_lo
	v_cmpx_eq_u32_e32 0, v0
	s_cbranch_execz .LBB167_18
; %bb.15:
	v_cmp_neq_f64_e64 s10, s[4:5], 0
	v_cmp_neq_f64_e64 s11, s[6:7], 0
	s_clause 0x2
	s_load_b64 s[8:9], s[0:1], 0x38
	s_load_b32 s12, s[0:1], 0x30
	s_load_b128 s[0:3], s[0:1], 0x20
	s_waitcnt lgkmcnt(0)
	s_mul_i32 s9, s15, s9
	s_mul_hi_u32 s13, s15, s8
	s_mul_i32 s8, s15, s8
	s_add_i32 s9, s13, s9
	s_ashr_i32 s13, s12, 31
	s_lshl_b64 s[8:9], s[8:9], 4
	s_mul_i32 s13, s13, s14
	s_add_u32 s8, s0, s8
	s_addc_u32 s9, s1, s9
	s_lshl_b64 s[0:1], s[2:3], 4
	s_delay_alu instid0(SALU_CYCLE_1) | instskip(SKIP_2) | instid1(SALU_CYCLE_1)
	s_add_u32 s2, s8, s0
	s_addc_u32 s3, s9, s1
	s_mul_hi_u32 s1, s12, s14
	s_add_i32 s1, s1, s13
	s_delay_alu instid0(VALU_DEP_1) | instskip(NEXT) | instid1(SALU_CYCLE_1)
	s_or_b32 s0, s10, s11
	s_and_not1_b32 vcc_lo, exec_lo, s0
	s_mul_i32 s0, s12, s14
	s_cbranch_vccnz .LBB167_17
; %bb.16:
	s_lshl_b64 s[8:9], s[0:1], 4
	s_delay_alu instid0(SALU_CYCLE_1)
	s_add_u32 s8, s2, s8
	s_addc_u32 s9, s3, s9
	s_load_b128 s[8:11], s[8:9], 0x0
	s_waitcnt lgkmcnt(0)
	v_mul_f64 v[5:6], s[6:7], s[10:11]
	v_mul_f64 v[7:8], s[4:5], s[10:11]
	s_delay_alu instid0(VALU_DEP_2) | instskip(NEXT) | instid1(VALU_DEP_2)
	v_fma_f64 v[5:6], s[4:5], s[8:9], -v[5:6]
	v_fma_f64 v[7:8], s[6:7], s[8:9], v[7:8]
	s_delay_alu instid0(VALU_DEP_2) | instskip(NEXT) | instid1(VALU_DEP_2)
	v_add_f64 v[1:2], v[1:2], v[5:6]
	v_add_f64 v[3:4], v[3:4], v[7:8]
.LBB167_17:
	s_lshl_b64 s[0:1], s[0:1], 4
	v_mov_b32_e32 v0, 0
	s_add_u32 s0, s2, s0
	s_addc_u32 s1, s3, s1
	global_store_b128 v0, v[1:4], s[0:1]
.LBB167_18:
	s_nop 0
	s_sendmsg sendmsg(MSG_DEALLOC_VGPRS)
	s_endpgm
	.section	.rodata,"a",@progbits
	.p2align	6, 0x0
	.amdhsa_kernel _ZL23rocblas_gemvt_sn_reduceILi256ELi8E19rocblas_complex_numIdES1_S1_EviT2_lPT3_lilPT1_i
		.amdhsa_group_segment_fixed_size 512
		.amdhsa_private_segment_fixed_size 0
		.amdhsa_kernarg_size 336
		.amdhsa_user_sgpr_count 13
		.amdhsa_user_sgpr_dispatch_ptr 0
		.amdhsa_user_sgpr_queue_ptr 0
		.amdhsa_user_sgpr_kernarg_segment_ptr 1
		.amdhsa_user_sgpr_dispatch_id 0
		.amdhsa_user_sgpr_private_segment_size 0
		.amdhsa_wavefront_size32 1
		.amdhsa_uses_dynamic_stack 0
		.amdhsa_enable_private_segment 0
		.amdhsa_system_sgpr_workgroup_id_x 1
		.amdhsa_system_sgpr_workgroup_id_y 1
		.amdhsa_system_sgpr_workgroup_id_z 1
		.amdhsa_system_sgpr_workgroup_info 0
		.amdhsa_system_vgpr_workitem_id 0
		.amdhsa_next_free_vgpr 40
		.amdhsa_next_free_sgpr 16
		.amdhsa_reserve_vcc 1
		.amdhsa_float_round_mode_32 0
		.amdhsa_float_round_mode_16_64 0
		.amdhsa_float_denorm_mode_32 3
		.amdhsa_float_denorm_mode_16_64 3
		.amdhsa_dx10_clamp 1
		.amdhsa_ieee_mode 1
		.amdhsa_fp16_overflow 0
		.amdhsa_workgroup_processor_mode 1
		.amdhsa_memory_ordered 1
		.amdhsa_forward_progress 0
		.amdhsa_shared_vgpr_count 0
		.amdhsa_exception_fp_ieee_invalid_op 0
		.amdhsa_exception_fp_denorm_src 0
		.amdhsa_exception_fp_ieee_div_zero 0
		.amdhsa_exception_fp_ieee_overflow 0
		.amdhsa_exception_fp_ieee_underflow 0
		.amdhsa_exception_fp_ieee_inexact 0
		.amdhsa_exception_int_div_zero 0
	.end_amdhsa_kernel
	.section	.text._ZL23rocblas_gemvt_sn_reduceILi256ELi8E19rocblas_complex_numIdES1_S1_EviT2_lPT3_lilPT1_i,"axG",@progbits,_ZL23rocblas_gemvt_sn_reduceILi256ELi8E19rocblas_complex_numIdES1_S1_EviT2_lPT3_lilPT1_i,comdat
.Lfunc_end167:
	.size	_ZL23rocblas_gemvt_sn_reduceILi256ELi8E19rocblas_complex_numIdES1_S1_EviT2_lPT3_lilPT1_i, .Lfunc_end167-_ZL23rocblas_gemvt_sn_reduceILi256ELi8E19rocblas_complex_numIdES1_S1_EviT2_lPT3_lilPT1_i
                                        ; -- End function
	.section	.AMDGPU.csdata,"",@progbits
; Kernel info:
; codeLenInByte = 1708
; NumSgprs: 18
; NumVgprs: 40
; ScratchSize: 0
; MemoryBound: 1
; FloatMode: 240
; IeeeMode: 1
; LDSByteSize: 512 bytes/workgroup (compile time only)
; SGPRBlocks: 2
; VGPRBlocks: 4
; NumSGPRsForWavesPerEU: 18
; NumVGPRsForWavesPerEU: 40
; Occupancy: 16
; WaveLimiterHint : 0
; COMPUTE_PGM_RSRC2:SCRATCH_EN: 0
; COMPUTE_PGM_RSRC2:USER_SGPR: 13
; COMPUTE_PGM_RSRC2:TRAP_HANDLER: 0
; COMPUTE_PGM_RSRC2:TGID_X_EN: 1
; COMPUTE_PGM_RSRC2:TGID_Y_EN: 1
; COMPUTE_PGM_RSRC2:TGID_Z_EN: 1
; COMPUTE_PGM_RSRC2:TIDIG_COMP_CNT: 0
	.section	.text._ZL32rocblas_gemvt_warp_reduce_kernelILb0ELi256Ei19rocblas_complex_numIdEPKS1_S1_EviiT3_lPKT2_lT1_lS7_lS8_lS4_lPT4_lS8_li,"axG",@progbits,_ZL32rocblas_gemvt_warp_reduce_kernelILb0ELi256Ei19rocblas_complex_numIdEPKS1_S1_EviiT3_lPKT2_lT1_lS7_lS8_lS4_lPT4_lS8_li,comdat
	.globl	_ZL32rocblas_gemvt_warp_reduce_kernelILb0ELi256Ei19rocblas_complex_numIdEPKS1_S1_EviiT3_lPKT2_lT1_lS7_lS8_lS4_lPT4_lS8_li ; -- Begin function _ZL32rocblas_gemvt_warp_reduce_kernelILb0ELi256Ei19rocblas_complex_numIdEPKS1_S1_EviiT3_lPKT2_lT1_lS7_lS8_lS4_lPT4_lS8_li
	.p2align	8
	.type	_ZL32rocblas_gemvt_warp_reduce_kernelILb0ELi256Ei19rocblas_complex_numIdEPKS1_S1_EviiT3_lPKT2_lT1_lS7_lS8_lS4_lPT4_lS8_li,@function
_ZL32rocblas_gemvt_warp_reduce_kernelILb0ELi256Ei19rocblas_complex_numIdEPKS1_S1_EviiT3_lPKT2_lT1_lS7_lS8_lS4_lPT4_lS8_li: ; @_ZL32rocblas_gemvt_warp_reduce_kernelILb0ELi256Ei19rocblas_complex_numIdEPKS1_S1_EviiT3_lPKT2_lT1_lS7_lS8_lS4_lPT4_lS8_li
; %bb.0:
	s_load_b256 s[4:11], s[0:1], 0x8
	s_waitcnt lgkmcnt(0)
	s_mul_i32 s3, s15, s7
	s_mul_hi_u32 s7, s15, s6
	s_mul_i32 s2, s15, s6
	s_add_i32 s3, s7, s3
	s_delay_alu instid0(SALU_CYCLE_1) | instskip(NEXT) | instid1(SALU_CYCLE_1)
	s_lshl_b64 s[2:3], s[2:3], 4
	s_add_u32 s2, s4, s2
	s_addc_u32 s3, s5, s3
	s_load_b128 s[4:7], s[2:3], 0x0
	s_load_b256 s[16:23], s[0:1], 0x50
	s_waitcnt lgkmcnt(0)
	v_cmp_neq_f64_e64 s12, s[4:5], 0
	v_cmp_neq_f64_e64 s13, s[6:7], 0
	s_mul_i32 s2, s15, s21
	s_mul_hi_u32 s3, s15, s20
	s_delay_alu instid0(SALU_CYCLE_1) | instskip(SKIP_1) | instid1(SALU_CYCLE_1)
	s_add_i32 s3, s3, s2
	s_mul_i32 s2, s15, s20
	s_lshl_b64 s[2:3], s[2:3], 4
	s_delay_alu instid0(SALU_CYCLE_1) | instskip(SKIP_3) | instid1(VALU_DEP_1)
	s_add_u32 s2, s18, s2
	s_addc_u32 s3, s19, s3
	s_load_b128 s[24:27], s[2:3], 0x0
	s_mov_b32 s3, -1
	s_or_b32 s2, s12, s13
	s_delay_alu instid0(SALU_CYCLE_1)
	s_and_b32 vcc_lo, exec_lo, s2
	s_cbranch_vccnz .LBB168_2
; %bb.1:
	s_waitcnt lgkmcnt(0)
	v_cmp_neq_f64_e64 s3, s[24:25], 1.0
	v_cmp_neq_f64_e64 s12, s[26:27], 0
	s_delay_alu instid0(VALU_DEP_1)
	s_or_b32 s3, s3, s12
.LBB168_2:
	s_delay_alu instid0(SALU_CYCLE_1)
	s_and_not1_b32 vcc_lo, exec_lo, s3
	s_cbranch_vccnz .LBB168_31
; %bb.3:
	s_clause 0x2
	s_load_b64 s[12:13], s[0:1], 0x80
	s_load_b64 s[18:19], s[0:1], 0x70
	s_load_b32 s28, s[0:1], 0x78
	s_xor_b32 s20, s2, -1
	s_mov_b32 s29, 0
	s_waitcnt lgkmcnt(0)
	s_mul_i32 s3, s15, s13
	s_mul_hi_u32 s13, s15, s12
	s_mul_i32 s2, s15, s12
	s_add_i32 s3, s13, s3
	s_delay_alu instid0(SALU_CYCLE_1) | instskip(NEXT) | instid1(SALU_CYCLE_1)
	s_lshl_b64 s[2:3], s[2:3], 4
	s_add_u32 s21, s22, s2
	s_addc_u32 s3, s23, s3
	s_lshl_b64 s[12:13], s[18:19], 4
	v_cmp_eq_u32_e64 s2, 0, v0
	s_add_u32 s18, s21, s12
	s_addc_u32 s19, s3, s13
	s_and_not1_b32 vcc_lo, exec_lo, s20
	s_cbranch_vccnz .LBB168_8
; %bb.4:
	s_mov_b32 s3, 0
                                        ; implicit-def: $vgpr3_vgpr4
                                        ; implicit-def: $sgpr12_sgpr13
	s_and_saveexec_b32 s20, s2
	s_cbranch_execz .LBB168_9
; %bb.5:
	v_cmp_neq_f64_e64 s2, s[24:25], 0
	v_cmp_neq_f64_e64 s12, s[26:27], 0
	v_mov_b32_e32 v3, 0
	v_mov_b32_e32 v4, 0
	s_delay_alu instid0(VALU_DEP_1) | instskip(NEXT) | instid1(VALU_DEP_4)
	v_dual_mov_b32 v1, v3 :: v_dual_mov_b32 v2, v4
	s_or_b32 s2, s2, s12
	s_mul_i32 s12, s14, s28
	s_and_not1_b32 vcc_lo, exec_lo, s2
	s_ashr_i32 s13, s12, 31
	s_cbranch_vccnz .LBB168_7
; %bb.6:
	s_lshl_b64 s[22:23], s[12:13], 4
	s_delay_alu instid0(SALU_CYCLE_1)
	s_add_u32 s22, s18, s22
	s_addc_u32 s23, s19, s23
	s_load_b128 s[36:39], s[22:23], 0x0
	s_waitcnt lgkmcnt(0)
	v_mul_f64 v[1:2], s[26:27], s[38:39]
	v_mul_f64 v[3:4], s[24:25], s[38:39]
	s_delay_alu instid0(VALU_DEP_2) | instskip(NEXT) | instid1(VALU_DEP_2)
	v_fma_f64 v[1:2], s[24:25], s[36:37], -v[1:2]
	v_fma_f64 v[3:4], s[26:27], s[36:37], v[3:4]
.LBB168_7:
	s_mov_b32 s29, exec_lo
	s_or_b32 exec_lo, exec_lo, s20
	s_delay_alu instid0(SALU_CYCLE_1)
	s_and_b32 vcc_lo, exec_lo, s3
	s_cbranch_vccnz .LBB168_10
	s_branch .LBB168_29
.LBB168_8:
                                        ; implicit-def: $vgpr3_vgpr4
                                        ; implicit-def: $sgpr12_sgpr13
	s_cbranch_execnz .LBB168_10
	s_branch .LBB168_29
.LBB168_9:
	s_or_b32 exec_lo, exec_lo, s20
	s_delay_alu instid0(SALU_CYCLE_1)
	s_and_b32 vcc_lo, exec_lo, s3
	s_cbranch_vccz .LBB168_29
.LBB168_10:
	s_clause 0x4
	s_load_b128 s[20:23], s[0:1], 0x30
	s_load_b64 s[12:13], s[0:1], 0x40
	s_load_b32 s3, s[0:1], 0x0
	s_load_b32 s30, s[0:1], 0x28
	;; [unrolled: 1-line block ×3, first 2 shown]
	s_mul_i32 s2, s15, s17
	s_mul_hi_u32 s17, s15, s16
	s_mul_i32 s16, s15, s16
	s_add_i32 s17, s17, s2
	v_mov_b32_e32 v1, 0
	s_lshl_b64 s[16:17], s[16:17], 4
	s_waitcnt lgkmcnt(0)
	s_add_u32 s0, s22, s16
	s_addc_u32 s16, s23, s17
	v_cmp_gt_i32_e32 vcc_lo, s3, v0
	v_mov_b32_e32 v2, 0
	s_lshl_b64 s[12:13], s[12:13], 4
	s_mul_i32 s2, s15, s21
	s_add_u32 s21, s0, s12
	v_cndmask_b32_e32 v3, 0, v0, vcc_lo
	s_addc_u32 s22, s16, s13
	s_ashr_i32 s0, s3, 31
	s_mul_hi_u32 s17, s15, s20
	s_lshr_b32 s0, s0, 24
	v_dual_mov_b32 v4, v2 :: v_dual_lshlrev_b32 v9, 4, v3
	v_mov_b32_e32 v3, v1
	s_add_i32 s0, s3, s0
	s_mul_i32 s16, s14, s30
	s_mul_i32 s12, s15, s20
	s_add_i32 s13, s17, s2
	s_and_b32 s2, s0, 0xffffff00
	s_mov_b32 s20, 0
	s_ashr_i32 s17, s16, 31
	s_mov_b32 s15, exec_lo
	v_cmpx_gt_i32_e64 s2, v0
	s_cbranch_execz .LBB168_14
; %bb.11:
	s_lshl_b64 s[30:31], s[12:13], 4
	s_lshl_b64 s[34:35], s[10:11], 4
	v_dual_mov_b32 v1, 0 :: v_dual_mov_b32 v10, v0
	s_add_u32 s0, s30, s34
	s_addc_u32 s23, s31, s35
	s_lshl_b64 s[30:31], s[16:17], 4
	v_mov_b32_e32 v2, 0
	s_add_u32 s0, s0, s30
	s_addc_u32 s23, s23, s31
	s_add_u32 s0, s8, s0
	s_addc_u32 s23, s9, s23
	v_add_co_u32 v3, s0, s0, v9
	s_delay_alu instid0(VALU_DEP_1) | instskip(SKIP_1) | instid1(VALU_DEP_3)
	v_add_co_ci_u32_e64 v4, null, s23, 0, s0
	v_mul_lo_u32 v5, v0, s1
	v_add_co_u32 v7, vcc_lo, v3, 8
	s_delay_alu instid0(VALU_DEP_3)
	v_add_co_ci_u32_e32 v8, vcc_lo, 0, v4, vcc_lo
	v_dual_mov_b32 v4, v2 :: v_dual_mov_b32 v3, v1
	s_lshl_b32 s23, s1, 8
	s_set_inst_prefetch_distance 0x1
	.p2align	6
.LBB168_12:                             ; =>This Inner Loop Header: Depth=1
	s_delay_alu instid0(VALU_DEP_4) | instskip(SKIP_1) | instid1(VALU_DEP_2)
	v_ashrrev_i32_e32 v6, 31, v5
	v_add_nc_u32_e32 v10, 0x100, v10
	v_lshlrev_b64 v[11:12], 4, v[5:6]
	s_delay_alu instid0(VALU_DEP_2) | instskip(SKIP_1) | instid1(VALU_DEP_2)
	v_cmp_le_i32_e64 s0, s2, v10
	v_add_nc_u32_e32 v5, s23, v5
	s_or_b32 s20, s0, s20
	s_delay_alu instid0(VALU_DEP_3) | instskip(NEXT) | instid1(VALU_DEP_4)
	v_add_co_u32 v15, vcc_lo, s21, v11
	v_add_co_ci_u32_e32 v16, vcc_lo, s22, v12, vcc_lo
	global_load_b128 v[11:14], v[7:8], off offset:-8
	global_load_b128 v[15:18], v[15:16], off
	v_add_co_u32 v7, vcc_lo, 0x1000, v7
	v_add_co_ci_u32_e32 v8, vcc_lo, 0, v8, vcc_lo
	s_waitcnt vmcnt(0)
	v_mul_f64 v[19:20], v[13:14], v[17:18]
	v_mul_f64 v[17:18], v[11:12], v[17:18]
	s_delay_alu instid0(VALU_DEP_2) | instskip(NEXT) | instid1(VALU_DEP_2)
	v_fma_f64 v[11:12], v[11:12], v[15:16], -v[19:20]
	v_fma_f64 v[13:14], v[13:14], v[15:16], v[17:18]
	s_delay_alu instid0(VALU_DEP_2) | instskip(NEXT) | instid1(VALU_DEP_2)
	v_add_f64 v[3:4], v[3:4], v[11:12]
	v_add_f64 v[1:2], v[1:2], v[13:14]
	s_and_not1_b32 exec_lo, exec_lo, s20
	s_cbranch_execnz .LBB168_12
; %bb.13:
	s_set_inst_prefetch_distance 0x2
	s_or_b32 exec_lo, exec_lo, s20
.LBB168_14:
	s_delay_alu instid0(SALU_CYCLE_1) | instskip(SKIP_2) | instid1(VALU_DEP_1)
	s_or_b32 exec_lo, exec_lo, s15
	v_add_nc_u32_e32 v5, s2, v0
	s_mov_b32 s0, exec_lo
	v_cmpx_gt_i32_e64 s3, v5
	s_cbranch_execz .LBB168_16
; %bb.15:
	v_mul_lo_u32 v5, v5, s1
	s_lshl_b64 s[12:13], s[12:13], 4
	s_delay_alu instid0(SALU_CYCLE_1) | instskip(SKIP_2) | instid1(SALU_CYCLE_1)
	s_add_u32 s1, s8, s12
	s_addc_u32 s3, s9, s13
	s_lshl_b64 s[8:9], s[10:11], 4
	s_add_u32 s1, s1, s8
	s_delay_alu instid0(VALU_DEP_1)
	v_ashrrev_i32_e32 v6, 31, v5
	s_addc_u32 s10, s3, s9
	s_ashr_i32 s3, s2, 31
	s_lshl_b64 s[8:9], s[16:17], 4
	s_lshl_b64 s[2:3], s[2:3], 4
	v_lshlrev_b64 v[5:6], 4, v[5:6]
	s_add_u32 s2, s2, s8
	s_addc_u32 s3, s3, s9
	s_add_u32 s2, s2, s1
	s_addc_u32 s3, s3, s10
	s_delay_alu instid0(VALU_DEP_1)
	v_add_co_u32 v10, vcc_lo, s21, v5
	v_add_co_ci_u32_e32 v11, vcc_lo, s22, v6, vcc_lo
	global_load_b128 v[5:8], v9, s[2:3]
	global_load_b128 v[9:12], v[10:11], off
	s_waitcnt vmcnt(0)
	v_mul_f64 v[13:14], v[7:8], v[11:12]
	v_mul_f64 v[11:12], v[5:6], v[11:12]
	s_delay_alu instid0(VALU_DEP_2) | instskip(NEXT) | instid1(VALU_DEP_2)
	v_fma_f64 v[5:6], v[5:6], v[9:10], -v[13:14]
	v_fma_f64 v[7:8], v[7:8], v[9:10], v[11:12]
	s_delay_alu instid0(VALU_DEP_2) | instskip(NEXT) | instid1(VALU_DEP_2)
	v_add_f64 v[3:4], v[3:4], v[5:6]
	v_add_f64 v[1:2], v[1:2], v[7:8]
.LBB168_16:
	s_or_b32 exec_lo, exec_lo, s0
	v_and_b32_e32 v13, 31, v0
	v_cmp_gt_u32_e32 vcc_lo, 32, v0
	s_delay_alu instid0(VALU_DEP_2)
	v_lshlrev_b32_e32 v9, 4, v13
	s_and_saveexec_b32 s0, vcc_lo
	s_cbranch_execz .LBB168_18
; %bb.17:
	v_mov_b32_e32 v5, 0
	s_delay_alu instid0(VALU_DEP_1)
	v_mov_b32_e32 v6, v5
	v_mov_b32_e32 v7, v5
	;; [unrolled: 1-line block ×3, first 2 shown]
	ds_store_b128 v9, v[5:8]
.LBB168_18:
	s_or_b32 exec_lo, exec_lo, s0
	v_mbcnt_lo_u32_b32 v12, -1, 0
	s_mov_b32 s1, exec_lo
	s_waitcnt lgkmcnt(0)
	s_barrier
	buffer_gl0_inv
	v_cmp_gt_u32_e64 s0, 16, v12
	s_delay_alu instid0(VALU_DEP_1) | instskip(SKIP_1) | instid1(VALU_DEP_2)
	v_cndmask_b32_e64 v5, 0, 1, s0
	v_cmp_gt_u32_e64 s0, 24, v12
	v_lshlrev_b32_e32 v5, 4, v5
	s_delay_alu instid0(VALU_DEP_1)
	v_add_lshl_u32 v8, v5, v12, 2
	ds_bpermute_b32 v5, v8, v3
	ds_bpermute_b32 v6, v8, v4
	ds_bpermute_b32 v7, v8, v1
	ds_bpermute_b32 v8, v8, v2
	s_waitcnt lgkmcnt(2)
	v_add_f64 v[3:4], v[3:4], v[5:6]
	v_cndmask_b32_e64 v5, 0, 1, s0
	s_waitcnt lgkmcnt(0)
	v_add_f64 v[1:2], v[1:2], v[7:8]
	v_cmp_gt_u32_e64 s0, 28, v12
	s_delay_alu instid0(VALU_DEP_3) | instskip(NEXT) | instid1(VALU_DEP_1)
	v_lshlrev_b32_e32 v5, 3, v5
	v_add_lshl_u32 v8, v5, v12, 2
	ds_bpermute_b32 v5, v8, v3
	ds_bpermute_b32 v6, v8, v4
	;; [unrolled: 1-line block ×4, first 2 shown]
	s_waitcnt lgkmcnt(2)
	v_add_f64 v[3:4], v[3:4], v[5:6]
	v_cndmask_b32_e64 v5, 0, 1, s0
	s_waitcnt lgkmcnt(0)
	v_add_f64 v[1:2], v[1:2], v[7:8]
	v_cmp_gt_u32_e64 s0, 30, v12
	s_delay_alu instid0(VALU_DEP_3) | instskip(NEXT) | instid1(VALU_DEP_1)
	v_lshlrev_b32_e32 v5, 2, v5
	v_add_lshl_u32 v10, v5, v12, 2
	ds_bpermute_b32 v5, v10, v3
	ds_bpermute_b32 v6, v10, v4
	;; [unrolled: 1-line block ×4, first 2 shown]
	s_waitcnt lgkmcnt(2)
	v_add_f64 v[3:4], v[3:4], v[5:6]
	s_waitcnt lgkmcnt(0)
	v_add_f64 v[5:6], v[1:2], v[7:8]
	v_cndmask_b32_e64 v1, 0, 1, s0
	v_cmp_ne_u32_e64 s0, 31, v12
	s_delay_alu instid0(VALU_DEP_2) | instskip(NEXT) | instid1(VALU_DEP_1)
	v_lshlrev_b32_e32 v1, 1, v1
	v_add_lshl_u32 v11, v1, v12, 2
	ds_bpermute_b32 v1, v11, v3
	ds_bpermute_b32 v2, v11, v4
	;; [unrolled: 1-line block ×4, first 2 shown]
	s_waitcnt lgkmcnt(2)
	v_add_f64 v[1:2], v[3:4], v[1:2]
	v_add_co_ci_u32_e64 v3, s0, 0, v12, s0
	s_waitcnt lgkmcnt(0)
	v_add_f64 v[5:6], v[5:6], v[7:8]
	s_delay_alu instid0(VALU_DEP_2)
	v_lshlrev_b32_e32 v12, 2, v3
	ds_bpermute_b32 v3, v12, v1
	ds_bpermute_b32 v4, v12, v2
	;; [unrolled: 1-line block ×4, first 2 shown]
	v_cmpx_eq_u32_e32 0, v13
	s_cbranch_execz .LBB168_20
; %bb.19:
	s_waitcnt lgkmcnt(0)
	v_add_f64 v[5:6], v[5:6], v[7:8]
	v_add_f64 v[3:4], v[1:2], v[3:4]
	v_lshrrev_b32_e32 v1, 1, v0
	s_delay_alu instid0(VALU_DEP_1)
	v_and_b32_e32 v1, 0x70, v1
	ds_store_b128 v1, v[3:6]
.LBB168_20:
	s_or_b32 exec_lo, exec_lo, s1
	s_waitcnt lgkmcnt(0)
	v_mov_b32_e32 v7, 0
	v_mov_b32_e32 v8, 0
	s_delay_alu instid0(VALU_DEP_2) | instskip(SKIP_2) | instid1(VALU_DEP_2)
	v_mov_b32_e32 v5, v7
	s_mov_b32 s1, exec_lo
	s_barrier
	v_mov_b32_e32 v6, v8
	buffer_gl0_inv
	v_cmpx_gt_u32_e32 8, v0
	s_cbranch_execz .LBB168_22
; %bb.21:
	ds_load_b128 v[5:8], v9
.LBB168_22:
	s_or_b32 exec_lo, exec_lo, s1
	s_and_saveexec_b32 s0, vcc_lo
	s_cbranch_execz .LBB168_24
; %bb.23:
	s_waitcnt lgkmcnt(0)
	ds_bpermute_b32 v1, v10, v5
	ds_bpermute_b32 v2, v10, v6
	ds_bpermute_b32 v3, v10, v7
	ds_bpermute_b32 v4, v10, v8
	s_waitcnt lgkmcnt(2)
	v_add_f64 v[1:2], v[5:6], v[1:2]
	s_waitcnt lgkmcnt(0)
	v_add_f64 v[3:4], v[7:8], v[3:4]
	ds_bpermute_b32 v5, v11, v1
	ds_bpermute_b32 v6, v11, v2
	ds_bpermute_b32 v7, v11, v3
	ds_bpermute_b32 v8, v11, v4
	s_waitcnt lgkmcnt(2)
	v_add_f64 v[1:2], v[1:2], v[5:6]
	s_waitcnt lgkmcnt(0)
	v_add_f64 v[3:4], v[3:4], v[7:8]
	;; [unrolled: 8-line block ×3, first 2 shown]
.LBB168_24:
	s_or_b32 exec_lo, exec_lo, s0
	s_delay_alu instid0(SALU_CYCLE_1)
	s_mov_b32 s0, exec_lo
                                        ; implicit-def: $vgpr3_vgpr4
                                        ; implicit-def: $sgpr12_sgpr13
	v_cmpx_eq_u32_e32 0, v0
	s_cbranch_execz .LBB168_28
; %bb.25:
	s_waitcnt lgkmcnt(0)
	s_delay_alu instid0(VALU_DEP_2) | instskip(SKIP_4) | instid1(SALU_CYCLE_1)
	v_mul_f64 v[0:1], s[6:7], v[7:8]
	v_mul_f64 v[3:4], s[4:5], v[7:8]
	v_cmp_neq_f64_e64 s1, s[24:25], 0
	v_cmp_neq_f64_e64 s2, s[26:27], 0
	s_mul_i32 s12, s14, s28
	s_ashr_i32 s13, s12, 31
	s_delay_alu instid0(VALU_DEP_4) | instskip(NEXT) | instid1(VALU_DEP_4)
	v_fma_f64 v[1:2], s[4:5], v[5:6], -v[0:1]
	v_fma_f64 v[3:4], s[6:7], v[5:6], v[3:4]
	s_delay_alu instid0(VALU_DEP_3) | instskip(NEXT) | instid1(SALU_CYCLE_1)
	s_or_b32 s1, s1, s2
	s_and_not1_b32 vcc_lo, exec_lo, s1
	s_cbranch_vccnz .LBB168_27
; %bb.26:
	s_lshl_b64 s[2:3], s[12:13], 4
	s_delay_alu instid0(SALU_CYCLE_1)
	s_add_u32 s2, s18, s2
	s_addc_u32 s3, s19, s3
	s_load_b128 s[4:7], s[2:3], 0x0
	s_waitcnt lgkmcnt(0)
	v_mul_f64 v[5:6], s[26:27], s[6:7]
	v_mul_f64 v[7:8], s[24:25], s[6:7]
	s_delay_alu instid0(VALU_DEP_2) | instskip(NEXT) | instid1(VALU_DEP_2)
	v_fma_f64 v[5:6], s[24:25], s[4:5], -v[5:6]
	v_fma_f64 v[7:8], s[26:27], s[4:5], v[7:8]
	s_delay_alu instid0(VALU_DEP_2) | instskip(NEXT) | instid1(VALU_DEP_2)
	v_add_f64 v[1:2], v[1:2], v[5:6]
	v_add_f64 v[3:4], v[3:4], v[7:8]
.LBB168_27:
	s_or_b32 s29, s29, exec_lo
.LBB168_28:
	s_or_b32 exec_lo, exec_lo, s0
.LBB168_29:
	s_and_saveexec_b32 s0, s29
	s_cbranch_execz .LBB168_31
; %bb.30:
	s_lshl_b64 s[0:1], s[12:13], 4
	v_mov_b32_e32 v0, 0
	s_add_u32 s0, s18, s0
	s_addc_u32 s1, s19, s1
	global_store_b128 v0, v[1:4], s[0:1]
.LBB168_31:
	s_nop 0
	s_sendmsg sendmsg(MSG_DEALLOC_VGPRS)
	s_endpgm
	.section	.rodata,"a",@progbits
	.p2align	6, 0x0
	.amdhsa_kernel _ZL32rocblas_gemvt_warp_reduce_kernelILb0ELi256Ei19rocblas_complex_numIdEPKS1_S1_EviiT3_lPKT2_lT1_lS7_lS8_lS4_lPT4_lS8_li
		.amdhsa_group_segment_fixed_size 512
		.amdhsa_private_segment_fixed_size 0
		.amdhsa_kernarg_size 140
		.amdhsa_user_sgpr_count 14
		.amdhsa_user_sgpr_dispatch_ptr 0
		.amdhsa_user_sgpr_queue_ptr 0
		.amdhsa_user_sgpr_kernarg_segment_ptr 1
		.amdhsa_user_sgpr_dispatch_id 0
		.amdhsa_user_sgpr_private_segment_size 0
		.amdhsa_wavefront_size32 1
		.amdhsa_uses_dynamic_stack 0
		.amdhsa_enable_private_segment 0
		.amdhsa_system_sgpr_workgroup_id_x 1
		.amdhsa_system_sgpr_workgroup_id_y 0
		.amdhsa_system_sgpr_workgroup_id_z 1
		.amdhsa_system_sgpr_workgroup_info 0
		.amdhsa_system_vgpr_workitem_id 0
		.amdhsa_next_free_vgpr 21
		.amdhsa_next_free_sgpr 40
		.amdhsa_reserve_vcc 1
		.amdhsa_float_round_mode_32 0
		.amdhsa_float_round_mode_16_64 0
		.amdhsa_float_denorm_mode_32 3
		.amdhsa_float_denorm_mode_16_64 3
		.amdhsa_dx10_clamp 1
		.amdhsa_ieee_mode 1
		.amdhsa_fp16_overflow 0
		.amdhsa_workgroup_processor_mode 1
		.amdhsa_memory_ordered 1
		.amdhsa_forward_progress 0
		.amdhsa_shared_vgpr_count 0
		.amdhsa_exception_fp_ieee_invalid_op 0
		.amdhsa_exception_fp_denorm_src 0
		.amdhsa_exception_fp_ieee_div_zero 0
		.amdhsa_exception_fp_ieee_overflow 0
		.amdhsa_exception_fp_ieee_underflow 0
		.amdhsa_exception_fp_ieee_inexact 0
		.amdhsa_exception_int_div_zero 0
	.end_amdhsa_kernel
	.section	.text._ZL32rocblas_gemvt_warp_reduce_kernelILb0ELi256Ei19rocblas_complex_numIdEPKS1_S1_EviiT3_lPKT2_lT1_lS7_lS8_lS4_lPT4_lS8_li,"axG",@progbits,_ZL32rocblas_gemvt_warp_reduce_kernelILb0ELi256Ei19rocblas_complex_numIdEPKS1_S1_EviiT3_lPKT2_lT1_lS7_lS8_lS4_lPT4_lS8_li,comdat
.Lfunc_end168:
	.size	_ZL32rocblas_gemvt_warp_reduce_kernelILb0ELi256Ei19rocblas_complex_numIdEPKS1_S1_EviiT3_lPKT2_lT1_lS7_lS8_lS4_lPT4_lS8_li, .Lfunc_end168-_ZL32rocblas_gemvt_warp_reduce_kernelILb0ELi256Ei19rocblas_complex_numIdEPKS1_S1_EviiT3_lPKT2_lT1_lS7_lS8_lS4_lPT4_lS8_li
                                        ; -- End function
	.section	.AMDGPU.csdata,"",@progbits
; Kernel info:
; codeLenInByte = 2156
; NumSgprs: 42
; NumVgprs: 21
; ScratchSize: 0
; MemoryBound: 0
; FloatMode: 240
; IeeeMode: 1
; LDSByteSize: 512 bytes/workgroup (compile time only)
; SGPRBlocks: 5
; VGPRBlocks: 2
; NumSGPRsForWavesPerEU: 42
; NumVGPRsForWavesPerEU: 21
; Occupancy: 16
; WaveLimiterHint : 1
; COMPUTE_PGM_RSRC2:SCRATCH_EN: 0
; COMPUTE_PGM_RSRC2:USER_SGPR: 14
; COMPUTE_PGM_RSRC2:TRAP_HANDLER: 0
; COMPUTE_PGM_RSRC2:TGID_X_EN: 1
; COMPUTE_PGM_RSRC2:TGID_Y_EN: 0
; COMPUTE_PGM_RSRC2:TGID_Z_EN: 1
; COMPUTE_PGM_RSRC2:TIDIG_COMP_CNT: 0
	.section	.text._ZL32rocblas_gemvt_warp_reduce_kernelILb0ELi256El19rocblas_complex_numIdEPKS1_S1_EviiT3_lPKT2_lT1_lS7_lS8_lS4_lPT4_lS8_li,"axG",@progbits,_ZL32rocblas_gemvt_warp_reduce_kernelILb0ELi256El19rocblas_complex_numIdEPKS1_S1_EviiT3_lPKT2_lT1_lS7_lS8_lS4_lPT4_lS8_li,comdat
	.globl	_ZL32rocblas_gemvt_warp_reduce_kernelILb0ELi256El19rocblas_complex_numIdEPKS1_S1_EviiT3_lPKT2_lT1_lS7_lS8_lS4_lPT4_lS8_li ; -- Begin function _ZL32rocblas_gemvt_warp_reduce_kernelILb0ELi256El19rocblas_complex_numIdEPKS1_S1_EviiT3_lPKT2_lT1_lS7_lS8_lS4_lPT4_lS8_li
	.p2align	8
	.type	_ZL32rocblas_gemvt_warp_reduce_kernelILb0ELi256El19rocblas_complex_numIdEPKS1_S1_EviiT3_lPKT2_lT1_lS7_lS8_lS4_lPT4_lS8_li,@function
_ZL32rocblas_gemvt_warp_reduce_kernelILb0ELi256El19rocblas_complex_numIdEPKS1_S1_EviiT3_lPKT2_lT1_lS7_lS8_lS4_lPT4_lS8_li: ; @_ZL32rocblas_gemvt_warp_reduce_kernelILb0ELi256El19rocblas_complex_numIdEPKS1_S1_EviiT3_lPKT2_lT1_lS7_lS8_lS4_lPT4_lS8_li
; %bb.0:
	s_load_b512 s[36:51], s[0:1], 0x8
	s_waitcnt lgkmcnt(0)
	s_mul_i32 s3, s15, s39
	s_mul_hi_u32 s4, s15, s38
	s_mul_i32 s2, s15, s38
	s_add_i32 s3, s4, s3
	s_delay_alu instid0(SALU_CYCLE_1) | instskip(NEXT) | instid1(SALU_CYCLE_1)
	s_lshl_b64 s[2:3], s[2:3], 4
	s_add_u32 s2, s36, s2
	s_addc_u32 s3, s37, s3
	s_load_b128 s[4:7], s[2:3], 0x0
	s_load_b512 s[16:31], s[0:1], 0x48
	s_waitcnt lgkmcnt(0)
	v_cmp_neq_f64_e64 s12, s[4:5], 0
	v_cmp_neq_f64_e64 s13, s[6:7], 0
	s_mul_i32 s2, s15, s23
	s_mul_hi_u32 s3, s15, s22
	s_delay_alu instid0(SALU_CYCLE_1) | instskip(SKIP_1) | instid1(SALU_CYCLE_1)
	s_add_i32 s3, s3, s2
	s_mul_i32 s2, s15, s22
	s_lshl_b64 s[2:3], s[2:3], 4
	s_delay_alu instid0(SALU_CYCLE_1) | instskip(SKIP_3) | instid1(VALU_DEP_1)
	s_add_u32 s2, s20, s2
	s_addc_u32 s3, s21, s3
	s_load_b128 s[8:11], s[2:3], 0x0
	s_mov_b32 s3, -1
	s_or_b32 s2, s12, s13
	s_delay_alu instid0(SALU_CYCLE_1)
	s_and_b32 vcc_lo, exec_lo, s2
	s_cbranch_vccnz .LBB169_2
; %bb.1:
	s_waitcnt lgkmcnt(0)
	v_cmp_neq_f64_e64 s3, s[8:9], 1.0
	v_cmp_neq_f64_e64 s12, s[10:11], 0
	s_delay_alu instid0(VALU_DEP_1)
	s_or_b32 s3, s3, s12
.LBB169_2:
	s_delay_alu instid0(SALU_CYCLE_1)
	s_and_not1_b32 vcc_lo, exec_lo, s3
	s_cbranch_vccnz .LBB169_31
; %bb.3:
	s_mul_i32 s3, s15, s31
	s_mul_hi_u32 s13, s15, s30
	s_mul_i32 s12, s15, s30
	s_add_i32 s13, s13, s3
	s_xor_b32 s20, s2, -1
	s_lshl_b64 s[12:13], s[12:13], 4
	s_delay_alu instid0(SALU_CYCLE_1)
	s_add_u32 s12, s24, s12
	s_addc_u32 s13, s25, s13
	s_lshl_b64 s[2:3], s[26:27], 4
	s_mov_b32 s26, 0
	s_add_u32 s24, s12, s2
	v_cmp_eq_u32_e64 s2, 0, v0
	s_addc_u32 s25, s13, s3
	s_and_not1_b32 vcc_lo, exec_lo, s20
	s_cbranch_vccnz .LBB169_8
; %bb.4:
	s_mov_b32 s3, 0
                                        ; implicit-def: $vgpr3_vgpr4
                                        ; implicit-def: $sgpr12_sgpr13
	s_and_saveexec_b32 s20, s2
	s_cbranch_execz .LBB169_9
; %bb.5:
	s_waitcnt lgkmcnt(0)
	v_cmp_neq_f64_e64 s2, s[8:9], 0
	v_cmp_neq_f64_e64 s12, s[10:11], 0
	v_mov_b32_e32 v3, 0
	v_mov_b32_e32 v4, 0
	s_mul_i32 s13, s14, s29
	s_mul_hi_u32 s21, s14, s28
	s_delay_alu instid0(VALU_DEP_2)
	v_mov_b32_e32 v1, v3
	s_add_i32 s13, s21, s13
	v_mov_b32_e32 v2, v4
	s_or_b32 s2, s2, s12
	s_ashr_i32 s12, s14, 31
	s_and_not1_b32 vcc_lo, exec_lo, s2
	s_mul_i32 s12, s12, s28
	s_delay_alu instid0(SALU_CYCLE_1)
	s_add_i32 s13, s13, s12
	s_mul_i32 s12, s14, s28
	s_cbranch_vccnz .LBB169_7
; %bb.6:
	s_lshl_b64 s[22:23], s[12:13], 4
	s_delay_alu instid0(SALU_CYCLE_1)
	s_add_u32 s22, s24, s22
	s_addc_u32 s23, s25, s23
	s_load_b128 s[36:39], s[22:23], 0x0
	s_waitcnt lgkmcnt(0)
	v_mul_f64 v[1:2], s[10:11], s[38:39]
	v_mul_f64 v[3:4], s[8:9], s[38:39]
	s_delay_alu instid0(VALU_DEP_2) | instskip(NEXT) | instid1(VALU_DEP_2)
	v_fma_f64 v[1:2], s[8:9], s[36:37], -v[1:2]
	v_fma_f64 v[3:4], s[10:11], s[36:37], v[3:4]
.LBB169_7:
	s_mov_b32 s26, exec_lo
	s_or_b32 exec_lo, exec_lo, s20
	s_delay_alu instid0(SALU_CYCLE_1)
	s_and_b32 vcc_lo, exec_lo, s3
	s_cbranch_vccnz .LBB169_10
	s_branch .LBB169_29
.LBB169_8:
                                        ; implicit-def: $vgpr3_vgpr4
                                        ; implicit-def: $sgpr12_sgpr13
	s_cbranch_execnz .LBB169_10
	s_branch .LBB169_29
.LBB169_9:
	s_or_b32 exec_lo, exec_lo, s20
	s_delay_alu instid0(SALU_CYCLE_1)
	s_and_b32 vcc_lo, exec_lo, s3
	s_cbranch_vccz .LBB169_29
.LBB169_10:
	s_load_b32 s13, s[0:1], 0x0
	v_mov_b32_e32 v1, 0
	s_mul_i32 s0, s15, s19
	s_mul_hi_u32 s3, s15, s18
	s_mul_i32 s2, s15, s18
	s_add_i32 s3, s3, s0
	s_mul_i32 s12, s15, s47
	s_mul_hi_u32 s18, s15, s46
	s_mul_i32 s20, s15, s46
	s_ashr_i32 s1, s14, 31
	s_mul_i32 s15, s14, s45
	s_mul_hi_u32 s19, s14, s44
	s_add_i32 s21, s18, s12
	s_add_i32 s15, s19, s15
	s_mul_i32 s18, s1, s44
	s_mov_b32 s27, 0
	s_add_i32 s19, s15, s18
	s_mul_i32 s18, s14, s44
	s_mov_b32 s15, exec_lo
	s_waitcnt lgkmcnt(0)
	v_cmp_gt_i32_e32 vcc_lo, s13, v0
	v_mov_b32_e32 v2, 0
	s_ashr_i32 s0, s13, 31
	s_delay_alu instid0(SALU_CYCLE_1) | instskip(SKIP_2) | instid1(SALU_CYCLE_1)
	s_lshr_b32 s0, s0, 24
	v_cndmask_b32_e32 v3, 0, v0, vcc_lo
	s_add_i32 s0, s13, s0
	s_and_b32 s12, s0, 0xffffff00
	s_delay_alu instid0(VALU_DEP_1)
	v_dual_mov_b32 v4, v2 :: v_dual_lshlrev_b32 v9, 4, v3
	v_mov_b32_e32 v3, v1
	v_cmpx_gt_i32_e64 s12, v0
	s_cbranch_execz .LBB169_14
; %bb.11:
	v_mad_u64_u32 v[3:4], null, s16, v0, 0
	s_lshl_b64 s[30:31], s[50:51], 4
	s_lshl_b64 s[22:23], s[2:3], 4
	s_add_u32 s0, s48, s30
	s_addc_u32 s30, s49, s31
	s_add_u32 s0, s0, s22
	s_addc_u32 s33, s30, s23
	s_delay_alu instid0(VALU_DEP_1)
	v_mov_b32_e32 v1, v4
	s_lshl_b64 s[30:31], s[18:19], 4
	s_lshl_b64 s[34:35], s[20:21], 4
	;; [unrolled: 1-line block ×3, first 2 shown]
	s_add_u32 s34, s30, s34
	v_mad_u64_u32 v[4:5], null, s17, v0, v[1:2]
	s_addc_u32 s35, s31, s35
	s_lshl_b64 s[30:31], s[42:43], 4
	v_dual_mov_b32 v1, 0 :: v_dual_mov_b32 v10, v0
	s_add_u32 s30, s34, s30
	s_addc_u32 s31, s35, s31
	s_delay_alu instid0(VALU_DEP_2) | instskip(SKIP_3) | instid1(VALU_DEP_2)
	v_lshlrev_b64 v[3:4], 4, v[3:4]
	s_add_u32 s30, s40, s30
	s_addc_u32 s31, s41, s31
	v_mov_b32_e32 v2, 0
	v_add_co_u32 v3, vcc_lo, s0, v3
	s_delay_alu instid0(VALU_DEP_3) | instskip(SKIP_1) | instid1(VALU_DEP_1)
	v_add_co_ci_u32_e32 v4, vcc_lo, s33, v4, vcc_lo
	v_add_co_u32 v7, s0, s30, v9
	v_add_co_ci_u32_e64 v8, null, s31, 0, s0
	s_delay_alu instid0(VALU_DEP_4) | instskip(NEXT) | instid1(VALU_DEP_4)
	v_add_co_u32 v5, vcc_lo, v3, 8
	v_add_co_ci_u32_e32 v6, vcc_lo, 0, v4, vcc_lo
	s_delay_alu instid0(VALU_DEP_4) | instskip(NEXT) | instid1(VALU_DEP_4)
	v_add_co_u32 v7, vcc_lo, v7, 8
	v_add_co_ci_u32_e32 v8, vcc_lo, 0, v8, vcc_lo
	v_dual_mov_b32 v4, v2 :: v_dual_mov_b32 v3, v1
	.p2align	6
.LBB169_12:                             ; =>This Inner Loop Header: Depth=1
	global_load_b128 v[11:14], v[7:8], off offset:-8
	global_load_b128 v[15:18], v[5:6], off offset:-8
	v_add_nc_u32_e32 v10, 0x100, v10
	v_add_co_u32 v5, vcc_lo, v5, s22
	v_add_co_ci_u32_e32 v6, vcc_lo, s23, v6, vcc_lo
	s_delay_alu instid0(VALU_DEP_3) | instskip(SKIP_1) | instid1(VALU_DEP_1)
	v_cmp_le_i32_e32 vcc_lo, s12, v10
	v_add_co_u32 v7, s0, 0x1000, v7
	v_add_co_ci_u32_e64 v8, s0, 0, v8, s0
	s_or_b32 s27, vcc_lo, s27
	s_waitcnt vmcnt(0)
	v_mul_f64 v[19:20], v[13:14], v[17:18]
	v_mul_f64 v[17:18], v[11:12], v[17:18]
	s_delay_alu instid0(VALU_DEP_2) | instskip(NEXT) | instid1(VALU_DEP_2)
	v_fma_f64 v[11:12], v[11:12], v[15:16], -v[19:20]
	v_fma_f64 v[13:14], v[13:14], v[15:16], v[17:18]
	s_delay_alu instid0(VALU_DEP_2) | instskip(NEXT) | instid1(VALU_DEP_2)
	v_add_f64 v[3:4], v[3:4], v[11:12]
	v_add_f64 v[1:2], v[1:2], v[13:14]
	s_and_not1_b32 exec_lo, exec_lo, s27
	s_cbranch_execnz .LBB169_12
; %bb.13:
	s_or_b32 exec_lo, exec_lo, s27
.LBB169_14:
	s_delay_alu instid0(SALU_CYCLE_1) | instskip(SKIP_2) | instid1(VALU_DEP_1)
	s_or_b32 exec_lo, exec_lo, s15
	v_add_nc_u32_e32 v5, s12, v0
	s_mov_b32 s0, exec_lo
	v_cmpx_gt_i32_e64 s13, v5
	s_cbranch_execz .LBB169_16
; %bb.15:
	v_ashrrev_i32_e32 v6, 31, v5
	v_mul_lo_u32 v8, v5, s17
	s_lshl_b64 s[20:21], s[20:21], 4
	s_delay_alu instid0(SALU_CYCLE_1) | instskip(NEXT) | instid1(VALU_DEP_2)
	s_add_u32 s13, s40, s20
	v_mul_lo_u32 v10, v6, s16
	v_mad_u64_u32 v[6:7], null, v5, s16, 0
	s_addc_u32 s15, s41, s21
	s_lshl_b64 s[20:21], s[42:43], 4
	s_delay_alu instid0(SALU_CYCLE_1) | instskip(SKIP_2) | instid1(VALU_DEP_1)
	s_add_u32 s20, s13, s20
	s_addc_u32 s15, s15, s21
	s_lshl_b64 s[2:3], s[2:3], 4
	v_add3_u32 v7, v7, v8, v10
	s_lshl_b64 s[16:17], s[18:19], 4
	s_add_u32 s13, s48, s2
	s_addc_u32 s18, s49, s3
	s_lshl_b64 s[2:3], s[50:51], 4
	v_lshlrev_b64 v[5:6], 4, v[6:7]
	s_add_u32 s19, s13, s2
	s_addc_u32 s18, s18, s3
	s_ashr_i32 s13, s12, 31
	s_delay_alu instid0(SALU_CYCLE_1) | instskip(NEXT) | instid1(VALU_DEP_1)
	s_lshl_b64 s[2:3], s[12:13], 4
	v_add_co_u32 v10, vcc_lo, s19, v5
	s_add_u32 s2, s2, s16
	s_addc_u32 s3, s3, s17
	v_add_co_ci_u32_e32 v11, vcc_lo, s18, v6, vcc_lo
	s_add_u32 s2, s2, s20
	s_addc_u32 s3, s3, s15
	global_load_b128 v[5:8], v9, s[2:3]
	global_load_b128 v[9:12], v[10:11], off
	s_waitcnt vmcnt(0)
	v_mul_f64 v[13:14], v[7:8], v[11:12]
	v_mul_f64 v[11:12], v[5:6], v[11:12]
	s_delay_alu instid0(VALU_DEP_2) | instskip(NEXT) | instid1(VALU_DEP_2)
	v_fma_f64 v[5:6], v[5:6], v[9:10], -v[13:14]
	v_fma_f64 v[7:8], v[7:8], v[9:10], v[11:12]
	s_delay_alu instid0(VALU_DEP_2) | instskip(NEXT) | instid1(VALU_DEP_2)
	v_add_f64 v[3:4], v[3:4], v[5:6]
	v_add_f64 v[1:2], v[1:2], v[7:8]
.LBB169_16:
	s_or_b32 exec_lo, exec_lo, s0
	v_and_b32_e32 v13, 31, v0
	v_cmp_gt_u32_e32 vcc_lo, 32, v0
	s_delay_alu instid0(VALU_DEP_2)
	v_lshlrev_b32_e32 v9, 4, v13
	s_and_saveexec_b32 s0, vcc_lo
	s_cbranch_execz .LBB169_18
; %bb.17:
	v_mov_b32_e32 v5, 0
	s_delay_alu instid0(VALU_DEP_1)
	v_mov_b32_e32 v6, v5
	v_mov_b32_e32 v7, v5
	;; [unrolled: 1-line block ×3, first 2 shown]
	ds_store_b128 v9, v[5:8]
.LBB169_18:
	s_or_b32 exec_lo, exec_lo, s0
	v_mbcnt_lo_u32_b32 v12, -1, 0
	s_mov_b32 s2, exec_lo
	s_waitcnt lgkmcnt(0)
	s_barrier
	buffer_gl0_inv
	v_cmp_gt_u32_e64 s0, 16, v12
	s_delay_alu instid0(VALU_DEP_1) | instskip(SKIP_1) | instid1(VALU_DEP_2)
	v_cndmask_b32_e64 v5, 0, 1, s0
	v_cmp_gt_u32_e64 s0, 24, v12
	v_lshlrev_b32_e32 v5, 4, v5
	s_delay_alu instid0(VALU_DEP_1)
	v_add_lshl_u32 v8, v5, v12, 2
	ds_bpermute_b32 v5, v8, v3
	ds_bpermute_b32 v6, v8, v4
	;; [unrolled: 1-line block ×4, first 2 shown]
	s_waitcnt lgkmcnt(2)
	v_add_f64 v[3:4], v[3:4], v[5:6]
	v_cndmask_b32_e64 v5, 0, 1, s0
	s_waitcnt lgkmcnt(0)
	v_add_f64 v[1:2], v[1:2], v[7:8]
	v_cmp_gt_u32_e64 s0, 28, v12
	s_delay_alu instid0(VALU_DEP_3) | instskip(NEXT) | instid1(VALU_DEP_1)
	v_lshlrev_b32_e32 v5, 3, v5
	v_add_lshl_u32 v8, v5, v12, 2
	ds_bpermute_b32 v5, v8, v3
	ds_bpermute_b32 v6, v8, v4
	;; [unrolled: 1-line block ×4, first 2 shown]
	s_waitcnt lgkmcnt(2)
	v_add_f64 v[3:4], v[3:4], v[5:6]
	v_cndmask_b32_e64 v5, 0, 1, s0
	s_waitcnt lgkmcnt(0)
	v_add_f64 v[1:2], v[1:2], v[7:8]
	v_cmp_gt_u32_e64 s0, 30, v12
	s_delay_alu instid0(VALU_DEP_3) | instskip(NEXT) | instid1(VALU_DEP_1)
	v_lshlrev_b32_e32 v5, 2, v5
	v_add_lshl_u32 v10, v5, v12, 2
	ds_bpermute_b32 v5, v10, v3
	ds_bpermute_b32 v6, v10, v4
	;; [unrolled: 1-line block ×4, first 2 shown]
	s_waitcnt lgkmcnt(2)
	v_add_f64 v[3:4], v[3:4], v[5:6]
	s_waitcnt lgkmcnt(0)
	v_add_f64 v[5:6], v[1:2], v[7:8]
	v_cndmask_b32_e64 v1, 0, 1, s0
	v_cmp_ne_u32_e64 s0, 31, v12
	s_delay_alu instid0(VALU_DEP_2) | instskip(NEXT) | instid1(VALU_DEP_1)
	v_lshlrev_b32_e32 v1, 1, v1
	v_add_lshl_u32 v11, v1, v12, 2
	ds_bpermute_b32 v1, v11, v3
	ds_bpermute_b32 v2, v11, v4
	;; [unrolled: 1-line block ×4, first 2 shown]
	s_waitcnt lgkmcnt(2)
	v_add_f64 v[1:2], v[3:4], v[1:2]
	v_add_co_ci_u32_e64 v3, s0, 0, v12, s0
	s_waitcnt lgkmcnt(0)
	v_add_f64 v[5:6], v[5:6], v[7:8]
	s_delay_alu instid0(VALU_DEP_2)
	v_lshlrev_b32_e32 v12, 2, v3
	ds_bpermute_b32 v3, v12, v1
	ds_bpermute_b32 v4, v12, v2
	;; [unrolled: 1-line block ×4, first 2 shown]
	v_cmpx_eq_u32_e32 0, v13
	s_cbranch_execz .LBB169_20
; %bb.19:
	s_waitcnt lgkmcnt(0)
	v_add_f64 v[5:6], v[5:6], v[7:8]
	v_add_f64 v[3:4], v[1:2], v[3:4]
	v_lshrrev_b32_e32 v1, 1, v0
	s_delay_alu instid0(VALU_DEP_1)
	v_and_b32_e32 v1, 0x70, v1
	ds_store_b128 v1, v[3:6]
.LBB169_20:
	s_or_b32 exec_lo, exec_lo, s2
	s_waitcnt lgkmcnt(0)
	v_mov_b32_e32 v7, 0
	v_mov_b32_e32 v8, 0
	s_delay_alu instid0(VALU_DEP_2) | instskip(SKIP_2) | instid1(VALU_DEP_2)
	v_mov_b32_e32 v5, v7
	s_mov_b32 s2, exec_lo
	s_barrier
	v_mov_b32_e32 v6, v8
	buffer_gl0_inv
	v_cmpx_gt_u32_e32 8, v0
	s_cbranch_execz .LBB169_22
; %bb.21:
	ds_load_b128 v[5:8], v9
.LBB169_22:
	s_or_b32 exec_lo, exec_lo, s2
	s_and_saveexec_b32 s0, vcc_lo
	s_cbranch_execz .LBB169_24
; %bb.23:
	s_waitcnt lgkmcnt(0)
	ds_bpermute_b32 v1, v10, v5
	ds_bpermute_b32 v2, v10, v6
	ds_bpermute_b32 v3, v10, v7
	ds_bpermute_b32 v4, v10, v8
	s_waitcnt lgkmcnt(2)
	v_add_f64 v[1:2], v[5:6], v[1:2]
	s_waitcnt lgkmcnt(0)
	v_add_f64 v[3:4], v[7:8], v[3:4]
	ds_bpermute_b32 v5, v11, v1
	ds_bpermute_b32 v6, v11, v2
	ds_bpermute_b32 v7, v11, v3
	ds_bpermute_b32 v8, v11, v4
	s_waitcnt lgkmcnt(2)
	v_add_f64 v[1:2], v[1:2], v[5:6]
	s_waitcnt lgkmcnt(0)
	v_add_f64 v[3:4], v[3:4], v[7:8]
	;; [unrolled: 8-line block ×3, first 2 shown]
.LBB169_24:
	s_or_b32 exec_lo, exec_lo, s0
	s_delay_alu instid0(SALU_CYCLE_1)
	s_mov_b32 s0, exec_lo
                                        ; implicit-def: $vgpr3_vgpr4
                                        ; implicit-def: $sgpr12_sgpr13
	v_cmpx_eq_u32_e32 0, v0
	s_cbranch_execz .LBB169_28
; %bb.25:
	s_waitcnt lgkmcnt(0)
	s_delay_alu instid0(VALU_DEP_2)
	v_mul_f64 v[0:1], s[6:7], v[7:8]
	v_mul_f64 v[3:4], s[4:5], v[7:8]
	v_cmp_neq_f64_e64 s2, s[8:9], 0
	v_cmp_neq_f64_e64 s3, s[10:11], 0
	s_mul_i32 s1, s1, s28
	s_mul_i32 s12, s14, s28
	s_delay_alu instid0(VALU_DEP_4) | instskip(NEXT) | instid1(VALU_DEP_4)
	v_fma_f64 v[1:2], s[4:5], v[5:6], -v[0:1]
	v_fma_f64 v[3:4], s[6:7], v[5:6], v[3:4]
	s_mul_hi_u32 s4, s14, s28
	s_delay_alu instid0(VALU_DEP_3) | instskip(SKIP_3) | instid1(SALU_CYCLE_1)
	s_or_b32 s2, s2, s3
	s_mul_i32 s3, s14, s29
	s_and_not1_b32 vcc_lo, exec_lo, s2
	s_add_i32 s3, s4, s3
	s_add_i32 s13, s3, s1
	s_cbranch_vccnz .LBB169_27
; %bb.26:
	s_lshl_b64 s[2:3], s[12:13], 4
	s_delay_alu instid0(SALU_CYCLE_1)
	s_add_u32 s2, s24, s2
	s_addc_u32 s3, s25, s3
	s_load_b128 s[4:7], s[2:3], 0x0
	s_waitcnt lgkmcnt(0)
	v_mul_f64 v[5:6], s[10:11], s[6:7]
	v_mul_f64 v[7:8], s[8:9], s[6:7]
	s_delay_alu instid0(VALU_DEP_2) | instskip(NEXT) | instid1(VALU_DEP_2)
	v_fma_f64 v[5:6], s[8:9], s[4:5], -v[5:6]
	v_fma_f64 v[7:8], s[10:11], s[4:5], v[7:8]
	s_delay_alu instid0(VALU_DEP_2) | instskip(NEXT) | instid1(VALU_DEP_2)
	v_add_f64 v[1:2], v[1:2], v[5:6]
	v_add_f64 v[3:4], v[3:4], v[7:8]
.LBB169_27:
	s_or_b32 s26, s26, exec_lo
.LBB169_28:
	s_or_b32 exec_lo, exec_lo, s0
.LBB169_29:
	s_and_saveexec_b32 s0, s26
	s_cbranch_execz .LBB169_31
; %bb.30:
	s_lshl_b64 s[0:1], s[12:13], 4
	v_mov_b32_e32 v0, 0
	s_add_u32 s0, s24, s0
	s_addc_u32 s1, s25, s1
	global_store_b128 v0, v[1:4], s[0:1]
.LBB169_31:
	s_nop 0
	s_sendmsg sendmsg(MSG_DEALLOC_VGPRS)
	s_endpgm
	.section	.rodata,"a",@progbits
	.p2align	6, 0x0
	.amdhsa_kernel _ZL32rocblas_gemvt_warp_reduce_kernelILb0ELi256El19rocblas_complex_numIdEPKS1_S1_EviiT3_lPKT2_lT1_lS7_lS8_lS4_lPT4_lS8_li
		.amdhsa_group_segment_fixed_size 512
		.amdhsa_private_segment_fixed_size 0
		.amdhsa_kernarg_size 140
		.amdhsa_user_sgpr_count 14
		.amdhsa_user_sgpr_dispatch_ptr 0
		.amdhsa_user_sgpr_queue_ptr 0
		.amdhsa_user_sgpr_kernarg_segment_ptr 1
		.amdhsa_user_sgpr_dispatch_id 0
		.amdhsa_user_sgpr_private_segment_size 0
		.amdhsa_wavefront_size32 1
		.amdhsa_uses_dynamic_stack 0
		.amdhsa_enable_private_segment 0
		.amdhsa_system_sgpr_workgroup_id_x 1
		.amdhsa_system_sgpr_workgroup_id_y 0
		.amdhsa_system_sgpr_workgroup_id_z 1
		.amdhsa_system_sgpr_workgroup_info 0
		.amdhsa_system_vgpr_workitem_id 0
		.amdhsa_next_free_vgpr 21
		.amdhsa_next_free_sgpr 52
		.amdhsa_reserve_vcc 1
		.amdhsa_float_round_mode_32 0
		.amdhsa_float_round_mode_16_64 0
		.amdhsa_float_denorm_mode_32 3
		.amdhsa_float_denorm_mode_16_64 3
		.amdhsa_dx10_clamp 1
		.amdhsa_ieee_mode 1
		.amdhsa_fp16_overflow 0
		.amdhsa_workgroup_processor_mode 1
		.amdhsa_memory_ordered 1
		.amdhsa_forward_progress 0
		.amdhsa_shared_vgpr_count 0
		.amdhsa_exception_fp_ieee_invalid_op 0
		.amdhsa_exception_fp_denorm_src 0
		.amdhsa_exception_fp_ieee_div_zero 0
		.amdhsa_exception_fp_ieee_overflow 0
		.amdhsa_exception_fp_ieee_underflow 0
		.amdhsa_exception_fp_ieee_inexact 0
		.amdhsa_exception_int_div_zero 0
	.end_amdhsa_kernel
	.section	.text._ZL32rocblas_gemvt_warp_reduce_kernelILb0ELi256El19rocblas_complex_numIdEPKS1_S1_EviiT3_lPKT2_lT1_lS7_lS8_lS4_lPT4_lS8_li,"axG",@progbits,_ZL32rocblas_gemvt_warp_reduce_kernelILb0ELi256El19rocblas_complex_numIdEPKS1_S1_EviiT3_lPKT2_lT1_lS7_lS8_lS4_lPT4_lS8_li,comdat
.Lfunc_end169:
	.size	_ZL32rocblas_gemvt_warp_reduce_kernelILb0ELi256El19rocblas_complex_numIdEPKS1_S1_EviiT3_lPKT2_lT1_lS7_lS8_lS4_lPT4_lS8_li, .Lfunc_end169-_ZL32rocblas_gemvt_warp_reduce_kernelILb0ELi256El19rocblas_complex_numIdEPKS1_S1_EviiT3_lPKT2_lT1_lS7_lS8_lS4_lPT4_lS8_li
                                        ; -- End function
	.section	.AMDGPU.csdata,"",@progbits
; Kernel info:
; codeLenInByte = 2232
; NumSgprs: 54
; NumVgprs: 21
; ScratchSize: 0
; MemoryBound: 0
; FloatMode: 240
; IeeeMode: 1
; LDSByteSize: 512 bytes/workgroup (compile time only)
; SGPRBlocks: 6
; VGPRBlocks: 2
; NumSGPRsForWavesPerEU: 54
; NumVGPRsForWavesPerEU: 21
; Occupancy: 16
; WaveLimiterHint : 0
; COMPUTE_PGM_RSRC2:SCRATCH_EN: 0
; COMPUTE_PGM_RSRC2:USER_SGPR: 14
; COMPUTE_PGM_RSRC2:TRAP_HANDLER: 0
; COMPUTE_PGM_RSRC2:TGID_X_EN: 1
; COMPUTE_PGM_RSRC2:TGID_Y_EN: 0
; COMPUTE_PGM_RSRC2:TGID_Z_EN: 1
; COMPUTE_PGM_RSRC2:TIDIG_COMP_CNT: 0
	.section	.text._ZL32rocblas_gemvt_warp_reduce_kernelILb0ELi256Ei19rocblas_complex_numIdES1_S1_EviiT3_lPKT2_lT1_lS5_lS6_lS2_lPT4_lS6_li,"axG",@progbits,_ZL32rocblas_gemvt_warp_reduce_kernelILb0ELi256Ei19rocblas_complex_numIdES1_S1_EviiT3_lPKT2_lT1_lS5_lS6_lS2_lPT4_lS6_li,comdat
	.globl	_ZL32rocblas_gemvt_warp_reduce_kernelILb0ELi256Ei19rocblas_complex_numIdES1_S1_EviiT3_lPKT2_lT1_lS5_lS6_lS2_lPT4_lS6_li ; -- Begin function _ZL32rocblas_gemvt_warp_reduce_kernelILb0ELi256Ei19rocblas_complex_numIdES1_S1_EviiT3_lPKT2_lT1_lS5_lS6_lS2_lPT4_lS6_li
	.p2align	8
	.type	_ZL32rocblas_gemvt_warp_reduce_kernelILb0ELi256Ei19rocblas_complex_numIdES1_S1_EviiT3_lPKT2_lT1_lS5_lS6_lS2_lPT4_lS6_li,@function
_ZL32rocblas_gemvt_warp_reduce_kernelILb0ELi256Ei19rocblas_complex_numIdES1_S1_EviiT3_lPKT2_lT1_lS5_lS6_lS2_lPT4_lS6_li: ; @_ZL32rocblas_gemvt_warp_reduce_kernelILb0ELi256Ei19rocblas_complex_numIdES1_S1_EviiT3_lPKT2_lT1_lS5_lS6_lS2_lPT4_lS6_li
; %bb.0:
	s_clause 0x2
	s_load_b128 s[8:11], s[0:1], 0x8
	s_load_b128 s[4:7], s[0:1], 0x58
	s_load_b64 s[12:13], s[0:1], 0x68
	s_waitcnt lgkmcnt(0)
	v_cmp_neq_f64_e64 s2, s[8:9], 0
	v_cmp_neq_f64_e64 s3, s[10:11], 0
	s_delay_alu instid0(VALU_DEP_1)
	s_or_b32 s2, s2, s3
	s_mov_b32 s3, -1
	s_and_b32 vcc_lo, exec_lo, s2
	s_cbranch_vccnz .LBB170_2
; %bb.1:
	v_cmp_neq_f64_e64 s3, s[6:7], 1.0
	v_cmp_neq_f64_e64 s16, s[12:13], 0
	s_delay_alu instid0(VALU_DEP_1)
	s_or_b32 s3, s3, s16
.LBB170_2:
	s_delay_alu instid0(SALU_CYCLE_1)
	s_and_not1_b32 vcc_lo, exec_lo, s3
	s_cbranch_vccnz .LBB170_31
; %bb.3:
	s_clause 0x2
	s_load_b64 s[20:21], s[0:1], 0x90
	s_load_b128 s[16:19], s[0:1], 0x78
	s_load_b32 s26, s[0:1], 0x88
	s_xor_b32 s22, s2, -1
	s_mov_b32 s27, 0
	s_waitcnt lgkmcnt(0)
	s_mul_i32 s3, s15, s21
	s_mul_hi_u32 s21, s15, s20
	s_mul_i32 s2, s15, s20
	s_add_i32 s3, s21, s3
	s_delay_alu instid0(SALU_CYCLE_1) | instskip(NEXT) | instid1(SALU_CYCLE_1)
	s_lshl_b64 s[2:3], s[2:3], 4
	s_add_u32 s20, s16, s2
	s_addc_u32 s3, s17, s3
	s_lshl_b64 s[16:17], s[18:19], 4
	v_cmp_eq_u32_e64 s2, 0, v0
	s_add_u32 s24, s20, s16
	s_addc_u32 s25, s3, s17
	s_and_not1_b32 vcc_lo, exec_lo, s22
	s_cbranch_vccnz .LBB170_8
; %bb.4:
	s_mov_b32 s3, 0
                                        ; implicit-def: $vgpr3_vgpr4
                                        ; implicit-def: $sgpr16_sgpr17
	s_and_saveexec_b32 s18, s2
	s_cbranch_execz .LBB170_9
; %bb.5:
	v_cmp_neq_f64_e64 s2, s[6:7], 0
	v_cmp_neq_f64_e64 s16, s[12:13], 0
	v_mov_b32_e32 v3, 0
	v_mov_b32_e32 v4, 0
	s_delay_alu instid0(VALU_DEP_1) | instskip(NEXT) | instid1(VALU_DEP_4)
	v_dual_mov_b32 v1, v3 :: v_dual_mov_b32 v2, v4
	s_or_b32 s2, s2, s16
	s_mul_i32 s16, s14, s26
	s_and_not1_b32 vcc_lo, exec_lo, s2
	s_ashr_i32 s17, s16, 31
	s_cbranch_vccnz .LBB170_7
; %bb.6:
	s_lshl_b64 s[20:21], s[16:17], 4
	s_delay_alu instid0(SALU_CYCLE_1)
	s_add_u32 s20, s24, s20
	s_addc_u32 s21, s25, s21
	s_load_b128 s[20:23], s[20:21], 0x0
	s_waitcnt lgkmcnt(0)
	v_mul_f64 v[1:2], s[12:13], s[22:23]
	v_mul_f64 v[3:4], s[6:7], s[22:23]
	s_delay_alu instid0(VALU_DEP_2) | instskip(NEXT) | instid1(VALU_DEP_2)
	v_fma_f64 v[1:2], s[6:7], s[20:21], -v[1:2]
	v_fma_f64 v[3:4], s[12:13], s[20:21], v[3:4]
.LBB170_7:
	s_mov_b32 s27, exec_lo
	s_or_b32 exec_lo, exec_lo, s18
	s_delay_alu instid0(SALU_CYCLE_1)
	s_and_b32 vcc_lo, exec_lo, s3
	s_cbranch_vccnz .LBB170_10
	s_branch .LBB170_29
.LBB170_8:
                                        ; implicit-def: $vgpr3_vgpr4
                                        ; implicit-def: $sgpr16_sgpr17
	s_cbranch_execnz .LBB170_10
	s_branch .LBB170_29
.LBB170_9:
	s_or_b32 exec_lo, exec_lo, s18
	s_delay_alu instid0(SALU_CYCLE_1)
	s_and_b32 vcc_lo, exec_lo, s3
	s_cbranch_vccz .LBB170_29
.LBB170_10:
	s_clause 0x5
	s_load_b128 s[20:23], s[0:1], 0x38
	s_load_b64 s[28:29], s[0:1], 0x48
	s_load_b32 s3, s[0:1], 0x0
	s_load_b128 s[16:19], s[0:1], 0x20
	s_load_b32 s30, s[0:1], 0x30
	s_load_b32 s1, s[0:1], 0x50
	s_mul_i32 s2, s15, s5
	s_mul_hi_u32 s5, s15, s4
	s_mul_i32 s4, s15, s4
	s_add_i32 s5, s5, s2
	v_mov_b32_e32 v1, 0
	s_lshl_b64 s[4:5], s[4:5], 4
	s_waitcnt lgkmcnt(0)
	s_add_u32 s0, s22, s4
	s_mul_i32 s2, s15, s21
	v_cmp_gt_i32_e32 vcc_lo, s3, v0
	v_mov_b32_e32 v2, 0
	s_addc_u32 s21, s23, s5
	s_lshl_b64 s[4:5], s[28:29], 4
	s_mul_hi_u32 s28, s15, s20
	v_cndmask_b32_e32 v3, 0, v0, vcc_lo
	s_add_u32 s22, s0, s4
	s_addc_u32 s23, s21, s5
	s_ashr_i32 s0, s3, 31
	s_mul_i32 s4, s15, s20
	s_lshr_b32 s0, s0, 24
	v_dual_mov_b32 v4, v2 :: v_dual_lshlrev_b32 v9, 4, v3
	v_mov_b32_e32 v3, v1
	s_add_i32 s0, s3, s0
	s_mul_i32 s20, s14, s30
	s_add_i32 s5, s28, s2
	s_and_b32 s2, s0, 0xffffff00
	s_mov_b32 s28, 0
	s_ashr_i32 s21, s20, 31
	s_mov_b32 s15, exec_lo
	v_cmpx_gt_i32_e64 s2, v0
	s_cbranch_execz .LBB170_14
; %bb.11:
	s_lshl_b64 s[30:31], s[4:5], 4
	s_lshl_b64 s[34:35], s[18:19], 4
	v_dual_mov_b32 v1, 0 :: v_dual_mov_b32 v10, v0
	s_add_u32 s0, s30, s34
	s_addc_u32 s29, s31, s35
	s_lshl_b64 s[30:31], s[20:21], 4
	v_mov_b32_e32 v2, 0
	s_add_u32 s0, s0, s30
	s_addc_u32 s29, s29, s31
	s_add_u32 s0, s16, s0
	s_addc_u32 s29, s17, s29
	v_add_co_u32 v3, s0, s0, v9
	s_delay_alu instid0(VALU_DEP_1) | instskip(SKIP_1) | instid1(VALU_DEP_3)
	v_add_co_ci_u32_e64 v4, null, s29, 0, s0
	v_mul_lo_u32 v5, v0, s1
	v_add_co_u32 v7, vcc_lo, v3, 8
	s_delay_alu instid0(VALU_DEP_3)
	v_add_co_ci_u32_e32 v8, vcc_lo, 0, v4, vcc_lo
	v_dual_mov_b32 v4, v2 :: v_dual_mov_b32 v3, v1
	s_lshl_b32 s29, s1, 8
	s_set_inst_prefetch_distance 0x1
	.p2align	6
.LBB170_12:                             ; =>This Inner Loop Header: Depth=1
	s_delay_alu instid0(VALU_DEP_4) | instskip(SKIP_1) | instid1(VALU_DEP_2)
	v_ashrrev_i32_e32 v6, 31, v5
	v_add_nc_u32_e32 v10, 0x100, v10
	v_lshlrev_b64 v[11:12], 4, v[5:6]
	s_delay_alu instid0(VALU_DEP_2) | instskip(SKIP_1) | instid1(VALU_DEP_2)
	v_cmp_le_i32_e64 s0, s2, v10
	v_add_nc_u32_e32 v5, s29, v5
	s_or_b32 s28, s0, s28
	s_delay_alu instid0(VALU_DEP_3) | instskip(NEXT) | instid1(VALU_DEP_4)
	v_add_co_u32 v15, vcc_lo, s22, v11
	v_add_co_ci_u32_e32 v16, vcc_lo, s23, v12, vcc_lo
	global_load_b128 v[11:14], v[7:8], off offset:-8
	global_load_b128 v[15:18], v[15:16], off
	v_add_co_u32 v7, vcc_lo, 0x1000, v7
	v_add_co_ci_u32_e32 v8, vcc_lo, 0, v8, vcc_lo
	s_waitcnt vmcnt(0)
	v_mul_f64 v[19:20], v[13:14], v[17:18]
	v_mul_f64 v[17:18], v[11:12], v[17:18]
	s_delay_alu instid0(VALU_DEP_2) | instskip(NEXT) | instid1(VALU_DEP_2)
	v_fma_f64 v[11:12], v[11:12], v[15:16], -v[19:20]
	v_fma_f64 v[13:14], v[13:14], v[15:16], v[17:18]
	s_delay_alu instid0(VALU_DEP_2) | instskip(NEXT) | instid1(VALU_DEP_2)
	v_add_f64 v[3:4], v[3:4], v[11:12]
	v_add_f64 v[1:2], v[1:2], v[13:14]
	s_and_not1_b32 exec_lo, exec_lo, s28
	s_cbranch_execnz .LBB170_12
; %bb.13:
	s_set_inst_prefetch_distance 0x2
	s_or_b32 exec_lo, exec_lo, s28
.LBB170_14:
	s_delay_alu instid0(SALU_CYCLE_1) | instskip(SKIP_2) | instid1(VALU_DEP_1)
	s_or_b32 exec_lo, exec_lo, s15
	v_add_nc_u32_e32 v5, s2, v0
	s_mov_b32 s0, exec_lo
	v_cmpx_gt_i32_e64 s3, v5
	s_cbranch_execz .LBB170_16
; %bb.15:
	v_mul_lo_u32 v5, v5, s1
	s_lshl_b64 s[4:5], s[4:5], 4
	s_delay_alu instid0(SALU_CYCLE_1) | instskip(SKIP_2) | instid1(SALU_CYCLE_1)
	s_add_u32 s1, s16, s4
	s_addc_u32 s3, s17, s5
	s_lshl_b64 s[4:5], s[18:19], 4
	s_add_u32 s1, s1, s4
	s_delay_alu instid0(VALU_DEP_1)
	v_ashrrev_i32_e32 v6, 31, v5
	s_addc_u32 s15, s3, s5
	s_ashr_i32 s3, s2, 31
	s_lshl_b64 s[4:5], s[20:21], 4
	s_lshl_b64 s[2:3], s[2:3], 4
	v_lshlrev_b64 v[5:6], 4, v[5:6]
	s_add_u32 s2, s2, s4
	s_addc_u32 s3, s3, s5
	s_add_u32 s2, s2, s1
	s_addc_u32 s3, s3, s15
	s_delay_alu instid0(VALU_DEP_1)
	v_add_co_u32 v10, vcc_lo, s22, v5
	v_add_co_ci_u32_e32 v11, vcc_lo, s23, v6, vcc_lo
	global_load_b128 v[5:8], v9, s[2:3]
	global_load_b128 v[9:12], v[10:11], off
	s_waitcnt vmcnt(0)
	v_mul_f64 v[13:14], v[7:8], v[11:12]
	v_mul_f64 v[11:12], v[5:6], v[11:12]
	s_delay_alu instid0(VALU_DEP_2) | instskip(NEXT) | instid1(VALU_DEP_2)
	v_fma_f64 v[5:6], v[5:6], v[9:10], -v[13:14]
	v_fma_f64 v[7:8], v[7:8], v[9:10], v[11:12]
	s_delay_alu instid0(VALU_DEP_2) | instskip(NEXT) | instid1(VALU_DEP_2)
	v_add_f64 v[3:4], v[3:4], v[5:6]
	v_add_f64 v[1:2], v[1:2], v[7:8]
.LBB170_16:
	s_or_b32 exec_lo, exec_lo, s0
	v_and_b32_e32 v13, 31, v0
	v_cmp_gt_u32_e32 vcc_lo, 32, v0
	s_delay_alu instid0(VALU_DEP_2)
	v_lshlrev_b32_e32 v9, 4, v13
	s_and_saveexec_b32 s0, vcc_lo
	s_cbranch_execz .LBB170_18
; %bb.17:
	v_mov_b32_e32 v5, 0
	s_delay_alu instid0(VALU_DEP_1)
	v_mov_b32_e32 v6, v5
	v_mov_b32_e32 v7, v5
	;; [unrolled: 1-line block ×3, first 2 shown]
	ds_store_b128 v9, v[5:8]
.LBB170_18:
	s_or_b32 exec_lo, exec_lo, s0
	v_mbcnt_lo_u32_b32 v12, -1, 0
	s_mov_b32 s1, exec_lo
	s_waitcnt lgkmcnt(0)
	s_barrier
	buffer_gl0_inv
	v_cmp_gt_u32_e64 s0, 16, v12
	s_delay_alu instid0(VALU_DEP_1) | instskip(SKIP_1) | instid1(VALU_DEP_2)
	v_cndmask_b32_e64 v5, 0, 1, s0
	v_cmp_gt_u32_e64 s0, 24, v12
	v_lshlrev_b32_e32 v5, 4, v5
	s_delay_alu instid0(VALU_DEP_1)
	v_add_lshl_u32 v8, v5, v12, 2
	ds_bpermute_b32 v5, v8, v3
	ds_bpermute_b32 v6, v8, v4
	;; [unrolled: 1-line block ×4, first 2 shown]
	s_waitcnt lgkmcnt(2)
	v_add_f64 v[3:4], v[3:4], v[5:6]
	v_cndmask_b32_e64 v5, 0, 1, s0
	s_waitcnt lgkmcnt(0)
	v_add_f64 v[1:2], v[1:2], v[7:8]
	v_cmp_gt_u32_e64 s0, 28, v12
	s_delay_alu instid0(VALU_DEP_3) | instskip(NEXT) | instid1(VALU_DEP_1)
	v_lshlrev_b32_e32 v5, 3, v5
	v_add_lshl_u32 v8, v5, v12, 2
	ds_bpermute_b32 v5, v8, v3
	ds_bpermute_b32 v6, v8, v4
	;; [unrolled: 1-line block ×4, first 2 shown]
	s_waitcnt lgkmcnt(2)
	v_add_f64 v[3:4], v[3:4], v[5:6]
	v_cndmask_b32_e64 v5, 0, 1, s0
	s_waitcnt lgkmcnt(0)
	v_add_f64 v[1:2], v[1:2], v[7:8]
	v_cmp_gt_u32_e64 s0, 30, v12
	s_delay_alu instid0(VALU_DEP_3) | instskip(NEXT) | instid1(VALU_DEP_1)
	v_lshlrev_b32_e32 v5, 2, v5
	v_add_lshl_u32 v10, v5, v12, 2
	ds_bpermute_b32 v5, v10, v3
	ds_bpermute_b32 v6, v10, v4
	;; [unrolled: 1-line block ×4, first 2 shown]
	s_waitcnt lgkmcnt(2)
	v_add_f64 v[3:4], v[3:4], v[5:6]
	s_waitcnt lgkmcnt(0)
	v_add_f64 v[5:6], v[1:2], v[7:8]
	v_cndmask_b32_e64 v1, 0, 1, s0
	v_cmp_ne_u32_e64 s0, 31, v12
	s_delay_alu instid0(VALU_DEP_2) | instskip(NEXT) | instid1(VALU_DEP_1)
	v_lshlrev_b32_e32 v1, 1, v1
	v_add_lshl_u32 v11, v1, v12, 2
	ds_bpermute_b32 v1, v11, v3
	ds_bpermute_b32 v2, v11, v4
	;; [unrolled: 1-line block ×4, first 2 shown]
	s_waitcnt lgkmcnt(2)
	v_add_f64 v[1:2], v[3:4], v[1:2]
	v_add_co_ci_u32_e64 v3, s0, 0, v12, s0
	s_waitcnt lgkmcnt(0)
	v_add_f64 v[5:6], v[5:6], v[7:8]
	s_delay_alu instid0(VALU_DEP_2)
	v_lshlrev_b32_e32 v12, 2, v3
	ds_bpermute_b32 v3, v12, v1
	ds_bpermute_b32 v4, v12, v2
	;; [unrolled: 1-line block ×4, first 2 shown]
	v_cmpx_eq_u32_e32 0, v13
	s_cbranch_execz .LBB170_20
; %bb.19:
	s_waitcnt lgkmcnt(0)
	v_add_f64 v[5:6], v[5:6], v[7:8]
	v_add_f64 v[3:4], v[1:2], v[3:4]
	v_lshrrev_b32_e32 v1, 1, v0
	s_delay_alu instid0(VALU_DEP_1)
	v_and_b32_e32 v1, 0x70, v1
	ds_store_b128 v1, v[3:6]
.LBB170_20:
	s_or_b32 exec_lo, exec_lo, s1
	s_waitcnt lgkmcnt(0)
	v_mov_b32_e32 v7, 0
	v_mov_b32_e32 v8, 0
	s_delay_alu instid0(VALU_DEP_2) | instskip(SKIP_2) | instid1(VALU_DEP_2)
	v_mov_b32_e32 v5, v7
	s_mov_b32 s1, exec_lo
	s_barrier
	v_mov_b32_e32 v6, v8
	buffer_gl0_inv
	v_cmpx_gt_u32_e32 8, v0
	s_cbranch_execz .LBB170_22
; %bb.21:
	ds_load_b128 v[5:8], v9
.LBB170_22:
	s_or_b32 exec_lo, exec_lo, s1
	s_and_saveexec_b32 s0, vcc_lo
	s_cbranch_execz .LBB170_24
; %bb.23:
	s_waitcnt lgkmcnt(0)
	ds_bpermute_b32 v1, v10, v5
	ds_bpermute_b32 v2, v10, v6
	ds_bpermute_b32 v3, v10, v7
	ds_bpermute_b32 v4, v10, v8
	s_waitcnt lgkmcnt(2)
	v_add_f64 v[1:2], v[5:6], v[1:2]
	s_waitcnt lgkmcnt(0)
	v_add_f64 v[3:4], v[7:8], v[3:4]
	ds_bpermute_b32 v5, v11, v1
	ds_bpermute_b32 v6, v11, v2
	ds_bpermute_b32 v7, v11, v3
	ds_bpermute_b32 v8, v11, v4
	s_waitcnt lgkmcnt(2)
	v_add_f64 v[1:2], v[1:2], v[5:6]
	s_waitcnt lgkmcnt(0)
	v_add_f64 v[3:4], v[3:4], v[7:8]
	;; [unrolled: 8-line block ×3, first 2 shown]
.LBB170_24:
	s_or_b32 exec_lo, exec_lo, s0
	s_delay_alu instid0(SALU_CYCLE_1)
	s_mov_b32 s0, exec_lo
                                        ; implicit-def: $vgpr3_vgpr4
                                        ; implicit-def: $sgpr16_sgpr17
	v_cmpx_eq_u32_e32 0, v0
	s_cbranch_execz .LBB170_28
; %bb.25:
	s_waitcnt lgkmcnt(0)
	s_delay_alu instid0(VALU_DEP_2) | instskip(SKIP_4) | instid1(SALU_CYCLE_1)
	v_mul_f64 v[0:1], s[10:11], v[7:8]
	v_mul_f64 v[3:4], s[8:9], v[7:8]
	v_cmp_neq_f64_e64 s1, s[6:7], 0
	v_cmp_neq_f64_e64 s2, s[12:13], 0
	s_mul_i32 s16, s14, s26
	s_ashr_i32 s17, s16, 31
	s_delay_alu instid0(VALU_DEP_4) | instskip(NEXT) | instid1(VALU_DEP_4)
	v_fma_f64 v[1:2], s[8:9], v[5:6], -v[0:1]
	v_fma_f64 v[3:4], s[10:11], v[5:6], v[3:4]
	s_delay_alu instid0(VALU_DEP_3) | instskip(NEXT) | instid1(SALU_CYCLE_1)
	s_or_b32 s1, s1, s2
	s_and_not1_b32 vcc_lo, exec_lo, s1
	s_cbranch_vccnz .LBB170_27
; %bb.26:
	s_lshl_b64 s[2:3], s[16:17], 4
	s_delay_alu instid0(SALU_CYCLE_1)
	s_add_u32 s2, s24, s2
	s_addc_u32 s3, s25, s3
	s_load_b128 s[8:11], s[2:3], 0x0
	s_waitcnt lgkmcnt(0)
	v_mul_f64 v[5:6], s[12:13], s[10:11]
	v_mul_f64 v[7:8], s[6:7], s[10:11]
	s_delay_alu instid0(VALU_DEP_2) | instskip(NEXT) | instid1(VALU_DEP_2)
	v_fma_f64 v[5:6], s[6:7], s[8:9], -v[5:6]
	v_fma_f64 v[7:8], s[12:13], s[8:9], v[7:8]
	s_delay_alu instid0(VALU_DEP_2) | instskip(NEXT) | instid1(VALU_DEP_2)
	v_add_f64 v[1:2], v[1:2], v[5:6]
	v_add_f64 v[3:4], v[3:4], v[7:8]
.LBB170_27:
	s_or_b32 s27, s27, exec_lo
.LBB170_28:
	s_or_b32 exec_lo, exec_lo, s0
.LBB170_29:
	s_and_saveexec_b32 s0, s27
	s_cbranch_execz .LBB170_31
; %bb.30:
	s_lshl_b64 s[0:1], s[16:17], 4
	v_mov_b32_e32 v0, 0
	s_add_u32 s0, s24, s0
	s_addc_u32 s1, s25, s1
	global_store_b128 v0, v[1:4], s[0:1]
.LBB170_31:
	s_nop 0
	s_sendmsg sendmsg(MSG_DEALLOC_VGPRS)
	s_endpgm
	.section	.rodata,"a",@progbits
	.p2align	6, 0x0
	.amdhsa_kernel _ZL32rocblas_gemvt_warp_reduce_kernelILb0ELi256Ei19rocblas_complex_numIdES1_S1_EviiT3_lPKT2_lT1_lS5_lS6_lS2_lPT4_lS6_li
		.amdhsa_group_segment_fixed_size 512
		.amdhsa_private_segment_fixed_size 0
		.amdhsa_kernarg_size 156
		.amdhsa_user_sgpr_count 14
		.amdhsa_user_sgpr_dispatch_ptr 0
		.amdhsa_user_sgpr_queue_ptr 0
		.amdhsa_user_sgpr_kernarg_segment_ptr 1
		.amdhsa_user_sgpr_dispatch_id 0
		.amdhsa_user_sgpr_private_segment_size 0
		.amdhsa_wavefront_size32 1
		.amdhsa_uses_dynamic_stack 0
		.amdhsa_enable_private_segment 0
		.amdhsa_system_sgpr_workgroup_id_x 1
		.amdhsa_system_sgpr_workgroup_id_y 0
		.amdhsa_system_sgpr_workgroup_id_z 1
		.amdhsa_system_sgpr_workgroup_info 0
		.amdhsa_system_vgpr_workitem_id 0
		.amdhsa_next_free_vgpr 21
		.amdhsa_next_free_sgpr 36
		.amdhsa_reserve_vcc 1
		.amdhsa_float_round_mode_32 0
		.amdhsa_float_round_mode_16_64 0
		.amdhsa_float_denorm_mode_32 3
		.amdhsa_float_denorm_mode_16_64 3
		.amdhsa_dx10_clamp 1
		.amdhsa_ieee_mode 1
		.amdhsa_fp16_overflow 0
		.amdhsa_workgroup_processor_mode 1
		.amdhsa_memory_ordered 1
		.amdhsa_forward_progress 0
		.amdhsa_shared_vgpr_count 0
		.amdhsa_exception_fp_ieee_invalid_op 0
		.amdhsa_exception_fp_denorm_src 0
		.amdhsa_exception_fp_ieee_div_zero 0
		.amdhsa_exception_fp_ieee_overflow 0
		.amdhsa_exception_fp_ieee_underflow 0
		.amdhsa_exception_fp_ieee_inexact 0
		.amdhsa_exception_int_div_zero 0
	.end_amdhsa_kernel
	.section	.text._ZL32rocblas_gemvt_warp_reduce_kernelILb0ELi256Ei19rocblas_complex_numIdES1_S1_EviiT3_lPKT2_lT1_lS5_lS6_lS2_lPT4_lS6_li,"axG",@progbits,_ZL32rocblas_gemvt_warp_reduce_kernelILb0ELi256Ei19rocblas_complex_numIdES1_S1_EviiT3_lPKT2_lT1_lS5_lS6_lS2_lPT4_lS6_li,comdat
.Lfunc_end170:
	.size	_ZL32rocblas_gemvt_warp_reduce_kernelILb0ELi256Ei19rocblas_complex_numIdES1_S1_EviiT3_lPKT2_lT1_lS5_lS6_lS2_lPT4_lS6_li, .Lfunc_end170-_ZL32rocblas_gemvt_warp_reduce_kernelILb0ELi256Ei19rocblas_complex_numIdES1_S1_EviiT3_lPKT2_lT1_lS5_lS6_lS2_lPT4_lS6_li
                                        ; -- End function
	.section	.AMDGPU.csdata,"",@progbits
; Kernel info:
; codeLenInByte = 2084
; NumSgprs: 38
; NumVgprs: 21
; ScratchSize: 0
; MemoryBound: 0
; FloatMode: 240
; IeeeMode: 1
; LDSByteSize: 512 bytes/workgroup (compile time only)
; SGPRBlocks: 4
; VGPRBlocks: 2
; NumSGPRsForWavesPerEU: 38
; NumVGPRsForWavesPerEU: 21
; Occupancy: 16
; WaveLimiterHint : 1
; COMPUTE_PGM_RSRC2:SCRATCH_EN: 0
; COMPUTE_PGM_RSRC2:USER_SGPR: 14
; COMPUTE_PGM_RSRC2:TRAP_HANDLER: 0
; COMPUTE_PGM_RSRC2:TGID_X_EN: 1
; COMPUTE_PGM_RSRC2:TGID_Y_EN: 0
; COMPUTE_PGM_RSRC2:TGID_Z_EN: 1
; COMPUTE_PGM_RSRC2:TIDIG_COMP_CNT: 0
	.section	.text._ZL32rocblas_gemvt_warp_reduce_kernelILb0ELi256El19rocblas_complex_numIdES1_S1_EviiT3_lPKT2_lT1_lS5_lS6_lS2_lPT4_lS6_li,"axG",@progbits,_ZL32rocblas_gemvt_warp_reduce_kernelILb0ELi256El19rocblas_complex_numIdES1_S1_EviiT3_lPKT2_lT1_lS5_lS6_lS2_lPT4_lS6_li,comdat
	.globl	_ZL32rocblas_gemvt_warp_reduce_kernelILb0ELi256El19rocblas_complex_numIdES1_S1_EviiT3_lPKT2_lT1_lS5_lS6_lS2_lPT4_lS6_li ; -- Begin function _ZL32rocblas_gemvt_warp_reduce_kernelILb0ELi256El19rocblas_complex_numIdES1_S1_EviiT3_lPKT2_lT1_lS5_lS6_lS2_lPT4_lS6_li
	.p2align	8
	.type	_ZL32rocblas_gemvt_warp_reduce_kernelILb0ELi256El19rocblas_complex_numIdES1_S1_EviiT3_lPKT2_lT1_lS5_lS6_lS2_lPT4_lS6_li,@function
_ZL32rocblas_gemvt_warp_reduce_kernelILb0ELi256El19rocblas_complex_numIdES1_S1_EviiT3_lPKT2_lT1_lS5_lS6_lS2_lPT4_lS6_li: ; @_ZL32rocblas_gemvt_warp_reduce_kernelILb0ELi256El19rocblas_complex_numIdES1_S1_EviiT3_lPKT2_lT1_lS5_lS6_lS2_lPT4_lS6_li
; %bb.0:
	s_clause 0x1
	s_load_b128 s[40:43], s[0:1], 0x8
	s_load_b128 s[36:39], s[0:1], 0x60
	s_waitcnt lgkmcnt(0)
	v_cmp_neq_f64_e64 s2, s[40:41], 0
	v_cmp_neq_f64_e64 s3, s[42:43], 0
	s_delay_alu instid0(VALU_DEP_1)
	s_or_b32 s2, s2, s3
	s_mov_b32 s3, -1
	s_and_b32 vcc_lo, exec_lo, s2
	s_cbranch_vccnz .LBB171_2
; %bb.1:
	v_cmp_neq_f64_e64 s3, s[36:37], 1.0
	v_cmp_neq_f64_e64 s4, s[38:39], 0
	s_delay_alu instid0(VALU_DEP_1)
	s_or_b32 s3, s3, s4
.LBB171_2:
	s_delay_alu instid0(SALU_CYCLE_1)
	s_and_not1_b32 vcc_lo, exec_lo, s3
	s_cbranch_vccnz .LBB171_31
; %bb.3:
	s_load_b256 s[4:11], s[0:1], 0x78
	s_xor_b32 s12, s2, -1
	s_mov_b32 s35, 0
	s_waitcnt lgkmcnt(0)
	s_mul_i32 s3, s15, s11
	s_mul_hi_u32 s11, s15, s10
	s_mul_i32 s2, s15, s10
	s_add_i32 s3, s11, s3
	s_delay_alu instid0(SALU_CYCLE_1) | instskip(NEXT) | instid1(SALU_CYCLE_1)
	s_lshl_b64 s[2:3], s[2:3], 4
	s_add_u32 s10, s4, s2
	s_addc_u32 s3, s5, s3
	s_lshl_b64 s[4:5], s[6:7], 4
	v_cmp_eq_u32_e64 s2, 0, v0
	s_add_u32 s33, s10, s4
	s_addc_u32 s34, s3, s5
	s_and_not1_b32 vcc_lo, exec_lo, s12
	s_cbranch_vccnz .LBB171_8
; %bb.4:
	s_mov_b32 s3, 0
                                        ; implicit-def: $vgpr3_vgpr4
                                        ; implicit-def: $sgpr4_sgpr5
	s_and_saveexec_b32 s6, s2
	s_cbranch_execz .LBB171_9
; %bb.5:
	v_cmp_neq_f64_e64 s2, s[36:37], 0
	v_cmp_neq_f64_e64 s4, s[38:39], 0
	v_mov_b32_e32 v3, 0
	v_mov_b32_e32 v4, 0
	s_mul_i32 s5, s14, s9
	s_mul_hi_u32 s7, s14, s8
	s_delay_alu instid0(VALU_DEP_2)
	v_mov_b32_e32 v1, v3
	s_add_i32 s5, s7, s5
	v_mov_b32_e32 v2, v4
	s_or_b32 s2, s2, s4
	s_ashr_i32 s4, s14, 31
	s_and_not1_b32 vcc_lo, exec_lo, s2
	s_mul_i32 s4, s4, s8
	s_delay_alu instid0(SALU_CYCLE_1)
	s_add_i32 s5, s5, s4
	s_mul_i32 s4, s14, s8
	s_cbranch_vccnz .LBB171_7
; %bb.6:
	s_lshl_b64 s[10:11], s[4:5], 4
	s_delay_alu instid0(SALU_CYCLE_1)
	s_add_u32 s10, s33, s10
	s_addc_u32 s11, s34, s11
	s_load_b128 s[16:19], s[10:11], 0x0
	s_waitcnt lgkmcnt(0)
	v_mul_f64 v[1:2], s[38:39], s[18:19]
	v_mul_f64 v[3:4], s[36:37], s[18:19]
	s_delay_alu instid0(VALU_DEP_2) | instskip(NEXT) | instid1(VALU_DEP_2)
	v_fma_f64 v[1:2], s[36:37], s[16:17], -v[1:2]
	v_fma_f64 v[3:4], s[38:39], s[16:17], v[3:4]
.LBB171_7:
	s_mov_b32 s35, exec_lo
	s_or_b32 exec_lo, exec_lo, s6
	s_delay_alu instid0(SALU_CYCLE_1)
	s_and_b32 vcc_lo, exec_lo, s3
	s_cbranch_vccnz .LBB171_10
	s_branch .LBB171_29
.LBB171_8:
                                        ; implicit-def: $vgpr3_vgpr4
                                        ; implicit-def: $sgpr4_sgpr5
	s_cbranch_execnz .LBB171_10
	s_branch .LBB171_29
.LBB171_9:
	s_or_b32 exec_lo, exec_lo, s6
	s_delay_alu instid0(SALU_CYCLE_1)
	s_and_b32 vcc_lo, exec_lo, s3
	s_cbranch_vccz .LBB171_29
.LBB171_10:
	s_clause 0x1
	s_load_b512 s[16:31], s[0:1], 0x20
	s_load_b32 s5, s[0:1], 0x0
	v_mov_b32_e32 v1, 0
	s_ashr_i32 s1, s14, 31
	s_waitcnt lgkmcnt(0)
	s_mul_i32 s0, s15, s31
	v_cmp_gt_i32_e32 vcc_lo, s5, v0
	v_mov_b32_e32 v2, 0
	s_mul_hi_u32 s3, s15, s30
	s_ashr_i32 s11, s5, 31
	s_mul_i32 s4, s15, s23
	v_cndmask_b32_e32 v3, 0, v0, vcc_lo
	s_mul_hi_u32 s6, s15, s22
	s_mul_i32 s7, s14, s21
	s_mul_hi_u32 s12, s14, s20
	s_add_i32 s3, s3, s0
	s_lshr_b32 s0, s11, 24
	v_dual_mov_b32 v4, v2 :: v_dual_lshlrev_b32 v9, 4, v3
	v_mov_b32_e32 v3, v1
	s_mul_i32 s13, s1, s20
	s_add_i32 s11, s6, s4
	s_add_i32 s0, s5, s0
	;; [unrolled: 1-line block ×3, first 2 shown]
	s_mul_i32 s2, s15, s30
	s_mul_i32 s10, s15, s22
	s_and_b32 s4, s0, 0xffffff00
	s_mov_b32 s21, 0
	s_add_i32 s7, s6, s13
	s_mul_i32 s6, s14, s20
	s_mov_b32 s15, exec_lo
	v_cmpx_gt_i32_e64 s4, v0
	s_cbranch_execz .LBB171_14
; %bb.11:
	v_mad_u64_u32 v[3:4], null, s28, v0, 0
	s_lshl_b64 s[22:23], s[26:27], 4
	s_lshl_b64 s[12:13], s[2:3], 4
	s_add_u32 s0, s24, s22
	s_addc_u32 s20, s25, s23
	s_add_u32 s0, s0, s12
	s_addc_u32 s20, s20, s13
	s_delay_alu instid0(VALU_DEP_1)
	v_mov_b32_e32 v1, v4
	s_lshl_b64 s[22:23], s[6:7], 4
	s_lshl_b64 s[30:31], s[10:11], 4
	s_lshl_b64 s[12:13], s[28:29], 12
	s_add_u32 s30, s22, s30
	v_mad_u64_u32 v[4:5], null, s29, v0, v[1:2]
	s_addc_u32 s31, s23, s31
	s_lshl_b64 s[22:23], s[18:19], 4
	v_dual_mov_b32 v1, 0 :: v_dual_mov_b32 v10, v0
	s_add_u32 s22, s30, s22
	s_addc_u32 s23, s31, s23
	s_delay_alu instid0(VALU_DEP_2) | instskip(SKIP_3) | instid1(VALU_DEP_2)
	v_lshlrev_b64 v[3:4], 4, v[3:4]
	s_add_u32 s22, s16, s22
	s_addc_u32 s23, s17, s23
	v_mov_b32_e32 v2, 0
	v_add_co_u32 v3, vcc_lo, s0, v3
	s_delay_alu instid0(VALU_DEP_3) | instskip(SKIP_1) | instid1(VALU_DEP_1)
	v_add_co_ci_u32_e32 v4, vcc_lo, s20, v4, vcc_lo
	v_add_co_u32 v7, s0, s22, v9
	v_add_co_ci_u32_e64 v8, null, s23, 0, s0
	s_delay_alu instid0(VALU_DEP_4) | instskip(NEXT) | instid1(VALU_DEP_4)
	v_add_co_u32 v5, vcc_lo, v3, 8
	v_add_co_ci_u32_e32 v6, vcc_lo, 0, v4, vcc_lo
	s_delay_alu instid0(VALU_DEP_4) | instskip(NEXT) | instid1(VALU_DEP_4)
	v_add_co_u32 v7, vcc_lo, v7, 8
	v_add_co_ci_u32_e32 v8, vcc_lo, 0, v8, vcc_lo
	v_dual_mov_b32 v4, v2 :: v_dual_mov_b32 v3, v1
	.p2align	6
.LBB171_12:                             ; =>This Inner Loop Header: Depth=1
	global_load_b128 v[11:14], v[7:8], off offset:-8
	global_load_b128 v[15:18], v[5:6], off offset:-8
	v_add_nc_u32_e32 v10, 0x100, v10
	v_add_co_u32 v5, vcc_lo, v5, s12
	v_add_co_ci_u32_e32 v6, vcc_lo, s13, v6, vcc_lo
	s_delay_alu instid0(VALU_DEP_3) | instskip(SKIP_1) | instid1(VALU_DEP_1)
	v_cmp_le_i32_e32 vcc_lo, s4, v10
	v_add_co_u32 v7, s0, 0x1000, v7
	v_add_co_ci_u32_e64 v8, s0, 0, v8, s0
	s_or_b32 s21, vcc_lo, s21
	s_waitcnt vmcnt(0)
	v_mul_f64 v[19:20], v[13:14], v[17:18]
	v_mul_f64 v[17:18], v[11:12], v[17:18]
	s_delay_alu instid0(VALU_DEP_2) | instskip(NEXT) | instid1(VALU_DEP_2)
	v_fma_f64 v[11:12], v[11:12], v[15:16], -v[19:20]
	v_fma_f64 v[13:14], v[13:14], v[15:16], v[17:18]
	s_delay_alu instid0(VALU_DEP_2) | instskip(NEXT) | instid1(VALU_DEP_2)
	v_add_f64 v[3:4], v[3:4], v[11:12]
	v_add_f64 v[1:2], v[1:2], v[13:14]
	s_and_not1_b32 exec_lo, exec_lo, s21
	s_cbranch_execnz .LBB171_12
; %bb.13:
	s_or_b32 exec_lo, exec_lo, s21
.LBB171_14:
	s_delay_alu instid0(SALU_CYCLE_1) | instskip(SKIP_2) | instid1(VALU_DEP_1)
	s_or_b32 exec_lo, exec_lo, s15
	v_add_nc_u32_e32 v5, s4, v0
	s_mov_b32 s0, exec_lo
	v_cmpx_gt_i32_e64 s5, v5
	s_cbranch_execz .LBB171_16
; %bb.15:
	v_ashrrev_i32_e32 v6, 31, v5
	v_mul_lo_u32 v8, v5, s29
	s_lshl_b64 s[10:11], s[10:11], 4
	s_delay_alu instid0(SALU_CYCLE_1) | instskip(NEXT) | instid1(VALU_DEP_2)
	s_add_u32 s5, s16, s10
	v_mul_lo_u32 v10, v6, s28
	v_mad_u64_u32 v[6:7], null, v5, s28, 0
	s_addc_u32 s12, s17, s11
	s_lshl_b64 s[10:11], s[18:19], 4
	s_delay_alu instid0(SALU_CYCLE_1) | instskip(SKIP_2) | instid1(VALU_DEP_1)
	s_add_u32 s10, s5, s10
	s_addc_u32 s11, s12, s11
	s_lshl_b64 s[2:3], s[2:3], 4
	v_add3_u32 v7, v7, v8, v10
	s_lshl_b64 s[6:7], s[6:7], 4
	s_add_u32 s5, s24, s2
	s_addc_u32 s12, s25, s3
	s_lshl_b64 s[2:3], s[26:27], 4
	v_lshlrev_b64 v[5:6], 4, v[6:7]
	s_add_u32 s13, s5, s2
	s_addc_u32 s12, s12, s3
	s_ashr_i32 s5, s4, 31
	s_delay_alu instid0(SALU_CYCLE_1) | instskip(NEXT) | instid1(VALU_DEP_1)
	s_lshl_b64 s[2:3], s[4:5], 4
	v_add_co_u32 v10, vcc_lo, s13, v5
	s_add_u32 s2, s2, s6
	s_addc_u32 s3, s3, s7
	v_add_co_ci_u32_e32 v11, vcc_lo, s12, v6, vcc_lo
	s_add_u32 s2, s2, s10
	s_addc_u32 s3, s3, s11
	global_load_b128 v[5:8], v9, s[2:3]
	global_load_b128 v[9:12], v[10:11], off
	s_waitcnt vmcnt(0)
	v_mul_f64 v[13:14], v[7:8], v[11:12]
	v_mul_f64 v[11:12], v[5:6], v[11:12]
	s_delay_alu instid0(VALU_DEP_2) | instskip(NEXT) | instid1(VALU_DEP_2)
	v_fma_f64 v[5:6], v[5:6], v[9:10], -v[13:14]
	v_fma_f64 v[7:8], v[7:8], v[9:10], v[11:12]
	s_delay_alu instid0(VALU_DEP_2) | instskip(NEXT) | instid1(VALU_DEP_2)
	v_add_f64 v[3:4], v[3:4], v[5:6]
	v_add_f64 v[1:2], v[1:2], v[7:8]
.LBB171_16:
	s_or_b32 exec_lo, exec_lo, s0
	v_and_b32_e32 v13, 31, v0
	v_cmp_gt_u32_e32 vcc_lo, 32, v0
	s_delay_alu instid0(VALU_DEP_2)
	v_lshlrev_b32_e32 v9, 4, v13
	s_and_saveexec_b32 s0, vcc_lo
	s_cbranch_execz .LBB171_18
; %bb.17:
	v_mov_b32_e32 v5, 0
	s_delay_alu instid0(VALU_DEP_1)
	v_mov_b32_e32 v6, v5
	v_mov_b32_e32 v7, v5
	;; [unrolled: 1-line block ×3, first 2 shown]
	ds_store_b128 v9, v[5:8]
.LBB171_18:
	s_or_b32 exec_lo, exec_lo, s0
	v_mbcnt_lo_u32_b32 v12, -1, 0
	s_mov_b32 s2, exec_lo
	s_waitcnt lgkmcnt(0)
	s_barrier
	buffer_gl0_inv
	v_cmp_gt_u32_e64 s0, 16, v12
	s_delay_alu instid0(VALU_DEP_1) | instskip(SKIP_1) | instid1(VALU_DEP_2)
	v_cndmask_b32_e64 v5, 0, 1, s0
	v_cmp_gt_u32_e64 s0, 24, v12
	v_lshlrev_b32_e32 v5, 4, v5
	s_delay_alu instid0(VALU_DEP_1)
	v_add_lshl_u32 v8, v5, v12, 2
	ds_bpermute_b32 v5, v8, v3
	ds_bpermute_b32 v6, v8, v4
	;; [unrolled: 1-line block ×4, first 2 shown]
	s_waitcnt lgkmcnt(2)
	v_add_f64 v[3:4], v[3:4], v[5:6]
	v_cndmask_b32_e64 v5, 0, 1, s0
	s_waitcnt lgkmcnt(0)
	v_add_f64 v[1:2], v[1:2], v[7:8]
	v_cmp_gt_u32_e64 s0, 28, v12
	s_delay_alu instid0(VALU_DEP_3) | instskip(NEXT) | instid1(VALU_DEP_1)
	v_lshlrev_b32_e32 v5, 3, v5
	v_add_lshl_u32 v8, v5, v12, 2
	ds_bpermute_b32 v5, v8, v3
	ds_bpermute_b32 v6, v8, v4
	;; [unrolled: 1-line block ×4, first 2 shown]
	s_waitcnt lgkmcnt(2)
	v_add_f64 v[3:4], v[3:4], v[5:6]
	v_cndmask_b32_e64 v5, 0, 1, s0
	s_waitcnt lgkmcnt(0)
	v_add_f64 v[1:2], v[1:2], v[7:8]
	v_cmp_gt_u32_e64 s0, 30, v12
	s_delay_alu instid0(VALU_DEP_3) | instskip(NEXT) | instid1(VALU_DEP_1)
	v_lshlrev_b32_e32 v5, 2, v5
	v_add_lshl_u32 v10, v5, v12, 2
	ds_bpermute_b32 v5, v10, v3
	ds_bpermute_b32 v6, v10, v4
	;; [unrolled: 1-line block ×4, first 2 shown]
	s_waitcnt lgkmcnt(2)
	v_add_f64 v[3:4], v[3:4], v[5:6]
	s_waitcnt lgkmcnt(0)
	v_add_f64 v[5:6], v[1:2], v[7:8]
	v_cndmask_b32_e64 v1, 0, 1, s0
	v_cmp_ne_u32_e64 s0, 31, v12
	s_delay_alu instid0(VALU_DEP_2) | instskip(NEXT) | instid1(VALU_DEP_1)
	v_lshlrev_b32_e32 v1, 1, v1
	v_add_lshl_u32 v11, v1, v12, 2
	ds_bpermute_b32 v1, v11, v3
	ds_bpermute_b32 v2, v11, v4
	;; [unrolled: 1-line block ×4, first 2 shown]
	s_waitcnt lgkmcnt(2)
	v_add_f64 v[1:2], v[3:4], v[1:2]
	v_add_co_ci_u32_e64 v3, s0, 0, v12, s0
	s_waitcnt lgkmcnt(0)
	v_add_f64 v[5:6], v[5:6], v[7:8]
	s_delay_alu instid0(VALU_DEP_2)
	v_lshlrev_b32_e32 v12, 2, v3
	ds_bpermute_b32 v3, v12, v1
	ds_bpermute_b32 v4, v12, v2
	;; [unrolled: 1-line block ×4, first 2 shown]
	v_cmpx_eq_u32_e32 0, v13
	s_cbranch_execz .LBB171_20
; %bb.19:
	s_waitcnt lgkmcnt(0)
	v_add_f64 v[5:6], v[5:6], v[7:8]
	v_add_f64 v[3:4], v[1:2], v[3:4]
	v_lshrrev_b32_e32 v1, 1, v0
	s_delay_alu instid0(VALU_DEP_1)
	v_and_b32_e32 v1, 0x70, v1
	ds_store_b128 v1, v[3:6]
.LBB171_20:
	s_or_b32 exec_lo, exec_lo, s2
	s_waitcnt lgkmcnt(0)
	v_mov_b32_e32 v7, 0
	v_mov_b32_e32 v8, 0
	s_delay_alu instid0(VALU_DEP_2) | instskip(SKIP_2) | instid1(VALU_DEP_2)
	v_mov_b32_e32 v5, v7
	s_mov_b32 s2, exec_lo
	s_barrier
	v_mov_b32_e32 v6, v8
	buffer_gl0_inv
	v_cmpx_gt_u32_e32 8, v0
	s_cbranch_execz .LBB171_22
; %bb.21:
	ds_load_b128 v[5:8], v9
.LBB171_22:
	s_or_b32 exec_lo, exec_lo, s2
	s_and_saveexec_b32 s0, vcc_lo
	s_cbranch_execz .LBB171_24
; %bb.23:
	s_waitcnt lgkmcnt(0)
	ds_bpermute_b32 v1, v10, v5
	ds_bpermute_b32 v2, v10, v6
	ds_bpermute_b32 v3, v10, v7
	ds_bpermute_b32 v4, v10, v8
	s_waitcnt lgkmcnt(2)
	v_add_f64 v[1:2], v[5:6], v[1:2]
	s_waitcnt lgkmcnt(0)
	v_add_f64 v[3:4], v[7:8], v[3:4]
	ds_bpermute_b32 v5, v11, v1
	ds_bpermute_b32 v6, v11, v2
	ds_bpermute_b32 v7, v11, v3
	ds_bpermute_b32 v8, v11, v4
	s_waitcnt lgkmcnt(2)
	v_add_f64 v[1:2], v[1:2], v[5:6]
	s_waitcnt lgkmcnt(0)
	v_add_f64 v[3:4], v[3:4], v[7:8]
	;; [unrolled: 8-line block ×3, first 2 shown]
.LBB171_24:
	s_or_b32 exec_lo, exec_lo, s0
	s_delay_alu instid0(SALU_CYCLE_1)
	s_mov_b32 s0, exec_lo
                                        ; implicit-def: $vgpr3_vgpr4
                                        ; implicit-def: $sgpr4_sgpr5
	v_cmpx_eq_u32_e32 0, v0
	s_cbranch_execz .LBB171_28
; %bb.25:
	s_waitcnt lgkmcnt(0)
	s_delay_alu instid0(VALU_DEP_2)
	v_mul_f64 v[0:1], s[42:43], v[7:8]
	v_mul_f64 v[3:4], s[40:41], v[7:8]
	v_cmp_neq_f64_e64 s2, s[36:37], 0
	v_cmp_neq_f64_e64 s3, s[38:39], 0
	s_mul_hi_u32 s4, s14, s8
	s_mul_i32 s1, s1, s8
	s_delay_alu instid0(VALU_DEP_4) | instskip(NEXT) | instid1(VALU_DEP_4)
	v_fma_f64 v[1:2], s[40:41], v[5:6], -v[0:1]
	v_fma_f64 v[3:4], s[42:43], v[5:6], v[3:4]
	s_delay_alu instid0(VALU_DEP_3)
	s_or_b32 s2, s2, s3
	s_mul_i32 s3, s14, s9
	s_and_not1_b32 vcc_lo, exec_lo, s2
	s_add_i32 s3, s4, s3
	s_mul_i32 s4, s14, s8
	s_add_i32 s5, s3, s1
	s_cbranch_vccnz .LBB171_27
; %bb.26:
	s_lshl_b64 s[2:3], s[4:5], 4
	s_delay_alu instid0(SALU_CYCLE_1)
	s_add_u32 s2, s33, s2
	s_addc_u32 s3, s34, s3
	s_load_b128 s[8:11], s[2:3], 0x0
	s_waitcnt lgkmcnt(0)
	v_mul_f64 v[5:6], s[38:39], s[10:11]
	v_mul_f64 v[7:8], s[36:37], s[10:11]
	s_delay_alu instid0(VALU_DEP_2) | instskip(NEXT) | instid1(VALU_DEP_2)
	v_fma_f64 v[5:6], s[36:37], s[8:9], -v[5:6]
	v_fma_f64 v[7:8], s[38:39], s[8:9], v[7:8]
	s_delay_alu instid0(VALU_DEP_2) | instskip(NEXT) | instid1(VALU_DEP_2)
	v_add_f64 v[1:2], v[1:2], v[5:6]
	v_add_f64 v[3:4], v[3:4], v[7:8]
.LBB171_27:
	s_or_b32 s35, s35, exec_lo
.LBB171_28:
	s_or_b32 exec_lo, exec_lo, s0
.LBB171_29:
	s_and_saveexec_b32 s0, s35
	s_cbranch_execz .LBB171_31
; %bb.30:
	s_lshl_b64 s[0:1], s[4:5], 4
	v_mov_b32_e32 v0, 0
	s_add_u32 s0, s33, s0
	s_addc_u32 s1, s34, s1
	global_store_b128 v0, v[1:4], s[0:1]
.LBB171_31:
	s_nop 0
	s_sendmsg sendmsg(MSG_DEALLOC_VGPRS)
	s_endpgm
	.section	.rodata,"a",@progbits
	.p2align	6, 0x0
	.amdhsa_kernel _ZL32rocblas_gemvt_warp_reduce_kernelILb0ELi256El19rocblas_complex_numIdES1_S1_EviiT3_lPKT2_lT1_lS5_lS6_lS2_lPT4_lS6_li
		.amdhsa_group_segment_fixed_size 512
		.amdhsa_private_segment_fixed_size 0
		.amdhsa_kernarg_size 156
		.amdhsa_user_sgpr_count 14
		.amdhsa_user_sgpr_dispatch_ptr 0
		.amdhsa_user_sgpr_queue_ptr 0
		.amdhsa_user_sgpr_kernarg_segment_ptr 1
		.amdhsa_user_sgpr_dispatch_id 0
		.amdhsa_user_sgpr_private_segment_size 0
		.amdhsa_wavefront_size32 1
		.amdhsa_uses_dynamic_stack 0
		.amdhsa_enable_private_segment 0
		.amdhsa_system_sgpr_workgroup_id_x 1
		.amdhsa_system_sgpr_workgroup_id_y 0
		.amdhsa_system_sgpr_workgroup_id_z 1
		.amdhsa_system_sgpr_workgroup_info 0
		.amdhsa_system_vgpr_workitem_id 0
		.amdhsa_next_free_vgpr 21
		.amdhsa_next_free_sgpr 44
		.amdhsa_reserve_vcc 1
		.amdhsa_float_round_mode_32 0
		.amdhsa_float_round_mode_16_64 0
		.amdhsa_float_denorm_mode_32 3
		.amdhsa_float_denorm_mode_16_64 3
		.amdhsa_dx10_clamp 1
		.amdhsa_ieee_mode 1
		.amdhsa_fp16_overflow 0
		.amdhsa_workgroup_processor_mode 1
		.amdhsa_memory_ordered 1
		.amdhsa_forward_progress 0
		.amdhsa_shared_vgpr_count 0
		.amdhsa_exception_fp_ieee_invalid_op 0
		.amdhsa_exception_fp_denorm_src 0
		.amdhsa_exception_fp_ieee_div_zero 0
		.amdhsa_exception_fp_ieee_overflow 0
		.amdhsa_exception_fp_ieee_underflow 0
		.amdhsa_exception_fp_ieee_inexact 0
		.amdhsa_exception_int_div_zero 0
	.end_amdhsa_kernel
	.section	.text._ZL32rocblas_gemvt_warp_reduce_kernelILb0ELi256El19rocblas_complex_numIdES1_S1_EviiT3_lPKT2_lT1_lS5_lS6_lS2_lPT4_lS6_li,"axG",@progbits,_ZL32rocblas_gemvt_warp_reduce_kernelILb0ELi256El19rocblas_complex_numIdES1_S1_EviiT3_lPKT2_lT1_lS5_lS6_lS2_lPT4_lS6_li,comdat
.Lfunc_end171:
	.size	_ZL32rocblas_gemvt_warp_reduce_kernelILb0ELi256El19rocblas_complex_numIdES1_S1_EviiT3_lPKT2_lT1_lS5_lS6_lS2_lPT4_lS6_li, .Lfunc_end171-_ZL32rocblas_gemvt_warp_reduce_kernelILb0ELi256El19rocblas_complex_numIdES1_S1_EviiT3_lPKT2_lT1_lS5_lS6_lS2_lPT4_lS6_li
                                        ; -- End function
	.section	.AMDGPU.csdata,"",@progbits
; Kernel info:
; codeLenInByte = 2156
; NumSgprs: 46
; NumVgprs: 21
; ScratchSize: 0
; MemoryBound: 0
; FloatMode: 240
; IeeeMode: 1
; LDSByteSize: 512 bytes/workgroup (compile time only)
; SGPRBlocks: 5
; VGPRBlocks: 2
; NumSGPRsForWavesPerEU: 46
; NumVGPRsForWavesPerEU: 21
; Occupancy: 16
; WaveLimiterHint : 1
; COMPUTE_PGM_RSRC2:SCRATCH_EN: 0
; COMPUTE_PGM_RSRC2:USER_SGPR: 14
; COMPUTE_PGM_RSRC2:TRAP_HANDLER: 0
; COMPUTE_PGM_RSRC2:TGID_X_EN: 1
; COMPUTE_PGM_RSRC2:TGID_Y_EN: 0
; COMPUTE_PGM_RSRC2:TGID_Z_EN: 1
; COMPUTE_PGM_RSRC2:TIDIG_COMP_CNT: 0
	.section	.text._ZL20rocblas_gemvt_kernelILb0ELi256E19rocblas_complex_numIdEPKS1_S1_EviiT2_lPKT1_lilS7_lilS4_lPT3_lili,"axG",@progbits,_ZL20rocblas_gemvt_kernelILb0ELi256E19rocblas_complex_numIdEPKS1_S1_EviiT2_lPKT1_lilS7_lilS4_lPT3_lili,comdat
	.globl	_ZL20rocblas_gemvt_kernelILb0ELi256E19rocblas_complex_numIdEPKS1_S1_EviiT2_lPKT1_lilS7_lilS4_lPT3_lili ; -- Begin function _ZL20rocblas_gemvt_kernelILb0ELi256E19rocblas_complex_numIdEPKS1_S1_EviiT2_lPKT1_lilS7_lilS4_lPT3_lili
	.p2align	8
	.type	_ZL20rocblas_gemvt_kernelILb0ELi256E19rocblas_complex_numIdEPKS1_S1_EviiT2_lPKT1_lilS7_lilS4_lPT3_lili,@function
_ZL20rocblas_gemvt_kernelILb0ELi256E19rocblas_complex_numIdEPKS1_S1_EviiT2_lPKT1_lilS7_lilS4_lPT3_lili: ; @_ZL20rocblas_gemvt_kernelILb0ELi256E19rocblas_complex_numIdEPKS1_S1_EviiT2_lPKT1_lilS7_lilS4_lPT3_lili
; %bb.0:
	s_load_b256 s[4:11], s[0:1], 0x8
	s_waitcnt lgkmcnt(0)
	s_mul_i32 s3, s15, s7
	s_mul_hi_u32 s7, s15, s6
	s_mul_i32 s2, s15, s6
	s_add_i32 s3, s7, s3
	s_delay_alu instid0(SALU_CYCLE_1) | instskip(NEXT) | instid1(SALU_CYCLE_1)
	s_lshl_b64 s[2:3], s[2:3], 4
	s_add_u32 s2, s4, s2
	s_addc_u32 s3, s5, s3
	s_load_b128 s[4:7], s[2:3], 0x0
	s_load_b256 s[16:23], s[0:1], 0x50
	s_waitcnt lgkmcnt(0)
	v_cmp_neq_f64_e64 s12, s[4:5], 0
	v_cmp_neq_f64_e64 s13, s[6:7], 0
	s_mul_i32 s2, s15, s21
	s_mul_hi_u32 s3, s15, s20
	s_delay_alu instid0(SALU_CYCLE_1) | instskip(SKIP_1) | instid1(SALU_CYCLE_1)
	s_add_i32 s3, s3, s2
	s_mul_i32 s2, s15, s20
	s_lshl_b64 s[2:3], s[2:3], 4
	s_delay_alu instid0(SALU_CYCLE_1) | instskip(SKIP_3) | instid1(VALU_DEP_1)
	s_add_u32 s2, s18, s2
	s_addc_u32 s3, s19, s3
	s_load_b128 s[24:27], s[2:3], 0x0
	s_mov_b32 s3, -1
	s_or_b32 s2, s12, s13
	s_delay_alu instid0(SALU_CYCLE_1)
	s_and_b32 vcc_lo, exec_lo, s2
	s_cbranch_vccnz .LBB172_2
; %bb.1:
	s_waitcnt lgkmcnt(0)
	v_cmp_neq_f64_e64 s3, s[24:25], 1.0
	v_cmp_neq_f64_e64 s12, s[26:27], 0
	s_delay_alu instid0(VALU_DEP_1)
	s_or_b32 s3, s3, s12
.LBB172_2:
	s_delay_alu instid0(SALU_CYCLE_1)
	s_and_not1_b32 vcc_lo, exec_lo, s3
	s_cbranch_vccnz .LBB172_38
; %bb.3:
	s_clause 0x2
	s_load_b64 s[12:13], s[0:1], 0x80
	s_load_b64 s[18:19], s[0:1], 0x70
	s_load_b32 s33, s[0:1], 0x78
	s_xor_b32 s20, s2, -1
	s_mov_b32 s34, 0
	s_waitcnt lgkmcnt(0)
	s_mul_i32 s3, s15, s13
	s_mul_hi_u32 s13, s15, s12
	s_mul_i32 s2, s15, s12
	s_add_i32 s3, s13, s3
	s_delay_alu instid0(SALU_CYCLE_1) | instskip(NEXT) | instid1(SALU_CYCLE_1)
	s_lshl_b64 s[2:3], s[2:3], 4
	s_add_u32 s21, s22, s2
	s_addc_u32 s3, s23, s3
	s_lshl_b64 s[12:13], s[18:19], 4
	v_cmp_eq_u32_e64 s2, 0, v0
	s_add_u32 s30, s21, s12
	s_addc_u32 s31, s3, s13
	s_and_not1_b32 vcc_lo, exec_lo, s20
	s_cbranch_vccnz .LBB172_8
; %bb.4:
	s_mov_b32 s3, 0
                                        ; implicit-def: $vgpr3_vgpr4
                                        ; implicit-def: $sgpr12_sgpr13
	s_and_saveexec_b32 s18, s2
	s_cbranch_execz .LBB172_9
; %bb.5:
	v_cmp_neq_f64_e64 s2, s[24:25], 0
	v_cmp_neq_f64_e64 s12, s[26:27], 0
	v_mov_b32_e32 v3, 0
	v_mov_b32_e32 v4, 0
	s_delay_alu instid0(VALU_DEP_2) | instskip(SKIP_1) | instid1(VALU_DEP_2)
	v_mov_b32_e32 v1, v3
	s_mul_hi_i32 s13, s33, s14
	v_mov_b32_e32 v2, v4
	s_or_b32 s2, s2, s12
	s_mul_i32 s12, s33, s14
	s_and_not1_b32 vcc_lo, exec_lo, s2
	s_cbranch_vccnz .LBB172_7
; %bb.6:
	s_lshl_b64 s[20:21], s[12:13], 4
	s_delay_alu instid0(SALU_CYCLE_1)
	s_add_u32 s20, s30, s20
	s_addc_u32 s21, s31, s21
	s_load_b128 s[20:23], s[20:21], 0x0
	s_waitcnt lgkmcnt(0)
	v_mul_f64 v[1:2], s[26:27], s[22:23]
	v_mul_f64 v[3:4], s[24:25], s[22:23]
	s_delay_alu instid0(VALU_DEP_2) | instskip(NEXT) | instid1(VALU_DEP_2)
	v_fma_f64 v[1:2], s[24:25], s[20:21], -v[1:2]
	v_fma_f64 v[3:4], s[26:27], s[20:21], v[3:4]
.LBB172_7:
	s_mov_b32 s34, exec_lo
	s_or_b32 exec_lo, exec_lo, s18
	s_delay_alu instid0(SALU_CYCLE_1)
	s_and_b32 vcc_lo, exec_lo, s3
	s_cbranch_vccnz .LBB172_10
	s_branch .LBB172_36
.LBB172_8:
                                        ; implicit-def: $vgpr3_vgpr4
                                        ; implicit-def: $sgpr12_sgpr13
	s_cbranch_execnz .LBB172_10
	s_branch .LBB172_36
.LBB172_9:
	s_or_b32 exec_lo, exec_lo, s18
	s_delay_alu instid0(SALU_CYCLE_1)
	s_and_b32 vcc_lo, exec_lo, s3
	s_cbranch_vccz .LBB172_36
.LBB172_10:
	s_clause 0x4
	s_load_b128 s[20:23], s[0:1], 0x30
	s_load_b32 s35, s[0:1], 0x0
	s_load_b32 s18, s[0:1], 0x28
	s_load_b64 s[2:3], s[0:1], 0x40
	s_load_b32 s0, s[0:1], 0x48
	v_mov_b32_e32 v3, 0
	s_mul_i32 s13, s15, s17
	s_mul_hi_u32 s19, s15, s16
	s_mul_i32 s12, s15, s16
	s_add_i32 s13, s19, s13
	s_mov_b32 s17, 0
	s_waitcnt lgkmcnt(0)
	s_mul_i32 s1, s15, s21
	v_cmp_gt_i32_e32 vcc_lo, s35, v0
	v_mov_b32_e32 v4, 0
	s_mul_hi_u32 s16, s15, s20
	s_mul_i32 s20, s15, s20
	s_ashr_i32 s15, s35, 31
	v_cndmask_b32_e32 v1, 0, v0, vcc_lo
	s_lshr_b32 s15, s15, 24
	s_add_i32 s21, s16, s1
	s_add_i32 s1, s35, s15
	s_mul_hi_i32 s19, s18, s14
	v_lshlrev_b32_e32 v9, 4, v1
	v_dual_mov_b32 v1, v3 :: v_dual_mov_b32 v2, v4
	s_and_b32 s16, s1, 0xffffff00
	s_cmpk_lt_i32 s35, 0x100
	s_mul_i32 s18, s18, s14
	s_cbranch_scc1 .LBB172_13
; %bb.11:
	s_lshl_b64 s[28:29], s[18:19], 4
	s_lshl_b64 s[36:37], s[20:21], 4
	s_ashr_i32 s1, s0, 31
	s_add_u32 s15, s28, s36
	v_mad_i64_i32 v[1:2], null, s0, v0, 0
	s_addc_u32 s36, s29, s37
	s_lshl_b64 s[28:29], s[10:11], 4
	v_mov_b32_e32 v3, 0
	s_add_u32 s15, s15, s28
	s_addc_u32 s28, s36, s29
	s_add_u32 s15, s8, s15
	s_addc_u32 s28, s9, s28
	v_add_co_u32 v5, s15, s15, v9
	s_lshl_b64 s[36:37], s[2:3], 4
	v_lshlrev_b64 v[1:2], 4, v[1:2]
	v_add_co_ci_u32_e64 v6, null, s28, 0, s15
	s_lshl_b64 s[28:29], s[12:13], 4
	s_add_u32 s15, s22, s36
	s_addc_u32 s36, s23, s37
	s_add_u32 s15, s15, s28
	s_addc_u32 s28, s36, s29
	v_add_co_u32 v1, vcc_lo, s15, v1
	v_add_co_ci_u32_e32 v2, vcc_lo, s28, v2, vcc_lo
	v_mov_b32_e32 v4, 0
	v_add_co_u32 v5, vcc_lo, v5, 8
	v_add_co_ci_u32_e32 v6, vcc_lo, 0, v6, vcc_lo
	v_add_co_u32 v7, vcc_lo, v1, 8
	v_add_co_ci_u32_e32 v8, vcc_lo, 0, v2, vcc_lo
	v_dual_mov_b32 v1, v3 :: v_dual_mov_b32 v2, v4
	s_lshl_b64 s[28:29], s[0:1], 12
	.p2align	6
.LBB172_12:                             ; =>This Inner Loop Header: Depth=1
	global_load_b128 v[10:13], v[5:6], off offset:-8
	global_load_b128 v[14:17], v[7:8], off offset:-8
	v_add_co_u32 v5, vcc_lo, 0x1000, v5
	v_add_co_ci_u32_e32 v6, vcc_lo, 0, v6, vcc_lo
	v_add_co_u32 v7, vcc_lo, v7, s28
	v_add_co_ci_u32_e32 v8, vcc_lo, s29, v8, vcc_lo
	s_addk_i32 s17, 0x100
	s_delay_alu instid0(SALU_CYCLE_1) | instskip(SKIP_3) | instid1(VALU_DEP_2)
	s_cmp_ge_i32 s17, s16
	s_waitcnt vmcnt(0)
	v_mul_f64 v[18:19], v[12:13], v[16:17]
	v_mul_f64 v[16:17], v[10:11], v[16:17]
	v_fma_f64 v[10:11], v[10:11], v[14:15], -v[18:19]
	s_delay_alu instid0(VALU_DEP_2) | instskip(NEXT) | instid1(VALU_DEP_2)
	v_fma_f64 v[12:13], v[12:13], v[14:15], v[16:17]
	v_add_f64 v[1:2], v[1:2], v[10:11]
	s_delay_alu instid0(VALU_DEP_2)
	v_add_f64 v[3:4], v[3:4], v[12:13]
	s_cbranch_scc0 .LBB172_12
.LBB172_13:
	v_add_nc_u32_e32 v5, s16, v0
	s_mov_b32 s1, exec_lo
	s_delay_alu instid0(VALU_DEP_1)
	v_cmpx_gt_i32_e64 s35, v5
	s_cbranch_execz .LBB172_15
; %bb.14:
	v_mad_i64_i32 v[6:7], null, s0, v5, 0
	s_lshl_b64 s[20:21], s[20:21], 4
	s_delay_alu instid0(SALU_CYCLE_1) | instskip(SKIP_2) | instid1(SALU_CYCLE_1)
	s_add_u32 s15, s8, s20
	s_addc_u32 s17, s9, s21
	s_lshl_b64 s[8:9], s[10:11], 4
	s_add_u32 s15, s15, s8
	s_addc_u32 s20, s17, s9
	s_lshl_b64 s[8:9], s[12:13], 4
	s_lshl_b64 s[10:11], s[18:19], 4
	v_lshlrev_b64 v[5:6], 4, v[6:7]
	s_add_u32 s0, s22, s8
	s_addc_u32 s8, s23, s9
	s_lshl_b64 s[2:3], s[2:3], 4
	s_delay_alu instid0(SALU_CYCLE_1)
	s_add_u32 s0, s0, s2
	s_addc_u32 s8, s8, s3
	s_ashr_i32 s17, s16, 31
	v_add_co_u32 v5, vcc_lo, s0, v5
	s_lshl_b64 s[2:3], s[16:17], 4
	v_add_co_ci_u32_e32 v6, vcc_lo, s8, v6, vcc_lo
	s_add_u32 s0, s2, s10
	s_addc_u32 s3, s3, s11
	s_add_u32 s2, s0, s15
	s_addc_u32 s3, s3, s20
	global_load_b128 v[5:8], v[5:6], off
	global_load_b128 v[9:12], v9, s[2:3]
	s_waitcnt vmcnt(0)
	v_mul_f64 v[13:14], v[11:12], v[7:8]
	v_mul_f64 v[7:8], v[9:10], v[7:8]
	s_delay_alu instid0(VALU_DEP_2) | instskip(NEXT) | instid1(VALU_DEP_2)
	v_fma_f64 v[9:10], v[9:10], v[5:6], -v[13:14]
	v_fma_f64 v[5:6], v[11:12], v[5:6], v[7:8]
	s_delay_alu instid0(VALU_DEP_2) | instskip(NEXT) | instid1(VALU_DEP_2)
	v_add_f64 v[1:2], v[1:2], v[9:10]
	v_add_f64 v[3:4], v[3:4], v[5:6]
.LBB172_15:
	s_or_b32 exec_lo, exec_lo, s1
	v_lshlrev_b32_e32 v5, 4, v0
	s_mov_b32 s0, exec_lo
	ds_store_b128 v5, v[1:4]
	s_waitcnt lgkmcnt(0)
	s_barrier
	buffer_gl0_inv
	v_cmpx_gt_u32_e32 0x80, v0
	s_cbranch_execz .LBB172_17
; %bb.16:
	ds_load_b128 v[1:4], v5 offset:2048
	ds_load_b128 v[6:9], v5
	s_waitcnt lgkmcnt(0)
	v_add_f64 v[1:2], v[1:2], v[6:7]
	v_add_f64 v[3:4], v[3:4], v[8:9]
	ds_store_b128 v5, v[1:4]
.LBB172_17:
	s_or_b32 exec_lo, exec_lo, s0
	s_delay_alu instid0(SALU_CYCLE_1)
	s_mov_b32 s0, exec_lo
	s_waitcnt lgkmcnt(0)
	s_barrier
	buffer_gl0_inv
	v_cmpx_gt_u32_e32 64, v0
	s_cbranch_execz .LBB172_19
; %bb.18:
	ds_load_b128 v[1:4], v5 offset:1024
	ds_load_b128 v[6:9], v5
	s_waitcnt lgkmcnt(0)
	v_add_f64 v[1:2], v[1:2], v[6:7]
	v_add_f64 v[3:4], v[3:4], v[8:9]
	ds_store_b128 v5, v[1:4]
.LBB172_19:
	s_or_b32 exec_lo, exec_lo, s0
	s_delay_alu instid0(SALU_CYCLE_1)
	s_mov_b32 s0, exec_lo
	;; [unrolled: 16-line block ×6, first 2 shown]
	s_waitcnt lgkmcnt(0)
	s_barrier
	buffer_gl0_inv
	v_cmpx_gt_u32_e32 2, v0
	s_cbranch_execz .LBB172_29
; %bb.28:
	ds_load_b128 v[1:4], v5
	ds_load_b128 v[6:9], v5 offset:32
	s_waitcnt lgkmcnt(0)
	v_add_f64 v[1:2], v[6:7], v[1:2]
	v_add_f64 v[3:4], v[8:9], v[3:4]
	ds_store_b128 v5, v[1:4]
.LBB172_29:
	s_or_b32 exec_lo, exec_lo, s0
	v_cmp_eq_u32_e32 vcc_lo, 0, v0
	s_waitcnt lgkmcnt(0)
	s_barrier
	buffer_gl0_inv
	s_and_saveexec_b32 s0, vcc_lo
	s_cbranch_execz .LBB172_31
; %bb.30:
	v_mov_b32_e32 v8, 0
	ds_load_b128 v[0:3], v8
	ds_load_b128 v[4:7], v8 offset:16
	s_waitcnt lgkmcnt(0)
	v_add_f64 v[0:1], v[4:5], v[0:1]
	v_add_f64 v[2:3], v[6:7], v[2:3]
	ds_store_b128 v8, v[0:3]
.LBB172_31:
	s_or_b32 exec_lo, exec_lo, s0
	s_waitcnt lgkmcnt(0)
	s_barrier
	buffer_gl0_inv
                                        ; implicit-def: $vgpr3_vgpr4
                                        ; implicit-def: $sgpr12_sgpr13
	s_and_saveexec_b32 s0, vcc_lo
	s_cbranch_execz .LBB172_35
; %bb.32:
	v_mov_b32_e32 v0, 0
	v_cmp_neq_f64_e64 s1, s[24:25], 0
	v_cmp_neq_f64_e64 s2, s[26:27], 0
	s_mul_hi_i32 s13, s33, s14
	s_mul_i32 s12, s33, s14
	ds_load_b128 v[3:6], v0
	s_waitcnt lgkmcnt(0)
	v_mul_f64 v[0:1], s[6:7], v[5:6]
	v_mul_f64 v[5:6], s[4:5], v[5:6]
	s_or_b32 s1, s1, s2
	s_delay_alu instid0(SALU_CYCLE_1) | instskip(NEXT) | instid1(VALU_DEP_2)
	s_and_not1_b32 vcc_lo, exec_lo, s1
	v_fma_f64 v[1:2], s[4:5], v[3:4], -v[0:1]
	s_delay_alu instid0(VALU_DEP_2)
	v_fma_f64 v[3:4], s[6:7], v[3:4], v[5:6]
	s_cbranch_vccnz .LBB172_34
; %bb.33:
	s_lshl_b64 s[2:3], s[12:13], 4
	s_delay_alu instid0(SALU_CYCLE_1)
	s_add_u32 s2, s30, s2
	s_addc_u32 s3, s31, s3
	s_load_b128 s[4:7], s[2:3], 0x0
	s_waitcnt lgkmcnt(0)
	v_mul_f64 v[5:6], s[26:27], s[6:7]
	v_mul_f64 v[7:8], s[24:25], s[6:7]
	s_delay_alu instid0(VALU_DEP_2) | instskip(NEXT) | instid1(VALU_DEP_2)
	v_fma_f64 v[5:6], s[24:25], s[4:5], -v[5:6]
	v_fma_f64 v[7:8], s[26:27], s[4:5], v[7:8]
	s_delay_alu instid0(VALU_DEP_2) | instskip(NEXT) | instid1(VALU_DEP_2)
	v_add_f64 v[1:2], v[1:2], v[5:6]
	v_add_f64 v[3:4], v[3:4], v[7:8]
.LBB172_34:
	s_or_b32 s34, s34, exec_lo
.LBB172_35:
	s_or_b32 exec_lo, exec_lo, s0
.LBB172_36:
	s_and_saveexec_b32 s0, s34
	s_cbranch_execz .LBB172_38
; %bb.37:
	s_lshl_b64 s[0:1], s[12:13], 4
	v_mov_b32_e32 v0, 0
	s_add_u32 s0, s30, s0
	s_addc_u32 s1, s31, s1
	global_store_b128 v0, v[1:4], s[0:1]
.LBB172_38:
	s_nop 0
	s_sendmsg sendmsg(MSG_DEALLOC_VGPRS)
	s_endpgm
	.section	.rodata,"a",@progbits
	.p2align	6, 0x0
	.amdhsa_kernel _ZL20rocblas_gemvt_kernelILb0ELi256E19rocblas_complex_numIdEPKS1_S1_EviiT2_lPKT1_lilS7_lilS4_lPT3_lili
		.amdhsa_group_segment_fixed_size 4096
		.amdhsa_private_segment_fixed_size 0
		.amdhsa_kernarg_size 140
		.amdhsa_user_sgpr_count 14
		.amdhsa_user_sgpr_dispatch_ptr 0
		.amdhsa_user_sgpr_queue_ptr 0
		.amdhsa_user_sgpr_kernarg_segment_ptr 1
		.amdhsa_user_sgpr_dispatch_id 0
		.amdhsa_user_sgpr_private_segment_size 0
		.amdhsa_wavefront_size32 1
		.amdhsa_uses_dynamic_stack 0
		.amdhsa_enable_private_segment 0
		.amdhsa_system_sgpr_workgroup_id_x 1
		.amdhsa_system_sgpr_workgroup_id_y 0
		.amdhsa_system_sgpr_workgroup_id_z 1
		.amdhsa_system_sgpr_workgroup_info 0
		.amdhsa_system_vgpr_workitem_id 0
		.amdhsa_next_free_vgpr 20
		.amdhsa_next_free_sgpr 38
		.amdhsa_reserve_vcc 1
		.amdhsa_float_round_mode_32 0
		.amdhsa_float_round_mode_16_64 0
		.amdhsa_float_denorm_mode_32 3
		.amdhsa_float_denorm_mode_16_64 3
		.amdhsa_dx10_clamp 1
		.amdhsa_ieee_mode 1
		.amdhsa_fp16_overflow 0
		.amdhsa_workgroup_processor_mode 1
		.amdhsa_memory_ordered 1
		.amdhsa_forward_progress 0
		.amdhsa_shared_vgpr_count 0
		.amdhsa_exception_fp_ieee_invalid_op 0
		.amdhsa_exception_fp_denorm_src 0
		.amdhsa_exception_fp_ieee_div_zero 0
		.amdhsa_exception_fp_ieee_overflow 0
		.amdhsa_exception_fp_ieee_underflow 0
		.amdhsa_exception_fp_ieee_inexact 0
		.amdhsa_exception_int_div_zero 0
	.end_amdhsa_kernel
	.section	.text._ZL20rocblas_gemvt_kernelILb0ELi256E19rocblas_complex_numIdEPKS1_S1_EviiT2_lPKT1_lilS7_lilS4_lPT3_lili,"axG",@progbits,_ZL20rocblas_gemvt_kernelILb0ELi256E19rocblas_complex_numIdEPKS1_S1_EviiT2_lPKT1_lilS7_lilS4_lPT3_lili,comdat
.Lfunc_end172:
	.size	_ZL20rocblas_gemvt_kernelILb0ELi256E19rocblas_complex_numIdEPKS1_S1_EviiT2_lPKT1_lilS7_lilS4_lPT3_lili, .Lfunc_end172-_ZL20rocblas_gemvt_kernelILb0ELi256E19rocblas_complex_numIdEPKS1_S1_EviiT2_lPKT1_lilS7_lilS4_lPT3_lili
                                        ; -- End function
	.section	.AMDGPU.csdata,"",@progbits
; Kernel info:
; codeLenInByte = 2004
; NumSgprs: 40
; NumVgprs: 20
; ScratchSize: 0
; MemoryBound: 0
; FloatMode: 240
; IeeeMode: 1
; LDSByteSize: 4096 bytes/workgroup (compile time only)
; SGPRBlocks: 4
; VGPRBlocks: 2
; NumSGPRsForWavesPerEU: 40
; NumVGPRsForWavesPerEU: 20
; Occupancy: 16
; WaveLimiterHint : 1
; COMPUTE_PGM_RSRC2:SCRATCH_EN: 0
; COMPUTE_PGM_RSRC2:USER_SGPR: 14
; COMPUTE_PGM_RSRC2:TRAP_HANDLER: 0
; COMPUTE_PGM_RSRC2:TGID_X_EN: 1
; COMPUTE_PGM_RSRC2:TGID_Y_EN: 0
; COMPUTE_PGM_RSRC2:TGID_Z_EN: 1
; COMPUTE_PGM_RSRC2:TIDIG_COMP_CNT: 0
	.section	.text._ZL20rocblas_gemvt_kernelILb0ELi256E19rocblas_complex_numIdES1_S1_EviiT2_lPKT1_lilS5_lilS2_lPT3_lili,"axG",@progbits,_ZL20rocblas_gemvt_kernelILb0ELi256E19rocblas_complex_numIdES1_S1_EviiT2_lPKT1_lilS5_lilS2_lPT3_lili,comdat
	.globl	_ZL20rocblas_gemvt_kernelILb0ELi256E19rocblas_complex_numIdES1_S1_EviiT2_lPKT1_lilS5_lilS2_lPT3_lili ; -- Begin function _ZL20rocblas_gemvt_kernelILb0ELi256E19rocblas_complex_numIdES1_S1_EviiT2_lPKT1_lilS5_lilS2_lPT3_lili
	.p2align	8
	.type	_ZL20rocblas_gemvt_kernelILb0ELi256E19rocblas_complex_numIdES1_S1_EviiT2_lPKT1_lilS5_lilS2_lPT3_lili,@function
_ZL20rocblas_gemvt_kernelILb0ELi256E19rocblas_complex_numIdES1_S1_EviiT2_lPKT1_lilS5_lilS2_lPT3_lili: ; @_ZL20rocblas_gemvt_kernelILb0ELi256E19rocblas_complex_numIdES1_S1_EviiT2_lPKT1_lilS5_lilS2_lPT3_lili
; %bb.0:
	s_clause 0x2
	s_load_b128 s[8:11], s[0:1], 0x8
	s_load_b128 s[4:7], s[0:1], 0x58
	s_load_b64 s[12:13], s[0:1], 0x68
	s_waitcnt lgkmcnt(0)
	v_cmp_neq_f64_e64 s2, s[8:9], 0
	v_cmp_neq_f64_e64 s3, s[10:11], 0
	s_delay_alu instid0(VALU_DEP_1)
	s_or_b32 s2, s2, s3
	s_mov_b32 s3, -1
	s_and_b32 vcc_lo, exec_lo, s2
	s_cbranch_vccnz .LBB173_2
; %bb.1:
	v_cmp_neq_f64_e64 s3, s[6:7], 1.0
	v_cmp_neq_f64_e64 s16, s[12:13], 0
	s_delay_alu instid0(VALU_DEP_1)
	s_or_b32 s3, s3, s16
.LBB173_2:
	s_delay_alu instid0(SALU_CYCLE_1)
	s_and_not1_b32 vcc_lo, exec_lo, s3
	s_cbranch_vccnz .LBB173_38
; %bb.3:
	s_clause 0x2
	s_load_b64 s[20:21], s[0:1], 0x90
	s_load_b128 s[16:19], s[0:1], 0x78
	s_load_b32 s33, s[0:1], 0x88
	s_xor_b32 s22, s2, -1
	s_mov_b32 s34, 0
	s_waitcnt lgkmcnt(0)
	s_mul_i32 s3, s15, s21
	s_mul_hi_u32 s21, s15, s20
	s_mul_i32 s2, s15, s20
	s_add_i32 s3, s21, s3
	s_delay_alu instid0(SALU_CYCLE_1) | instskip(NEXT) | instid1(SALU_CYCLE_1)
	s_lshl_b64 s[2:3], s[2:3], 4
	s_add_u32 s20, s16, s2
	s_addc_u32 s3, s17, s3
	s_lshl_b64 s[16:17], s[18:19], 4
	v_cmp_eq_u32_e64 s2, 0, v0
	s_add_u32 s30, s20, s16
	s_addc_u32 s31, s3, s17
	s_and_not1_b32 vcc_lo, exec_lo, s22
	s_cbranch_vccnz .LBB173_8
; %bb.4:
	s_mov_b32 s3, 0
                                        ; implicit-def: $vgpr3_vgpr4
                                        ; implicit-def: $sgpr16_sgpr17
	s_and_saveexec_b32 s18, s2
	s_cbranch_execz .LBB173_9
; %bb.5:
	v_cmp_neq_f64_e64 s2, s[6:7], 0
	v_cmp_neq_f64_e64 s16, s[12:13], 0
	v_mov_b32_e32 v3, 0
	v_mov_b32_e32 v4, 0
	s_delay_alu instid0(VALU_DEP_2) | instskip(SKIP_1) | instid1(VALU_DEP_2)
	v_mov_b32_e32 v1, v3
	s_mul_hi_i32 s17, s33, s14
	v_mov_b32_e32 v2, v4
	s_or_b32 s2, s2, s16
	s_mul_i32 s16, s33, s14
	s_and_not1_b32 vcc_lo, exec_lo, s2
	s_cbranch_vccnz .LBB173_7
; %bb.6:
	s_lshl_b64 s[20:21], s[16:17], 4
	s_delay_alu instid0(SALU_CYCLE_1)
	s_add_u32 s20, s30, s20
	s_addc_u32 s21, s31, s21
	s_load_b128 s[20:23], s[20:21], 0x0
	s_waitcnt lgkmcnt(0)
	v_mul_f64 v[1:2], s[12:13], s[22:23]
	v_mul_f64 v[3:4], s[6:7], s[22:23]
	s_delay_alu instid0(VALU_DEP_2) | instskip(NEXT) | instid1(VALU_DEP_2)
	v_fma_f64 v[1:2], s[6:7], s[20:21], -v[1:2]
	v_fma_f64 v[3:4], s[12:13], s[20:21], v[3:4]
.LBB173_7:
	s_mov_b32 s34, exec_lo
	s_or_b32 exec_lo, exec_lo, s18
	s_delay_alu instid0(SALU_CYCLE_1)
	s_and_b32 vcc_lo, exec_lo, s3
	s_cbranch_vccnz .LBB173_10
	s_branch .LBB173_36
.LBB173_8:
                                        ; implicit-def: $vgpr3_vgpr4
                                        ; implicit-def: $sgpr16_sgpr17
	s_cbranch_execnz .LBB173_10
	s_branch .LBB173_36
.LBB173_9:
	s_or_b32 exec_lo, exec_lo, s18
	s_delay_alu instid0(SALU_CYCLE_1)
	s_and_b32 vcc_lo, exec_lo, s3
	s_cbranch_vccz .LBB173_36
.LBB173_10:
	s_clause 0x5
	s_load_b128 s[16:19], s[0:1], 0x38
	s_load_b32 s35, s[0:1], 0x0
	s_load_b32 s24, s[0:1], 0x30
	s_load_b128 s[20:23], s[0:1], 0x20
	s_load_b64 s[2:3], s[0:1], 0x48
	s_load_b32 s0, s[0:1], 0x50
	v_mov_b32_e32 v3, 0
	s_mul_i32 s5, s15, s5
	s_mul_hi_u32 s25, s15, s4
	s_mul_i32 s4, s15, s4
	s_add_i32 s5, s25, s5
	s_mov_b32 s36, 0
	s_waitcnt lgkmcnt(0)
	s_mul_i32 s1, s15, s17
	v_cmp_gt_i32_e32 vcc_lo, s35, v0
	v_mov_b32_e32 v4, 0
	s_mul_hi_u32 s17, s15, s16
	s_mul_i32 s26, s15, s16
	s_ashr_i32 s15, s35, 31
	v_cndmask_b32_e32 v1, 0, v0, vcc_lo
	s_lshr_b32 s15, s15, 24
	s_add_i32 s27, s17, s1
	s_add_i32 s1, s35, s15
	s_mul_hi_i32 s25, s24, s14
	v_lshlrev_b32_e32 v9, 4, v1
	v_dual_mov_b32 v1, v3 :: v_dual_mov_b32 v2, v4
	s_and_b32 s16, s1, 0xffffff00
	s_cmpk_lt_i32 s35, 0x100
	s_mul_i32 s24, s24, s14
	s_cbranch_scc1 .LBB173_13
; %bb.11:
	s_lshl_b64 s[28:29], s[24:25], 4
	s_lshl_b64 s[38:39], s[26:27], 4
	s_ashr_i32 s1, s0, 31
	v_mad_i64_i32 v[1:2], null, s0, v0, 0
	s_add_u32 s15, s28, s38
	s_addc_u32 s17, s29, s39
	s_lshl_b64 s[28:29], s[22:23], 4
	v_mov_b32_e32 v3, 0
	s_add_u32 s15, s15, s28
	s_addc_u32 s17, s17, s29
	s_add_u32 s15, s20, s15
	s_addc_u32 s17, s21, s17
	v_add_co_u32 v5, s15, s15, v9
	s_lshl_b64 s[38:39], s[2:3], 4
	v_lshlrev_b64 v[1:2], 4, v[1:2]
	s_lshl_b64 s[28:29], s[4:5], 4
	v_add_co_ci_u32_e64 v6, null, s17, 0, s15
	s_add_u32 s15, s18, s38
	s_addc_u32 s17, s19, s39
	s_add_u32 s15, s15, s28
	s_addc_u32 s17, s17, s29
	v_add_co_u32 v1, vcc_lo, s15, v1
	v_add_co_ci_u32_e32 v2, vcc_lo, s17, v2, vcc_lo
	v_mov_b32_e32 v4, 0
	v_add_co_u32 v5, vcc_lo, v5, 8
	v_add_co_ci_u32_e32 v6, vcc_lo, 0, v6, vcc_lo
	v_add_co_u32 v7, vcc_lo, v1, 8
	v_add_co_ci_u32_e32 v8, vcc_lo, 0, v2, vcc_lo
	v_dual_mov_b32 v1, v3 :: v_dual_mov_b32 v2, v4
	s_lshl_b64 s[28:29], s[0:1], 12
	.p2align	6
.LBB173_12:                             ; =>This Inner Loop Header: Depth=1
	global_load_b128 v[10:13], v[5:6], off offset:-8
	global_load_b128 v[14:17], v[7:8], off offset:-8
	v_add_co_u32 v5, vcc_lo, 0x1000, v5
	v_add_co_ci_u32_e32 v6, vcc_lo, 0, v6, vcc_lo
	v_add_co_u32 v7, vcc_lo, v7, s28
	v_add_co_ci_u32_e32 v8, vcc_lo, s29, v8, vcc_lo
	s_addk_i32 s36, 0x100
	s_delay_alu instid0(SALU_CYCLE_1) | instskip(SKIP_3) | instid1(VALU_DEP_2)
	s_cmp_ge_i32 s36, s16
	s_waitcnt vmcnt(0)
	v_mul_f64 v[18:19], v[12:13], v[16:17]
	v_mul_f64 v[16:17], v[10:11], v[16:17]
	v_fma_f64 v[10:11], v[10:11], v[14:15], -v[18:19]
	s_delay_alu instid0(VALU_DEP_2) | instskip(NEXT) | instid1(VALU_DEP_2)
	v_fma_f64 v[12:13], v[12:13], v[14:15], v[16:17]
	v_add_f64 v[1:2], v[1:2], v[10:11]
	s_delay_alu instid0(VALU_DEP_2)
	v_add_f64 v[3:4], v[3:4], v[12:13]
	s_cbranch_scc0 .LBB173_12
.LBB173_13:
	v_add_nc_u32_e32 v5, s16, v0
	s_mov_b32 s1, exec_lo
	s_delay_alu instid0(VALU_DEP_1)
	v_cmpx_gt_i32_e64 s35, v5
	s_cbranch_execz .LBB173_15
; %bb.14:
	v_mad_i64_i32 v[6:7], null, s0, v5, 0
	s_lshl_b64 s[26:27], s[26:27], 4
	s_delay_alu instid0(SALU_CYCLE_1) | instskip(SKIP_2) | instid1(SALU_CYCLE_1)
	s_add_u32 s15, s20, s26
	s_addc_u32 s17, s21, s27
	s_lshl_b64 s[20:21], s[22:23], 4
	s_add_u32 s15, s15, s20
	s_addc_u32 s22, s17, s21
	s_lshl_b64 s[4:5], s[4:5], 4
	s_lshl_b64 s[20:21], s[24:25], 4
	v_lshlrev_b64 v[5:6], 4, v[6:7]
	s_add_u32 s0, s18, s4
	s_addc_u32 s4, s19, s5
	s_lshl_b64 s[2:3], s[2:3], 4
	s_delay_alu instid0(SALU_CYCLE_1)
	s_add_u32 s0, s0, s2
	s_addc_u32 s4, s4, s3
	s_ashr_i32 s17, s16, 31
	v_add_co_u32 v5, vcc_lo, s0, v5
	s_lshl_b64 s[2:3], s[16:17], 4
	v_add_co_ci_u32_e32 v6, vcc_lo, s4, v6, vcc_lo
	s_add_u32 s0, s2, s20
	s_addc_u32 s3, s3, s21
	s_add_u32 s2, s0, s15
	s_addc_u32 s3, s3, s22
	global_load_b128 v[5:8], v[5:6], off
	global_load_b128 v[9:12], v9, s[2:3]
	s_waitcnt vmcnt(0)
	v_mul_f64 v[13:14], v[11:12], v[7:8]
	v_mul_f64 v[7:8], v[9:10], v[7:8]
	s_delay_alu instid0(VALU_DEP_2) | instskip(NEXT) | instid1(VALU_DEP_2)
	v_fma_f64 v[9:10], v[9:10], v[5:6], -v[13:14]
	v_fma_f64 v[5:6], v[11:12], v[5:6], v[7:8]
	s_delay_alu instid0(VALU_DEP_2) | instskip(NEXT) | instid1(VALU_DEP_2)
	v_add_f64 v[1:2], v[1:2], v[9:10]
	v_add_f64 v[3:4], v[3:4], v[5:6]
.LBB173_15:
	s_or_b32 exec_lo, exec_lo, s1
	v_lshlrev_b32_e32 v5, 4, v0
	s_mov_b32 s0, exec_lo
	ds_store_b128 v5, v[1:4]
	s_waitcnt lgkmcnt(0)
	s_barrier
	buffer_gl0_inv
	v_cmpx_gt_u32_e32 0x80, v0
	s_cbranch_execz .LBB173_17
; %bb.16:
	ds_load_b128 v[1:4], v5 offset:2048
	ds_load_b128 v[6:9], v5
	s_waitcnt lgkmcnt(0)
	v_add_f64 v[1:2], v[1:2], v[6:7]
	v_add_f64 v[3:4], v[3:4], v[8:9]
	ds_store_b128 v5, v[1:4]
.LBB173_17:
	s_or_b32 exec_lo, exec_lo, s0
	s_delay_alu instid0(SALU_CYCLE_1)
	s_mov_b32 s0, exec_lo
	s_waitcnt lgkmcnt(0)
	s_barrier
	buffer_gl0_inv
	v_cmpx_gt_u32_e32 64, v0
	s_cbranch_execz .LBB173_19
; %bb.18:
	ds_load_b128 v[1:4], v5 offset:1024
	ds_load_b128 v[6:9], v5
	s_waitcnt lgkmcnt(0)
	v_add_f64 v[1:2], v[1:2], v[6:7]
	v_add_f64 v[3:4], v[3:4], v[8:9]
	ds_store_b128 v5, v[1:4]
.LBB173_19:
	s_or_b32 exec_lo, exec_lo, s0
	s_delay_alu instid0(SALU_CYCLE_1)
	s_mov_b32 s0, exec_lo
	;; [unrolled: 16-line block ×6, first 2 shown]
	s_waitcnt lgkmcnt(0)
	s_barrier
	buffer_gl0_inv
	v_cmpx_gt_u32_e32 2, v0
	s_cbranch_execz .LBB173_29
; %bb.28:
	ds_load_b128 v[1:4], v5
	ds_load_b128 v[6:9], v5 offset:32
	s_waitcnt lgkmcnt(0)
	v_add_f64 v[1:2], v[6:7], v[1:2]
	v_add_f64 v[3:4], v[8:9], v[3:4]
	ds_store_b128 v5, v[1:4]
.LBB173_29:
	s_or_b32 exec_lo, exec_lo, s0
	v_cmp_eq_u32_e32 vcc_lo, 0, v0
	s_waitcnt lgkmcnt(0)
	s_barrier
	buffer_gl0_inv
	s_and_saveexec_b32 s0, vcc_lo
	s_cbranch_execz .LBB173_31
; %bb.30:
	v_mov_b32_e32 v8, 0
	ds_load_b128 v[0:3], v8
	ds_load_b128 v[4:7], v8 offset:16
	s_waitcnt lgkmcnt(0)
	v_add_f64 v[0:1], v[4:5], v[0:1]
	v_add_f64 v[2:3], v[6:7], v[2:3]
	ds_store_b128 v8, v[0:3]
.LBB173_31:
	s_or_b32 exec_lo, exec_lo, s0
	s_waitcnt lgkmcnt(0)
	s_barrier
	buffer_gl0_inv
                                        ; implicit-def: $vgpr3_vgpr4
                                        ; implicit-def: $sgpr16_sgpr17
	s_and_saveexec_b32 s0, vcc_lo
	s_cbranch_execz .LBB173_35
; %bb.32:
	v_mov_b32_e32 v0, 0
	v_cmp_neq_f64_e64 s1, s[6:7], 0
	v_cmp_neq_f64_e64 s2, s[12:13], 0
	s_mul_hi_i32 s17, s33, s14
	s_mul_i32 s16, s33, s14
	ds_load_b128 v[3:6], v0
	s_waitcnt lgkmcnt(0)
	v_mul_f64 v[0:1], s[10:11], v[5:6]
	v_mul_f64 v[5:6], s[8:9], v[5:6]
	s_or_b32 s1, s1, s2
	s_delay_alu instid0(SALU_CYCLE_1) | instskip(NEXT) | instid1(VALU_DEP_2)
	s_and_not1_b32 vcc_lo, exec_lo, s1
	v_fma_f64 v[1:2], s[8:9], v[3:4], -v[0:1]
	s_delay_alu instid0(VALU_DEP_2)
	v_fma_f64 v[3:4], s[10:11], v[3:4], v[5:6]
	s_cbranch_vccnz .LBB173_34
; %bb.33:
	s_lshl_b64 s[2:3], s[16:17], 4
	s_delay_alu instid0(SALU_CYCLE_1)
	s_add_u32 s2, s30, s2
	s_addc_u32 s3, s31, s3
	s_load_b128 s[8:11], s[2:3], 0x0
	s_waitcnt lgkmcnt(0)
	v_mul_f64 v[5:6], s[12:13], s[10:11]
	v_mul_f64 v[7:8], s[6:7], s[10:11]
	s_delay_alu instid0(VALU_DEP_2) | instskip(NEXT) | instid1(VALU_DEP_2)
	v_fma_f64 v[5:6], s[6:7], s[8:9], -v[5:6]
	v_fma_f64 v[7:8], s[12:13], s[8:9], v[7:8]
	s_delay_alu instid0(VALU_DEP_2) | instskip(NEXT) | instid1(VALU_DEP_2)
	v_add_f64 v[1:2], v[1:2], v[5:6]
	v_add_f64 v[3:4], v[3:4], v[7:8]
.LBB173_34:
	s_or_b32 s34, s34, exec_lo
.LBB173_35:
	s_or_b32 exec_lo, exec_lo, s0
.LBB173_36:
	s_and_saveexec_b32 s0, s34
	s_cbranch_execz .LBB173_38
; %bb.37:
	s_lshl_b64 s[0:1], s[16:17], 4
	v_mov_b32_e32 v0, 0
	s_add_u32 s0, s30, s0
	s_addc_u32 s1, s31, s1
	global_store_b128 v0, v[1:4], s[0:1]
.LBB173_38:
	s_nop 0
	s_sendmsg sendmsg(MSG_DEALLOC_VGPRS)
	s_endpgm
	.section	.rodata,"a",@progbits
	.p2align	6, 0x0
	.amdhsa_kernel _ZL20rocblas_gemvt_kernelILb0ELi256E19rocblas_complex_numIdES1_S1_EviiT2_lPKT1_lilS5_lilS2_lPT3_lili
		.amdhsa_group_segment_fixed_size 4096
		.amdhsa_private_segment_fixed_size 0
		.amdhsa_kernarg_size 156
		.amdhsa_user_sgpr_count 14
		.amdhsa_user_sgpr_dispatch_ptr 0
		.amdhsa_user_sgpr_queue_ptr 0
		.amdhsa_user_sgpr_kernarg_segment_ptr 1
		.amdhsa_user_sgpr_dispatch_id 0
		.amdhsa_user_sgpr_private_segment_size 0
		.amdhsa_wavefront_size32 1
		.amdhsa_uses_dynamic_stack 0
		.amdhsa_enable_private_segment 0
		.amdhsa_system_sgpr_workgroup_id_x 1
		.amdhsa_system_sgpr_workgroup_id_y 0
		.amdhsa_system_sgpr_workgroup_id_z 1
		.amdhsa_system_sgpr_workgroup_info 0
		.amdhsa_system_vgpr_workitem_id 0
		.amdhsa_next_free_vgpr 20
		.amdhsa_next_free_sgpr 40
		.amdhsa_reserve_vcc 1
		.amdhsa_float_round_mode_32 0
		.amdhsa_float_round_mode_16_64 0
		.amdhsa_float_denorm_mode_32 3
		.amdhsa_float_denorm_mode_16_64 3
		.amdhsa_dx10_clamp 1
		.amdhsa_ieee_mode 1
		.amdhsa_fp16_overflow 0
		.amdhsa_workgroup_processor_mode 1
		.amdhsa_memory_ordered 1
		.amdhsa_forward_progress 0
		.amdhsa_shared_vgpr_count 0
		.amdhsa_exception_fp_ieee_invalid_op 0
		.amdhsa_exception_fp_denorm_src 0
		.amdhsa_exception_fp_ieee_div_zero 0
		.amdhsa_exception_fp_ieee_overflow 0
		.amdhsa_exception_fp_ieee_underflow 0
		.amdhsa_exception_fp_ieee_inexact 0
		.amdhsa_exception_int_div_zero 0
	.end_amdhsa_kernel
	.section	.text._ZL20rocblas_gemvt_kernelILb0ELi256E19rocblas_complex_numIdES1_S1_EviiT2_lPKT1_lilS5_lilS2_lPT3_lili,"axG",@progbits,_ZL20rocblas_gemvt_kernelILb0ELi256E19rocblas_complex_numIdES1_S1_EviiT2_lPKT1_lilS5_lilS2_lPT3_lili,comdat
.Lfunc_end173:
	.size	_ZL20rocblas_gemvt_kernelILb0ELi256E19rocblas_complex_numIdES1_S1_EviiT2_lPKT1_lilS5_lilS2_lPT3_lili, .Lfunc_end173-_ZL20rocblas_gemvt_kernelILb0ELi256E19rocblas_complex_numIdES1_S1_EviiT2_lPKT1_lilS5_lilS2_lPT3_lili
                                        ; -- End function
	.section	.AMDGPU.csdata,"",@progbits
; Kernel info:
; codeLenInByte = 1932
; NumSgprs: 42
; NumVgprs: 20
; ScratchSize: 0
; MemoryBound: 0
; FloatMode: 240
; IeeeMode: 1
; LDSByteSize: 4096 bytes/workgroup (compile time only)
; SGPRBlocks: 5
; VGPRBlocks: 2
; NumSGPRsForWavesPerEU: 42
; NumVGPRsForWavesPerEU: 20
; Occupancy: 16
; WaveLimiterHint : 1
; COMPUTE_PGM_RSRC2:SCRATCH_EN: 0
; COMPUTE_PGM_RSRC2:USER_SGPR: 14
; COMPUTE_PGM_RSRC2:TRAP_HANDLER: 0
; COMPUTE_PGM_RSRC2:TGID_X_EN: 1
; COMPUTE_PGM_RSRC2:TGID_Y_EN: 0
; COMPUTE_PGM_RSRC2:TGID_Z_EN: 1
; COMPUTE_PGM_RSRC2:TIDIG_COMP_CNT: 0
	.section	.text._ZL32rocblas_gemvt_warp_reduce_kernelILb0ELi1024Ei19rocblas_complex_numIdEPKS1_S1_EviiT3_lPKT2_lT1_lS7_lS8_lS4_lPT4_lS8_li,"axG",@progbits,_ZL32rocblas_gemvt_warp_reduce_kernelILb0ELi1024Ei19rocblas_complex_numIdEPKS1_S1_EviiT3_lPKT2_lT1_lS7_lS8_lS4_lPT4_lS8_li,comdat
	.globl	_ZL32rocblas_gemvt_warp_reduce_kernelILb0ELi1024Ei19rocblas_complex_numIdEPKS1_S1_EviiT3_lPKT2_lT1_lS7_lS8_lS4_lPT4_lS8_li ; -- Begin function _ZL32rocblas_gemvt_warp_reduce_kernelILb0ELi1024Ei19rocblas_complex_numIdEPKS1_S1_EviiT3_lPKT2_lT1_lS7_lS8_lS4_lPT4_lS8_li
	.p2align	8
	.type	_ZL32rocblas_gemvt_warp_reduce_kernelILb0ELi1024Ei19rocblas_complex_numIdEPKS1_S1_EviiT3_lPKT2_lT1_lS7_lS8_lS4_lPT4_lS8_li,@function
_ZL32rocblas_gemvt_warp_reduce_kernelILb0ELi1024Ei19rocblas_complex_numIdEPKS1_S1_EviiT3_lPKT2_lT1_lS7_lS8_lS4_lPT4_lS8_li: ; @_ZL32rocblas_gemvt_warp_reduce_kernelILb0ELi1024Ei19rocblas_complex_numIdEPKS1_S1_EviiT3_lPKT2_lT1_lS7_lS8_lS4_lPT4_lS8_li
; %bb.0:
	s_load_b256 s[4:11], s[0:1], 0x8
	s_waitcnt lgkmcnt(0)
	s_mul_i32 s3, s15, s7
	s_mul_hi_u32 s7, s15, s6
	s_mul_i32 s2, s15, s6
	s_add_i32 s3, s7, s3
	s_delay_alu instid0(SALU_CYCLE_1) | instskip(NEXT) | instid1(SALU_CYCLE_1)
	s_lshl_b64 s[2:3], s[2:3], 4
	s_add_u32 s2, s4, s2
	s_addc_u32 s3, s5, s3
	s_load_b128 s[4:7], s[2:3], 0x0
	s_load_b256 s[16:23], s[0:1], 0x50
	s_waitcnt lgkmcnt(0)
	v_cmp_neq_f64_e64 s12, s[4:5], 0
	v_cmp_neq_f64_e64 s13, s[6:7], 0
	s_mul_i32 s2, s15, s21
	s_mul_hi_u32 s3, s15, s20
	s_delay_alu instid0(SALU_CYCLE_1) | instskip(SKIP_1) | instid1(SALU_CYCLE_1)
	s_add_i32 s3, s3, s2
	s_mul_i32 s2, s15, s20
	s_lshl_b64 s[2:3], s[2:3], 4
	s_delay_alu instid0(SALU_CYCLE_1) | instskip(SKIP_3) | instid1(VALU_DEP_1)
	s_add_u32 s2, s18, s2
	s_addc_u32 s3, s19, s3
	s_load_b128 s[24:27], s[2:3], 0x0
	s_mov_b32 s3, -1
	s_or_b32 s2, s12, s13
	s_delay_alu instid0(SALU_CYCLE_1)
	s_and_b32 vcc_lo, exec_lo, s2
	s_cbranch_vccnz .LBB174_2
; %bb.1:
	s_waitcnt lgkmcnt(0)
	v_cmp_neq_f64_e64 s3, s[24:25], 1.0
	v_cmp_neq_f64_e64 s12, s[26:27], 0
	s_delay_alu instid0(VALU_DEP_1)
	s_or_b32 s3, s3, s12
.LBB174_2:
	s_delay_alu instid0(SALU_CYCLE_1)
	s_and_not1_b32 vcc_lo, exec_lo, s3
	s_cbranch_vccnz .LBB174_31
; %bb.3:
	s_clause 0x2
	s_load_b64 s[12:13], s[0:1], 0x80
	s_load_b64 s[18:19], s[0:1], 0x70
	s_load_b32 s28, s[0:1], 0x78
	s_xor_b32 s20, s2, -1
	s_mov_b32 s29, 0
	s_waitcnt lgkmcnt(0)
	s_mul_i32 s3, s15, s13
	s_mul_hi_u32 s13, s15, s12
	s_mul_i32 s2, s15, s12
	s_add_i32 s3, s13, s3
	s_delay_alu instid0(SALU_CYCLE_1) | instskip(NEXT) | instid1(SALU_CYCLE_1)
	s_lshl_b64 s[2:3], s[2:3], 4
	s_add_u32 s21, s22, s2
	s_addc_u32 s3, s23, s3
	s_lshl_b64 s[12:13], s[18:19], 4
	v_cmp_eq_u32_e64 s2, 0, v0
	s_add_u32 s18, s21, s12
	s_addc_u32 s19, s3, s13
	s_and_not1_b32 vcc_lo, exec_lo, s20
	s_cbranch_vccnz .LBB174_8
; %bb.4:
	s_mov_b32 s3, 0
                                        ; implicit-def: $vgpr3_vgpr4
                                        ; implicit-def: $sgpr12_sgpr13
	s_and_saveexec_b32 s20, s2
	s_cbranch_execz .LBB174_9
; %bb.5:
	v_cmp_neq_f64_e64 s2, s[24:25], 0
	v_cmp_neq_f64_e64 s12, s[26:27], 0
	v_mov_b32_e32 v3, 0
	v_mov_b32_e32 v4, 0
	s_delay_alu instid0(VALU_DEP_1) | instskip(NEXT) | instid1(VALU_DEP_4)
	v_dual_mov_b32 v1, v3 :: v_dual_mov_b32 v2, v4
	s_or_b32 s2, s2, s12
	s_mul_i32 s12, s14, s28
	s_and_not1_b32 vcc_lo, exec_lo, s2
	s_ashr_i32 s13, s12, 31
	s_cbranch_vccnz .LBB174_7
; %bb.6:
	s_lshl_b64 s[22:23], s[12:13], 4
	s_delay_alu instid0(SALU_CYCLE_1)
	s_add_u32 s22, s18, s22
	s_addc_u32 s23, s19, s23
	s_load_b128 s[36:39], s[22:23], 0x0
	s_waitcnt lgkmcnt(0)
	v_mul_f64 v[1:2], s[26:27], s[38:39]
	v_mul_f64 v[3:4], s[24:25], s[38:39]
	s_delay_alu instid0(VALU_DEP_2) | instskip(NEXT) | instid1(VALU_DEP_2)
	v_fma_f64 v[1:2], s[24:25], s[36:37], -v[1:2]
	v_fma_f64 v[3:4], s[26:27], s[36:37], v[3:4]
.LBB174_7:
	s_mov_b32 s29, exec_lo
	s_or_b32 exec_lo, exec_lo, s20
	s_delay_alu instid0(SALU_CYCLE_1)
	s_and_b32 vcc_lo, exec_lo, s3
	s_cbranch_vccnz .LBB174_10
	s_branch .LBB174_29
.LBB174_8:
                                        ; implicit-def: $vgpr3_vgpr4
                                        ; implicit-def: $sgpr12_sgpr13
	s_cbranch_execnz .LBB174_10
	s_branch .LBB174_29
.LBB174_9:
	s_or_b32 exec_lo, exec_lo, s20
	s_delay_alu instid0(SALU_CYCLE_1)
	s_and_b32 vcc_lo, exec_lo, s3
	s_cbranch_vccz .LBB174_29
.LBB174_10:
	s_clause 0x4
	s_load_b128 s[20:23], s[0:1], 0x30
	s_load_b64 s[12:13], s[0:1], 0x40
	s_load_b32 s3, s[0:1], 0x0
	s_load_b32 s30, s[0:1], 0x28
	;; [unrolled: 1-line block ×3, first 2 shown]
	s_mul_i32 s2, s15, s17
	s_mul_hi_u32 s17, s15, s16
	s_mul_i32 s16, s15, s16
	s_add_i32 s17, s17, s2
	v_mov_b32_e32 v1, 0
	s_lshl_b64 s[16:17], s[16:17], 4
	s_waitcnt lgkmcnt(0)
	s_add_u32 s0, s22, s16
	s_addc_u32 s16, s23, s17
	v_cmp_gt_i32_e32 vcc_lo, s3, v0
	v_mov_b32_e32 v2, 0
	s_lshl_b64 s[12:13], s[12:13], 4
	s_mul_i32 s2, s15, s21
	s_add_u32 s21, s0, s12
	v_cndmask_b32_e32 v3, 0, v0, vcc_lo
	s_addc_u32 s22, s16, s13
	s_ashr_i32 s0, s3, 31
	s_mul_hi_u32 s17, s15, s20
	s_lshr_b32 s0, s0, 22
	v_dual_mov_b32 v4, v2 :: v_dual_lshlrev_b32 v9, 4, v3
	v_mov_b32_e32 v3, v1
	s_add_i32 s0, s3, s0
	s_mul_i32 s16, s14, s30
	s_mul_i32 s12, s15, s20
	s_add_i32 s13, s17, s2
	s_and_b32 s2, s0, 0xfffffc00
	s_mov_b32 s20, 0
	s_ashr_i32 s17, s16, 31
	s_mov_b32 s15, exec_lo
	v_cmpx_gt_i32_e64 s2, v0
	s_cbranch_execz .LBB174_14
; %bb.11:
	s_lshl_b64 s[30:31], s[12:13], 4
	s_lshl_b64 s[34:35], s[10:11], 4
	s_lshl_b32 s23, s1, 10
	s_add_u32 s0, s30, s34
	s_addc_u32 s33, s31, s35
	s_lshl_b64 s[30:31], s[16:17], 4
	v_dual_mov_b32 v1, 0 :: v_dual_mov_b32 v10, v0
	s_add_u32 s0, s0, s30
	s_addc_u32 s30, s33, s31
	s_add_u32 s0, s8, s0
	s_addc_u32 s30, s9, s30
	v_add_co_u32 v3, s0, s0, v9
	s_delay_alu instid0(VALU_DEP_1) | instskip(SKIP_2) | instid1(VALU_DEP_4)
	v_add_co_ci_u32_e64 v4, null, s30, 0, s0
	v_mov_b32_e32 v2, 0
	v_mul_lo_u32 v5, v0, s1
	v_add_co_u32 v7, vcc_lo, v3, 8
	s_delay_alu instid0(VALU_DEP_4) | instskip(NEXT) | instid1(VALU_DEP_4)
	v_add_co_ci_u32_e32 v8, vcc_lo, 0, v4, vcc_lo
	v_dual_mov_b32 v4, v2 :: v_dual_mov_b32 v3, v1
	s_set_inst_prefetch_distance 0x1
	.p2align	6
.LBB174_12:                             ; =>This Inner Loop Header: Depth=1
	s_delay_alu instid0(VALU_DEP_4) | instskip(SKIP_1) | instid1(VALU_DEP_2)
	v_ashrrev_i32_e32 v6, 31, v5
	v_add_nc_u32_e32 v10, 0x400, v10
	v_lshlrev_b64 v[11:12], 4, v[5:6]
	s_delay_alu instid0(VALU_DEP_2) | instskip(SKIP_1) | instid1(VALU_DEP_2)
	v_cmp_le_i32_e64 s0, s2, v10
	v_add_nc_u32_e32 v5, s23, v5
	s_or_b32 s20, s0, s20
	s_delay_alu instid0(VALU_DEP_3) | instskip(NEXT) | instid1(VALU_DEP_4)
	v_add_co_u32 v15, vcc_lo, s21, v11
	v_add_co_ci_u32_e32 v16, vcc_lo, s22, v12, vcc_lo
	global_load_b128 v[11:14], v[7:8], off offset:-8
	global_load_b128 v[15:18], v[15:16], off
	v_add_co_u32 v7, vcc_lo, 0x4000, v7
	v_add_co_ci_u32_e32 v8, vcc_lo, 0, v8, vcc_lo
	s_waitcnt vmcnt(0)
	v_mul_f64 v[19:20], v[13:14], v[17:18]
	v_mul_f64 v[17:18], v[11:12], v[17:18]
	s_delay_alu instid0(VALU_DEP_2) | instskip(NEXT) | instid1(VALU_DEP_2)
	v_fma_f64 v[11:12], v[11:12], v[15:16], -v[19:20]
	v_fma_f64 v[13:14], v[13:14], v[15:16], v[17:18]
	s_delay_alu instid0(VALU_DEP_2) | instskip(NEXT) | instid1(VALU_DEP_2)
	v_add_f64 v[3:4], v[3:4], v[11:12]
	v_add_f64 v[1:2], v[1:2], v[13:14]
	s_and_not1_b32 exec_lo, exec_lo, s20
	s_cbranch_execnz .LBB174_12
; %bb.13:
	s_set_inst_prefetch_distance 0x2
	s_or_b32 exec_lo, exec_lo, s20
.LBB174_14:
	s_delay_alu instid0(SALU_CYCLE_1) | instskip(SKIP_2) | instid1(VALU_DEP_1)
	s_or_b32 exec_lo, exec_lo, s15
	v_or_b32_e32 v5, s2, v0
	s_mov_b32 s0, exec_lo
	v_cmpx_gt_i32_e64 s3, v5
	s_cbranch_execz .LBB174_16
; %bb.15:
	v_mul_lo_u32 v5, v5, s1
	s_lshl_b64 s[12:13], s[12:13], 4
	s_delay_alu instid0(SALU_CYCLE_1) | instskip(SKIP_2) | instid1(SALU_CYCLE_1)
	s_add_u32 s1, s8, s12
	s_addc_u32 s3, s9, s13
	s_lshl_b64 s[8:9], s[10:11], 4
	s_add_u32 s1, s1, s8
	s_delay_alu instid0(VALU_DEP_1)
	v_ashrrev_i32_e32 v6, 31, v5
	s_addc_u32 s10, s3, s9
	s_ashr_i32 s3, s2, 31
	s_lshl_b64 s[8:9], s[16:17], 4
	s_lshl_b64 s[2:3], s[2:3], 4
	v_lshlrev_b64 v[5:6], 4, v[5:6]
	s_add_u32 s2, s2, s8
	s_addc_u32 s3, s3, s9
	s_add_u32 s2, s2, s1
	s_addc_u32 s3, s3, s10
	s_delay_alu instid0(VALU_DEP_1)
	v_add_co_u32 v10, vcc_lo, s21, v5
	v_add_co_ci_u32_e32 v11, vcc_lo, s22, v6, vcc_lo
	global_load_b128 v[5:8], v9, s[2:3]
	global_load_b128 v[9:12], v[10:11], off
	s_waitcnt vmcnt(0)
	v_mul_f64 v[13:14], v[7:8], v[11:12]
	v_mul_f64 v[11:12], v[5:6], v[11:12]
	s_delay_alu instid0(VALU_DEP_2) | instskip(NEXT) | instid1(VALU_DEP_2)
	v_fma_f64 v[5:6], v[5:6], v[9:10], -v[13:14]
	v_fma_f64 v[7:8], v[7:8], v[9:10], v[11:12]
	s_delay_alu instid0(VALU_DEP_2) | instskip(NEXT) | instid1(VALU_DEP_2)
	v_add_f64 v[3:4], v[3:4], v[5:6]
	v_add_f64 v[1:2], v[1:2], v[7:8]
.LBB174_16:
	s_or_b32 exec_lo, exec_lo, s0
	v_and_b32_e32 v15, 31, v0
	v_cmp_gt_u32_e32 vcc_lo, 32, v0
	s_delay_alu instid0(VALU_DEP_2)
	v_lshlrev_b32_e32 v11, 4, v15
	s_and_saveexec_b32 s0, vcc_lo
	s_cbranch_execz .LBB174_18
; %bb.17:
	v_mov_b32_e32 v5, 0
	s_delay_alu instid0(VALU_DEP_1)
	v_mov_b32_e32 v6, v5
	v_mov_b32_e32 v7, v5
	;; [unrolled: 1-line block ×3, first 2 shown]
	ds_store_b128 v11, v[5:8]
.LBB174_18:
	s_or_b32 exec_lo, exec_lo, s0
	v_mbcnt_lo_u32_b32 v14, -1, 0
	s_mov_b32 s1, exec_lo
	s_waitcnt lgkmcnt(0)
	s_barrier
	buffer_gl0_inv
	v_cmp_gt_u32_e64 s0, 16, v14
	s_delay_alu instid0(VALU_DEP_1) | instskip(SKIP_1) | instid1(VALU_DEP_2)
	v_cndmask_b32_e64 v5, 0, 1, s0
	v_cmp_gt_u32_e64 s0, 24, v14
	v_lshlrev_b32_e32 v5, 4, v5
	s_delay_alu instid0(VALU_DEP_1)
	v_add_lshl_u32 v9, v5, v14, 2
	ds_bpermute_b32 v5, v9, v3
	ds_bpermute_b32 v6, v9, v4
	ds_bpermute_b32 v7, v9, v1
	ds_bpermute_b32 v8, v9, v2
	s_waitcnt lgkmcnt(2)
	v_add_f64 v[3:4], v[3:4], v[5:6]
	v_cndmask_b32_e64 v5, 0, 1, s0
	s_waitcnt lgkmcnt(0)
	v_add_f64 v[1:2], v[1:2], v[7:8]
	v_cmp_gt_u32_e64 s0, 28, v14
	s_delay_alu instid0(VALU_DEP_3) | instskip(NEXT) | instid1(VALU_DEP_1)
	v_lshlrev_b32_e32 v5, 3, v5
	v_add_lshl_u32 v10, v5, v14, 2
	ds_bpermute_b32 v5, v10, v3
	ds_bpermute_b32 v6, v10, v4
	;; [unrolled: 1-line block ×4, first 2 shown]
	s_waitcnt lgkmcnt(2)
	v_add_f64 v[3:4], v[3:4], v[5:6]
	v_cndmask_b32_e64 v5, 0, 1, s0
	s_waitcnt lgkmcnt(0)
	v_add_f64 v[1:2], v[1:2], v[7:8]
	v_cmp_gt_u32_e64 s0, 30, v14
	s_delay_alu instid0(VALU_DEP_3) | instskip(NEXT) | instid1(VALU_DEP_1)
	v_lshlrev_b32_e32 v5, 2, v5
	v_add_lshl_u32 v12, v5, v14, 2
	ds_bpermute_b32 v5, v12, v3
	ds_bpermute_b32 v6, v12, v4
	;; [unrolled: 1-line block ×4, first 2 shown]
	s_waitcnt lgkmcnt(2)
	v_add_f64 v[3:4], v[3:4], v[5:6]
	s_waitcnt lgkmcnt(0)
	v_add_f64 v[5:6], v[1:2], v[7:8]
	v_cndmask_b32_e64 v1, 0, 1, s0
	v_cmp_ne_u32_e64 s0, 31, v14
	s_delay_alu instid0(VALU_DEP_2) | instskip(NEXT) | instid1(VALU_DEP_1)
	v_lshlrev_b32_e32 v1, 1, v1
	v_add_lshl_u32 v13, v1, v14, 2
	ds_bpermute_b32 v1, v13, v3
	ds_bpermute_b32 v2, v13, v4
	;; [unrolled: 1-line block ×4, first 2 shown]
	s_waitcnt lgkmcnt(2)
	v_add_f64 v[1:2], v[3:4], v[1:2]
	v_add_co_ci_u32_e64 v3, s0, 0, v14, s0
	s_waitcnt lgkmcnt(0)
	v_add_f64 v[5:6], v[5:6], v[7:8]
	s_delay_alu instid0(VALU_DEP_2)
	v_lshlrev_b32_e32 v14, 2, v3
	ds_bpermute_b32 v3, v14, v1
	ds_bpermute_b32 v4, v14, v2
	;; [unrolled: 1-line block ×4, first 2 shown]
	v_cmpx_eq_u32_e32 0, v15
	s_cbranch_execz .LBB174_20
; %bb.19:
	s_waitcnt lgkmcnt(0)
	v_add_f64 v[5:6], v[5:6], v[7:8]
	v_add_f64 v[3:4], v[1:2], v[3:4]
	v_lshrrev_b32_e32 v1, 1, v0
	s_delay_alu instid0(VALU_DEP_1)
	v_and_b32_e32 v1, 0x1f0, v1
	ds_store_b128 v1, v[3:6]
.LBB174_20:
	s_or_b32 exec_lo, exec_lo, s1
	s_waitcnt lgkmcnt(0)
	v_mov_b32_e32 v7, 0
	v_mov_b32_e32 v8, 0
	s_delay_alu instid0(VALU_DEP_2)
	v_mov_b32_e32 v5, v7
	s_barrier
	buffer_gl0_inv
	v_mov_b32_e32 v6, v8
	s_and_saveexec_b32 s0, vcc_lo
	s_cbranch_execz .LBB174_22
; %bb.21:
	ds_load_b128 v[5:8], v11
.LBB174_22:
	s_or_b32 exec_lo, exec_lo, s0
	s_and_saveexec_b32 s0, vcc_lo
	s_cbranch_execz .LBB174_24
; %bb.23:
	s_waitcnt lgkmcnt(0)
	ds_bpermute_b32 v1, v9, v5
	ds_bpermute_b32 v2, v9, v6
	ds_bpermute_b32 v3, v9, v7
	ds_bpermute_b32 v4, v9, v8
	s_waitcnt lgkmcnt(2)
	v_add_f64 v[1:2], v[5:6], v[1:2]
	s_waitcnt lgkmcnt(0)
	v_add_f64 v[3:4], v[7:8], v[3:4]
	ds_bpermute_b32 v5, v10, v1
	ds_bpermute_b32 v6, v10, v2
	ds_bpermute_b32 v7, v10, v3
	ds_bpermute_b32 v8, v10, v4
	s_waitcnt lgkmcnt(2)
	v_add_f64 v[1:2], v[1:2], v[5:6]
	s_waitcnt lgkmcnt(0)
	v_add_f64 v[3:4], v[3:4], v[7:8]
	;; [unrolled: 8-line block ×5, first 2 shown]
.LBB174_24:
	s_or_b32 exec_lo, exec_lo, s0
	s_delay_alu instid0(SALU_CYCLE_1)
	s_mov_b32 s0, exec_lo
                                        ; implicit-def: $vgpr3_vgpr4
                                        ; implicit-def: $sgpr12_sgpr13
	v_cmpx_eq_u32_e32 0, v0
	s_cbranch_execz .LBB174_28
; %bb.25:
	s_waitcnt lgkmcnt(0)
	s_delay_alu instid0(VALU_DEP_2) | instskip(SKIP_4) | instid1(SALU_CYCLE_1)
	v_mul_f64 v[0:1], s[6:7], v[7:8]
	v_mul_f64 v[3:4], s[4:5], v[7:8]
	v_cmp_neq_f64_e64 s1, s[24:25], 0
	v_cmp_neq_f64_e64 s2, s[26:27], 0
	s_mul_i32 s12, s14, s28
	s_ashr_i32 s13, s12, 31
	s_delay_alu instid0(VALU_DEP_4) | instskip(NEXT) | instid1(VALU_DEP_4)
	v_fma_f64 v[1:2], s[4:5], v[5:6], -v[0:1]
	v_fma_f64 v[3:4], s[6:7], v[5:6], v[3:4]
	s_delay_alu instid0(VALU_DEP_3) | instskip(NEXT) | instid1(SALU_CYCLE_1)
	s_or_b32 s1, s1, s2
	s_and_not1_b32 vcc_lo, exec_lo, s1
	s_cbranch_vccnz .LBB174_27
; %bb.26:
	s_lshl_b64 s[2:3], s[12:13], 4
	s_delay_alu instid0(SALU_CYCLE_1)
	s_add_u32 s2, s18, s2
	s_addc_u32 s3, s19, s3
	s_load_b128 s[4:7], s[2:3], 0x0
	s_waitcnt lgkmcnt(0)
	v_mul_f64 v[5:6], s[26:27], s[6:7]
	v_mul_f64 v[7:8], s[24:25], s[6:7]
	s_delay_alu instid0(VALU_DEP_2) | instskip(NEXT) | instid1(VALU_DEP_2)
	v_fma_f64 v[5:6], s[24:25], s[4:5], -v[5:6]
	v_fma_f64 v[7:8], s[26:27], s[4:5], v[7:8]
	s_delay_alu instid0(VALU_DEP_2) | instskip(NEXT) | instid1(VALU_DEP_2)
	v_add_f64 v[1:2], v[1:2], v[5:6]
	v_add_f64 v[3:4], v[3:4], v[7:8]
.LBB174_27:
	s_or_b32 s29, s29, exec_lo
.LBB174_28:
	s_or_b32 exec_lo, exec_lo, s0
.LBB174_29:
	s_and_saveexec_b32 s0, s29
	s_cbranch_execz .LBB174_31
; %bb.30:
	s_lshl_b64 s[0:1], s[12:13], 4
	v_mov_b32_e32 v0, 0
	s_add_u32 s0, s18, s0
	s_addc_u32 s1, s19, s1
	global_store_b128 v0, v[1:4], s[0:1]
.LBB174_31:
	s_nop 0
	s_sendmsg sendmsg(MSG_DEALLOC_VGPRS)
	s_endpgm
	.section	.rodata,"a",@progbits
	.p2align	6, 0x0
	.amdhsa_kernel _ZL32rocblas_gemvt_warp_reduce_kernelILb0ELi1024Ei19rocblas_complex_numIdEPKS1_S1_EviiT3_lPKT2_lT1_lS7_lS8_lS4_lPT4_lS8_li
		.amdhsa_group_segment_fixed_size 512
		.amdhsa_private_segment_fixed_size 0
		.amdhsa_kernarg_size 140
		.amdhsa_user_sgpr_count 14
		.amdhsa_user_sgpr_dispatch_ptr 0
		.amdhsa_user_sgpr_queue_ptr 0
		.amdhsa_user_sgpr_kernarg_segment_ptr 1
		.amdhsa_user_sgpr_dispatch_id 0
		.amdhsa_user_sgpr_private_segment_size 0
		.amdhsa_wavefront_size32 1
		.amdhsa_uses_dynamic_stack 0
		.amdhsa_enable_private_segment 0
		.amdhsa_system_sgpr_workgroup_id_x 1
		.amdhsa_system_sgpr_workgroup_id_y 0
		.amdhsa_system_sgpr_workgroup_id_z 1
		.amdhsa_system_sgpr_workgroup_info 0
		.amdhsa_system_vgpr_workitem_id 0
		.amdhsa_next_free_vgpr 21
		.amdhsa_next_free_sgpr 40
		.amdhsa_reserve_vcc 1
		.amdhsa_float_round_mode_32 0
		.amdhsa_float_round_mode_16_64 0
		.amdhsa_float_denorm_mode_32 3
		.amdhsa_float_denorm_mode_16_64 3
		.amdhsa_dx10_clamp 1
		.amdhsa_ieee_mode 1
		.amdhsa_fp16_overflow 0
		.amdhsa_workgroup_processor_mode 1
		.amdhsa_memory_ordered 1
		.amdhsa_forward_progress 0
		.amdhsa_shared_vgpr_count 0
		.amdhsa_exception_fp_ieee_invalid_op 0
		.amdhsa_exception_fp_denorm_src 0
		.amdhsa_exception_fp_ieee_div_zero 0
		.amdhsa_exception_fp_ieee_overflow 0
		.amdhsa_exception_fp_ieee_underflow 0
		.amdhsa_exception_fp_ieee_inexact 0
		.amdhsa_exception_int_div_zero 0
	.end_amdhsa_kernel
	.section	.text._ZL32rocblas_gemvt_warp_reduce_kernelILb0ELi1024Ei19rocblas_complex_numIdEPKS1_S1_EviiT3_lPKT2_lT1_lS7_lS8_lS4_lPT4_lS8_li,"axG",@progbits,_ZL32rocblas_gemvt_warp_reduce_kernelILb0ELi1024Ei19rocblas_complex_numIdEPKS1_S1_EviiT3_lPKT2_lT1_lS7_lS8_lS4_lPT4_lS8_li,comdat
.Lfunc_end174:
	.size	_ZL32rocblas_gemvt_warp_reduce_kernelILb0ELi1024Ei19rocblas_complex_numIdEPKS1_S1_EviiT3_lPKT2_lT1_lS7_lS8_lS4_lPT4_lS8_li, .Lfunc_end174-_ZL32rocblas_gemvt_warp_reduce_kernelILb0ELi1024Ei19rocblas_complex_numIdEPKS1_S1_EviiT3_lPKT2_lT1_lS7_lS8_lS4_lPT4_lS8_li
                                        ; -- End function
	.section	.AMDGPU.csdata,"",@progbits
; Kernel info:
; codeLenInByte = 2264
; NumSgprs: 42
; NumVgprs: 21
; ScratchSize: 0
; MemoryBound: 0
; FloatMode: 240
; IeeeMode: 1
; LDSByteSize: 512 bytes/workgroup (compile time only)
; SGPRBlocks: 5
; VGPRBlocks: 2
; NumSGPRsForWavesPerEU: 42
; NumVGPRsForWavesPerEU: 21
; Occupancy: 16
; WaveLimiterHint : 1
; COMPUTE_PGM_RSRC2:SCRATCH_EN: 0
; COMPUTE_PGM_RSRC2:USER_SGPR: 14
; COMPUTE_PGM_RSRC2:TRAP_HANDLER: 0
; COMPUTE_PGM_RSRC2:TGID_X_EN: 1
; COMPUTE_PGM_RSRC2:TGID_Y_EN: 0
; COMPUTE_PGM_RSRC2:TGID_Z_EN: 1
; COMPUTE_PGM_RSRC2:TIDIG_COMP_CNT: 0
	.section	.text._ZL32rocblas_gemvt_warp_reduce_kernelILb0ELi1024El19rocblas_complex_numIdEPKS1_S1_EviiT3_lPKT2_lT1_lS7_lS8_lS4_lPT4_lS8_li,"axG",@progbits,_ZL32rocblas_gemvt_warp_reduce_kernelILb0ELi1024El19rocblas_complex_numIdEPKS1_S1_EviiT3_lPKT2_lT1_lS7_lS8_lS4_lPT4_lS8_li,comdat
	.globl	_ZL32rocblas_gemvt_warp_reduce_kernelILb0ELi1024El19rocblas_complex_numIdEPKS1_S1_EviiT3_lPKT2_lT1_lS7_lS8_lS4_lPT4_lS8_li ; -- Begin function _ZL32rocblas_gemvt_warp_reduce_kernelILb0ELi1024El19rocblas_complex_numIdEPKS1_S1_EviiT3_lPKT2_lT1_lS7_lS8_lS4_lPT4_lS8_li
	.p2align	8
	.type	_ZL32rocblas_gemvt_warp_reduce_kernelILb0ELi1024El19rocblas_complex_numIdEPKS1_S1_EviiT3_lPKT2_lT1_lS7_lS8_lS4_lPT4_lS8_li,@function
_ZL32rocblas_gemvt_warp_reduce_kernelILb0ELi1024El19rocblas_complex_numIdEPKS1_S1_EviiT3_lPKT2_lT1_lS7_lS8_lS4_lPT4_lS8_li: ; @_ZL32rocblas_gemvt_warp_reduce_kernelILb0ELi1024El19rocblas_complex_numIdEPKS1_S1_EviiT3_lPKT2_lT1_lS7_lS8_lS4_lPT4_lS8_li
; %bb.0:
	s_load_b512 s[36:51], s[0:1], 0x8
	s_waitcnt lgkmcnt(0)
	s_mul_i32 s3, s15, s39
	s_mul_hi_u32 s4, s15, s38
	s_mul_i32 s2, s15, s38
	s_add_i32 s3, s4, s3
	s_delay_alu instid0(SALU_CYCLE_1) | instskip(NEXT) | instid1(SALU_CYCLE_1)
	s_lshl_b64 s[2:3], s[2:3], 4
	s_add_u32 s2, s36, s2
	s_addc_u32 s3, s37, s3
	s_load_b128 s[4:7], s[2:3], 0x0
	s_load_b512 s[16:31], s[0:1], 0x48
	s_waitcnt lgkmcnt(0)
	v_cmp_neq_f64_e64 s12, s[4:5], 0
	v_cmp_neq_f64_e64 s13, s[6:7], 0
	s_mul_i32 s2, s15, s23
	s_mul_hi_u32 s3, s15, s22
	s_delay_alu instid0(SALU_CYCLE_1) | instskip(SKIP_1) | instid1(SALU_CYCLE_1)
	s_add_i32 s3, s3, s2
	s_mul_i32 s2, s15, s22
	s_lshl_b64 s[2:3], s[2:3], 4
	s_delay_alu instid0(SALU_CYCLE_1) | instskip(SKIP_3) | instid1(VALU_DEP_1)
	s_add_u32 s2, s20, s2
	s_addc_u32 s3, s21, s3
	s_load_b128 s[8:11], s[2:3], 0x0
	s_mov_b32 s3, -1
	s_or_b32 s2, s12, s13
	s_delay_alu instid0(SALU_CYCLE_1)
	s_and_b32 vcc_lo, exec_lo, s2
	s_cbranch_vccnz .LBB175_2
; %bb.1:
	s_waitcnt lgkmcnt(0)
	v_cmp_neq_f64_e64 s3, s[8:9], 1.0
	v_cmp_neq_f64_e64 s12, s[10:11], 0
	s_delay_alu instid0(VALU_DEP_1)
	s_or_b32 s3, s3, s12
.LBB175_2:
	s_delay_alu instid0(SALU_CYCLE_1)
	s_and_not1_b32 vcc_lo, exec_lo, s3
	s_cbranch_vccnz .LBB175_31
; %bb.3:
	s_mul_i32 s3, s15, s31
	s_mul_hi_u32 s13, s15, s30
	s_mul_i32 s12, s15, s30
	s_add_i32 s13, s13, s3
	s_xor_b32 s20, s2, -1
	s_lshl_b64 s[12:13], s[12:13], 4
	s_delay_alu instid0(SALU_CYCLE_1)
	s_add_u32 s12, s24, s12
	s_addc_u32 s13, s25, s13
	s_lshl_b64 s[2:3], s[26:27], 4
	s_mov_b32 s26, 0
	s_add_u32 s24, s12, s2
	v_cmp_eq_u32_e64 s2, 0, v0
	s_addc_u32 s25, s13, s3
	s_and_not1_b32 vcc_lo, exec_lo, s20
	s_cbranch_vccnz .LBB175_8
; %bb.4:
	s_mov_b32 s3, 0
                                        ; implicit-def: $vgpr3_vgpr4
                                        ; implicit-def: $sgpr12_sgpr13
	s_and_saveexec_b32 s20, s2
	s_cbranch_execz .LBB175_9
; %bb.5:
	s_waitcnt lgkmcnt(0)
	v_cmp_neq_f64_e64 s2, s[8:9], 0
	v_cmp_neq_f64_e64 s12, s[10:11], 0
	v_mov_b32_e32 v3, 0
	v_mov_b32_e32 v4, 0
	s_mul_i32 s13, s14, s29
	s_mul_hi_u32 s21, s14, s28
	s_delay_alu instid0(VALU_DEP_2)
	v_mov_b32_e32 v1, v3
	s_add_i32 s13, s21, s13
	v_mov_b32_e32 v2, v4
	s_or_b32 s2, s2, s12
	s_ashr_i32 s12, s14, 31
	s_and_not1_b32 vcc_lo, exec_lo, s2
	s_mul_i32 s12, s12, s28
	s_delay_alu instid0(SALU_CYCLE_1)
	s_add_i32 s13, s13, s12
	s_mul_i32 s12, s14, s28
	s_cbranch_vccnz .LBB175_7
; %bb.6:
	s_lshl_b64 s[22:23], s[12:13], 4
	s_delay_alu instid0(SALU_CYCLE_1)
	s_add_u32 s22, s24, s22
	s_addc_u32 s23, s25, s23
	s_load_b128 s[36:39], s[22:23], 0x0
	s_waitcnt lgkmcnt(0)
	v_mul_f64 v[1:2], s[10:11], s[38:39]
	v_mul_f64 v[3:4], s[8:9], s[38:39]
	s_delay_alu instid0(VALU_DEP_2) | instskip(NEXT) | instid1(VALU_DEP_2)
	v_fma_f64 v[1:2], s[8:9], s[36:37], -v[1:2]
	v_fma_f64 v[3:4], s[10:11], s[36:37], v[3:4]
.LBB175_7:
	s_mov_b32 s26, exec_lo
	s_or_b32 exec_lo, exec_lo, s20
	s_delay_alu instid0(SALU_CYCLE_1)
	s_and_b32 vcc_lo, exec_lo, s3
	s_cbranch_vccnz .LBB175_10
	s_branch .LBB175_29
.LBB175_8:
                                        ; implicit-def: $vgpr3_vgpr4
                                        ; implicit-def: $sgpr12_sgpr13
	s_cbranch_execnz .LBB175_10
	s_branch .LBB175_29
.LBB175_9:
	s_or_b32 exec_lo, exec_lo, s20
	s_delay_alu instid0(SALU_CYCLE_1)
	s_and_b32 vcc_lo, exec_lo, s3
	s_cbranch_vccz .LBB175_29
.LBB175_10:
	s_load_b32 s13, s[0:1], 0x0
	v_mov_b32_e32 v1, 0
	s_mul_i32 s0, s15, s19
	s_mul_hi_u32 s3, s15, s18
	s_mul_i32 s2, s15, s18
	s_add_i32 s3, s3, s0
	s_mul_i32 s12, s15, s47
	s_mul_hi_u32 s18, s15, s46
	s_mul_i32 s20, s15, s46
	s_ashr_i32 s1, s14, 31
	s_mul_i32 s15, s14, s45
	s_mul_hi_u32 s19, s14, s44
	s_add_i32 s21, s18, s12
	s_add_i32 s15, s19, s15
	s_mul_i32 s18, s1, s44
	s_mov_b32 s27, 0
	s_add_i32 s19, s15, s18
	s_mul_i32 s18, s14, s44
	s_mov_b32 s15, exec_lo
	s_waitcnt lgkmcnt(0)
	v_cmp_gt_i32_e32 vcc_lo, s13, v0
	v_mov_b32_e32 v2, 0
	s_ashr_i32 s0, s13, 31
	s_delay_alu instid0(SALU_CYCLE_1) | instskip(SKIP_2) | instid1(SALU_CYCLE_1)
	s_lshr_b32 s0, s0, 22
	v_cndmask_b32_e32 v3, 0, v0, vcc_lo
	s_add_i32 s0, s13, s0
	s_and_b32 s12, s0, 0xfffffc00
	s_delay_alu instid0(VALU_DEP_1)
	v_dual_mov_b32 v4, v2 :: v_dual_lshlrev_b32 v9, 4, v3
	v_mov_b32_e32 v3, v1
	v_cmpx_gt_i32_e64 s12, v0
	s_cbranch_execz .LBB175_14
; %bb.11:
	v_mad_u64_u32 v[3:4], null, s16, v0, 0
	s_lshl_b64 s[30:31], s[50:51], 4
	s_lshl_b64 s[22:23], s[2:3], 4
	s_add_u32 s0, s48, s30
	s_addc_u32 s30, s49, s31
	s_add_u32 s0, s0, s22
	s_addc_u32 s33, s30, s23
	s_delay_alu instid0(VALU_DEP_1)
	v_mov_b32_e32 v1, v4
	s_lshl_b64 s[30:31], s[18:19], 4
	s_lshl_b64 s[34:35], s[20:21], 4
	;; [unrolled: 1-line block ×3, first 2 shown]
	s_add_u32 s34, s30, s34
	v_mad_u64_u32 v[4:5], null, s17, v0, v[1:2]
	s_addc_u32 s35, s31, s35
	s_lshl_b64 s[30:31], s[42:43], 4
	v_dual_mov_b32 v1, 0 :: v_dual_mov_b32 v10, v0
	s_add_u32 s30, s34, s30
	s_addc_u32 s31, s35, s31
	s_delay_alu instid0(VALU_DEP_2) | instskip(SKIP_3) | instid1(VALU_DEP_2)
	v_lshlrev_b64 v[3:4], 4, v[3:4]
	s_add_u32 s30, s40, s30
	s_addc_u32 s31, s41, s31
	v_mov_b32_e32 v2, 0
	v_add_co_u32 v3, vcc_lo, s0, v3
	s_delay_alu instid0(VALU_DEP_3) | instskip(SKIP_1) | instid1(VALU_DEP_1)
	v_add_co_ci_u32_e32 v4, vcc_lo, s33, v4, vcc_lo
	v_add_co_u32 v7, s0, s30, v9
	v_add_co_ci_u32_e64 v8, null, s31, 0, s0
	s_delay_alu instid0(VALU_DEP_4) | instskip(NEXT) | instid1(VALU_DEP_4)
	v_add_co_u32 v5, vcc_lo, v3, 8
	v_add_co_ci_u32_e32 v6, vcc_lo, 0, v4, vcc_lo
	s_delay_alu instid0(VALU_DEP_4) | instskip(NEXT) | instid1(VALU_DEP_4)
	v_add_co_u32 v7, vcc_lo, v7, 8
	v_add_co_ci_u32_e32 v8, vcc_lo, 0, v8, vcc_lo
	v_dual_mov_b32 v4, v2 :: v_dual_mov_b32 v3, v1
	.p2align	6
.LBB175_12:                             ; =>This Inner Loop Header: Depth=1
	global_load_b128 v[11:14], v[7:8], off offset:-8
	global_load_b128 v[15:18], v[5:6], off offset:-8
	v_add_nc_u32_e32 v10, 0x400, v10
	v_add_co_u32 v5, vcc_lo, v5, s22
	v_add_co_ci_u32_e32 v6, vcc_lo, s23, v6, vcc_lo
	s_delay_alu instid0(VALU_DEP_3) | instskip(SKIP_1) | instid1(VALU_DEP_1)
	v_cmp_le_i32_e32 vcc_lo, s12, v10
	v_add_co_u32 v7, s0, 0x4000, v7
	v_add_co_ci_u32_e64 v8, s0, 0, v8, s0
	s_or_b32 s27, vcc_lo, s27
	s_waitcnt vmcnt(0)
	v_mul_f64 v[19:20], v[13:14], v[17:18]
	v_mul_f64 v[17:18], v[11:12], v[17:18]
	s_delay_alu instid0(VALU_DEP_2) | instskip(NEXT) | instid1(VALU_DEP_2)
	v_fma_f64 v[11:12], v[11:12], v[15:16], -v[19:20]
	v_fma_f64 v[13:14], v[13:14], v[15:16], v[17:18]
	s_delay_alu instid0(VALU_DEP_2) | instskip(NEXT) | instid1(VALU_DEP_2)
	v_add_f64 v[3:4], v[3:4], v[11:12]
	v_add_f64 v[1:2], v[1:2], v[13:14]
	s_and_not1_b32 exec_lo, exec_lo, s27
	s_cbranch_execnz .LBB175_12
; %bb.13:
	s_or_b32 exec_lo, exec_lo, s27
.LBB175_14:
	s_delay_alu instid0(SALU_CYCLE_1) | instskip(SKIP_2) | instid1(VALU_DEP_1)
	s_or_b32 exec_lo, exec_lo, s15
	v_or_b32_e32 v5, s12, v0
	s_mov_b32 s0, exec_lo
	v_cmpx_gt_i32_e64 s13, v5
	s_cbranch_execz .LBB175_16
; %bb.15:
	v_ashrrev_i32_e32 v6, 31, v5
	v_mul_lo_u32 v8, v5, s17
	s_lshl_b64 s[20:21], s[20:21], 4
	s_delay_alu instid0(SALU_CYCLE_1) | instskip(NEXT) | instid1(VALU_DEP_2)
	s_add_u32 s13, s40, s20
	v_mul_lo_u32 v10, v6, s16
	v_mad_u64_u32 v[6:7], null, v5, s16, 0
	s_addc_u32 s15, s41, s21
	s_lshl_b64 s[20:21], s[42:43], 4
	s_delay_alu instid0(SALU_CYCLE_1) | instskip(SKIP_2) | instid1(VALU_DEP_1)
	s_add_u32 s20, s13, s20
	s_addc_u32 s15, s15, s21
	s_lshl_b64 s[2:3], s[2:3], 4
	v_add3_u32 v7, v7, v8, v10
	s_lshl_b64 s[16:17], s[18:19], 4
	s_add_u32 s13, s48, s2
	s_addc_u32 s18, s49, s3
	s_lshl_b64 s[2:3], s[50:51], 4
	v_lshlrev_b64 v[5:6], 4, v[6:7]
	s_add_u32 s19, s13, s2
	s_addc_u32 s18, s18, s3
	s_ashr_i32 s13, s12, 31
	s_delay_alu instid0(SALU_CYCLE_1) | instskip(NEXT) | instid1(VALU_DEP_1)
	s_lshl_b64 s[2:3], s[12:13], 4
	v_add_co_u32 v10, vcc_lo, s19, v5
	s_add_u32 s2, s2, s16
	s_addc_u32 s3, s3, s17
	v_add_co_ci_u32_e32 v11, vcc_lo, s18, v6, vcc_lo
	s_add_u32 s2, s2, s20
	s_addc_u32 s3, s3, s15
	global_load_b128 v[5:8], v9, s[2:3]
	global_load_b128 v[9:12], v[10:11], off
	s_waitcnt vmcnt(0)
	v_mul_f64 v[13:14], v[7:8], v[11:12]
	v_mul_f64 v[11:12], v[5:6], v[11:12]
	s_delay_alu instid0(VALU_DEP_2) | instskip(NEXT) | instid1(VALU_DEP_2)
	v_fma_f64 v[5:6], v[5:6], v[9:10], -v[13:14]
	v_fma_f64 v[7:8], v[7:8], v[9:10], v[11:12]
	s_delay_alu instid0(VALU_DEP_2) | instskip(NEXT) | instid1(VALU_DEP_2)
	v_add_f64 v[3:4], v[3:4], v[5:6]
	v_add_f64 v[1:2], v[1:2], v[7:8]
.LBB175_16:
	s_or_b32 exec_lo, exec_lo, s0
	v_and_b32_e32 v15, 31, v0
	v_cmp_gt_u32_e32 vcc_lo, 32, v0
	s_delay_alu instid0(VALU_DEP_2)
	v_lshlrev_b32_e32 v11, 4, v15
	s_and_saveexec_b32 s0, vcc_lo
	s_cbranch_execz .LBB175_18
; %bb.17:
	v_mov_b32_e32 v5, 0
	s_delay_alu instid0(VALU_DEP_1)
	v_mov_b32_e32 v6, v5
	v_mov_b32_e32 v7, v5
	;; [unrolled: 1-line block ×3, first 2 shown]
	ds_store_b128 v11, v[5:8]
.LBB175_18:
	s_or_b32 exec_lo, exec_lo, s0
	v_mbcnt_lo_u32_b32 v14, -1, 0
	s_mov_b32 s2, exec_lo
	s_waitcnt lgkmcnt(0)
	s_barrier
	buffer_gl0_inv
	v_cmp_gt_u32_e64 s0, 16, v14
	s_delay_alu instid0(VALU_DEP_1) | instskip(SKIP_1) | instid1(VALU_DEP_2)
	v_cndmask_b32_e64 v5, 0, 1, s0
	v_cmp_gt_u32_e64 s0, 24, v14
	v_lshlrev_b32_e32 v5, 4, v5
	s_delay_alu instid0(VALU_DEP_1)
	v_add_lshl_u32 v9, v5, v14, 2
	ds_bpermute_b32 v5, v9, v3
	ds_bpermute_b32 v6, v9, v4
	;; [unrolled: 1-line block ×4, first 2 shown]
	s_waitcnt lgkmcnt(2)
	v_add_f64 v[3:4], v[3:4], v[5:6]
	v_cndmask_b32_e64 v5, 0, 1, s0
	s_waitcnt lgkmcnt(0)
	v_add_f64 v[1:2], v[1:2], v[7:8]
	v_cmp_gt_u32_e64 s0, 28, v14
	s_delay_alu instid0(VALU_DEP_3) | instskip(NEXT) | instid1(VALU_DEP_1)
	v_lshlrev_b32_e32 v5, 3, v5
	v_add_lshl_u32 v10, v5, v14, 2
	ds_bpermute_b32 v5, v10, v3
	ds_bpermute_b32 v6, v10, v4
	;; [unrolled: 1-line block ×4, first 2 shown]
	s_waitcnt lgkmcnt(2)
	v_add_f64 v[3:4], v[3:4], v[5:6]
	v_cndmask_b32_e64 v5, 0, 1, s0
	s_waitcnt lgkmcnt(0)
	v_add_f64 v[1:2], v[1:2], v[7:8]
	v_cmp_gt_u32_e64 s0, 30, v14
	s_delay_alu instid0(VALU_DEP_3) | instskip(NEXT) | instid1(VALU_DEP_1)
	v_lshlrev_b32_e32 v5, 2, v5
	v_add_lshl_u32 v12, v5, v14, 2
	ds_bpermute_b32 v5, v12, v3
	ds_bpermute_b32 v6, v12, v4
	;; [unrolled: 1-line block ×4, first 2 shown]
	s_waitcnt lgkmcnt(2)
	v_add_f64 v[3:4], v[3:4], v[5:6]
	s_waitcnt lgkmcnt(0)
	v_add_f64 v[5:6], v[1:2], v[7:8]
	v_cndmask_b32_e64 v1, 0, 1, s0
	v_cmp_ne_u32_e64 s0, 31, v14
	s_delay_alu instid0(VALU_DEP_2) | instskip(NEXT) | instid1(VALU_DEP_1)
	v_lshlrev_b32_e32 v1, 1, v1
	v_add_lshl_u32 v13, v1, v14, 2
	ds_bpermute_b32 v1, v13, v3
	ds_bpermute_b32 v2, v13, v4
	;; [unrolled: 1-line block ×4, first 2 shown]
	s_waitcnt lgkmcnt(2)
	v_add_f64 v[1:2], v[3:4], v[1:2]
	v_add_co_ci_u32_e64 v3, s0, 0, v14, s0
	s_waitcnt lgkmcnt(0)
	v_add_f64 v[5:6], v[5:6], v[7:8]
	s_delay_alu instid0(VALU_DEP_2)
	v_lshlrev_b32_e32 v14, 2, v3
	ds_bpermute_b32 v3, v14, v1
	ds_bpermute_b32 v4, v14, v2
	;; [unrolled: 1-line block ×4, first 2 shown]
	v_cmpx_eq_u32_e32 0, v15
	s_cbranch_execz .LBB175_20
; %bb.19:
	s_waitcnt lgkmcnt(0)
	v_add_f64 v[5:6], v[5:6], v[7:8]
	v_add_f64 v[3:4], v[1:2], v[3:4]
	v_lshrrev_b32_e32 v1, 1, v0
	s_delay_alu instid0(VALU_DEP_1)
	v_and_b32_e32 v1, 0x1f0, v1
	ds_store_b128 v1, v[3:6]
.LBB175_20:
	s_or_b32 exec_lo, exec_lo, s2
	s_waitcnt lgkmcnt(0)
	v_mov_b32_e32 v7, 0
	v_mov_b32_e32 v8, 0
	s_delay_alu instid0(VALU_DEP_2)
	v_mov_b32_e32 v5, v7
	s_barrier
	buffer_gl0_inv
	v_mov_b32_e32 v6, v8
	s_and_saveexec_b32 s0, vcc_lo
	s_cbranch_execz .LBB175_22
; %bb.21:
	ds_load_b128 v[5:8], v11
.LBB175_22:
	s_or_b32 exec_lo, exec_lo, s0
	s_and_saveexec_b32 s0, vcc_lo
	s_cbranch_execz .LBB175_24
; %bb.23:
	s_waitcnt lgkmcnt(0)
	ds_bpermute_b32 v1, v9, v5
	ds_bpermute_b32 v2, v9, v6
	ds_bpermute_b32 v3, v9, v7
	ds_bpermute_b32 v4, v9, v8
	s_waitcnt lgkmcnt(2)
	v_add_f64 v[1:2], v[5:6], v[1:2]
	s_waitcnt lgkmcnt(0)
	v_add_f64 v[3:4], v[7:8], v[3:4]
	ds_bpermute_b32 v5, v10, v1
	ds_bpermute_b32 v6, v10, v2
	ds_bpermute_b32 v7, v10, v3
	ds_bpermute_b32 v8, v10, v4
	s_waitcnt lgkmcnt(2)
	v_add_f64 v[1:2], v[1:2], v[5:6]
	s_waitcnt lgkmcnt(0)
	v_add_f64 v[3:4], v[3:4], v[7:8]
	;; [unrolled: 8-line block ×5, first 2 shown]
.LBB175_24:
	s_or_b32 exec_lo, exec_lo, s0
	s_delay_alu instid0(SALU_CYCLE_1)
	s_mov_b32 s0, exec_lo
                                        ; implicit-def: $vgpr3_vgpr4
                                        ; implicit-def: $sgpr12_sgpr13
	v_cmpx_eq_u32_e32 0, v0
	s_cbranch_execz .LBB175_28
; %bb.25:
	s_waitcnt lgkmcnt(0)
	s_delay_alu instid0(VALU_DEP_2)
	v_mul_f64 v[0:1], s[6:7], v[7:8]
	v_mul_f64 v[3:4], s[4:5], v[7:8]
	v_cmp_neq_f64_e64 s2, s[8:9], 0
	v_cmp_neq_f64_e64 s3, s[10:11], 0
	s_mul_i32 s1, s1, s28
	s_mul_i32 s12, s14, s28
	s_delay_alu instid0(VALU_DEP_4) | instskip(NEXT) | instid1(VALU_DEP_4)
	v_fma_f64 v[1:2], s[4:5], v[5:6], -v[0:1]
	v_fma_f64 v[3:4], s[6:7], v[5:6], v[3:4]
	s_mul_hi_u32 s4, s14, s28
	s_delay_alu instid0(VALU_DEP_3) | instskip(SKIP_3) | instid1(SALU_CYCLE_1)
	s_or_b32 s2, s2, s3
	s_mul_i32 s3, s14, s29
	s_and_not1_b32 vcc_lo, exec_lo, s2
	s_add_i32 s3, s4, s3
	s_add_i32 s13, s3, s1
	s_cbranch_vccnz .LBB175_27
; %bb.26:
	s_lshl_b64 s[2:3], s[12:13], 4
	s_delay_alu instid0(SALU_CYCLE_1)
	s_add_u32 s2, s24, s2
	s_addc_u32 s3, s25, s3
	s_load_b128 s[4:7], s[2:3], 0x0
	s_waitcnt lgkmcnt(0)
	v_mul_f64 v[5:6], s[10:11], s[6:7]
	v_mul_f64 v[7:8], s[8:9], s[6:7]
	s_delay_alu instid0(VALU_DEP_2) | instskip(NEXT) | instid1(VALU_DEP_2)
	v_fma_f64 v[5:6], s[8:9], s[4:5], -v[5:6]
	v_fma_f64 v[7:8], s[10:11], s[4:5], v[7:8]
	s_delay_alu instid0(VALU_DEP_2) | instskip(NEXT) | instid1(VALU_DEP_2)
	v_add_f64 v[1:2], v[1:2], v[5:6]
	v_add_f64 v[3:4], v[3:4], v[7:8]
.LBB175_27:
	s_or_b32 s26, s26, exec_lo
.LBB175_28:
	s_or_b32 exec_lo, exec_lo, s0
.LBB175_29:
	s_and_saveexec_b32 s0, s26
	s_cbranch_execz .LBB175_31
; %bb.30:
	s_lshl_b64 s[0:1], s[12:13], 4
	v_mov_b32_e32 v0, 0
	s_add_u32 s0, s24, s0
	s_addc_u32 s1, s25, s1
	global_store_b128 v0, v[1:4], s[0:1]
.LBB175_31:
	s_nop 0
	s_sendmsg sendmsg(MSG_DEALLOC_VGPRS)
	s_endpgm
	.section	.rodata,"a",@progbits
	.p2align	6, 0x0
	.amdhsa_kernel _ZL32rocblas_gemvt_warp_reduce_kernelILb0ELi1024El19rocblas_complex_numIdEPKS1_S1_EviiT3_lPKT2_lT1_lS7_lS8_lS4_lPT4_lS8_li
		.amdhsa_group_segment_fixed_size 512
		.amdhsa_private_segment_fixed_size 0
		.amdhsa_kernarg_size 140
		.amdhsa_user_sgpr_count 14
		.amdhsa_user_sgpr_dispatch_ptr 0
		.amdhsa_user_sgpr_queue_ptr 0
		.amdhsa_user_sgpr_kernarg_segment_ptr 1
		.amdhsa_user_sgpr_dispatch_id 0
		.amdhsa_user_sgpr_private_segment_size 0
		.amdhsa_wavefront_size32 1
		.amdhsa_uses_dynamic_stack 0
		.amdhsa_enable_private_segment 0
		.amdhsa_system_sgpr_workgroup_id_x 1
		.amdhsa_system_sgpr_workgroup_id_y 0
		.amdhsa_system_sgpr_workgroup_id_z 1
		.amdhsa_system_sgpr_workgroup_info 0
		.amdhsa_system_vgpr_workitem_id 0
		.amdhsa_next_free_vgpr 21
		.amdhsa_next_free_sgpr 52
		.amdhsa_reserve_vcc 1
		.amdhsa_float_round_mode_32 0
		.amdhsa_float_round_mode_16_64 0
		.amdhsa_float_denorm_mode_32 3
		.amdhsa_float_denorm_mode_16_64 3
		.amdhsa_dx10_clamp 1
		.amdhsa_ieee_mode 1
		.amdhsa_fp16_overflow 0
		.amdhsa_workgroup_processor_mode 1
		.amdhsa_memory_ordered 1
		.amdhsa_forward_progress 0
		.amdhsa_shared_vgpr_count 0
		.amdhsa_exception_fp_ieee_invalid_op 0
		.amdhsa_exception_fp_denorm_src 0
		.amdhsa_exception_fp_ieee_div_zero 0
		.amdhsa_exception_fp_ieee_overflow 0
		.amdhsa_exception_fp_ieee_underflow 0
		.amdhsa_exception_fp_ieee_inexact 0
		.amdhsa_exception_int_div_zero 0
	.end_amdhsa_kernel
	.section	.text._ZL32rocblas_gemvt_warp_reduce_kernelILb0ELi1024El19rocblas_complex_numIdEPKS1_S1_EviiT3_lPKT2_lT1_lS7_lS8_lS4_lPT4_lS8_li,"axG",@progbits,_ZL32rocblas_gemvt_warp_reduce_kernelILb0ELi1024El19rocblas_complex_numIdEPKS1_S1_EviiT3_lPKT2_lT1_lS7_lS8_lS4_lPT4_lS8_li,comdat
.Lfunc_end175:
	.size	_ZL32rocblas_gemvt_warp_reduce_kernelILb0ELi1024El19rocblas_complex_numIdEPKS1_S1_EviiT3_lPKT2_lT1_lS7_lS8_lS4_lPT4_lS8_li, .Lfunc_end175-_ZL32rocblas_gemvt_warp_reduce_kernelILb0ELi1024El19rocblas_complex_numIdEPKS1_S1_EviiT3_lPKT2_lT1_lS7_lS8_lS4_lPT4_lS8_li
                                        ; -- End function
	.section	.AMDGPU.csdata,"",@progbits
; Kernel info:
; codeLenInByte = 2340
; NumSgprs: 54
; NumVgprs: 21
; ScratchSize: 0
; MemoryBound: 0
; FloatMode: 240
; IeeeMode: 1
; LDSByteSize: 512 bytes/workgroup (compile time only)
; SGPRBlocks: 6
; VGPRBlocks: 2
; NumSGPRsForWavesPerEU: 54
; NumVGPRsForWavesPerEU: 21
; Occupancy: 16
; WaveLimiterHint : 0
; COMPUTE_PGM_RSRC2:SCRATCH_EN: 0
; COMPUTE_PGM_RSRC2:USER_SGPR: 14
; COMPUTE_PGM_RSRC2:TRAP_HANDLER: 0
; COMPUTE_PGM_RSRC2:TGID_X_EN: 1
; COMPUTE_PGM_RSRC2:TGID_Y_EN: 0
; COMPUTE_PGM_RSRC2:TGID_Z_EN: 1
; COMPUTE_PGM_RSRC2:TIDIG_COMP_CNT: 0
	.section	.text._ZL32rocblas_gemvt_warp_reduce_kernelILb0ELi1024Ei19rocblas_complex_numIdES1_S1_EviiT3_lPKT2_lT1_lS5_lS6_lS2_lPT4_lS6_li,"axG",@progbits,_ZL32rocblas_gemvt_warp_reduce_kernelILb0ELi1024Ei19rocblas_complex_numIdES1_S1_EviiT3_lPKT2_lT1_lS5_lS6_lS2_lPT4_lS6_li,comdat
	.globl	_ZL32rocblas_gemvt_warp_reduce_kernelILb0ELi1024Ei19rocblas_complex_numIdES1_S1_EviiT3_lPKT2_lT1_lS5_lS6_lS2_lPT4_lS6_li ; -- Begin function _ZL32rocblas_gemvt_warp_reduce_kernelILb0ELi1024Ei19rocblas_complex_numIdES1_S1_EviiT3_lPKT2_lT1_lS5_lS6_lS2_lPT4_lS6_li
	.p2align	8
	.type	_ZL32rocblas_gemvt_warp_reduce_kernelILb0ELi1024Ei19rocblas_complex_numIdES1_S1_EviiT3_lPKT2_lT1_lS5_lS6_lS2_lPT4_lS6_li,@function
_ZL32rocblas_gemvt_warp_reduce_kernelILb0ELi1024Ei19rocblas_complex_numIdES1_S1_EviiT3_lPKT2_lT1_lS5_lS6_lS2_lPT4_lS6_li: ; @_ZL32rocblas_gemvt_warp_reduce_kernelILb0ELi1024Ei19rocblas_complex_numIdES1_S1_EviiT3_lPKT2_lT1_lS5_lS6_lS2_lPT4_lS6_li
; %bb.0:
	s_clause 0x2
	s_load_b128 s[8:11], s[0:1], 0x8
	s_load_b128 s[4:7], s[0:1], 0x58
	s_load_b64 s[12:13], s[0:1], 0x68
	s_waitcnt lgkmcnt(0)
	v_cmp_neq_f64_e64 s2, s[8:9], 0
	v_cmp_neq_f64_e64 s3, s[10:11], 0
	s_delay_alu instid0(VALU_DEP_1)
	s_or_b32 s2, s2, s3
	s_mov_b32 s3, -1
	s_and_b32 vcc_lo, exec_lo, s2
	s_cbranch_vccnz .LBB176_2
; %bb.1:
	v_cmp_neq_f64_e64 s3, s[6:7], 1.0
	v_cmp_neq_f64_e64 s16, s[12:13], 0
	s_delay_alu instid0(VALU_DEP_1)
	s_or_b32 s3, s3, s16
.LBB176_2:
	s_delay_alu instid0(SALU_CYCLE_1)
	s_and_not1_b32 vcc_lo, exec_lo, s3
	s_cbranch_vccnz .LBB176_31
; %bb.3:
	s_clause 0x2
	s_load_b64 s[20:21], s[0:1], 0x90
	s_load_b128 s[16:19], s[0:1], 0x78
	s_load_b32 s26, s[0:1], 0x88
	s_xor_b32 s22, s2, -1
	s_mov_b32 s27, 0
	s_waitcnt lgkmcnt(0)
	s_mul_i32 s3, s15, s21
	s_mul_hi_u32 s21, s15, s20
	s_mul_i32 s2, s15, s20
	s_add_i32 s3, s21, s3
	s_delay_alu instid0(SALU_CYCLE_1) | instskip(NEXT) | instid1(SALU_CYCLE_1)
	s_lshl_b64 s[2:3], s[2:3], 4
	s_add_u32 s20, s16, s2
	s_addc_u32 s3, s17, s3
	s_lshl_b64 s[16:17], s[18:19], 4
	v_cmp_eq_u32_e64 s2, 0, v0
	s_add_u32 s24, s20, s16
	s_addc_u32 s25, s3, s17
	s_and_not1_b32 vcc_lo, exec_lo, s22
	s_cbranch_vccnz .LBB176_8
; %bb.4:
	s_mov_b32 s3, 0
                                        ; implicit-def: $vgpr3_vgpr4
                                        ; implicit-def: $sgpr16_sgpr17
	s_and_saveexec_b32 s18, s2
	s_cbranch_execz .LBB176_9
; %bb.5:
	v_cmp_neq_f64_e64 s2, s[6:7], 0
	v_cmp_neq_f64_e64 s16, s[12:13], 0
	v_mov_b32_e32 v3, 0
	v_mov_b32_e32 v4, 0
	s_delay_alu instid0(VALU_DEP_1) | instskip(NEXT) | instid1(VALU_DEP_4)
	v_dual_mov_b32 v1, v3 :: v_dual_mov_b32 v2, v4
	s_or_b32 s2, s2, s16
	s_mul_i32 s16, s14, s26
	s_and_not1_b32 vcc_lo, exec_lo, s2
	s_ashr_i32 s17, s16, 31
	s_cbranch_vccnz .LBB176_7
; %bb.6:
	s_lshl_b64 s[20:21], s[16:17], 4
	s_delay_alu instid0(SALU_CYCLE_1)
	s_add_u32 s20, s24, s20
	s_addc_u32 s21, s25, s21
	s_load_b128 s[20:23], s[20:21], 0x0
	s_waitcnt lgkmcnt(0)
	v_mul_f64 v[1:2], s[12:13], s[22:23]
	v_mul_f64 v[3:4], s[6:7], s[22:23]
	s_delay_alu instid0(VALU_DEP_2) | instskip(NEXT) | instid1(VALU_DEP_2)
	v_fma_f64 v[1:2], s[6:7], s[20:21], -v[1:2]
	v_fma_f64 v[3:4], s[12:13], s[20:21], v[3:4]
.LBB176_7:
	s_mov_b32 s27, exec_lo
	s_or_b32 exec_lo, exec_lo, s18
	s_delay_alu instid0(SALU_CYCLE_1)
	s_and_b32 vcc_lo, exec_lo, s3
	s_cbranch_vccnz .LBB176_10
	s_branch .LBB176_29
.LBB176_8:
                                        ; implicit-def: $vgpr3_vgpr4
                                        ; implicit-def: $sgpr16_sgpr17
	s_cbranch_execnz .LBB176_10
	s_branch .LBB176_29
.LBB176_9:
	s_or_b32 exec_lo, exec_lo, s18
	s_delay_alu instid0(SALU_CYCLE_1)
	s_and_b32 vcc_lo, exec_lo, s3
	s_cbranch_vccz .LBB176_29
.LBB176_10:
	s_clause 0x5
	s_load_b128 s[20:23], s[0:1], 0x38
	s_load_b64 s[28:29], s[0:1], 0x48
	s_load_b32 s3, s[0:1], 0x0
	s_load_b128 s[16:19], s[0:1], 0x20
	s_load_b32 s30, s[0:1], 0x30
	s_load_b32 s1, s[0:1], 0x50
	s_mul_i32 s2, s15, s5
	s_mul_hi_u32 s5, s15, s4
	s_mul_i32 s4, s15, s4
	s_add_i32 s5, s5, s2
	v_mov_b32_e32 v1, 0
	s_lshl_b64 s[4:5], s[4:5], 4
	s_waitcnt lgkmcnt(0)
	s_add_u32 s0, s22, s4
	s_mul_i32 s2, s15, s21
	v_cmp_gt_i32_e32 vcc_lo, s3, v0
	v_mov_b32_e32 v2, 0
	s_addc_u32 s21, s23, s5
	s_lshl_b64 s[4:5], s[28:29], 4
	s_mul_hi_u32 s28, s15, s20
	v_cndmask_b32_e32 v3, 0, v0, vcc_lo
	s_add_u32 s22, s0, s4
	s_addc_u32 s23, s21, s5
	s_ashr_i32 s0, s3, 31
	s_mul_i32 s4, s15, s20
	s_lshr_b32 s0, s0, 22
	v_dual_mov_b32 v4, v2 :: v_dual_lshlrev_b32 v9, 4, v3
	v_mov_b32_e32 v3, v1
	s_add_i32 s0, s3, s0
	s_mul_i32 s20, s14, s30
	s_add_i32 s5, s28, s2
	s_and_b32 s2, s0, 0xfffffc00
	s_mov_b32 s28, 0
	s_ashr_i32 s21, s20, 31
	s_mov_b32 s15, exec_lo
	v_cmpx_gt_i32_e64 s2, v0
	s_cbranch_execz .LBB176_14
; %bb.11:
	s_lshl_b64 s[30:31], s[4:5], 4
	s_lshl_b64 s[34:35], s[18:19], 4
	s_lshl_b32 s29, s1, 10
	s_add_u32 s0, s30, s34
	s_addc_u32 s33, s31, s35
	s_lshl_b64 s[30:31], s[20:21], 4
	v_dual_mov_b32 v1, 0 :: v_dual_mov_b32 v10, v0
	s_add_u32 s0, s0, s30
	s_addc_u32 s30, s33, s31
	s_add_u32 s0, s16, s0
	s_addc_u32 s30, s17, s30
	v_add_co_u32 v3, s0, s0, v9
	s_delay_alu instid0(VALU_DEP_1) | instskip(SKIP_2) | instid1(VALU_DEP_4)
	v_add_co_ci_u32_e64 v4, null, s30, 0, s0
	v_mov_b32_e32 v2, 0
	v_mul_lo_u32 v5, v0, s1
	v_add_co_u32 v7, vcc_lo, v3, 8
	s_delay_alu instid0(VALU_DEP_4) | instskip(NEXT) | instid1(VALU_DEP_4)
	v_add_co_ci_u32_e32 v8, vcc_lo, 0, v4, vcc_lo
	v_dual_mov_b32 v4, v2 :: v_dual_mov_b32 v3, v1
	s_set_inst_prefetch_distance 0x1
	.p2align	6
.LBB176_12:                             ; =>This Inner Loop Header: Depth=1
	s_delay_alu instid0(VALU_DEP_4) | instskip(SKIP_1) | instid1(VALU_DEP_2)
	v_ashrrev_i32_e32 v6, 31, v5
	v_add_nc_u32_e32 v10, 0x400, v10
	v_lshlrev_b64 v[11:12], 4, v[5:6]
	s_delay_alu instid0(VALU_DEP_2) | instskip(SKIP_1) | instid1(VALU_DEP_2)
	v_cmp_le_i32_e64 s0, s2, v10
	v_add_nc_u32_e32 v5, s29, v5
	s_or_b32 s28, s0, s28
	s_delay_alu instid0(VALU_DEP_3) | instskip(NEXT) | instid1(VALU_DEP_4)
	v_add_co_u32 v15, vcc_lo, s22, v11
	v_add_co_ci_u32_e32 v16, vcc_lo, s23, v12, vcc_lo
	global_load_b128 v[11:14], v[7:8], off offset:-8
	global_load_b128 v[15:18], v[15:16], off
	v_add_co_u32 v7, vcc_lo, 0x4000, v7
	v_add_co_ci_u32_e32 v8, vcc_lo, 0, v8, vcc_lo
	s_waitcnt vmcnt(0)
	v_mul_f64 v[19:20], v[13:14], v[17:18]
	v_mul_f64 v[17:18], v[11:12], v[17:18]
	s_delay_alu instid0(VALU_DEP_2) | instskip(NEXT) | instid1(VALU_DEP_2)
	v_fma_f64 v[11:12], v[11:12], v[15:16], -v[19:20]
	v_fma_f64 v[13:14], v[13:14], v[15:16], v[17:18]
	s_delay_alu instid0(VALU_DEP_2) | instskip(NEXT) | instid1(VALU_DEP_2)
	v_add_f64 v[3:4], v[3:4], v[11:12]
	v_add_f64 v[1:2], v[1:2], v[13:14]
	s_and_not1_b32 exec_lo, exec_lo, s28
	s_cbranch_execnz .LBB176_12
; %bb.13:
	s_set_inst_prefetch_distance 0x2
	s_or_b32 exec_lo, exec_lo, s28
.LBB176_14:
	s_delay_alu instid0(SALU_CYCLE_1) | instskip(SKIP_2) | instid1(VALU_DEP_1)
	s_or_b32 exec_lo, exec_lo, s15
	v_or_b32_e32 v5, s2, v0
	s_mov_b32 s0, exec_lo
	v_cmpx_gt_i32_e64 s3, v5
	s_cbranch_execz .LBB176_16
; %bb.15:
	v_mul_lo_u32 v5, v5, s1
	s_lshl_b64 s[4:5], s[4:5], 4
	s_delay_alu instid0(SALU_CYCLE_1) | instskip(SKIP_2) | instid1(SALU_CYCLE_1)
	s_add_u32 s1, s16, s4
	s_addc_u32 s3, s17, s5
	s_lshl_b64 s[4:5], s[18:19], 4
	s_add_u32 s1, s1, s4
	s_delay_alu instid0(VALU_DEP_1)
	v_ashrrev_i32_e32 v6, 31, v5
	s_addc_u32 s15, s3, s5
	s_ashr_i32 s3, s2, 31
	s_lshl_b64 s[4:5], s[20:21], 4
	s_lshl_b64 s[2:3], s[2:3], 4
	v_lshlrev_b64 v[5:6], 4, v[5:6]
	s_add_u32 s2, s2, s4
	s_addc_u32 s3, s3, s5
	s_add_u32 s2, s2, s1
	s_addc_u32 s3, s3, s15
	s_delay_alu instid0(VALU_DEP_1)
	v_add_co_u32 v10, vcc_lo, s22, v5
	v_add_co_ci_u32_e32 v11, vcc_lo, s23, v6, vcc_lo
	global_load_b128 v[5:8], v9, s[2:3]
	global_load_b128 v[9:12], v[10:11], off
	s_waitcnt vmcnt(0)
	v_mul_f64 v[13:14], v[7:8], v[11:12]
	v_mul_f64 v[11:12], v[5:6], v[11:12]
	s_delay_alu instid0(VALU_DEP_2) | instskip(NEXT) | instid1(VALU_DEP_2)
	v_fma_f64 v[5:6], v[5:6], v[9:10], -v[13:14]
	v_fma_f64 v[7:8], v[7:8], v[9:10], v[11:12]
	s_delay_alu instid0(VALU_DEP_2) | instskip(NEXT) | instid1(VALU_DEP_2)
	v_add_f64 v[3:4], v[3:4], v[5:6]
	v_add_f64 v[1:2], v[1:2], v[7:8]
.LBB176_16:
	s_or_b32 exec_lo, exec_lo, s0
	v_and_b32_e32 v15, 31, v0
	v_cmp_gt_u32_e32 vcc_lo, 32, v0
	s_delay_alu instid0(VALU_DEP_2)
	v_lshlrev_b32_e32 v11, 4, v15
	s_and_saveexec_b32 s0, vcc_lo
	s_cbranch_execz .LBB176_18
; %bb.17:
	v_mov_b32_e32 v5, 0
	s_delay_alu instid0(VALU_DEP_1)
	v_mov_b32_e32 v6, v5
	v_mov_b32_e32 v7, v5
	;; [unrolled: 1-line block ×3, first 2 shown]
	ds_store_b128 v11, v[5:8]
.LBB176_18:
	s_or_b32 exec_lo, exec_lo, s0
	v_mbcnt_lo_u32_b32 v14, -1, 0
	s_mov_b32 s1, exec_lo
	s_waitcnt lgkmcnt(0)
	s_barrier
	buffer_gl0_inv
	v_cmp_gt_u32_e64 s0, 16, v14
	s_delay_alu instid0(VALU_DEP_1) | instskip(SKIP_1) | instid1(VALU_DEP_2)
	v_cndmask_b32_e64 v5, 0, 1, s0
	v_cmp_gt_u32_e64 s0, 24, v14
	v_lshlrev_b32_e32 v5, 4, v5
	s_delay_alu instid0(VALU_DEP_1)
	v_add_lshl_u32 v9, v5, v14, 2
	ds_bpermute_b32 v5, v9, v3
	ds_bpermute_b32 v6, v9, v4
	;; [unrolled: 1-line block ×4, first 2 shown]
	s_waitcnt lgkmcnt(2)
	v_add_f64 v[3:4], v[3:4], v[5:6]
	v_cndmask_b32_e64 v5, 0, 1, s0
	s_waitcnt lgkmcnt(0)
	v_add_f64 v[1:2], v[1:2], v[7:8]
	v_cmp_gt_u32_e64 s0, 28, v14
	s_delay_alu instid0(VALU_DEP_3) | instskip(NEXT) | instid1(VALU_DEP_1)
	v_lshlrev_b32_e32 v5, 3, v5
	v_add_lshl_u32 v10, v5, v14, 2
	ds_bpermute_b32 v5, v10, v3
	ds_bpermute_b32 v6, v10, v4
	;; [unrolled: 1-line block ×4, first 2 shown]
	s_waitcnt lgkmcnt(2)
	v_add_f64 v[3:4], v[3:4], v[5:6]
	v_cndmask_b32_e64 v5, 0, 1, s0
	s_waitcnt lgkmcnt(0)
	v_add_f64 v[1:2], v[1:2], v[7:8]
	v_cmp_gt_u32_e64 s0, 30, v14
	s_delay_alu instid0(VALU_DEP_3) | instskip(NEXT) | instid1(VALU_DEP_1)
	v_lshlrev_b32_e32 v5, 2, v5
	v_add_lshl_u32 v12, v5, v14, 2
	ds_bpermute_b32 v5, v12, v3
	ds_bpermute_b32 v6, v12, v4
	;; [unrolled: 1-line block ×4, first 2 shown]
	s_waitcnt lgkmcnt(2)
	v_add_f64 v[3:4], v[3:4], v[5:6]
	s_waitcnt lgkmcnt(0)
	v_add_f64 v[5:6], v[1:2], v[7:8]
	v_cndmask_b32_e64 v1, 0, 1, s0
	v_cmp_ne_u32_e64 s0, 31, v14
	s_delay_alu instid0(VALU_DEP_2) | instskip(NEXT) | instid1(VALU_DEP_1)
	v_lshlrev_b32_e32 v1, 1, v1
	v_add_lshl_u32 v13, v1, v14, 2
	ds_bpermute_b32 v1, v13, v3
	ds_bpermute_b32 v2, v13, v4
	;; [unrolled: 1-line block ×4, first 2 shown]
	s_waitcnt lgkmcnt(2)
	v_add_f64 v[1:2], v[3:4], v[1:2]
	v_add_co_ci_u32_e64 v3, s0, 0, v14, s0
	s_waitcnt lgkmcnt(0)
	v_add_f64 v[5:6], v[5:6], v[7:8]
	s_delay_alu instid0(VALU_DEP_2)
	v_lshlrev_b32_e32 v14, 2, v3
	ds_bpermute_b32 v3, v14, v1
	ds_bpermute_b32 v4, v14, v2
	;; [unrolled: 1-line block ×4, first 2 shown]
	v_cmpx_eq_u32_e32 0, v15
	s_cbranch_execz .LBB176_20
; %bb.19:
	s_waitcnt lgkmcnt(0)
	v_add_f64 v[5:6], v[5:6], v[7:8]
	v_add_f64 v[3:4], v[1:2], v[3:4]
	v_lshrrev_b32_e32 v1, 1, v0
	s_delay_alu instid0(VALU_DEP_1)
	v_and_b32_e32 v1, 0x1f0, v1
	ds_store_b128 v1, v[3:6]
.LBB176_20:
	s_or_b32 exec_lo, exec_lo, s1
	s_waitcnt lgkmcnt(0)
	v_mov_b32_e32 v7, 0
	v_mov_b32_e32 v8, 0
	s_delay_alu instid0(VALU_DEP_2)
	v_mov_b32_e32 v5, v7
	s_barrier
	buffer_gl0_inv
	v_mov_b32_e32 v6, v8
	s_and_saveexec_b32 s0, vcc_lo
	s_cbranch_execz .LBB176_22
; %bb.21:
	ds_load_b128 v[5:8], v11
.LBB176_22:
	s_or_b32 exec_lo, exec_lo, s0
	s_and_saveexec_b32 s0, vcc_lo
	s_cbranch_execz .LBB176_24
; %bb.23:
	s_waitcnt lgkmcnt(0)
	ds_bpermute_b32 v1, v9, v5
	ds_bpermute_b32 v2, v9, v6
	ds_bpermute_b32 v3, v9, v7
	ds_bpermute_b32 v4, v9, v8
	s_waitcnt lgkmcnt(2)
	v_add_f64 v[1:2], v[5:6], v[1:2]
	s_waitcnt lgkmcnt(0)
	v_add_f64 v[3:4], v[7:8], v[3:4]
	ds_bpermute_b32 v5, v10, v1
	ds_bpermute_b32 v6, v10, v2
	ds_bpermute_b32 v7, v10, v3
	ds_bpermute_b32 v8, v10, v4
	s_waitcnt lgkmcnt(2)
	v_add_f64 v[1:2], v[1:2], v[5:6]
	s_waitcnt lgkmcnt(0)
	v_add_f64 v[3:4], v[3:4], v[7:8]
	;; [unrolled: 8-line block ×5, first 2 shown]
.LBB176_24:
	s_or_b32 exec_lo, exec_lo, s0
	s_delay_alu instid0(SALU_CYCLE_1)
	s_mov_b32 s0, exec_lo
                                        ; implicit-def: $vgpr3_vgpr4
                                        ; implicit-def: $sgpr16_sgpr17
	v_cmpx_eq_u32_e32 0, v0
	s_cbranch_execz .LBB176_28
; %bb.25:
	s_waitcnt lgkmcnt(0)
	s_delay_alu instid0(VALU_DEP_2) | instskip(SKIP_4) | instid1(SALU_CYCLE_1)
	v_mul_f64 v[0:1], s[10:11], v[7:8]
	v_mul_f64 v[3:4], s[8:9], v[7:8]
	v_cmp_neq_f64_e64 s1, s[6:7], 0
	v_cmp_neq_f64_e64 s2, s[12:13], 0
	s_mul_i32 s16, s14, s26
	s_ashr_i32 s17, s16, 31
	s_delay_alu instid0(VALU_DEP_4) | instskip(NEXT) | instid1(VALU_DEP_4)
	v_fma_f64 v[1:2], s[8:9], v[5:6], -v[0:1]
	v_fma_f64 v[3:4], s[10:11], v[5:6], v[3:4]
	s_delay_alu instid0(VALU_DEP_3) | instskip(NEXT) | instid1(SALU_CYCLE_1)
	s_or_b32 s1, s1, s2
	s_and_not1_b32 vcc_lo, exec_lo, s1
	s_cbranch_vccnz .LBB176_27
; %bb.26:
	s_lshl_b64 s[2:3], s[16:17], 4
	s_delay_alu instid0(SALU_CYCLE_1)
	s_add_u32 s2, s24, s2
	s_addc_u32 s3, s25, s3
	s_load_b128 s[8:11], s[2:3], 0x0
	s_waitcnt lgkmcnt(0)
	v_mul_f64 v[5:6], s[12:13], s[10:11]
	v_mul_f64 v[7:8], s[6:7], s[10:11]
	s_delay_alu instid0(VALU_DEP_2) | instskip(NEXT) | instid1(VALU_DEP_2)
	v_fma_f64 v[5:6], s[6:7], s[8:9], -v[5:6]
	v_fma_f64 v[7:8], s[12:13], s[8:9], v[7:8]
	s_delay_alu instid0(VALU_DEP_2) | instskip(NEXT) | instid1(VALU_DEP_2)
	v_add_f64 v[1:2], v[1:2], v[5:6]
	v_add_f64 v[3:4], v[3:4], v[7:8]
.LBB176_27:
	s_or_b32 s27, s27, exec_lo
.LBB176_28:
	s_or_b32 exec_lo, exec_lo, s0
.LBB176_29:
	s_and_saveexec_b32 s0, s27
	s_cbranch_execz .LBB176_31
; %bb.30:
	s_lshl_b64 s[0:1], s[16:17], 4
	v_mov_b32_e32 v0, 0
	s_add_u32 s0, s24, s0
	s_addc_u32 s1, s25, s1
	global_store_b128 v0, v[1:4], s[0:1]
.LBB176_31:
	s_nop 0
	s_sendmsg sendmsg(MSG_DEALLOC_VGPRS)
	s_endpgm
	.section	.rodata,"a",@progbits
	.p2align	6, 0x0
	.amdhsa_kernel _ZL32rocblas_gemvt_warp_reduce_kernelILb0ELi1024Ei19rocblas_complex_numIdES1_S1_EviiT3_lPKT2_lT1_lS5_lS6_lS2_lPT4_lS6_li
		.amdhsa_group_segment_fixed_size 512
		.amdhsa_private_segment_fixed_size 0
		.amdhsa_kernarg_size 156
		.amdhsa_user_sgpr_count 14
		.amdhsa_user_sgpr_dispatch_ptr 0
		.amdhsa_user_sgpr_queue_ptr 0
		.amdhsa_user_sgpr_kernarg_segment_ptr 1
		.amdhsa_user_sgpr_dispatch_id 0
		.amdhsa_user_sgpr_private_segment_size 0
		.amdhsa_wavefront_size32 1
		.amdhsa_uses_dynamic_stack 0
		.amdhsa_enable_private_segment 0
		.amdhsa_system_sgpr_workgroup_id_x 1
		.amdhsa_system_sgpr_workgroup_id_y 0
		.amdhsa_system_sgpr_workgroup_id_z 1
		.amdhsa_system_sgpr_workgroup_info 0
		.amdhsa_system_vgpr_workitem_id 0
		.amdhsa_next_free_vgpr 21
		.amdhsa_next_free_sgpr 36
		.amdhsa_reserve_vcc 1
		.amdhsa_float_round_mode_32 0
		.amdhsa_float_round_mode_16_64 0
		.amdhsa_float_denorm_mode_32 3
		.amdhsa_float_denorm_mode_16_64 3
		.amdhsa_dx10_clamp 1
		.amdhsa_ieee_mode 1
		.amdhsa_fp16_overflow 0
		.amdhsa_workgroup_processor_mode 1
		.amdhsa_memory_ordered 1
		.amdhsa_forward_progress 0
		.amdhsa_shared_vgpr_count 0
		.amdhsa_exception_fp_ieee_invalid_op 0
		.amdhsa_exception_fp_denorm_src 0
		.amdhsa_exception_fp_ieee_div_zero 0
		.amdhsa_exception_fp_ieee_overflow 0
		.amdhsa_exception_fp_ieee_underflow 0
		.amdhsa_exception_fp_ieee_inexact 0
		.amdhsa_exception_int_div_zero 0
	.end_amdhsa_kernel
	.section	.text._ZL32rocblas_gemvt_warp_reduce_kernelILb0ELi1024Ei19rocblas_complex_numIdES1_S1_EviiT3_lPKT2_lT1_lS5_lS6_lS2_lPT4_lS6_li,"axG",@progbits,_ZL32rocblas_gemvt_warp_reduce_kernelILb0ELi1024Ei19rocblas_complex_numIdES1_S1_EviiT3_lPKT2_lT1_lS5_lS6_lS2_lPT4_lS6_li,comdat
.Lfunc_end176:
	.size	_ZL32rocblas_gemvt_warp_reduce_kernelILb0ELi1024Ei19rocblas_complex_numIdES1_S1_EviiT3_lPKT2_lT1_lS5_lS6_lS2_lPT4_lS6_li, .Lfunc_end176-_ZL32rocblas_gemvt_warp_reduce_kernelILb0ELi1024Ei19rocblas_complex_numIdES1_S1_EviiT3_lPKT2_lT1_lS5_lS6_lS2_lPT4_lS6_li
                                        ; -- End function
	.section	.AMDGPU.csdata,"",@progbits
; Kernel info:
; codeLenInByte = 2192
; NumSgprs: 38
; NumVgprs: 21
; ScratchSize: 0
; MemoryBound: 0
; FloatMode: 240
; IeeeMode: 1
; LDSByteSize: 512 bytes/workgroup (compile time only)
; SGPRBlocks: 4
; VGPRBlocks: 2
; NumSGPRsForWavesPerEU: 38
; NumVGPRsForWavesPerEU: 21
; Occupancy: 16
; WaveLimiterHint : 1
; COMPUTE_PGM_RSRC2:SCRATCH_EN: 0
; COMPUTE_PGM_RSRC2:USER_SGPR: 14
; COMPUTE_PGM_RSRC2:TRAP_HANDLER: 0
; COMPUTE_PGM_RSRC2:TGID_X_EN: 1
; COMPUTE_PGM_RSRC2:TGID_Y_EN: 0
; COMPUTE_PGM_RSRC2:TGID_Z_EN: 1
; COMPUTE_PGM_RSRC2:TIDIG_COMP_CNT: 0
	.section	.text._ZL32rocblas_gemvt_warp_reduce_kernelILb0ELi1024El19rocblas_complex_numIdES1_S1_EviiT3_lPKT2_lT1_lS5_lS6_lS2_lPT4_lS6_li,"axG",@progbits,_ZL32rocblas_gemvt_warp_reduce_kernelILb0ELi1024El19rocblas_complex_numIdES1_S1_EviiT3_lPKT2_lT1_lS5_lS6_lS2_lPT4_lS6_li,comdat
	.globl	_ZL32rocblas_gemvt_warp_reduce_kernelILb0ELi1024El19rocblas_complex_numIdES1_S1_EviiT3_lPKT2_lT1_lS5_lS6_lS2_lPT4_lS6_li ; -- Begin function _ZL32rocblas_gemvt_warp_reduce_kernelILb0ELi1024El19rocblas_complex_numIdES1_S1_EviiT3_lPKT2_lT1_lS5_lS6_lS2_lPT4_lS6_li
	.p2align	8
	.type	_ZL32rocblas_gemvt_warp_reduce_kernelILb0ELi1024El19rocblas_complex_numIdES1_S1_EviiT3_lPKT2_lT1_lS5_lS6_lS2_lPT4_lS6_li,@function
_ZL32rocblas_gemvt_warp_reduce_kernelILb0ELi1024El19rocblas_complex_numIdES1_S1_EviiT3_lPKT2_lT1_lS5_lS6_lS2_lPT4_lS6_li: ; @_ZL32rocblas_gemvt_warp_reduce_kernelILb0ELi1024El19rocblas_complex_numIdES1_S1_EviiT3_lPKT2_lT1_lS5_lS6_lS2_lPT4_lS6_li
; %bb.0:
	s_clause 0x1
	s_load_b128 s[40:43], s[0:1], 0x8
	s_load_b128 s[36:39], s[0:1], 0x60
	s_waitcnt lgkmcnt(0)
	v_cmp_neq_f64_e64 s2, s[40:41], 0
	v_cmp_neq_f64_e64 s3, s[42:43], 0
	s_delay_alu instid0(VALU_DEP_1)
	s_or_b32 s2, s2, s3
	s_mov_b32 s3, -1
	s_and_b32 vcc_lo, exec_lo, s2
	s_cbranch_vccnz .LBB177_2
; %bb.1:
	v_cmp_neq_f64_e64 s3, s[36:37], 1.0
	v_cmp_neq_f64_e64 s4, s[38:39], 0
	s_delay_alu instid0(VALU_DEP_1)
	s_or_b32 s3, s3, s4
.LBB177_2:
	s_delay_alu instid0(SALU_CYCLE_1)
	s_and_not1_b32 vcc_lo, exec_lo, s3
	s_cbranch_vccnz .LBB177_31
; %bb.3:
	s_load_b256 s[4:11], s[0:1], 0x78
	s_xor_b32 s12, s2, -1
	s_mov_b32 s35, 0
	s_waitcnt lgkmcnt(0)
	s_mul_i32 s3, s15, s11
	s_mul_hi_u32 s11, s15, s10
	s_mul_i32 s2, s15, s10
	s_add_i32 s3, s11, s3
	s_delay_alu instid0(SALU_CYCLE_1) | instskip(NEXT) | instid1(SALU_CYCLE_1)
	s_lshl_b64 s[2:3], s[2:3], 4
	s_add_u32 s10, s4, s2
	s_addc_u32 s3, s5, s3
	s_lshl_b64 s[4:5], s[6:7], 4
	v_cmp_eq_u32_e64 s2, 0, v0
	s_add_u32 s33, s10, s4
	s_addc_u32 s34, s3, s5
	s_and_not1_b32 vcc_lo, exec_lo, s12
	s_cbranch_vccnz .LBB177_8
; %bb.4:
	s_mov_b32 s3, 0
                                        ; implicit-def: $vgpr3_vgpr4
                                        ; implicit-def: $sgpr4_sgpr5
	s_and_saveexec_b32 s6, s2
	s_cbranch_execz .LBB177_9
; %bb.5:
	v_cmp_neq_f64_e64 s2, s[36:37], 0
	v_cmp_neq_f64_e64 s4, s[38:39], 0
	v_mov_b32_e32 v3, 0
	v_mov_b32_e32 v4, 0
	s_mul_i32 s5, s14, s9
	s_mul_hi_u32 s7, s14, s8
	s_delay_alu instid0(VALU_DEP_2)
	v_mov_b32_e32 v1, v3
	s_add_i32 s5, s7, s5
	v_mov_b32_e32 v2, v4
	s_or_b32 s2, s2, s4
	s_ashr_i32 s4, s14, 31
	s_and_not1_b32 vcc_lo, exec_lo, s2
	s_mul_i32 s4, s4, s8
	s_delay_alu instid0(SALU_CYCLE_1)
	s_add_i32 s5, s5, s4
	s_mul_i32 s4, s14, s8
	s_cbranch_vccnz .LBB177_7
; %bb.6:
	s_lshl_b64 s[10:11], s[4:5], 4
	s_delay_alu instid0(SALU_CYCLE_1)
	s_add_u32 s10, s33, s10
	s_addc_u32 s11, s34, s11
	s_load_b128 s[16:19], s[10:11], 0x0
	s_waitcnt lgkmcnt(0)
	v_mul_f64 v[1:2], s[38:39], s[18:19]
	v_mul_f64 v[3:4], s[36:37], s[18:19]
	s_delay_alu instid0(VALU_DEP_2) | instskip(NEXT) | instid1(VALU_DEP_2)
	v_fma_f64 v[1:2], s[36:37], s[16:17], -v[1:2]
	v_fma_f64 v[3:4], s[38:39], s[16:17], v[3:4]
.LBB177_7:
	s_mov_b32 s35, exec_lo
	s_or_b32 exec_lo, exec_lo, s6
	s_delay_alu instid0(SALU_CYCLE_1)
	s_and_b32 vcc_lo, exec_lo, s3
	s_cbranch_vccnz .LBB177_10
	s_branch .LBB177_29
.LBB177_8:
                                        ; implicit-def: $vgpr3_vgpr4
                                        ; implicit-def: $sgpr4_sgpr5
	s_cbranch_execnz .LBB177_10
	s_branch .LBB177_29
.LBB177_9:
	s_or_b32 exec_lo, exec_lo, s6
	s_delay_alu instid0(SALU_CYCLE_1)
	s_and_b32 vcc_lo, exec_lo, s3
	s_cbranch_vccz .LBB177_29
.LBB177_10:
	s_clause 0x1
	s_load_b512 s[16:31], s[0:1], 0x20
	s_load_b32 s5, s[0:1], 0x0
	v_mov_b32_e32 v1, 0
	s_ashr_i32 s1, s14, 31
	s_waitcnt lgkmcnt(0)
	s_mul_i32 s0, s15, s31
	v_cmp_gt_i32_e32 vcc_lo, s5, v0
	v_mov_b32_e32 v2, 0
	s_mul_hi_u32 s3, s15, s30
	s_ashr_i32 s11, s5, 31
	s_mul_i32 s4, s15, s23
	v_cndmask_b32_e32 v3, 0, v0, vcc_lo
	s_mul_hi_u32 s6, s15, s22
	s_mul_i32 s7, s14, s21
	s_mul_hi_u32 s12, s14, s20
	s_add_i32 s3, s3, s0
	s_lshr_b32 s0, s11, 22
	v_dual_mov_b32 v4, v2 :: v_dual_lshlrev_b32 v9, 4, v3
	v_mov_b32_e32 v3, v1
	s_mul_i32 s13, s1, s20
	s_add_i32 s11, s6, s4
	s_add_i32 s0, s5, s0
	;; [unrolled: 1-line block ×3, first 2 shown]
	s_mul_i32 s2, s15, s30
	s_mul_i32 s10, s15, s22
	s_and_b32 s4, s0, 0xfffffc00
	s_mov_b32 s21, 0
	s_add_i32 s7, s6, s13
	s_mul_i32 s6, s14, s20
	s_mov_b32 s15, exec_lo
	v_cmpx_gt_i32_e64 s4, v0
	s_cbranch_execz .LBB177_14
; %bb.11:
	v_mad_u64_u32 v[3:4], null, s28, v0, 0
	s_lshl_b64 s[22:23], s[26:27], 4
	s_lshl_b64 s[12:13], s[2:3], 4
	s_add_u32 s0, s24, s22
	s_addc_u32 s20, s25, s23
	s_add_u32 s0, s0, s12
	s_addc_u32 s20, s20, s13
	s_delay_alu instid0(VALU_DEP_1)
	v_mov_b32_e32 v1, v4
	s_lshl_b64 s[22:23], s[6:7], 4
	s_lshl_b64 s[30:31], s[10:11], 4
	;; [unrolled: 1-line block ×3, first 2 shown]
	s_add_u32 s30, s22, s30
	v_mad_u64_u32 v[4:5], null, s29, v0, v[1:2]
	s_addc_u32 s31, s23, s31
	s_lshl_b64 s[22:23], s[18:19], 4
	v_dual_mov_b32 v1, 0 :: v_dual_mov_b32 v10, v0
	s_add_u32 s22, s30, s22
	s_addc_u32 s23, s31, s23
	s_delay_alu instid0(VALU_DEP_2) | instskip(SKIP_3) | instid1(VALU_DEP_2)
	v_lshlrev_b64 v[3:4], 4, v[3:4]
	s_add_u32 s22, s16, s22
	s_addc_u32 s23, s17, s23
	v_mov_b32_e32 v2, 0
	v_add_co_u32 v3, vcc_lo, s0, v3
	s_delay_alu instid0(VALU_DEP_3) | instskip(SKIP_1) | instid1(VALU_DEP_1)
	v_add_co_ci_u32_e32 v4, vcc_lo, s20, v4, vcc_lo
	v_add_co_u32 v7, s0, s22, v9
	v_add_co_ci_u32_e64 v8, null, s23, 0, s0
	s_delay_alu instid0(VALU_DEP_4) | instskip(NEXT) | instid1(VALU_DEP_4)
	v_add_co_u32 v5, vcc_lo, v3, 8
	v_add_co_ci_u32_e32 v6, vcc_lo, 0, v4, vcc_lo
	s_delay_alu instid0(VALU_DEP_4) | instskip(NEXT) | instid1(VALU_DEP_4)
	v_add_co_u32 v7, vcc_lo, v7, 8
	v_add_co_ci_u32_e32 v8, vcc_lo, 0, v8, vcc_lo
	v_dual_mov_b32 v4, v2 :: v_dual_mov_b32 v3, v1
	.p2align	6
.LBB177_12:                             ; =>This Inner Loop Header: Depth=1
	global_load_b128 v[11:14], v[7:8], off offset:-8
	global_load_b128 v[15:18], v[5:6], off offset:-8
	v_add_nc_u32_e32 v10, 0x400, v10
	v_add_co_u32 v5, vcc_lo, v5, s12
	v_add_co_ci_u32_e32 v6, vcc_lo, s13, v6, vcc_lo
	s_delay_alu instid0(VALU_DEP_3) | instskip(SKIP_1) | instid1(VALU_DEP_1)
	v_cmp_le_i32_e32 vcc_lo, s4, v10
	v_add_co_u32 v7, s0, 0x4000, v7
	v_add_co_ci_u32_e64 v8, s0, 0, v8, s0
	s_or_b32 s21, vcc_lo, s21
	s_waitcnt vmcnt(0)
	v_mul_f64 v[19:20], v[13:14], v[17:18]
	v_mul_f64 v[17:18], v[11:12], v[17:18]
	s_delay_alu instid0(VALU_DEP_2) | instskip(NEXT) | instid1(VALU_DEP_2)
	v_fma_f64 v[11:12], v[11:12], v[15:16], -v[19:20]
	v_fma_f64 v[13:14], v[13:14], v[15:16], v[17:18]
	s_delay_alu instid0(VALU_DEP_2) | instskip(NEXT) | instid1(VALU_DEP_2)
	v_add_f64 v[3:4], v[3:4], v[11:12]
	v_add_f64 v[1:2], v[1:2], v[13:14]
	s_and_not1_b32 exec_lo, exec_lo, s21
	s_cbranch_execnz .LBB177_12
; %bb.13:
	s_or_b32 exec_lo, exec_lo, s21
.LBB177_14:
	s_delay_alu instid0(SALU_CYCLE_1) | instskip(SKIP_2) | instid1(VALU_DEP_1)
	s_or_b32 exec_lo, exec_lo, s15
	v_or_b32_e32 v5, s4, v0
	s_mov_b32 s0, exec_lo
	v_cmpx_gt_i32_e64 s5, v5
	s_cbranch_execz .LBB177_16
; %bb.15:
	v_ashrrev_i32_e32 v6, 31, v5
	v_mul_lo_u32 v8, v5, s29
	s_lshl_b64 s[10:11], s[10:11], 4
	s_delay_alu instid0(SALU_CYCLE_1) | instskip(NEXT) | instid1(VALU_DEP_2)
	s_add_u32 s5, s16, s10
	v_mul_lo_u32 v10, v6, s28
	v_mad_u64_u32 v[6:7], null, v5, s28, 0
	s_addc_u32 s12, s17, s11
	s_lshl_b64 s[10:11], s[18:19], 4
	s_delay_alu instid0(SALU_CYCLE_1) | instskip(SKIP_2) | instid1(VALU_DEP_1)
	s_add_u32 s10, s5, s10
	s_addc_u32 s11, s12, s11
	s_lshl_b64 s[2:3], s[2:3], 4
	v_add3_u32 v7, v7, v8, v10
	s_lshl_b64 s[6:7], s[6:7], 4
	s_add_u32 s5, s24, s2
	s_addc_u32 s12, s25, s3
	s_lshl_b64 s[2:3], s[26:27], 4
	v_lshlrev_b64 v[5:6], 4, v[6:7]
	s_add_u32 s13, s5, s2
	s_addc_u32 s12, s12, s3
	s_ashr_i32 s5, s4, 31
	s_delay_alu instid0(SALU_CYCLE_1) | instskip(NEXT) | instid1(VALU_DEP_1)
	s_lshl_b64 s[2:3], s[4:5], 4
	v_add_co_u32 v10, vcc_lo, s13, v5
	s_add_u32 s2, s2, s6
	s_addc_u32 s3, s3, s7
	v_add_co_ci_u32_e32 v11, vcc_lo, s12, v6, vcc_lo
	s_add_u32 s2, s2, s10
	s_addc_u32 s3, s3, s11
	global_load_b128 v[5:8], v9, s[2:3]
	global_load_b128 v[9:12], v[10:11], off
	s_waitcnt vmcnt(0)
	v_mul_f64 v[13:14], v[7:8], v[11:12]
	v_mul_f64 v[11:12], v[5:6], v[11:12]
	s_delay_alu instid0(VALU_DEP_2) | instskip(NEXT) | instid1(VALU_DEP_2)
	v_fma_f64 v[5:6], v[5:6], v[9:10], -v[13:14]
	v_fma_f64 v[7:8], v[7:8], v[9:10], v[11:12]
	s_delay_alu instid0(VALU_DEP_2) | instskip(NEXT) | instid1(VALU_DEP_2)
	v_add_f64 v[3:4], v[3:4], v[5:6]
	v_add_f64 v[1:2], v[1:2], v[7:8]
.LBB177_16:
	s_or_b32 exec_lo, exec_lo, s0
	v_and_b32_e32 v15, 31, v0
	v_cmp_gt_u32_e32 vcc_lo, 32, v0
	s_delay_alu instid0(VALU_DEP_2)
	v_lshlrev_b32_e32 v11, 4, v15
	s_and_saveexec_b32 s0, vcc_lo
	s_cbranch_execz .LBB177_18
; %bb.17:
	v_mov_b32_e32 v5, 0
	s_delay_alu instid0(VALU_DEP_1)
	v_mov_b32_e32 v6, v5
	v_mov_b32_e32 v7, v5
	;; [unrolled: 1-line block ×3, first 2 shown]
	ds_store_b128 v11, v[5:8]
.LBB177_18:
	s_or_b32 exec_lo, exec_lo, s0
	v_mbcnt_lo_u32_b32 v14, -1, 0
	s_mov_b32 s2, exec_lo
	s_waitcnt lgkmcnt(0)
	s_barrier
	buffer_gl0_inv
	v_cmp_gt_u32_e64 s0, 16, v14
	s_delay_alu instid0(VALU_DEP_1) | instskip(SKIP_1) | instid1(VALU_DEP_2)
	v_cndmask_b32_e64 v5, 0, 1, s0
	v_cmp_gt_u32_e64 s0, 24, v14
	v_lshlrev_b32_e32 v5, 4, v5
	s_delay_alu instid0(VALU_DEP_1)
	v_add_lshl_u32 v9, v5, v14, 2
	ds_bpermute_b32 v5, v9, v3
	ds_bpermute_b32 v6, v9, v4
	;; [unrolled: 1-line block ×4, first 2 shown]
	s_waitcnt lgkmcnt(2)
	v_add_f64 v[3:4], v[3:4], v[5:6]
	v_cndmask_b32_e64 v5, 0, 1, s0
	s_waitcnt lgkmcnt(0)
	v_add_f64 v[1:2], v[1:2], v[7:8]
	v_cmp_gt_u32_e64 s0, 28, v14
	s_delay_alu instid0(VALU_DEP_3) | instskip(NEXT) | instid1(VALU_DEP_1)
	v_lshlrev_b32_e32 v5, 3, v5
	v_add_lshl_u32 v10, v5, v14, 2
	ds_bpermute_b32 v5, v10, v3
	ds_bpermute_b32 v6, v10, v4
	ds_bpermute_b32 v7, v10, v1
	ds_bpermute_b32 v8, v10, v2
	s_waitcnt lgkmcnt(2)
	v_add_f64 v[3:4], v[3:4], v[5:6]
	v_cndmask_b32_e64 v5, 0, 1, s0
	s_waitcnt lgkmcnt(0)
	v_add_f64 v[1:2], v[1:2], v[7:8]
	v_cmp_gt_u32_e64 s0, 30, v14
	s_delay_alu instid0(VALU_DEP_3) | instskip(NEXT) | instid1(VALU_DEP_1)
	v_lshlrev_b32_e32 v5, 2, v5
	v_add_lshl_u32 v12, v5, v14, 2
	ds_bpermute_b32 v5, v12, v3
	ds_bpermute_b32 v6, v12, v4
	;; [unrolled: 1-line block ×4, first 2 shown]
	s_waitcnt lgkmcnt(2)
	v_add_f64 v[3:4], v[3:4], v[5:6]
	s_waitcnt lgkmcnt(0)
	v_add_f64 v[5:6], v[1:2], v[7:8]
	v_cndmask_b32_e64 v1, 0, 1, s0
	v_cmp_ne_u32_e64 s0, 31, v14
	s_delay_alu instid0(VALU_DEP_2) | instskip(NEXT) | instid1(VALU_DEP_1)
	v_lshlrev_b32_e32 v1, 1, v1
	v_add_lshl_u32 v13, v1, v14, 2
	ds_bpermute_b32 v1, v13, v3
	ds_bpermute_b32 v2, v13, v4
	;; [unrolled: 1-line block ×4, first 2 shown]
	s_waitcnt lgkmcnt(2)
	v_add_f64 v[1:2], v[3:4], v[1:2]
	v_add_co_ci_u32_e64 v3, s0, 0, v14, s0
	s_waitcnt lgkmcnt(0)
	v_add_f64 v[5:6], v[5:6], v[7:8]
	s_delay_alu instid0(VALU_DEP_2)
	v_lshlrev_b32_e32 v14, 2, v3
	ds_bpermute_b32 v3, v14, v1
	ds_bpermute_b32 v4, v14, v2
	;; [unrolled: 1-line block ×4, first 2 shown]
	v_cmpx_eq_u32_e32 0, v15
	s_cbranch_execz .LBB177_20
; %bb.19:
	s_waitcnt lgkmcnt(0)
	v_add_f64 v[5:6], v[5:6], v[7:8]
	v_add_f64 v[3:4], v[1:2], v[3:4]
	v_lshrrev_b32_e32 v1, 1, v0
	s_delay_alu instid0(VALU_DEP_1)
	v_and_b32_e32 v1, 0x1f0, v1
	ds_store_b128 v1, v[3:6]
.LBB177_20:
	s_or_b32 exec_lo, exec_lo, s2
	s_waitcnt lgkmcnt(0)
	v_mov_b32_e32 v7, 0
	v_mov_b32_e32 v8, 0
	s_delay_alu instid0(VALU_DEP_2)
	v_mov_b32_e32 v5, v7
	s_barrier
	buffer_gl0_inv
	v_mov_b32_e32 v6, v8
	s_and_saveexec_b32 s0, vcc_lo
	s_cbranch_execz .LBB177_22
; %bb.21:
	ds_load_b128 v[5:8], v11
.LBB177_22:
	s_or_b32 exec_lo, exec_lo, s0
	s_and_saveexec_b32 s0, vcc_lo
	s_cbranch_execz .LBB177_24
; %bb.23:
	s_waitcnt lgkmcnt(0)
	ds_bpermute_b32 v1, v9, v5
	ds_bpermute_b32 v2, v9, v6
	ds_bpermute_b32 v3, v9, v7
	ds_bpermute_b32 v4, v9, v8
	s_waitcnt lgkmcnt(2)
	v_add_f64 v[1:2], v[5:6], v[1:2]
	s_waitcnt lgkmcnt(0)
	v_add_f64 v[3:4], v[7:8], v[3:4]
	ds_bpermute_b32 v5, v10, v1
	ds_bpermute_b32 v6, v10, v2
	ds_bpermute_b32 v7, v10, v3
	ds_bpermute_b32 v8, v10, v4
	s_waitcnt lgkmcnt(2)
	v_add_f64 v[1:2], v[1:2], v[5:6]
	s_waitcnt lgkmcnt(0)
	v_add_f64 v[3:4], v[3:4], v[7:8]
	ds_bpermute_b32 v5, v12, v1
	ds_bpermute_b32 v6, v12, v2
	ds_bpermute_b32 v7, v12, v3
	ds_bpermute_b32 v8, v12, v4
	s_waitcnt lgkmcnt(2)
	v_add_f64 v[1:2], v[1:2], v[5:6]
	s_waitcnt lgkmcnt(0)
	v_add_f64 v[3:4], v[3:4], v[7:8]
	ds_bpermute_b32 v5, v13, v1
	ds_bpermute_b32 v6, v13, v2
	ds_bpermute_b32 v7, v13, v3
	ds_bpermute_b32 v8, v13, v4
	s_waitcnt lgkmcnt(2)
	v_add_f64 v[1:2], v[1:2], v[5:6]
	s_waitcnt lgkmcnt(0)
	v_add_f64 v[3:4], v[3:4], v[7:8]
	ds_bpermute_b32 v5, v14, v1
	ds_bpermute_b32 v6, v14, v2
	ds_bpermute_b32 v7, v14, v3
	ds_bpermute_b32 v8, v14, v4
	s_waitcnt lgkmcnt(2)
	v_add_f64 v[5:6], v[1:2], v[5:6]
	s_waitcnt lgkmcnt(0)
	v_add_f64 v[7:8], v[3:4], v[7:8]
.LBB177_24:
	s_or_b32 exec_lo, exec_lo, s0
	s_delay_alu instid0(SALU_CYCLE_1)
	s_mov_b32 s0, exec_lo
                                        ; implicit-def: $vgpr3_vgpr4
                                        ; implicit-def: $sgpr4_sgpr5
	v_cmpx_eq_u32_e32 0, v0
	s_cbranch_execz .LBB177_28
; %bb.25:
	s_waitcnt lgkmcnt(0)
	s_delay_alu instid0(VALU_DEP_2)
	v_mul_f64 v[0:1], s[42:43], v[7:8]
	v_mul_f64 v[3:4], s[40:41], v[7:8]
	v_cmp_neq_f64_e64 s2, s[36:37], 0
	v_cmp_neq_f64_e64 s3, s[38:39], 0
	s_mul_hi_u32 s4, s14, s8
	s_mul_i32 s1, s1, s8
	s_delay_alu instid0(VALU_DEP_4) | instskip(NEXT) | instid1(VALU_DEP_4)
	v_fma_f64 v[1:2], s[40:41], v[5:6], -v[0:1]
	v_fma_f64 v[3:4], s[42:43], v[5:6], v[3:4]
	s_delay_alu instid0(VALU_DEP_3)
	s_or_b32 s2, s2, s3
	s_mul_i32 s3, s14, s9
	s_and_not1_b32 vcc_lo, exec_lo, s2
	s_add_i32 s3, s4, s3
	s_mul_i32 s4, s14, s8
	s_add_i32 s5, s3, s1
	s_cbranch_vccnz .LBB177_27
; %bb.26:
	s_lshl_b64 s[2:3], s[4:5], 4
	s_delay_alu instid0(SALU_CYCLE_1)
	s_add_u32 s2, s33, s2
	s_addc_u32 s3, s34, s3
	s_load_b128 s[8:11], s[2:3], 0x0
	s_waitcnt lgkmcnt(0)
	v_mul_f64 v[5:6], s[38:39], s[10:11]
	v_mul_f64 v[7:8], s[36:37], s[10:11]
	s_delay_alu instid0(VALU_DEP_2) | instskip(NEXT) | instid1(VALU_DEP_2)
	v_fma_f64 v[5:6], s[36:37], s[8:9], -v[5:6]
	v_fma_f64 v[7:8], s[38:39], s[8:9], v[7:8]
	s_delay_alu instid0(VALU_DEP_2) | instskip(NEXT) | instid1(VALU_DEP_2)
	v_add_f64 v[1:2], v[1:2], v[5:6]
	v_add_f64 v[3:4], v[3:4], v[7:8]
.LBB177_27:
	s_or_b32 s35, s35, exec_lo
.LBB177_28:
	s_or_b32 exec_lo, exec_lo, s0
.LBB177_29:
	s_and_saveexec_b32 s0, s35
	s_cbranch_execz .LBB177_31
; %bb.30:
	s_lshl_b64 s[0:1], s[4:5], 4
	v_mov_b32_e32 v0, 0
	s_add_u32 s0, s33, s0
	s_addc_u32 s1, s34, s1
	global_store_b128 v0, v[1:4], s[0:1]
.LBB177_31:
	s_nop 0
	s_sendmsg sendmsg(MSG_DEALLOC_VGPRS)
	s_endpgm
	.section	.rodata,"a",@progbits
	.p2align	6, 0x0
	.amdhsa_kernel _ZL32rocblas_gemvt_warp_reduce_kernelILb0ELi1024El19rocblas_complex_numIdES1_S1_EviiT3_lPKT2_lT1_lS5_lS6_lS2_lPT4_lS6_li
		.amdhsa_group_segment_fixed_size 512
		.amdhsa_private_segment_fixed_size 0
		.amdhsa_kernarg_size 156
		.amdhsa_user_sgpr_count 14
		.amdhsa_user_sgpr_dispatch_ptr 0
		.amdhsa_user_sgpr_queue_ptr 0
		.amdhsa_user_sgpr_kernarg_segment_ptr 1
		.amdhsa_user_sgpr_dispatch_id 0
		.amdhsa_user_sgpr_private_segment_size 0
		.amdhsa_wavefront_size32 1
		.amdhsa_uses_dynamic_stack 0
		.amdhsa_enable_private_segment 0
		.amdhsa_system_sgpr_workgroup_id_x 1
		.amdhsa_system_sgpr_workgroup_id_y 0
		.amdhsa_system_sgpr_workgroup_id_z 1
		.amdhsa_system_sgpr_workgroup_info 0
		.amdhsa_system_vgpr_workitem_id 0
		.amdhsa_next_free_vgpr 21
		.amdhsa_next_free_sgpr 44
		.amdhsa_reserve_vcc 1
		.amdhsa_float_round_mode_32 0
		.amdhsa_float_round_mode_16_64 0
		.amdhsa_float_denorm_mode_32 3
		.amdhsa_float_denorm_mode_16_64 3
		.amdhsa_dx10_clamp 1
		.amdhsa_ieee_mode 1
		.amdhsa_fp16_overflow 0
		.amdhsa_workgroup_processor_mode 1
		.amdhsa_memory_ordered 1
		.amdhsa_forward_progress 0
		.amdhsa_shared_vgpr_count 0
		.amdhsa_exception_fp_ieee_invalid_op 0
		.amdhsa_exception_fp_denorm_src 0
		.amdhsa_exception_fp_ieee_div_zero 0
		.amdhsa_exception_fp_ieee_overflow 0
		.amdhsa_exception_fp_ieee_underflow 0
		.amdhsa_exception_fp_ieee_inexact 0
		.amdhsa_exception_int_div_zero 0
	.end_amdhsa_kernel
	.section	.text._ZL32rocblas_gemvt_warp_reduce_kernelILb0ELi1024El19rocblas_complex_numIdES1_S1_EviiT3_lPKT2_lT1_lS5_lS6_lS2_lPT4_lS6_li,"axG",@progbits,_ZL32rocblas_gemvt_warp_reduce_kernelILb0ELi1024El19rocblas_complex_numIdES1_S1_EviiT3_lPKT2_lT1_lS5_lS6_lS2_lPT4_lS6_li,comdat
.Lfunc_end177:
	.size	_ZL32rocblas_gemvt_warp_reduce_kernelILb0ELi1024El19rocblas_complex_numIdES1_S1_EviiT3_lPKT2_lT1_lS5_lS6_lS2_lPT4_lS6_li, .Lfunc_end177-_ZL32rocblas_gemvt_warp_reduce_kernelILb0ELi1024El19rocblas_complex_numIdES1_S1_EviiT3_lPKT2_lT1_lS5_lS6_lS2_lPT4_lS6_li
                                        ; -- End function
	.section	.AMDGPU.csdata,"",@progbits
; Kernel info:
; codeLenInByte = 2264
; NumSgprs: 46
; NumVgprs: 21
; ScratchSize: 0
; MemoryBound: 0
; FloatMode: 240
; IeeeMode: 1
; LDSByteSize: 512 bytes/workgroup (compile time only)
; SGPRBlocks: 5
; VGPRBlocks: 2
; NumSGPRsForWavesPerEU: 46
; NumVGPRsForWavesPerEU: 21
; Occupancy: 16
; WaveLimiterHint : 1
; COMPUTE_PGM_RSRC2:SCRATCH_EN: 0
; COMPUTE_PGM_RSRC2:USER_SGPR: 14
; COMPUTE_PGM_RSRC2:TRAP_HANDLER: 0
; COMPUTE_PGM_RSRC2:TGID_X_EN: 1
; COMPUTE_PGM_RSRC2:TGID_Y_EN: 0
; COMPUTE_PGM_RSRC2:TGID_Z_EN: 1
; COMPUTE_PGM_RSRC2:TIDIG_COMP_CNT: 0
	.section	.text._ZL22rocblas_gemvtsm_kernelILb1ELi256E19rocblas_complex_numIdEPKS1_S1_EviiT2_lPKT1_lilS7_lilS4_lPT3_lil,"axG",@progbits,_ZL22rocblas_gemvtsm_kernelILb1ELi256E19rocblas_complex_numIdEPKS1_S1_EviiT2_lPKT1_lilS7_lilS4_lPT3_lil,comdat
	.globl	_ZL22rocblas_gemvtsm_kernelILb1ELi256E19rocblas_complex_numIdEPKS1_S1_EviiT2_lPKT1_lilS7_lilS4_lPT3_lil ; -- Begin function _ZL22rocblas_gemvtsm_kernelILb1ELi256E19rocblas_complex_numIdEPKS1_S1_EviiT2_lPKT1_lilS7_lilS4_lPT3_lil
	.p2align	8
	.type	_ZL22rocblas_gemvtsm_kernelILb1ELi256E19rocblas_complex_numIdEPKS1_S1_EviiT2_lPKT1_lilS7_lilS4_lPT3_lil,@function
_ZL22rocblas_gemvtsm_kernelILb1ELi256E19rocblas_complex_numIdEPKS1_S1_EviiT2_lPKT1_lilS7_lilS4_lPT3_lil: ; @_ZL22rocblas_gemvtsm_kernelILb1ELi256E19rocblas_complex_numIdEPKS1_S1_EviiT2_lPKT1_lilS7_lilS4_lPT3_lil
; %bb.0:
	s_load_b256 s[4:11], s[0:1], 0x8
	s_waitcnt lgkmcnt(0)
	s_mul_i32 s3, s15, s7
	s_mul_hi_u32 s7, s15, s6
	s_mul_i32 s2, s15, s6
	s_add_i32 s3, s7, s3
	s_delay_alu instid0(SALU_CYCLE_1) | instskip(NEXT) | instid1(SALU_CYCLE_1)
	s_lshl_b64 s[2:3], s[2:3], 4
	s_add_u32 s2, s4, s2
	s_addc_u32 s3, s5, s3
	s_load_b128 s[24:27], s[2:3], 0x0
	s_load_b256 s[16:23], s[0:1], 0x50
	s_waitcnt lgkmcnt(0)
	v_cmp_neq_f64_e64 s12, s[24:25], 0
	v_cmp_neq_f64_e64 s13, s[26:27], 0
	s_mul_i32 s2, s15, s21
	s_mul_hi_u32 s3, s15, s20
	s_delay_alu instid0(SALU_CYCLE_1) | instskip(SKIP_1) | instid1(SALU_CYCLE_1)
	s_add_i32 s3, s3, s2
	s_mul_i32 s2, s15, s20
	s_lshl_b64 s[2:3], s[2:3], 4
	s_delay_alu instid0(SALU_CYCLE_1) | instskip(SKIP_3) | instid1(VALU_DEP_1)
	s_add_u32 s2, s18, s2
	s_addc_u32 s3, s19, s3
	s_load_b128 s[4:7], s[2:3], 0x0
	s_mov_b32 s2, -1
	s_or_b32 s3, s12, s13
	s_delay_alu instid0(SALU_CYCLE_1)
	s_and_b32 vcc_lo, exec_lo, s3
	s_cbranch_vccnz .LBB178_2
; %bb.1:
	s_waitcnt lgkmcnt(0)
	v_cmp_neq_f64_e64 s2, s[4:5], 1.0
	v_cmp_neq_f64_e64 s12, s[6:7], 0
	s_delay_alu instid0(VALU_DEP_1)
	s_or_b32 s2, s2, s12
.LBB178_2:
	s_delay_alu instid0(SALU_CYCLE_1)
	s_and_not1_b32 vcc_lo, exec_lo, s2
	s_cbranch_vccnz .LBB178_36
; %bb.3:
	s_clause 0x3
	s_load_b64 s[20:21], s[0:1], 0x80
	s_load_b32 s2, s[0:1], 0x78
	s_load_b64 s[18:19], s[0:1], 0x70
	s_load_b64 s[12:13], s[0:1], 0x0
	s_xor_b32 s3, s3, -1
	s_delay_alu instid0(SALU_CYCLE_1)
	s_and_not1_b32 vcc_lo, exec_lo, s3
	s_waitcnt lgkmcnt(0)
	s_mul_i32 s3, s15, s21
	s_mul_hi_u32 s14, s15, s20
	s_mul_i32 s20, s15, s20
	s_add_i32 s21, s14, s3
	s_mov_b32 s3, -1
	s_cbranch_vccnz .LBB178_18
; %bb.4:
	v_cmp_neq_f64_e64 s3, s[4:5], 0
	v_cmp_neq_f64_e64 s14, s[6:7], 0
	s_delay_alu instid0(VALU_DEP_1)
	s_or_b32 s3, s3, s14
	s_cmp_gt_i32 s13, 0
	s_cselect_b32 s14, -1, 0
	s_and_b32 vcc_lo, exec_lo, s3
	s_mov_b32 s3, -1
	s_cbranch_vccnz .LBB178_11
; %bb.5:
	s_and_not1_b32 vcc_lo, exec_lo, s14
	s_cbranch_vccnz .LBB178_10
; %bb.6:
	v_mad_i64_i32 v[1:2], null, s2, v0, 0
	s_lshl_b64 s[30:31], s[18:19], 4
	s_ashr_i32 s3, s2, 31
	s_lshl_b64 s[28:29], s[20:21], 4
	s_add_u32 s30, s22, s30
	s_addc_u32 s31, s23, s31
	s_add_u32 s28, s30, s28
	s_delay_alu instid0(VALU_DEP_1) | instskip(SKIP_1) | instid1(VALU_DEP_1)
	v_lshlrev_b64 v[1:2], 4, v[1:2]
	s_addc_u32 s29, s31, s29
	v_add_co_u32 v1, vcc_lo, s28, v1
	s_delay_alu instid0(VALU_DEP_2) | instskip(SKIP_1) | instid1(VALU_DEP_2)
	v_add_co_ci_u32_e32 v2, vcc_lo, s29, v2, vcc_lo
	s_lshl_b64 s[28:29], s[2:3], 12
	v_add_co_u32 v5, vcc_lo, v1, 8
	s_delay_alu instid0(VALU_DEP_2)
	v_add_co_ci_u32_e32 v6, vcc_lo, 0, v2, vcc_lo
	v_mov_b32_e32 v1, 0
	s_mov_b32 s3, 0
	s_branch .LBB178_8
	.p2align	6
.LBB178_7:                              ;   in Loop: Header=BB178_8 Depth=1
	s_or_b32 exec_lo, exec_lo, s30
	v_add_co_u32 v5, vcc_lo, v5, s28
	v_add_co_ci_u32_e32 v6, vcc_lo, s29, v6, vcc_lo
	s_addk_i32 s3, 0x100
	s_delay_alu instid0(SALU_CYCLE_1)
	s_cmp_ge_i32 s3, s13
	s_cbranch_scc1 .LBB178_10
.LBB178_8:                              ; =>This Inner Loop Header: Depth=1
	v_add_nc_u32_e32 v2, s3, v0
	s_mov_b32 s30, exec_lo
	s_delay_alu instid0(VALU_DEP_1)
	v_cmpx_gt_i32_e64 s13, v2
	s_cbranch_execz .LBB178_7
; %bb.9:                                ;   in Loop: Header=BB178_8 Depth=1
	v_mov_b32_e32 v2, v1
	v_mov_b32_e32 v3, v1
	;; [unrolled: 1-line block ×3, first 2 shown]
	global_store_b128 v[5:6], v[1:4], off offset:-8
	s_branch .LBB178_7
.LBB178_10:
	s_mov_b32 s3, 0
.LBB178_11:
	s_delay_alu instid0(SALU_CYCLE_1)
	s_and_not1_b32 vcc_lo, exec_lo, s3
	s_cbranch_vccnz .LBB178_17
; %bb.12:
	s_and_not1_b32 vcc_lo, exec_lo, s14
	s_cbranch_vccnz .LBB178_17
; %bb.13:
	v_mad_i64_i32 v[1:2], null, s2, v0, 0
	s_lshl_b64 s[30:31], s[18:19], 4
	s_ashr_i32 s3, s2, 31
	s_lshl_b64 s[28:29], s[20:21], 4
	s_add_u32 s14, s22, s30
	s_addc_u32 s30, s23, s31
	s_add_u32 s14, s14, s28
	s_delay_alu instid0(VALU_DEP_1) | instskip(SKIP_1) | instid1(VALU_DEP_1)
	v_lshlrev_b64 v[1:2], 4, v[1:2]
	s_addc_u32 s28, s30, s29
	v_add_co_u32 v1, vcc_lo, s14, v1
	s_delay_alu instid0(VALU_DEP_2) | instskip(SKIP_1) | instid1(VALU_DEP_2)
	v_add_co_ci_u32_e32 v2, vcc_lo, s28, v2, vcc_lo
	s_lshl_b64 s[28:29], s[2:3], 12
	v_add_co_u32 v1, vcc_lo, v1, 8
	s_delay_alu instid0(VALU_DEP_2)
	v_add_co_ci_u32_e32 v2, vcc_lo, 0, v2, vcc_lo
	s_mov_b32 s3, 0
	s_set_inst_prefetch_distance 0x1
	s_branch .LBB178_15
	.p2align	6
.LBB178_14:                             ;   in Loop: Header=BB178_15 Depth=1
	s_or_b32 exec_lo, exec_lo, s14
	v_add_co_u32 v1, vcc_lo, v1, s28
	v_add_co_ci_u32_e32 v2, vcc_lo, s29, v2, vcc_lo
	s_addk_i32 s3, 0x100
	s_delay_alu instid0(SALU_CYCLE_1)
	s_cmp_ge_i32 s3, s13
	s_cbranch_scc1 .LBB178_17
.LBB178_15:                             ; =>This Inner Loop Header: Depth=1
	v_add_nc_u32_e32 v3, s3, v0
	s_mov_b32 s14, exec_lo
	s_delay_alu instid0(VALU_DEP_1)
	v_cmpx_gt_i32_e64 s13, v3
	s_cbranch_execz .LBB178_14
; %bb.16:                               ;   in Loop: Header=BB178_15 Depth=1
	global_load_b128 v[3:6], v[1:2], off offset:-8
	s_waitcnt vmcnt(0)
	v_mul_f64 v[7:8], s[6:7], v[5:6]
	v_mul_f64 v[9:10], s[4:5], v[5:6]
	s_delay_alu instid0(VALU_DEP_2) | instskip(NEXT) | instid1(VALU_DEP_2)
	v_fma_f64 v[5:6], s[4:5], v[3:4], -v[7:8]
	v_fma_f64 v[7:8], s[6:7], v[3:4], v[9:10]
	global_store_b128 v[1:2], v[5:8], off offset:-8
	s_branch .LBB178_14
.LBB178_17:
	s_set_inst_prefetch_distance 0x2
	s_mov_b32 s3, 0
.LBB178_18:
	s_delay_alu instid0(SALU_CYCLE_1)
	s_and_not1_b32 vcc_lo, exec_lo, s3
	s_cbranch_vccnz .LBB178_36
; %bb.19:
	s_clause 0x1
	s_load_b128 s[28:31], s[0:1], 0x30
	s_load_b64 s[34:35], s[0:1], 0x40
	s_mov_b32 s3, exec_lo
	v_cmpx_gt_i32_e64 s12, v0
	s_cbranch_execz .LBB178_21
; %bb.20:
	s_load_b32 s14, s[0:1], 0x48
	s_mul_i32 s17, s15, s17
	s_mul_hi_u32 s33, s15, s16
	s_mul_i32 s16, s15, s16
	s_add_i32 s17, s33, s17
	s_delay_alu instid0(SALU_CYCLE_1)
	s_lshl_b64 s[16:17], s[16:17], 4
	s_waitcnt lgkmcnt(0)
	v_mad_i64_i32 v[1:2], null, s14, v0, 0
	s_add_u32 s14, s30, s16
	s_addc_u32 s30, s31, s17
	s_lshl_b64 s[16:17], s[34:35], 4
	s_delay_alu instid0(SALU_CYCLE_1) | instskip(SKIP_1) | instid1(VALU_DEP_1)
	s_add_u32 s14, s14, s16
	s_addc_u32 s16, s30, s17
	v_lshlrev_b64 v[1:2], 4, v[1:2]
	s_delay_alu instid0(VALU_DEP_1) | instskip(NEXT) | instid1(VALU_DEP_2)
	v_add_co_u32 v1, vcc_lo, s14, v1
	v_add_co_ci_u32_e32 v2, vcc_lo, s16, v2, vcc_lo
	global_load_b128 v[1:4], v[1:2], off
	s_waitcnt vmcnt(0)
	v_mul_f64 v[5:6], s[26:27], v[3:4]
	v_mul_f64 v[7:8], s[24:25], v[3:4]
	s_delay_alu instid0(VALU_DEP_2) | instskip(NEXT) | instid1(VALU_DEP_2)
	v_fma_f64 v[3:4], s[24:25], v[1:2], -v[5:6]
	v_fma_f64 v[5:6], s[26:27], v[1:2], v[7:8]
	v_lshlrev_b32_e32 v1, 4, v0
	ds_store_b128 v1, v[3:6]
.LBB178_21:
	s_or_b32 exec_lo, exec_lo, s3
	s_cmp_lt_i32 s13, 1
	s_waitcnt lgkmcnt(0)
	s_waitcnt_vscnt null, 0x0
	s_barrier
	buffer_gl0_inv
	s_cbranch_scc1 .LBB178_36
; %bb.22:
	v_cmp_neq_f64_e64 s17, s[4:5], 0
	v_cmp_neq_f64_e64 s26, s[6:7], 0
	s_load_b32 s24, s[0:1], 0x28
	s_lshl_b64 s[0:1], s[20:21], 4
	s_mul_i32 s21, s29, s15
	s_add_u32 s3, s22, s0
	s_addc_u32 s14, s23, s1
	s_lshl_b64 s[0:1], s[18:19], 4
	s_mul_hi_u32 s22, s28, s15
	s_add_u32 s3, s3, s0
	s_addc_u32 s14, s14, s1
	s_ashr_i32 s16, s2, 31
	s_mul_i32 s0, s28, s15
	s_waitcnt lgkmcnt(0)
	s_ashr_i32 s25, s24, 31
	v_mad_i64_i32 v[1:2], null, s24, v0, 0
	s_delay_alu instid0(VALU_DEP_1) | instskip(NEXT) | instid1(VALU_DEP_3)
	v_lshlrev_b64 v[1:2], 4, v[1:2]
	s_or_b32 s17, s17, s26
	s_cmp_gt_i32 s12, 0
	s_cselect_b32 s15, -1, 0
	s_and_b32 s18, s12, 7
	s_cmp_gt_u32 s12, 7
	s_cselect_b32 s19, -1, 0
	s_and_b32 s12, s12, 0x7ffffff8
	s_cmp_lg_u32 s18, 0
	s_cselect_b32 s20, -1, 0
	s_add_i32 s1, s22, s21
	s_lshl_b64 s[10:11], s[10:11], 4
	s_lshl_b64 s[0:1], s[0:1], 4
	s_add_u32 s8, s8, s10
	s_addc_u32 s9, s9, s11
	s_add_u32 s0, s8, s0
	s_addc_u32 s1, s9, s1
	v_add_co_u32 v11, vcc_lo, s0, v1
	v_add_co_ci_u32_e32 v12, vcc_lo, s1, v2, vcc_lo
	s_mov_b32 s1, 0
	s_delay_alu instid0(VALU_DEP_2) | instskip(NEXT) | instid1(VALU_DEP_2)
	v_add_co_u32 v5, vcc_lo, 0x78, v11
	v_add_co_ci_u32_e32 v6, vcc_lo, 0, v12, vcc_lo
	s_lshl_b64 s[8:9], s[24:25], 12
	s_mov_b32 s10, 0
	s_branch .LBB178_25
.LBB178_23:                             ;   in Loop: Header=BB178_25 Depth=1
	s_delay_alu instid0(VALU_DEP_2)
	v_add_co_u32 v7, vcc_lo, s3, v7
	v_add_co_ci_u32_e32 v8, vcc_lo, s14, v8, vcc_lo
	global_store_b128 v[7:8], v[1:4], off
.LBB178_24:                             ;   in Loop: Header=BB178_25 Depth=1
	s_or_b32 exec_lo, exec_lo, s11
	v_add_co_u32 v5, vcc_lo, v5, s8
	v_add_co_ci_u32_e32 v6, vcc_lo, s9, v6, vcc_lo
	v_add_co_u32 v11, vcc_lo, v11, s8
	v_add_co_ci_u32_e32 v12, vcc_lo, s9, v12, vcc_lo
	s_addk_i32 s10, 0x100
	s_delay_alu instid0(SALU_CYCLE_1)
	s_cmp_ge_i32 s10, s13
	s_cbranch_scc1 .LBB178_36
.LBB178_25:                             ; =>This Loop Header: Depth=1
                                        ;     Child Loop BB178_31 Depth 2
                                        ;     Child Loop BB178_35 Depth 2
	v_add_nc_u32_e32 v1, s10, v0
	s_mov_b32 s11, exec_lo
	s_delay_alu instid0(VALU_DEP_1)
	v_cmpx_gt_i32_e64 s13, v1
	s_cbranch_execz .LBB178_24
; %bb.26:                               ;   in Loop: Header=BB178_25 Depth=1
	v_mad_u64_u32 v[3:4], null, v1, s2, 0
	s_and_not1_b32 vcc_lo, exec_lo, s17
	s_delay_alu instid0(VALU_DEP_1) | instskip(NEXT) | instid1(VALU_DEP_1)
	v_mov_b32_e32 v2, v4
	v_mad_u64_u32 v[7:8], null, v1, s16, v[2:3]
	v_mov_b32_e32 v1, 0
	v_mov_b32_e32 v2, 0
	s_delay_alu instid0(VALU_DEP_3) | instskip(NEXT) | instid1(VALU_DEP_1)
	v_mov_b32_e32 v4, v7
	v_lshlrev_b64 v[7:8], 4, v[3:4]
	s_delay_alu instid0(VALU_DEP_3)
	v_dual_mov_b32 v4, v2 :: v_dual_mov_b32 v3, v1
	s_cbranch_vccnz .LBB178_28
; %bb.27:                               ;   in Loop: Header=BB178_25 Depth=1
	s_delay_alu instid0(VALU_DEP_2) | instskip(NEXT) | instid1(VALU_DEP_3)
	v_add_co_u32 v1, vcc_lo, s3, v7
	v_add_co_ci_u32_e32 v2, vcc_lo, s14, v8, vcc_lo
	global_load_b128 v[13:16], v[1:2], off
	s_waitcnt vmcnt(0)
	v_mul_f64 v[1:2], s[6:7], v[15:16]
	v_mul_f64 v[3:4], s[4:5], v[15:16]
	s_delay_alu instid0(VALU_DEP_2) | instskip(NEXT) | instid1(VALU_DEP_2)
	v_fma_f64 v[1:2], s[4:5], v[13:14], -v[1:2]
	v_fma_f64 v[3:4], s[6:7], v[13:14], v[3:4]
.LBB178_28:                             ;   in Loop: Header=BB178_25 Depth=1
	s_and_not1_b32 vcc_lo, exec_lo, s15
	s_cbranch_vccnz .LBB178_23
; %bb.29:                               ;   in Loop: Header=BB178_25 Depth=1
	s_and_not1_b32 vcc_lo, exec_lo, s19
	s_cbranch_vccnz .LBB178_33
; %bb.30:                               ;   in Loop: Header=BB178_25 Depth=1
	v_dual_mov_b32 v10, v6 :: v_dual_mov_b32 v9, v5
	s_mov_b32 s0, 0
	s_mov_b32 s21, 0
.LBB178_31:                             ;   Parent Loop BB178_25 Depth=1
                                        ; =>  This Inner Loop Header: Depth=2
	s_clause 0x7
	global_load_b128 v[13:16], v[9:10], off offset:-120
	global_load_b128 v[17:20], v[9:10], off offset:-104
	;; [unrolled: 1-line block ×8, first 2 shown]
	v_mov_b32_e32 v61, s0
	v_add_co_u32 v9, vcc_lo, 0x80, v9
	v_add_co_ci_u32_e32 v10, vcc_lo, 0, v10, vcc_lo
	ds_load_b128 v[45:48], v61
	ds_load_b128 v[49:52], v61 offset:16
	s_add_i32 s21, s21, 8
	s_addk_i32 s0, 0x80
	s_cmp_eq_u32 s12, s21
	s_waitcnt vmcnt(7) lgkmcnt(1)
	v_mul_f64 v[53:54], v[15:16], v[47:48]
	v_mul_f64 v[15:16], v[15:16], v[45:46]
	s_waitcnt vmcnt(6) lgkmcnt(0)
	v_mul_f64 v[55:56], v[19:20], v[51:52]
	v_mul_f64 v[19:20], v[19:20], v[49:50]
	s_delay_alu instid0(VALU_DEP_4) | instskip(NEXT) | instid1(VALU_DEP_4)
	v_fma_f64 v[53:54], v[13:14], v[45:46], v[53:54]
	v_fma_f64 v[57:58], v[13:14], v[47:48], -v[15:16]
	ds_load_b128 v[13:16], v61 offset:32
	ds_load_b128 v[45:48], v61 offset:48
	v_fma_f64 v[49:50], v[17:18], v[49:50], v[55:56]
	v_fma_f64 v[17:18], v[17:18], v[51:52], -v[19:20]
	s_waitcnt vmcnt(5) lgkmcnt(1)
	v_mul_f64 v[59:60], v[23:24], v[15:16]
	v_mul_f64 v[23:24], v[23:24], v[13:14]
	s_waitcnt vmcnt(4) lgkmcnt(0)
	v_mul_f64 v[19:20], v[27:28], v[47:48]
	v_mul_f64 v[27:28], v[27:28], v[45:46]
	v_add_f64 v[1:2], v[1:2], v[53:54]
	v_add_f64 v[3:4], v[3:4], v[57:58]
	v_fma_f64 v[51:52], v[21:22], v[13:14], v[59:60]
	v_fma_f64 v[21:22], v[21:22], v[15:16], -v[23:24]
	v_fma_f64 v[19:20], v[25:26], v[45:46], v[19:20]
	v_fma_f64 v[25:26], v[25:26], v[47:48], -v[27:28]
	v_add_f64 v[23:24], v[1:2], v[49:50]
	v_add_f64 v[17:18], v[3:4], v[17:18]
	ds_load_b128 v[1:4], v61 offset:64
	ds_load_b128 v[13:16], v61 offset:80
	s_waitcnt vmcnt(3) lgkmcnt(1)
	v_mul_f64 v[49:50], v[31:32], v[3:4]
	v_mul_f64 v[31:32], v[31:32], v[1:2]
	s_waitcnt vmcnt(2) lgkmcnt(0)
	v_mul_f64 v[27:28], v[35:36], v[13:14]
	v_add_f64 v[23:24], v[23:24], v[51:52]
	v_add_f64 v[17:18], v[17:18], v[21:22]
	v_mul_f64 v[21:22], v[35:36], v[15:16]
	v_fma_f64 v[35:36], v[29:30], v[1:2], v[49:50]
	v_fma_f64 v[29:30], v[29:30], v[3:4], -v[31:32]
	v_fma_f64 v[15:16], v[33:34], v[15:16], -v[27:28]
	v_add_f64 v[23:24], v[23:24], v[19:20]
	v_add_f64 v[25:26], v[17:18], v[25:26]
	ds_load_b128 v[1:4], v61 offset:96
	ds_load_b128 v[17:20], v61 offset:112
	v_fma_f64 v[13:14], v[33:34], v[13:14], v[21:22]
	s_waitcnt vmcnt(1) lgkmcnt(1)
	v_mul_f64 v[31:32], v[39:40], v[3:4]
	v_mul_f64 v[39:40], v[39:40], v[1:2]
	s_waitcnt vmcnt(0) lgkmcnt(0)
	v_mul_f64 v[27:28], v[43:44], v[17:18]
	v_add_f64 v[21:22], v[23:24], v[35:36]
	v_add_f64 v[23:24], v[25:26], v[29:30]
	v_mul_f64 v[25:26], v[43:44], v[19:20]
	v_fma_f64 v[1:2], v[37:38], v[1:2], v[31:32]
	v_fma_f64 v[3:4], v[37:38], v[3:4], -v[39:40]
	v_fma_f64 v[19:20], v[41:42], v[19:20], -v[27:28]
	v_add_f64 v[13:14], v[21:22], v[13:14]
	v_add_f64 v[15:16], v[23:24], v[15:16]
	v_fma_f64 v[17:18], v[41:42], v[17:18], v[25:26]
	s_delay_alu instid0(VALU_DEP_3) | instskip(NEXT) | instid1(VALU_DEP_3)
	v_add_f64 v[1:2], v[13:14], v[1:2]
	v_add_f64 v[3:4], v[15:16], v[3:4]
	s_delay_alu instid0(VALU_DEP_2) | instskip(NEXT) | instid1(VALU_DEP_2)
	v_add_f64 v[1:2], v[1:2], v[17:18]
	v_add_f64 v[3:4], v[3:4], v[19:20]
	s_cbranch_scc0 .LBB178_31
; %bb.32:                               ;   in Loop: Header=BB178_25 Depth=1
	s_mov_b32 s0, s12
	s_and_not1_b32 vcc_lo, exec_lo, s20
	s_cbranch_vccz .LBB178_34
	s_branch .LBB178_23
.LBB178_33:                             ;   in Loop: Header=BB178_25 Depth=1
	s_mov_b32 s0, 0
	s_and_not1_b32 vcc_lo, exec_lo, s20
	s_cbranch_vccnz .LBB178_23
.LBB178_34:                             ;   in Loop: Header=BB178_25 Depth=1
	s_lshl_b64 s[22:23], s[0:1], 4
	s_lshl_b32 s0, s0, 4
	v_add_co_u32 v9, vcc_lo, v11, s22
	v_add_co_ci_u32_e32 v10, vcc_lo, s23, v12, vcc_lo
	s_mov_b32 s21, s18
	.p2align	6
.LBB178_35:                             ;   Parent Loop BB178_25 Depth=1
                                        ; =>  This Inner Loop Header: Depth=2
	global_load_b128 v[13:16], v[9:10], off
	v_mov_b32_e32 v17, s0
	v_add_co_u32 v9, vcc_lo, v9, 16
	v_add_co_ci_u32_e32 v10, vcc_lo, 0, v10, vcc_lo
	ds_load_b128 v[17:20], v17
	s_add_i32 s21, s21, -1
	s_add_i32 s0, s0, 16
	s_cmp_lg_u32 s21, 0
	s_waitcnt vmcnt(0) lgkmcnt(0)
	v_mul_f64 v[21:22], v[15:16], v[19:20]
	v_mul_f64 v[15:16], v[15:16], v[17:18]
	s_delay_alu instid0(VALU_DEP_2) | instskip(NEXT) | instid1(VALU_DEP_2)
	v_fma_f64 v[17:18], v[13:14], v[17:18], v[21:22]
	v_fma_f64 v[13:14], v[13:14], v[19:20], -v[15:16]
	s_delay_alu instid0(VALU_DEP_2) | instskip(NEXT) | instid1(VALU_DEP_2)
	v_add_f64 v[1:2], v[1:2], v[17:18]
	v_add_f64 v[3:4], v[3:4], v[13:14]
	s_cbranch_scc1 .LBB178_35
	s_branch .LBB178_23
.LBB178_36:
	s_nop 0
	s_sendmsg sendmsg(MSG_DEALLOC_VGPRS)
	s_endpgm
	.section	.rodata,"a",@progbits
	.p2align	6, 0x0
	.amdhsa_kernel _ZL22rocblas_gemvtsm_kernelILb1ELi256E19rocblas_complex_numIdEPKS1_S1_EviiT2_lPKT1_lilS7_lilS4_lPT3_lil
		.amdhsa_group_segment_fixed_size 1024
		.amdhsa_private_segment_fixed_size 0
		.amdhsa_kernarg_size 136
		.amdhsa_user_sgpr_count 15
		.amdhsa_user_sgpr_dispatch_ptr 0
		.amdhsa_user_sgpr_queue_ptr 0
		.amdhsa_user_sgpr_kernarg_segment_ptr 1
		.amdhsa_user_sgpr_dispatch_id 0
		.amdhsa_user_sgpr_private_segment_size 0
		.amdhsa_wavefront_size32 1
		.amdhsa_uses_dynamic_stack 0
		.amdhsa_enable_private_segment 0
		.amdhsa_system_sgpr_workgroup_id_x 1
		.amdhsa_system_sgpr_workgroup_id_y 0
		.amdhsa_system_sgpr_workgroup_id_z 0
		.amdhsa_system_sgpr_workgroup_info 0
		.amdhsa_system_vgpr_workitem_id 0
		.amdhsa_next_free_vgpr 62
		.amdhsa_next_free_sgpr 36
		.amdhsa_reserve_vcc 1
		.amdhsa_float_round_mode_32 0
		.amdhsa_float_round_mode_16_64 0
		.amdhsa_float_denorm_mode_32 3
		.amdhsa_float_denorm_mode_16_64 3
		.amdhsa_dx10_clamp 1
		.amdhsa_ieee_mode 1
		.amdhsa_fp16_overflow 0
		.amdhsa_workgroup_processor_mode 1
		.amdhsa_memory_ordered 1
		.amdhsa_forward_progress 0
		.amdhsa_shared_vgpr_count 0
		.amdhsa_exception_fp_ieee_invalid_op 0
		.amdhsa_exception_fp_denorm_src 0
		.amdhsa_exception_fp_ieee_div_zero 0
		.amdhsa_exception_fp_ieee_overflow 0
		.amdhsa_exception_fp_ieee_underflow 0
		.amdhsa_exception_fp_ieee_inexact 0
		.amdhsa_exception_int_div_zero 0
	.end_amdhsa_kernel
	.section	.text._ZL22rocblas_gemvtsm_kernelILb1ELi256E19rocblas_complex_numIdEPKS1_S1_EviiT2_lPKT1_lilS7_lilS4_lPT3_lil,"axG",@progbits,_ZL22rocblas_gemvtsm_kernelILb1ELi256E19rocblas_complex_numIdEPKS1_S1_EviiT2_lPKT1_lilS7_lilS4_lPT3_lil,comdat
.Lfunc_end178:
	.size	_ZL22rocblas_gemvtsm_kernelILb1ELi256E19rocblas_complex_numIdEPKS1_S1_EviiT2_lPKT1_lilS7_lilS4_lPT3_lil, .Lfunc_end178-_ZL22rocblas_gemvtsm_kernelILb1ELi256E19rocblas_complex_numIdEPKS1_S1_EviiT2_lPKT1_lilS7_lilS4_lPT3_lil
                                        ; -- End function
	.section	.AMDGPU.csdata,"",@progbits
; Kernel info:
; codeLenInByte = 2200
; NumSgprs: 38
; NumVgprs: 62
; ScratchSize: 0
; MemoryBound: 0
; FloatMode: 240
; IeeeMode: 1
; LDSByteSize: 1024 bytes/workgroup (compile time only)
; SGPRBlocks: 4
; VGPRBlocks: 7
; NumSGPRsForWavesPerEU: 38
; NumVGPRsForWavesPerEU: 62
; Occupancy: 16
; WaveLimiterHint : 1
; COMPUTE_PGM_RSRC2:SCRATCH_EN: 0
; COMPUTE_PGM_RSRC2:USER_SGPR: 15
; COMPUTE_PGM_RSRC2:TRAP_HANDLER: 0
; COMPUTE_PGM_RSRC2:TGID_X_EN: 1
; COMPUTE_PGM_RSRC2:TGID_Y_EN: 0
; COMPUTE_PGM_RSRC2:TGID_Z_EN: 0
; COMPUTE_PGM_RSRC2:TIDIG_COMP_CNT: 0
	.section	.text._ZL22rocblas_gemvtsm_kernelILb1ELi256E19rocblas_complex_numIdES1_S1_EviiT2_lPKT1_lilS5_lilS2_lPT3_lil,"axG",@progbits,_ZL22rocblas_gemvtsm_kernelILb1ELi256E19rocblas_complex_numIdES1_S1_EviiT2_lPKT1_lilS5_lilS2_lPT3_lil,comdat
	.globl	_ZL22rocblas_gemvtsm_kernelILb1ELi256E19rocblas_complex_numIdES1_S1_EviiT2_lPKT1_lilS5_lilS2_lPT3_lil ; -- Begin function _ZL22rocblas_gemvtsm_kernelILb1ELi256E19rocblas_complex_numIdES1_S1_EviiT2_lPKT1_lilS5_lilS2_lPT3_lil
	.p2align	8
	.type	_ZL22rocblas_gemvtsm_kernelILb1ELi256E19rocblas_complex_numIdES1_S1_EviiT2_lPKT1_lilS5_lilS2_lPT3_lil,@function
_ZL22rocblas_gemvtsm_kernelILb1ELi256E19rocblas_complex_numIdES1_S1_EviiT2_lPKT1_lilS5_lilS2_lPT3_lil: ; @_ZL22rocblas_gemvtsm_kernelILb1ELi256E19rocblas_complex_numIdES1_S1_EviiT2_lPKT1_lilS5_lilS2_lPT3_lil
; %bb.0:
	s_clause 0x2
	s_load_b128 s[16:19], s[0:1], 0x8
	s_load_b128 s[4:7], s[0:1], 0x58
	s_load_b64 s[12:13], s[0:1], 0x68
	s_waitcnt lgkmcnt(0)
	v_cmp_neq_f64_e64 s2, s[16:17], 0
	v_cmp_neq_f64_e64 s3, s[18:19], 0
	s_delay_alu instid0(VALU_DEP_1)
	s_or_b32 s2, s2, s3
	s_mov_b32 s3, -1
	s_and_b32 vcc_lo, exec_lo, s2
	s_cbranch_vccnz .LBB179_2
; %bb.1:
	v_cmp_neq_f64_e64 s3, s[6:7], 1.0
	v_cmp_neq_f64_e64 s8, s[12:13], 0
	s_delay_alu instid0(VALU_DEP_1)
	s_or_b32 s3, s3, s8
.LBB179_2:
	s_delay_alu instid0(SALU_CYCLE_1)
	s_and_not1_b32 vcc_lo, exec_lo, s3
	s_cbranch_vccnz .LBB179_36
; %bb.3:
	s_clause 0x3
	s_load_b64 s[20:21], s[0:1], 0x90
	s_load_b32 s24, s[0:1], 0x88
	s_load_b64 s[26:27], s[0:1], 0x0
	s_load_b128 s[8:11], s[0:1], 0x78
	s_xor_b32 s2, s2, -1
	s_delay_alu instid0(SALU_CYCLE_1)
	s_and_not1_b32 vcc_lo, exec_lo, s2
	s_waitcnt lgkmcnt(0)
	s_mul_i32 s2, s15, s21
	s_mul_hi_u32 s3, s15, s20
	s_mul_i32 s28, s15, s20
	s_add_i32 s29, s3, s2
	s_mov_b32 s2, -1
	s_cbranch_vccnz .LBB179_18
; %bb.4:
	v_cmp_neq_f64_e64 s2, s[6:7], 0
	v_cmp_neq_f64_e64 s3, s[12:13], 0
	s_delay_alu instid0(VALU_DEP_1)
	s_or_b32 s2, s2, s3
	s_cmp_gt_i32 s27, 0
	s_cselect_b32 s14, -1, 0
	s_and_b32 vcc_lo, exec_lo, s2
	s_mov_b32 s2, -1
	s_cbranch_vccnz .LBB179_11
; %bb.5:
	s_and_not1_b32 vcc_lo, exec_lo, s14
	s_cbranch_vccnz .LBB179_10
; %bb.6:
	v_mad_i64_i32 v[1:2], null, s24, v0, 0
	s_lshl_b64 s[20:21], s[10:11], 4
	s_ashr_i32 s25, s24, 31
	s_lshl_b64 s[2:3], s[28:29], 4
	s_add_u32 s20, s8, s20
	s_addc_u32 s21, s9, s21
	s_add_u32 s2, s20, s2
	s_delay_alu instid0(VALU_DEP_1) | instskip(SKIP_2) | instid1(VALU_DEP_1)
	v_lshlrev_b64 v[1:2], 4, v[1:2]
	s_addc_u32 s3, s21, s3
	s_mov_b32 s20, 0
	v_add_co_u32 v1, vcc_lo, s2, v1
	s_delay_alu instid0(VALU_DEP_2) | instskip(SKIP_1) | instid1(VALU_DEP_2)
	v_add_co_ci_u32_e32 v2, vcc_lo, s3, v2, vcc_lo
	s_lshl_b64 s[2:3], s[24:25], 12
	v_add_co_u32 v5, vcc_lo, v1, 8
	s_delay_alu instid0(VALU_DEP_2)
	v_add_co_ci_u32_e32 v6, vcc_lo, 0, v2, vcc_lo
	v_mov_b32_e32 v1, 0
	s_branch .LBB179_8
	.p2align	6
.LBB179_7:                              ;   in Loop: Header=BB179_8 Depth=1
	s_or_b32 exec_lo, exec_lo, s21
	v_add_co_u32 v5, vcc_lo, v5, s2
	v_add_co_ci_u32_e32 v6, vcc_lo, s3, v6, vcc_lo
	s_addk_i32 s20, 0x100
	s_delay_alu instid0(SALU_CYCLE_1)
	s_cmp_ge_i32 s20, s27
	s_cbranch_scc1 .LBB179_10
.LBB179_8:                              ; =>This Inner Loop Header: Depth=1
	v_add_nc_u32_e32 v2, s20, v0
	s_mov_b32 s21, exec_lo
	s_delay_alu instid0(VALU_DEP_1)
	v_cmpx_gt_i32_e64 s27, v2
	s_cbranch_execz .LBB179_7
; %bb.9:                                ;   in Loop: Header=BB179_8 Depth=1
	v_mov_b32_e32 v2, v1
	v_mov_b32_e32 v3, v1
	;; [unrolled: 1-line block ×3, first 2 shown]
	global_store_b128 v[5:6], v[1:4], off offset:-8
	s_branch .LBB179_7
.LBB179_10:
	s_mov_b32 s2, 0
.LBB179_11:
	s_delay_alu instid0(SALU_CYCLE_1)
	s_and_not1_b32 vcc_lo, exec_lo, s2
	s_cbranch_vccnz .LBB179_17
; %bb.12:
	s_and_not1_b32 vcc_lo, exec_lo, s14
	s_cbranch_vccnz .LBB179_17
; %bb.13:
	v_mad_i64_i32 v[1:2], null, s24, v0, 0
	s_lshl_b64 s[20:21], s[10:11], 4
	s_ashr_i32 s25, s24, 31
	s_lshl_b64 s[2:3], s[28:29], 4
	s_add_u32 s14, s8, s20
	s_addc_u32 s20, s9, s21
	s_add_u32 s2, s14, s2
	s_delay_alu instid0(VALU_DEP_1) | instskip(SKIP_2) | instid1(VALU_DEP_1)
	v_lshlrev_b64 v[1:2], 4, v[1:2]
	s_addc_u32 s3, s20, s3
	s_mov_b32 s14, 0
	v_add_co_u32 v1, vcc_lo, s2, v1
	s_delay_alu instid0(VALU_DEP_2) | instskip(SKIP_1) | instid1(VALU_DEP_2)
	v_add_co_ci_u32_e32 v2, vcc_lo, s3, v2, vcc_lo
	s_lshl_b64 s[2:3], s[24:25], 12
	v_add_co_u32 v1, vcc_lo, v1, 8
	s_delay_alu instid0(VALU_DEP_2)
	v_add_co_ci_u32_e32 v2, vcc_lo, 0, v2, vcc_lo
	s_set_inst_prefetch_distance 0x1
	s_branch .LBB179_15
	.p2align	6
.LBB179_14:                             ;   in Loop: Header=BB179_15 Depth=1
	s_or_b32 exec_lo, exec_lo, s20
	v_add_co_u32 v1, vcc_lo, v1, s2
	v_add_co_ci_u32_e32 v2, vcc_lo, s3, v2, vcc_lo
	s_addk_i32 s14, 0x100
	s_delay_alu instid0(SALU_CYCLE_1)
	s_cmp_ge_i32 s14, s27
	s_cbranch_scc1 .LBB179_17
.LBB179_15:                             ; =>This Inner Loop Header: Depth=1
	v_add_nc_u32_e32 v3, s14, v0
	s_mov_b32 s20, exec_lo
	s_delay_alu instid0(VALU_DEP_1)
	v_cmpx_gt_i32_e64 s27, v3
	s_cbranch_execz .LBB179_14
; %bb.16:                               ;   in Loop: Header=BB179_15 Depth=1
	global_load_b128 v[3:6], v[1:2], off offset:-8
	s_waitcnt vmcnt(0)
	v_mul_f64 v[7:8], s[12:13], v[5:6]
	v_mul_f64 v[9:10], s[6:7], v[5:6]
	s_delay_alu instid0(VALU_DEP_2) | instskip(NEXT) | instid1(VALU_DEP_2)
	v_fma_f64 v[5:6], s[6:7], v[3:4], -v[7:8]
	v_fma_f64 v[7:8], s[12:13], v[3:4], v[9:10]
	global_store_b128 v[1:2], v[5:8], off offset:-8
	s_branch .LBB179_14
.LBB179_17:
	s_set_inst_prefetch_distance 0x2
	s_mov_b32 s2, 0
.LBB179_18:
	s_delay_alu instid0(SALU_CYCLE_1)
	s_and_not1_b32 vcc_lo, exec_lo, s2
	s_cbranch_vccnz .LBB179_36
; %bb.19:
	s_clause 0x1
	s_load_b128 s[20:23], s[0:1], 0x38
	s_load_b64 s[2:3], s[0:1], 0x48
	s_mov_b32 s14, exec_lo
	v_cmpx_gt_i32_e64 s26, v0
	s_cbranch_execz .LBB179_21
; %bb.20:
	s_load_b32 s25, s[0:1], 0x50
	s_mul_i32 s5, s15, s5
	s_mul_hi_u32 s30, s15, s4
	s_mul_i32 s4, s15, s4
	s_add_i32 s5, s30, s5
	s_delay_alu instid0(SALU_CYCLE_1) | instskip(SKIP_4) | instid1(SALU_CYCLE_1)
	s_lshl_b64 s[4:5], s[4:5], 4
	s_waitcnt lgkmcnt(0)
	s_add_u32 s4, s22, s4
	s_addc_u32 s5, s23, s5
	s_lshl_b64 s[2:3], s[2:3], 4
	s_add_u32 s2, s4, s2
	s_addc_u32 s3, s5, s3
	v_mad_i64_i32 v[1:2], null, s25, v0, 0
	s_delay_alu instid0(VALU_DEP_1) | instskip(NEXT) | instid1(VALU_DEP_1)
	v_lshlrev_b64 v[1:2], 4, v[1:2]
	v_add_co_u32 v1, vcc_lo, s2, v1
	s_delay_alu instid0(VALU_DEP_2) | instskip(SKIP_4) | instid1(VALU_DEP_2)
	v_add_co_ci_u32_e32 v2, vcc_lo, s3, v2, vcc_lo
	global_load_b128 v[1:4], v[1:2], off
	s_waitcnt vmcnt(0)
	v_mul_f64 v[5:6], s[18:19], v[3:4]
	v_mul_f64 v[7:8], s[16:17], v[3:4]
	v_fma_f64 v[3:4], s[16:17], v[1:2], -v[5:6]
	s_delay_alu instid0(VALU_DEP_2)
	v_fma_f64 v[5:6], s[18:19], v[1:2], v[7:8]
	v_lshlrev_b32_e32 v1, 4, v0
	ds_store_b128 v1, v[3:6]
.LBB179_21:
	s_or_b32 exec_lo, exec_lo, s14
	s_cmp_lt_i32 s27, 1
	s_waitcnt lgkmcnt(0)
	s_waitcnt_vscnt null, 0x0
	s_barrier
	buffer_gl0_inv
	s_cbranch_scc1 .LBB179_36
; %bb.22:
	v_cmp_neq_f64_e64 s14, s[6:7], 0
	v_cmp_neq_f64_e64 s16, s[12:13], 0
	s_clause 0x1
	s_load_b32 s18, s[0:1], 0x30
	s_load_b128 s[0:3], s[0:1], 0x20
	s_lshl_b64 s[4:5], s[28:29], 4
	s_mul_i32 s17, s21, s15
	s_add_u32 s8, s8, s4
	s_addc_u32 s9, s9, s5
	s_lshl_b64 s[4:5], s[10:11], 4
	s_mul_hi_u32 s21, s20, s15
	s_add_u32 s4, s8, s4
	s_addc_u32 s5, s9, s5
	s_ashr_i32 s8, s24, 31
	s_mul_i32 s20, s20, s15
	s_waitcnt lgkmcnt(0)
	s_ashr_i32 s19, s18, 31
	v_mad_i64_i32 v[1:2], null, s18, v0, 0
	s_delay_alu instid0(VALU_DEP_1) | instskip(NEXT) | instid1(VALU_DEP_3)
	v_lshlrev_b64 v[1:2], 4, v[1:2]
	s_or_b32 s9, s14, s16
	s_cmp_gt_i32 s26, 0
	s_cselect_b32 s10, -1, 0
	s_and_b32 s11, s26, 7
	s_cmp_gt_u32 s26, 7
	s_cselect_b32 s14, -1, 0
	s_and_b32 s15, s26, 0x7ffffff8
	s_cmp_lg_u32 s11, 0
	s_cselect_b32 s16, -1, 0
	s_add_i32 s21, s21, s17
	s_lshl_b64 s[2:3], s[2:3], 4
	s_lshl_b64 s[20:21], s[20:21], 4
	s_add_u32 s0, s0, s2
	s_addc_u32 s1, s1, s3
	s_add_u32 s0, s0, s20
	s_addc_u32 s1, s1, s21
	v_add_co_u32 v11, vcc_lo, s0, v1
	v_add_co_ci_u32_e32 v12, vcc_lo, s1, v2, vcc_lo
	s_mov_b32 s1, 0
	s_delay_alu instid0(VALU_DEP_2) | instskip(NEXT) | instid1(VALU_DEP_2)
	v_add_co_u32 v5, vcc_lo, 0x78, v11
	v_add_co_ci_u32_e32 v6, vcc_lo, 0, v12, vcc_lo
	s_lshl_b64 s[2:3], s[18:19], 12
	s_mov_b32 s17, 0
	s_branch .LBB179_25
.LBB179_23:                             ;   in Loop: Header=BB179_25 Depth=1
	s_delay_alu instid0(VALU_DEP_2)
	v_add_co_u32 v7, vcc_lo, s4, v7
	v_add_co_ci_u32_e32 v8, vcc_lo, s5, v8, vcc_lo
	global_store_b128 v[7:8], v[1:4], off
.LBB179_24:                             ;   in Loop: Header=BB179_25 Depth=1
	s_or_b32 exec_lo, exec_lo, s18
	v_add_co_u32 v5, vcc_lo, v5, s2
	v_add_co_ci_u32_e32 v6, vcc_lo, s3, v6, vcc_lo
	v_add_co_u32 v11, vcc_lo, v11, s2
	v_add_co_ci_u32_e32 v12, vcc_lo, s3, v12, vcc_lo
	s_addk_i32 s17, 0x100
	s_delay_alu instid0(SALU_CYCLE_1)
	s_cmp_ge_i32 s17, s27
	s_cbranch_scc1 .LBB179_36
.LBB179_25:                             ; =>This Loop Header: Depth=1
                                        ;     Child Loop BB179_31 Depth 2
                                        ;     Child Loop BB179_35 Depth 2
	v_add_nc_u32_e32 v1, s17, v0
	s_mov_b32 s18, exec_lo
	s_delay_alu instid0(VALU_DEP_1)
	v_cmpx_gt_i32_e64 s27, v1
	s_cbranch_execz .LBB179_24
; %bb.26:                               ;   in Loop: Header=BB179_25 Depth=1
	v_mad_u64_u32 v[3:4], null, v1, s24, 0
	s_and_not1_b32 vcc_lo, exec_lo, s9
	s_delay_alu instid0(VALU_DEP_1) | instskip(NEXT) | instid1(VALU_DEP_1)
	v_mov_b32_e32 v2, v4
	v_mad_u64_u32 v[7:8], null, v1, s8, v[2:3]
	v_mov_b32_e32 v1, 0
	v_mov_b32_e32 v2, 0
	s_delay_alu instid0(VALU_DEP_3) | instskip(NEXT) | instid1(VALU_DEP_1)
	v_mov_b32_e32 v4, v7
	v_lshlrev_b64 v[7:8], 4, v[3:4]
	s_delay_alu instid0(VALU_DEP_3)
	v_dual_mov_b32 v4, v2 :: v_dual_mov_b32 v3, v1
	s_cbranch_vccnz .LBB179_28
; %bb.27:                               ;   in Loop: Header=BB179_25 Depth=1
	s_delay_alu instid0(VALU_DEP_2) | instskip(NEXT) | instid1(VALU_DEP_3)
	v_add_co_u32 v1, vcc_lo, s4, v7
	v_add_co_ci_u32_e32 v2, vcc_lo, s5, v8, vcc_lo
	global_load_b128 v[13:16], v[1:2], off
	s_waitcnt vmcnt(0)
	v_mul_f64 v[1:2], s[12:13], v[15:16]
	v_mul_f64 v[3:4], s[6:7], v[15:16]
	s_delay_alu instid0(VALU_DEP_2) | instskip(NEXT) | instid1(VALU_DEP_2)
	v_fma_f64 v[1:2], s[6:7], v[13:14], -v[1:2]
	v_fma_f64 v[3:4], s[12:13], v[13:14], v[3:4]
.LBB179_28:                             ;   in Loop: Header=BB179_25 Depth=1
	s_and_not1_b32 vcc_lo, exec_lo, s10
	s_cbranch_vccnz .LBB179_23
; %bb.29:                               ;   in Loop: Header=BB179_25 Depth=1
	s_and_not1_b32 vcc_lo, exec_lo, s14
	s_cbranch_vccnz .LBB179_33
; %bb.30:                               ;   in Loop: Header=BB179_25 Depth=1
	v_dual_mov_b32 v10, v6 :: v_dual_mov_b32 v9, v5
	s_mov_b32 s0, 0
	s_mov_b32 s19, 0
.LBB179_31:                             ;   Parent Loop BB179_25 Depth=1
                                        ; =>  This Inner Loop Header: Depth=2
	s_clause 0x7
	global_load_b128 v[13:16], v[9:10], off offset:-120
	global_load_b128 v[17:20], v[9:10], off offset:-104
	;; [unrolled: 1-line block ×8, first 2 shown]
	v_mov_b32_e32 v61, s0
	v_add_co_u32 v9, vcc_lo, 0x80, v9
	v_add_co_ci_u32_e32 v10, vcc_lo, 0, v10, vcc_lo
	ds_load_b128 v[45:48], v61
	ds_load_b128 v[49:52], v61 offset:16
	s_add_i32 s19, s19, 8
	s_addk_i32 s0, 0x80
	s_cmp_eq_u32 s15, s19
	s_waitcnt vmcnt(7) lgkmcnt(1)
	v_mul_f64 v[53:54], v[15:16], v[47:48]
	v_mul_f64 v[15:16], v[15:16], v[45:46]
	s_waitcnt vmcnt(6) lgkmcnt(0)
	v_mul_f64 v[55:56], v[19:20], v[51:52]
	v_mul_f64 v[19:20], v[19:20], v[49:50]
	s_delay_alu instid0(VALU_DEP_4) | instskip(NEXT) | instid1(VALU_DEP_4)
	v_fma_f64 v[53:54], v[13:14], v[45:46], v[53:54]
	v_fma_f64 v[57:58], v[13:14], v[47:48], -v[15:16]
	ds_load_b128 v[13:16], v61 offset:32
	ds_load_b128 v[45:48], v61 offset:48
	v_fma_f64 v[49:50], v[17:18], v[49:50], v[55:56]
	v_fma_f64 v[17:18], v[17:18], v[51:52], -v[19:20]
	s_waitcnt vmcnt(5) lgkmcnt(1)
	v_mul_f64 v[59:60], v[23:24], v[15:16]
	v_mul_f64 v[23:24], v[23:24], v[13:14]
	s_waitcnt vmcnt(4) lgkmcnt(0)
	v_mul_f64 v[19:20], v[27:28], v[47:48]
	v_mul_f64 v[27:28], v[27:28], v[45:46]
	v_add_f64 v[1:2], v[1:2], v[53:54]
	v_add_f64 v[3:4], v[3:4], v[57:58]
	v_fma_f64 v[51:52], v[21:22], v[13:14], v[59:60]
	v_fma_f64 v[21:22], v[21:22], v[15:16], -v[23:24]
	v_fma_f64 v[19:20], v[25:26], v[45:46], v[19:20]
	v_fma_f64 v[25:26], v[25:26], v[47:48], -v[27:28]
	v_add_f64 v[23:24], v[1:2], v[49:50]
	v_add_f64 v[17:18], v[3:4], v[17:18]
	ds_load_b128 v[1:4], v61 offset:64
	ds_load_b128 v[13:16], v61 offset:80
	s_waitcnt vmcnt(3) lgkmcnt(1)
	v_mul_f64 v[49:50], v[31:32], v[3:4]
	v_mul_f64 v[31:32], v[31:32], v[1:2]
	s_waitcnt vmcnt(2) lgkmcnt(0)
	v_mul_f64 v[27:28], v[35:36], v[13:14]
	v_add_f64 v[23:24], v[23:24], v[51:52]
	v_add_f64 v[17:18], v[17:18], v[21:22]
	v_mul_f64 v[21:22], v[35:36], v[15:16]
	v_fma_f64 v[35:36], v[29:30], v[1:2], v[49:50]
	v_fma_f64 v[29:30], v[29:30], v[3:4], -v[31:32]
	v_fma_f64 v[15:16], v[33:34], v[15:16], -v[27:28]
	v_add_f64 v[23:24], v[23:24], v[19:20]
	v_add_f64 v[25:26], v[17:18], v[25:26]
	ds_load_b128 v[1:4], v61 offset:96
	ds_load_b128 v[17:20], v61 offset:112
	v_fma_f64 v[13:14], v[33:34], v[13:14], v[21:22]
	s_waitcnt vmcnt(1) lgkmcnt(1)
	v_mul_f64 v[31:32], v[39:40], v[3:4]
	v_mul_f64 v[39:40], v[39:40], v[1:2]
	s_waitcnt vmcnt(0) lgkmcnt(0)
	v_mul_f64 v[27:28], v[43:44], v[17:18]
	v_add_f64 v[21:22], v[23:24], v[35:36]
	v_add_f64 v[23:24], v[25:26], v[29:30]
	v_mul_f64 v[25:26], v[43:44], v[19:20]
	v_fma_f64 v[1:2], v[37:38], v[1:2], v[31:32]
	v_fma_f64 v[3:4], v[37:38], v[3:4], -v[39:40]
	v_fma_f64 v[19:20], v[41:42], v[19:20], -v[27:28]
	v_add_f64 v[13:14], v[21:22], v[13:14]
	v_add_f64 v[15:16], v[23:24], v[15:16]
	v_fma_f64 v[17:18], v[41:42], v[17:18], v[25:26]
	s_delay_alu instid0(VALU_DEP_3) | instskip(NEXT) | instid1(VALU_DEP_3)
	v_add_f64 v[1:2], v[13:14], v[1:2]
	v_add_f64 v[3:4], v[15:16], v[3:4]
	s_delay_alu instid0(VALU_DEP_2) | instskip(NEXT) | instid1(VALU_DEP_2)
	v_add_f64 v[1:2], v[1:2], v[17:18]
	v_add_f64 v[3:4], v[3:4], v[19:20]
	s_cbranch_scc0 .LBB179_31
; %bb.32:                               ;   in Loop: Header=BB179_25 Depth=1
	s_mov_b32 s0, s15
	s_and_not1_b32 vcc_lo, exec_lo, s16
	s_cbranch_vccz .LBB179_34
	s_branch .LBB179_23
.LBB179_33:                             ;   in Loop: Header=BB179_25 Depth=1
	s_mov_b32 s0, 0
	s_and_not1_b32 vcc_lo, exec_lo, s16
	s_cbranch_vccnz .LBB179_23
.LBB179_34:                             ;   in Loop: Header=BB179_25 Depth=1
	s_lshl_b64 s[20:21], s[0:1], 4
	s_lshl_b32 s0, s0, 4
	v_add_co_u32 v9, vcc_lo, v11, s20
	v_add_co_ci_u32_e32 v10, vcc_lo, s21, v12, vcc_lo
	s_mov_b32 s19, s11
	.p2align	6
.LBB179_35:                             ;   Parent Loop BB179_25 Depth=1
                                        ; =>  This Inner Loop Header: Depth=2
	global_load_b128 v[13:16], v[9:10], off
	v_mov_b32_e32 v17, s0
	v_add_co_u32 v9, vcc_lo, v9, 16
	v_add_co_ci_u32_e32 v10, vcc_lo, 0, v10, vcc_lo
	ds_load_b128 v[17:20], v17
	s_add_i32 s19, s19, -1
	s_add_i32 s0, s0, 16
	s_cmp_lg_u32 s19, 0
	s_waitcnt vmcnt(0) lgkmcnt(0)
	v_mul_f64 v[21:22], v[15:16], v[19:20]
	v_mul_f64 v[15:16], v[15:16], v[17:18]
	s_delay_alu instid0(VALU_DEP_2) | instskip(NEXT) | instid1(VALU_DEP_2)
	v_fma_f64 v[17:18], v[13:14], v[17:18], v[21:22]
	v_fma_f64 v[13:14], v[13:14], v[19:20], -v[15:16]
	s_delay_alu instid0(VALU_DEP_2) | instskip(NEXT) | instid1(VALU_DEP_2)
	v_add_f64 v[1:2], v[1:2], v[17:18]
	v_add_f64 v[3:4], v[3:4], v[13:14]
	s_cbranch_scc1 .LBB179_35
	s_branch .LBB179_23
.LBB179_36:
	s_nop 0
	s_sendmsg sendmsg(MSG_DEALLOC_VGPRS)
	s_endpgm
	.section	.rodata,"a",@progbits
	.p2align	6, 0x0
	.amdhsa_kernel _ZL22rocblas_gemvtsm_kernelILb1ELi256E19rocblas_complex_numIdES1_S1_EviiT2_lPKT1_lilS5_lilS2_lPT3_lil
		.amdhsa_group_segment_fixed_size 1024
		.amdhsa_private_segment_fixed_size 0
		.amdhsa_kernarg_size 152
		.amdhsa_user_sgpr_count 15
		.amdhsa_user_sgpr_dispatch_ptr 0
		.amdhsa_user_sgpr_queue_ptr 0
		.amdhsa_user_sgpr_kernarg_segment_ptr 1
		.amdhsa_user_sgpr_dispatch_id 0
		.amdhsa_user_sgpr_private_segment_size 0
		.amdhsa_wavefront_size32 1
		.amdhsa_uses_dynamic_stack 0
		.amdhsa_enable_private_segment 0
		.amdhsa_system_sgpr_workgroup_id_x 1
		.amdhsa_system_sgpr_workgroup_id_y 0
		.amdhsa_system_sgpr_workgroup_id_z 0
		.amdhsa_system_sgpr_workgroup_info 0
		.amdhsa_system_vgpr_workitem_id 0
		.amdhsa_next_free_vgpr 62
		.amdhsa_next_free_sgpr 31
		.amdhsa_reserve_vcc 1
		.amdhsa_float_round_mode_32 0
		.amdhsa_float_round_mode_16_64 0
		.amdhsa_float_denorm_mode_32 3
		.amdhsa_float_denorm_mode_16_64 3
		.amdhsa_dx10_clamp 1
		.amdhsa_ieee_mode 1
		.amdhsa_fp16_overflow 0
		.amdhsa_workgroup_processor_mode 1
		.amdhsa_memory_ordered 1
		.amdhsa_forward_progress 0
		.amdhsa_shared_vgpr_count 0
		.amdhsa_exception_fp_ieee_invalid_op 0
		.amdhsa_exception_fp_denorm_src 0
		.amdhsa_exception_fp_ieee_div_zero 0
		.amdhsa_exception_fp_ieee_overflow 0
		.amdhsa_exception_fp_ieee_underflow 0
		.amdhsa_exception_fp_ieee_inexact 0
		.amdhsa_exception_int_div_zero 0
	.end_amdhsa_kernel
	.section	.text._ZL22rocblas_gemvtsm_kernelILb1ELi256E19rocblas_complex_numIdES1_S1_EviiT2_lPKT1_lilS5_lilS2_lPT3_lil,"axG",@progbits,_ZL22rocblas_gemvtsm_kernelILb1ELi256E19rocblas_complex_numIdES1_S1_EviiT2_lPKT1_lilS5_lilS2_lPT3_lil,comdat
.Lfunc_end179:
	.size	_ZL22rocblas_gemvtsm_kernelILb1ELi256E19rocblas_complex_numIdES1_S1_EviiT2_lPKT1_lilS5_lilS2_lPT3_lil, .Lfunc_end179-_ZL22rocblas_gemvtsm_kernelILb1ELi256E19rocblas_complex_numIdES1_S1_EviiT2_lPKT1_lilS5_lilS2_lPT3_lil
                                        ; -- End function
	.section	.AMDGPU.csdata,"",@progbits
; Kernel info:
; codeLenInByte = 2132
; NumSgprs: 33
; NumVgprs: 62
; ScratchSize: 0
; MemoryBound: 0
; FloatMode: 240
; IeeeMode: 1
; LDSByteSize: 1024 bytes/workgroup (compile time only)
; SGPRBlocks: 4
; VGPRBlocks: 7
; NumSGPRsForWavesPerEU: 33
; NumVGPRsForWavesPerEU: 62
; Occupancy: 16
; WaveLimiterHint : 1
; COMPUTE_PGM_RSRC2:SCRATCH_EN: 0
; COMPUTE_PGM_RSRC2:USER_SGPR: 15
; COMPUTE_PGM_RSRC2:TRAP_HANDLER: 0
; COMPUTE_PGM_RSRC2:TGID_X_EN: 1
; COMPUTE_PGM_RSRC2:TGID_Y_EN: 0
; COMPUTE_PGM_RSRC2:TGID_Z_EN: 0
; COMPUTE_PGM_RSRC2:TIDIG_COMP_CNT: 0
	.section	.text._ZL23rocblas_gemvt_sn_kernelILb1ELi256ELi4Ei19rocblas_complex_numIdEPKS1_S1_EviiT4_lPKT3_lilS7_lilPT5_i,"axG",@progbits,_ZL23rocblas_gemvt_sn_kernelILb1ELi256ELi4Ei19rocblas_complex_numIdEPKS1_S1_EviiT4_lPKT3_lilS7_lilPT5_i,comdat
	.globl	_ZL23rocblas_gemvt_sn_kernelILb1ELi256ELi4Ei19rocblas_complex_numIdEPKS1_S1_EviiT4_lPKT3_lilS7_lilPT5_i ; -- Begin function _ZL23rocblas_gemvt_sn_kernelILb1ELi256ELi4Ei19rocblas_complex_numIdEPKS1_S1_EviiT4_lPKT3_lilS7_lilPT5_i
	.p2align	8
	.type	_ZL23rocblas_gemvt_sn_kernelILb1ELi256ELi4Ei19rocblas_complex_numIdEPKS1_S1_EviiT4_lPKT3_lilS7_lilPT5_i,@function
_ZL23rocblas_gemvt_sn_kernelILb1ELi256ELi4Ei19rocblas_complex_numIdEPKS1_S1_EviiT4_lPKT3_lilS7_lilPT5_i: ; @_ZL23rocblas_gemvt_sn_kernelILb1ELi256ELi4Ei19rocblas_complex_numIdEPKS1_S1_EviiT4_lPKT3_lilS7_lilPT5_i
; %bb.0:
	s_load_b256 s[4:11], s[0:1], 0x8
	s_mov_b32 s25, 0
	s_waitcnt lgkmcnt(0)
	s_mul_i32 s3, s15, s7
	s_mul_hi_u32 s7, s15, s6
	s_mul_i32 s2, s15, s6
	s_add_i32 s3, s7, s3
	s_delay_alu instid0(SALU_CYCLE_1) | instskip(NEXT) | instid1(SALU_CYCLE_1)
	s_lshl_b64 s[2:3], s[2:3], 4
	s_add_u32 s2, s4, s2
	s_addc_u32 s3, s5, s3
	s_load_b128 s[16:19], s[2:3], 0x0
	s_clause 0x2
	s_load_b64 s[12:13], s[0:1], 0x0
	s_load_b32 s24, s[0:1], 0x68
	s_load_b128 s[4:7], s[0:1], 0x50
	s_waitcnt lgkmcnt(0)
	s_ashr_i32 s28, s13, 31
	v_cmp_neq_f64_e64 s2, s[16:17], 0
	v_cmp_neq_f64_e64 s3, s[18:19], 0
	s_mul_hi_u32 s20, s13, s15
	s_mul_i32 s22, s28, s15
	s_mul_i32 s21, s13, s15
	s_add_i32 s20, s20, s22
	s_mul_hi_u32 s23, s21, s24
	s_mul_i32 s20, s20, s24
	s_mul_i32 s26, s21, s24
	s_add_i32 s27, s23, s20
	s_delay_alu instid0(VALU_DEP_1)
	s_or_b32 s2, s2, s3
	s_mov_b32 s3, -1
	s_and_b32 vcc_lo, exec_lo, s2
	v_cmp_eq_u32_e64 s2, 0, v0
	s_cbranch_vccnz .LBB180_5
; %bb.1:
	s_cmp_gt_i32 s13, 0
	s_cselect_b32 s3, -1, 0
	s_delay_alu instid0(VALU_DEP_1) | instid1(SALU_CYCLE_1)
	s_and_b32 s2, s2, s3
	s_delay_alu instid0(SALU_CYCLE_1)
	s_and_saveexec_b32 s22, s2
	s_cbranch_execz .LBB180_4
; %bb.2:
	s_mov_b32 s2, s15
	s_mov_b32 s15, 0
	v_mov_b32_e32 v1, 0
	s_lshl_b64 s[20:21], s[26:27], 4
	s_lshl_b64 s[30:31], s[14:15], 4
	s_mov_b32 s15, s2
	s_add_u32 s2, s20, s30
	s_addc_u32 s3, s21, s31
	s_add_u32 s2, s2, s6
	v_mov_b32_e32 v2, v1
	v_mov_b32_e32 v3, v1
	;; [unrolled: 1-line block ×3, first 2 shown]
	s_addc_u32 s3, s3, s7
	s_add_u32 s2, s2, 8
	s_addc_u32 s3, s3, 0
	s_lshl_b64 s[20:21], s[24:25], 4
	s_mov_b32 s23, s13
.LBB180_3:                              ; =>This Inner Loop Header: Depth=1
	s_delay_alu instid0(SALU_CYCLE_1)
	s_add_i32 s23, s23, -1
	global_store_b128 v1, v[1:4], s[2:3] offset:-8
	s_add_u32 s2, s2, s20
	s_addc_u32 s3, s3, s21
	s_cmp_eq_u32 s23, 0
	s_cbranch_scc0 .LBB180_3
.LBB180_4:
	s_or_b32 exec_lo, exec_lo, s22
	s_mov_b32 s3, 0
.LBB180_5:
	s_delay_alu instid0(SALU_CYCLE_1)
	s_and_not1_b32 vcc_lo, exec_lo, s3
	s_cbranch_vccnz .LBB180_76
; %bb.6:
	s_clause 0x3
	s_load_b128 s[20:23], s[0:1], 0x30
	s_load_b64 s[2:3], s[0:1], 0x40
	s_load_b32 s25, s[0:1], 0x28
	s_load_b32 s33, s[0:1], 0x48
	s_mul_i32 s0, s15, s5
	s_mul_hi_u32 s1, s15, s4
	s_mul_i32 s4, s15, s4
	s_add_i32 s5, s1, s0
	v_and_b32_e32 v22, 31, v0
	s_lshl_b64 s[4:5], s[4:5], 4
	v_cmp_gt_u32_e64 s0, 32, v0
	v_mbcnt_lo_u32_b32 v42, -1, 0
	v_lshrrev_b32_e32 v43, 1, v0
	v_add_nc_u32_e64 v36, 0, 16
	v_add_nc_u32_e64 v37, 0, 32
	;; [unrolled: 1-line block ×3, first 2 shown]
	v_or_b32_e64 v41, 0, 8
	s_waitcnt lgkmcnt(0)
	s_add_u32 s1, s22, s4
	s_addc_u32 s4, s23, s5
	s_lshl_b64 s[2:3], s[2:3], 4
	s_mul_i32 s21, s15, s21
	s_add_u32 s34, s1, s2
	s_addc_u32 s35, s4, s3
	s_lshl_b64 s[2:3], s[26:27], 4
	s_mul_hi_u32 s5, s15, s20
	s_add_u32 s38, s6, s2
	s_mul_i32 s4, s15, s20
	s_addc_u32 s39, s7, s3
	s_add_i32 s5, s5, s21
	v_cmp_gt_u32_e64 s1, 8, v0
	s_lshl_b64 s[6:7], s[4:5], 4
	s_delay_alu instid0(SALU_CYCLE_1) | instskip(SKIP_2) | instid1(SALU_CYCLE_1)
	s_add_u32 s2, s8, s6
	s_addc_u32 s3, s9, s7
	s_lshl_b64 s[10:11], s[10:11], 4
	s_add_u32 s2, s2, s10
	s_addc_u32 s3, s3, s11
	s_lshl_b32 s4, s14, 10
	s_lshr_b32 s5, s28, 30
	v_lshl_or_b32 v1, v0, 2, s4
	s_ashr_i32 s4, s12, 31
	s_add_i32 s5, s13, s5
	s_lshr_b32 s4, s4, 30
	s_and_b32 s15, s5, -4
	v_ashrrev_i32_e32 v2, 31, v1
	s_add_i32 s4, s12, s4
	v_mul_lo_u32 v21, v1, s33
	s_and_b32 s4, s4, -4
	v_add_nc_u32_e32 v44, 4, v1
	v_lshlrev_b64 v[23:24], 4, v[1:2]
	s_sub_i32 s36, s12, s4
	s_cmp_lt_i32 s15, 1
	v_add_nc_u32_e32 v45, s36, v1
	s_delay_alu instid0(VALU_DEP_2) | instskip(NEXT) | instid1(VALU_DEP_3)
	v_add_co_u32 v39, vcc_lo, s2, v23
	v_add_co_ci_u32_e32 v40, vcc_lo, s3, v24, vcc_lo
	s_cbranch_scc1 .LBB180_53
; %bb.7:
	v_cmp_gt_u32_e32 vcc_lo, 16, v42
	v_mul_lo_u32 v25, v1, s33
	s_cmp_gt_i32 s36, 0
	v_cmp_ge_i32_e64 s2, s12, v44
	s_cselect_b32 s40, -1, 0
	v_cndmask_b32_e64 v2, 0, 1, vcc_lo
	v_cmp_gt_u32_e32 vcc_lo, 24, v42
	s_lshl_b32 s41, s25, 2
	s_lshl_b32 s42, s25, 1
	v_ashrrev_i32_e32 v26, 31, v25
	v_lshlrev_b32_e32 v2, 4, v2
	v_cndmask_b32_e64 v3, 0, 1, vcc_lo
	v_cmp_gt_u32_e32 vcc_lo, 28, v42
	s_add_u32 s20, s6, s10
	s_addc_u32 s22, s7, s11
	v_add_lshl_u32 v46, v2, v42, 2
	v_lshlrev_b32_e32 v2, 3, v3
	v_cndmask_b32_e64 v4, 0, 1, vcc_lo
	v_cmp_gt_u32_e32 vcc_lo, 30, v42
	s_add_u32 s20, s8, s20
	s_addc_u32 s22, s9, s22
	v_add_lshl_u32 v47, v2, v42, 2
	v_lshlrev_b32_e32 v3, 2, v4
	v_cndmask_b32_e64 v5, 0, 1, vcc_lo
	v_cmp_ne_u32_e32 vcc_lo, 31, v42
	v_cmp_ge_i32_e64 s3, s12, v45
	v_cmp_eq_u32_e64 s4, 0, v22
	v_add_lshl_u32 v48, v3, v42, 2
	v_lshlrev_b32_e32 v1, 1, v5
	v_add_co_ci_u32_e32 v4, vcc_lo, 0, v42, vcc_lo
	v_lshlrev_b64 v[5:6], 4, v[25:26]
	v_lshlrev_b32_e32 v51, 4, v22
	s_delay_alu instid0(VALU_DEP_4) | instskip(SKIP_4) | instid1(VALU_DEP_4)
	v_add_lshl_u32 v49, v1, v42, 2
	v_add_nc_u32_e32 v1, s33, v25
	v_lshlrev_b32_e32 v50, 2, v4
	v_and_b32_e32 v52, 0x70, v43
	v_add_co_u32 v26, vcc_lo, s34, v5
	v_add_nc_u32_e32 v3, s33, v1
	v_ashrrev_i32_e32 v2, 31, v1
	v_add_co_ci_u32_e32 v27, vcc_lo, s35, v6, vcc_lo
	v_cmp_eq_u32_e64 s5, 0, v0
	s_delay_alu instid0(VALU_DEP_4) | instskip(NEXT) | instid1(VALU_DEP_4)
	v_add_nc_u32_e32 v7, s33, v3
	v_lshlrev_b64 v[1:2], 4, v[1:2]
	v_ashrrev_i32_e32 v4, 31, v3
	v_or_b32_e64 v53, 0, 8
	s_mov_b32 s21, 0
	v_ashrrev_i32_e32 v8, 31, v7
	s_mul_i32 s43, s25, 3
	v_lshlrev_b64 v[3:4], 4, v[3:4]
	v_add_co_u32 v28, vcc_lo, s34, v1
	v_add_co_ci_u32_e32 v29, vcc_lo, s35, v2, vcc_lo
	v_lshlrev_b64 v[1:2], 4, v[7:8]
	s_delay_alu instid0(VALU_DEP_4) | instskip(SKIP_2) | instid1(VALU_DEP_3)
	v_add_co_u32 v30, vcc_lo, s34, v3
	v_add_co_ci_u32_e32 v31, vcc_lo, s35, v4, vcc_lo
	s_mov_b32 s44, s25
	v_add_co_u32 v32, vcc_lo, s34, v1
	s_delay_alu instid0(VALU_DEP_4) | instskip(SKIP_3) | instid1(VALU_DEP_2)
	v_add_co_ci_u32_e32 v33, vcc_lo, s35, v2, vcc_lo
	v_add_co_u32 v1, vcc_lo, s20, v23
	v_add_co_ci_u32_e32 v2, vcc_lo, s22, v24, vcc_lo
	s_mov_b32 s22, s21
	v_add_co_u32 v54, vcc_lo, v1, 8
	v_mov_b32_e32 v1, 0
	s_delay_alu instid0(VALU_DEP_3)
	v_add_co_ci_u32_e32 v55, vcc_lo, 0, v2, vcc_lo
	s_mov_b32 s37, 0
	s_branch .LBB180_9
.LBB180_8:                              ;   in Loop: Header=BB180_9 Depth=1
	s_or_b32 exec_lo, exec_lo, s23
	s_add_i32 s37, s37, 4
	s_add_i32 s44, s44, s41
	;; [unrolled: 1-line block ×5, first 2 shown]
	s_cmp_ge_i32 s37, s15
	s_cbranch_scc1 .LBB180_54
.LBB180_9:                              ; =>This Loop Header: Depth=1
                                        ;     Child Loop BB180_40 Depth 2
                                        ;     Child Loop BB180_42 Depth 2
                                        ; implicit-def: $vgpr17_vgpr18
                                        ; implicit-def: $vgpr19_vgpr20
                                        ; implicit-def: $vgpr13_vgpr14
                                        ; implicit-def: $vgpr15_vgpr16
                                        ; implicit-def: $vgpr9_vgpr10
                                        ; implicit-def: $vgpr11_vgpr12
                                        ; implicit-def: $vgpr7_vgpr8
                                        ; implicit-def: $vgpr5_vgpr6
	s_and_saveexec_b32 s20, s2
	s_delay_alu instid0(SALU_CYCLE_1)
	s_xor_b32 s20, exec_lo, s20
	s_cbranch_execnz .LBB180_36
; %bb.10:                               ;   in Loop: Header=BB180_9 Depth=1
	s_and_not1_saveexec_b32 s20, s20
	s_cbranch_execnz .LBB180_37
.LBB180_11:                             ;   in Loop: Header=BB180_9 Depth=1
	s_or_b32 exec_lo, exec_lo, s20
	s_and_saveexec_b32 s20, s0
	s_cbranch_execz .LBB180_13
.LBB180_12:                             ;   in Loop: Header=BB180_9 Depth=1
	v_mov_b32_e32 v2, v1
	v_mov_b32_e32 v3, v1
	;; [unrolled: 1-line block ×3, first 2 shown]
	ds_store_b128 v51, v[1:4]
.LBB180_13:                             ;   in Loop: Header=BB180_9 Depth=1
	s_or_b32 exec_lo, exec_lo, s20
	ds_bpermute_b32 v2, v46, v7
	ds_bpermute_b32 v3, v46, v8
	;; [unrolled: 1-line block ×4, first 2 shown]
	s_waitcnt lgkmcnt(0)
	s_waitcnt_vscnt null, 0x0
	s_barrier
	buffer_gl0_inv
	v_add_f64 v[2:3], v[7:8], v[2:3]
	v_add_f64 v[4:5], v[5:6], v[34:35]
	ds_bpermute_b32 v6, v47, v2
	ds_bpermute_b32 v7, v47, v3
	ds_bpermute_b32 v34, v47, v4
	ds_bpermute_b32 v35, v47, v5
	s_waitcnt lgkmcnt(2)
	v_add_f64 v[2:3], v[2:3], v[6:7]
	s_waitcnt lgkmcnt(0)
	v_add_f64 v[4:5], v[4:5], v[34:35]
	ds_bpermute_b32 v6, v48, v2
	ds_bpermute_b32 v7, v48, v3
	ds_bpermute_b32 v34, v48, v4
	ds_bpermute_b32 v35, v48, v5
	s_waitcnt lgkmcnt(2)
	v_add_f64 v[2:3], v[2:3], v[6:7]
	s_waitcnt lgkmcnt(0)
	;; [unrolled: 8-line block ×3, first 2 shown]
	v_add_f64 v[6:7], v[4:5], v[34:35]
	ds_bpermute_b32 v4, v50, v2
	ds_bpermute_b32 v5, v50, v3
	;; [unrolled: 1-line block ×4, first 2 shown]
	s_and_saveexec_b32 s20, s4
	s_cbranch_execz .LBB180_15
; %bb.14:                               ;   in Loop: Header=BB180_9 Depth=1
	s_waitcnt lgkmcnt(0)
	v_add_f64 v[6:7], v[6:7], v[34:35]
	v_add_f64 v[4:5], v[2:3], v[4:5]
	ds_store_b128 v52, v[4:7]
.LBB180_15:                             ;   in Loop: Header=BB180_9 Depth=1
	s_or_b32 exec_lo, exec_lo, s20
	v_mov_b32_e32 v7, 0
	v_mov_b32_e32 v8, 0
	s_waitcnt lgkmcnt(2)
	s_delay_alu instid0(VALU_DEP_2)
	v_mov_b32_e32 v5, v7
	s_waitcnt lgkmcnt(0)
	s_barrier
	buffer_gl0_inv
	v_mov_b32_e32 v6, v8
	s_and_saveexec_b32 s20, s1
	s_cbranch_execnz .LBB180_44
; %bb.16:                               ;   in Loop: Header=BB180_9 Depth=1
	s_or_b32 exec_lo, exec_lo, s20
	s_and_saveexec_b32 s20, s0
	s_cbranch_execnz .LBB180_45
.LBB180_17:                             ;   in Loop: Header=BB180_9 Depth=1
	s_or_b32 exec_lo, exec_lo, s20
	s_and_saveexec_b32 s20, s0
	s_cbranch_execz .LBB180_19
.LBB180_18:                             ;   in Loop: Header=BB180_9 Depth=1
	v_mov_b32_e32 v2, v1
	v_mov_b32_e32 v3, v1
	;; [unrolled: 1-line block ×3, first 2 shown]
	ds_store_b128 v51, v[1:4]
.LBB180_19:                             ;   in Loop: Header=BB180_9 Depth=1
	s_or_b32 exec_lo, exec_lo, s20
	ds_bpermute_b32 v2, v46, v9
	ds_bpermute_b32 v3, v46, v10
	ds_bpermute_b32 v34, v46, v11
	ds_bpermute_b32 v35, v46, v12
	s_waitcnt lgkmcnt(0)
	s_barrier
	buffer_gl0_inv
	v_add_f64 v[2:3], v[9:10], v[2:3]
	v_add_f64 v[9:10], v[11:12], v[34:35]
	ds_bpermute_b32 v11, v47, v2
	ds_bpermute_b32 v12, v47, v3
	ds_bpermute_b32 v34, v47, v9
	ds_bpermute_b32 v35, v47, v10
	s_waitcnt lgkmcnt(2)
	v_add_f64 v[2:3], v[2:3], v[11:12]
	s_waitcnt lgkmcnt(0)
	v_add_f64 v[9:10], v[9:10], v[34:35]
	ds_bpermute_b32 v11, v48, v2
	ds_bpermute_b32 v12, v48, v3
	ds_bpermute_b32 v34, v48, v9
	ds_bpermute_b32 v35, v48, v10
	s_waitcnt lgkmcnt(2)
	v_add_f64 v[2:3], v[2:3], v[11:12]
	s_waitcnt lgkmcnt(0)
	;; [unrolled: 8-line block ×3, first 2 shown]
	v_add_f64 v[11:12], v[9:10], v[34:35]
	ds_bpermute_b32 v9, v50, v2
	ds_bpermute_b32 v10, v50, v3
	;; [unrolled: 1-line block ×4, first 2 shown]
	s_and_saveexec_b32 s20, s4
	s_cbranch_execz .LBB180_21
; %bb.20:                               ;   in Loop: Header=BB180_9 Depth=1
	s_waitcnt lgkmcnt(0)
	v_add_f64 v[11:12], v[11:12], v[34:35]
	v_add_f64 v[9:10], v[2:3], v[9:10]
	ds_store_b128 v52, v[9:12]
.LBB180_21:                             ;   in Loop: Header=BB180_9 Depth=1
	s_or_b32 exec_lo, exec_lo, s20
	v_mov_b32_e32 v11, 0
	v_mov_b32_e32 v12, 0
	s_waitcnt lgkmcnt(2)
	s_delay_alu instid0(VALU_DEP_2)
	v_mov_b32_e32 v9, v11
	s_waitcnt lgkmcnt(0)
	s_barrier
	buffer_gl0_inv
	v_mov_b32_e32 v10, v12
	s_and_saveexec_b32 s20, s1
	s_cbranch_execnz .LBB180_46
; %bb.22:                               ;   in Loop: Header=BB180_9 Depth=1
	s_or_b32 exec_lo, exec_lo, s20
	s_and_saveexec_b32 s20, s0
	s_cbranch_execnz .LBB180_47
.LBB180_23:                             ;   in Loop: Header=BB180_9 Depth=1
	s_or_b32 exec_lo, exec_lo, s20
	s_and_saveexec_b32 s20, s0
	s_cbranch_execz .LBB180_25
.LBB180_24:                             ;   in Loop: Header=BB180_9 Depth=1
	v_mov_b32_e32 v2, v1
	v_mov_b32_e32 v3, v1
	;; [unrolled: 1-line block ×3, first 2 shown]
	ds_store_b128 v51, v[1:4]
.LBB180_25:                             ;   in Loop: Header=BB180_9 Depth=1
	s_or_b32 exec_lo, exec_lo, s20
	ds_bpermute_b32 v2, v46, v13
	ds_bpermute_b32 v3, v46, v14
	;; [unrolled: 1-line block ×4, first 2 shown]
	s_waitcnt lgkmcnt(0)
	s_barrier
	buffer_gl0_inv
	v_add_f64 v[2:3], v[13:14], v[2:3]
	v_add_f64 v[13:14], v[15:16], v[34:35]
	ds_bpermute_b32 v15, v47, v2
	ds_bpermute_b32 v16, v47, v3
	ds_bpermute_b32 v34, v47, v13
	ds_bpermute_b32 v35, v47, v14
	s_waitcnt lgkmcnt(2)
	v_add_f64 v[2:3], v[2:3], v[15:16]
	s_waitcnt lgkmcnt(0)
	v_add_f64 v[13:14], v[13:14], v[34:35]
	ds_bpermute_b32 v15, v48, v2
	ds_bpermute_b32 v16, v48, v3
	ds_bpermute_b32 v34, v48, v13
	ds_bpermute_b32 v35, v48, v14
	s_waitcnt lgkmcnt(2)
	v_add_f64 v[2:3], v[2:3], v[15:16]
	s_waitcnt lgkmcnt(0)
	;; [unrolled: 8-line block ×3, first 2 shown]
	v_add_f64 v[15:16], v[13:14], v[34:35]
	ds_bpermute_b32 v13, v50, v2
	ds_bpermute_b32 v14, v50, v3
	;; [unrolled: 1-line block ×4, first 2 shown]
	s_and_saveexec_b32 s20, s4
	s_cbranch_execz .LBB180_27
; %bb.26:                               ;   in Loop: Header=BB180_9 Depth=1
	s_waitcnt lgkmcnt(0)
	v_add_f64 v[15:16], v[15:16], v[34:35]
	v_add_f64 v[13:14], v[2:3], v[13:14]
	ds_store_b128 v52, v[13:16]
.LBB180_27:                             ;   in Loop: Header=BB180_9 Depth=1
	s_or_b32 exec_lo, exec_lo, s20
	v_mov_b32_e32 v15, 0
	v_mov_b32_e32 v16, 0
	s_waitcnt lgkmcnt(2)
	s_delay_alu instid0(VALU_DEP_2)
	v_mov_b32_e32 v13, v15
	s_waitcnt lgkmcnt(0)
	s_barrier
	buffer_gl0_inv
	v_mov_b32_e32 v14, v16
	s_and_saveexec_b32 s20, s1
	s_cbranch_execnz .LBB180_48
; %bb.28:                               ;   in Loop: Header=BB180_9 Depth=1
	s_or_b32 exec_lo, exec_lo, s20
	s_and_saveexec_b32 s20, s0
	s_cbranch_execnz .LBB180_49
.LBB180_29:                             ;   in Loop: Header=BB180_9 Depth=1
	s_or_b32 exec_lo, exec_lo, s20
	s_and_saveexec_b32 s20, s0
	s_cbranch_execz .LBB180_31
.LBB180_30:                             ;   in Loop: Header=BB180_9 Depth=1
	v_mov_b32_e32 v2, v1
	v_mov_b32_e32 v3, v1
	;; [unrolled: 1-line block ×3, first 2 shown]
	ds_store_b128 v51, v[1:4]
.LBB180_31:                             ;   in Loop: Header=BB180_9 Depth=1
	s_or_b32 exec_lo, exec_lo, s20
	ds_bpermute_b32 v2, v46, v17
	ds_bpermute_b32 v3, v46, v18
	;; [unrolled: 1-line block ×4, first 2 shown]
	s_waitcnt lgkmcnt(0)
	s_barrier
	buffer_gl0_inv
	v_add_f64 v[2:3], v[17:18], v[2:3]
	v_add_f64 v[17:18], v[19:20], v[34:35]
	ds_bpermute_b32 v19, v47, v2
	ds_bpermute_b32 v20, v47, v3
	ds_bpermute_b32 v34, v47, v17
	ds_bpermute_b32 v35, v47, v18
	s_waitcnt lgkmcnt(2)
	v_add_f64 v[2:3], v[2:3], v[19:20]
	s_waitcnt lgkmcnt(0)
	v_add_f64 v[17:18], v[17:18], v[34:35]
	ds_bpermute_b32 v19, v48, v2
	ds_bpermute_b32 v20, v48, v3
	ds_bpermute_b32 v34, v48, v17
	ds_bpermute_b32 v35, v48, v18
	s_waitcnt lgkmcnt(2)
	v_add_f64 v[2:3], v[2:3], v[19:20]
	s_waitcnt lgkmcnt(0)
	v_add_f64 v[17:18], v[17:18], v[34:35]
	ds_bpermute_b32 v19, v49, v2
	ds_bpermute_b32 v20, v49, v3
	ds_bpermute_b32 v34, v49, v17
	ds_bpermute_b32 v35, v49, v18
	s_waitcnt lgkmcnt(2)
	v_add_f64 v[2:3], v[2:3], v[19:20]
	s_waitcnt lgkmcnt(0)
	v_add_f64 v[19:20], v[17:18], v[34:35]
	ds_bpermute_b32 v17, v50, v2
	ds_bpermute_b32 v18, v50, v3
	ds_bpermute_b32 v34, v50, v19
	ds_bpermute_b32 v35, v50, v20
	s_and_saveexec_b32 s20, s4
	s_cbranch_execz .LBB180_33
; %bb.32:                               ;   in Loop: Header=BB180_9 Depth=1
	s_waitcnt lgkmcnt(0)
	v_add_f64 v[19:20], v[19:20], v[34:35]
	v_add_f64 v[17:18], v[2:3], v[17:18]
	ds_store_b128 v52, v[17:20]
.LBB180_33:                             ;   in Loop: Header=BB180_9 Depth=1
	s_or_b32 exec_lo, exec_lo, s20
	v_mov_b32_e32 v19, 0
	v_mov_b32_e32 v20, 0
	s_waitcnt lgkmcnt(2)
	s_delay_alu instid0(VALU_DEP_2)
	v_mov_b32_e32 v17, v19
	s_waitcnt lgkmcnt(0)
	s_barrier
	buffer_gl0_inv
	v_mov_b32_e32 v18, v20
	s_and_saveexec_b32 s20, s1
	s_cbranch_execnz .LBB180_50
; %bb.34:                               ;   in Loop: Header=BB180_9 Depth=1
	s_or_b32 exec_lo, exec_lo, s20
	s_and_saveexec_b32 s20, s0
	s_cbranch_execnz .LBB180_51
.LBB180_35:                             ;   in Loop: Header=BB180_9 Depth=1
	s_or_b32 exec_lo, exec_lo, s20
	s_and_saveexec_b32 s23, s5
	s_cbranch_execz .LBB180_8
	s_branch .LBB180_52
.LBB180_36:                             ;   in Loop: Header=BB180_9 Depth=1
	s_clause 0x2
	global_load_b128 v[2:5], v[28:29], off
	global_load_b128 v[6:9], v[30:31], off
	;; [unrolled: 1-line block ×3, first 2 shown]
	s_mul_i32 s26, s37, s25
	global_load_b128 v[56:59], v[26:27], off
	s_ashr_i32 s27, s26, 31
	s_add_i32 s28, s26, s25
	s_lshl_b64 s[26:27], s[26:27], 4
	s_ashr_i32 s29, s28, 31
	s_waitcnt lgkmcnt(0)
	v_add_co_u32 v18, vcc_lo, v39, s26
	s_add_i32 s30, s28, s25
	v_add_co_ci_u32_e32 v19, vcc_lo, s27, v40, vcc_lo
	s_lshl_b64 s[26:27], s[28:29], 4
	s_ashr_i32 s31, s30, 31
	s_add_i32 s28, s30, s25
	v_add_co_u32 v34, vcc_lo, v39, s26
	s_lshl_b64 s[30:31], s[30:31], 4
	v_add_co_ci_u32_e32 v35, vcc_lo, s27, v40, vcc_lo
	s_ashr_i32 s29, s28, 31
	v_add_co_u32 v112, vcc_lo, v39, s30
	s_lshl_b64 s[26:27], s[28:29], 4
	v_add_co_ci_u32_e32 v113, vcc_lo, s31, v40, vcc_lo
	v_add_co_u32 v116, vcc_lo, v39, s26
	v_add_co_ci_u32_e32 v117, vcc_lo, s27, v40, vcc_lo
	s_clause 0x4
	global_load_b128 v[14:17], v[18:19], off
	global_load_b128 v[60:63], v[34:35], off
	;; [unrolled: 1-line block ×4, first 2 shown]
	global_load_b128 v[72:75], v[18:19], off offset:16
	s_waitcnt vmcnt(8)
	scratch_store_b128 v36, v[2:5], off
	scratch_load_b128 v[2:5], off, off offset:16
	s_clause 0x2
	global_load_b128 v[76:79], v[34:35], off offset:16
	global_load_b128 v[80:83], v[112:113], off offset:16
	;; [unrolled: 1-line block ×3, first 2 shown]
	s_waitcnt vmcnt(11)
	scratch_store_b128 v37, v[6:9], off
	scratch_load_b128 v[6:9], off, off offset:32
	s_clause 0x4
	global_load_b128 v[88:91], v[18:19], off offset:32
	global_load_b128 v[92:95], v[34:35], off offset:32
	global_load_b128 v[96:99], v[112:113], off offset:32
	global_load_b128 v[100:103], v[116:117], off offset:32
	global_load_b128 v[104:107], v[18:19], off offset:48
	s_waitcnt vmcnt(16)
	scratch_store_b128 v38, v[10:13], off
	scratch_load_b128 v[10:13], off, off offset:48
	s_clause 0x2
	global_load_b128 v[108:111], v[34:35], off offset:48
	global_load_b128 v[112:115], v[112:113], off offset:48
	;; [unrolled: 1-line block ×3, first 2 shown]
	s_waitcnt vmcnt(19)
	scratch_store_b128 off, v[56:59], off
	s_waitcnt vmcnt(18)
	v_mul_f64 v[18:19], v[58:59], v[16:17]
	v_mul_f64 v[16:17], v[56:57], v[16:17]
	s_waitcnt vmcnt(17)
	v_mul_f64 v[34:35], v[58:59], v[62:63]
	v_mul_f64 v[62:63], v[56:57], v[62:63]
	;; [unrolled: 3-line block ×4, first 2 shown]
	v_fma_f64 v[18:19], v[56:57], v[14:15], v[18:19]
	v_fma_f64 v[14:15], v[58:59], v[14:15], -v[16:17]
	v_fma_f64 v[34:35], v[56:57], v[60:61], v[34:35]
	v_fma_f64 v[60:61], v[58:59], v[60:61], -v[62:63]
	;; [unrolled: 2-line block ×4, first 2 shown]
	v_add_f64 v[18:19], v[18:19], 0
	v_add_f64 v[14:15], v[14:15], 0
	;; [unrolled: 1-line block ×7, first 2 shown]
	s_waitcnt vmcnt(13)
	v_mul_f64 v[16:17], v[4:5], v[74:75]
	v_mul_f64 v[74:75], v[2:3], v[74:75]
	s_waitcnt vmcnt(12)
	v_mul_f64 v[124:125], v[4:5], v[78:79]
	v_mul_f64 v[78:79], v[2:3], v[78:79]
	;; [unrolled: 3-line block ×5, first 2 shown]
	s_waitcnt vmcnt(7)
	v_mul_f64 v[126:127], v[8:9], v[94:95]
	v_fma_f64 v[16:17], v[2:3], v[72:73], v[16:17]
	v_fma_f64 v[72:73], v[4:5], v[72:73], -v[74:75]
	v_mul_f64 v[74:75], v[6:7], v[94:95]
	s_waitcnt vmcnt(6)
	v_mul_f64 v[94:95], v[8:9], v[98:99]
	v_fma_f64 v[124:125], v[2:3], v[76:77], v[124:125]
	v_fma_f64 v[76:77], v[4:5], v[76:77], -v[78:79]
	v_mul_f64 v[78:79], v[6:7], v[98:99]
	;; [unrolled: 5-line block ×3, first 2 shown]
	v_add_f64 v[102:103], v[120:121], 0
	v_fma_f64 v[2:3], v[2:3], v[84:85], v[70:71]
	v_fma_f64 v[4:5], v[4:5], v[84:85], -v[86:87]
	s_waitcnt vmcnt(3)
	v_mul_f64 v[70:71], v[12:13], v[106:107]
	v_mul_f64 v[84:85], v[10:11], v[106:107]
	s_waitcnt vmcnt(2)
	v_mul_f64 v[86:87], v[12:13], v[110:111]
	v_mul_f64 v[106:107], v[10:11], v[110:111]
	s_waitcnt vmcnt(1)
	v_mul_f64 v[110:111], v[12:13], v[114:115]
	v_fma_f64 v[120:121], v[6:7], v[88:89], v[122:123]
	v_fma_f64 v[88:89], v[8:9], v[88:89], -v[90:91]
	v_mul_f64 v[90:91], v[10:11], v[114:115]
	s_waitcnt vmcnt(0)
	v_mul_f64 v[114:115], v[12:13], v[118:119]
	v_fma_f64 v[122:123], v[6:7], v[92:93], v[126:127]
	v_add_f64 v[16:17], v[18:19], v[16:17]
	v_add_f64 v[14:15], v[14:15], v[72:73]
	v_fma_f64 v[74:75], v[8:9], v[92:93], -v[74:75]
	v_mul_f64 v[92:93], v[10:11], v[118:119]
	v_fma_f64 v[94:95], v[6:7], v[96:97], v[94:95]
	v_add_f64 v[18:19], v[34:35], v[124:125]
	v_fma_f64 v[78:79], v[8:9], v[96:97], -v[78:79]
	v_fma_f64 v[6:7], v[6:7], v[100:101], v[98:99]
	v_add_f64 v[34:35], v[60:61], v[76:77]
	v_fma_f64 v[8:9], v[8:9], v[100:101], -v[82:83]
	v_add_f64 v[60:61], v[102:103], v[62:63]
	v_add_f64 v[62:63], v[64:65], v[80:81]
	;; [unrolled: 1-line block ×4, first 2 shown]
	v_fma_f64 v[64:65], v[10:11], v[104:105], v[70:71]
	v_fma_f64 v[66:67], v[12:13], v[104:105], -v[84:85]
	v_fma_f64 v[68:69], v[10:11], v[108:109], v[86:87]
	v_fma_f64 v[70:71], v[12:13], v[108:109], -v[106:107]
	;; [unrolled: 2-line block ×3, first 2 shown]
	v_fma_f64 v[80:81], v[10:11], v[116:117], v[114:115]
	v_add_f64 v[10:11], v[16:17], v[120:121]
	v_fma_f64 v[82:83], v[12:13], v[116:117], -v[92:93]
	v_add_f64 v[12:13], v[14:15], v[88:89]
	v_add_f64 v[14:15], v[18:19], v[122:123]
	v_add_f64 v[16:17], v[34:35], v[74:75]
	v_add_f64 v[18:19], v[60:61], v[94:95]
	v_add_f64 v[34:35], v[62:63], v[78:79]
	v_add_f64 v[2:3], v[2:3], v[6:7]
	v_add_f64 v[60:61], v[4:5], v[8:9]
	v_add_f64 v[7:8], v[10:11], v[64:65]
	v_add_f64 v[5:6], v[12:13], v[66:67]
	v_add_f64 v[9:10], v[14:15], v[68:69]
	v_add_f64 v[11:12], v[16:17], v[70:71]
	v_add_f64 v[13:14], v[18:19], v[72:73]
	v_add_f64 v[15:16], v[34:35], v[76:77]
	v_add_f64 v[17:18], v[2:3], v[80:81]
	v_add_f64 v[19:20], v[60:61], v[82:83]
	s_and_not1_saveexec_b32 s20, s20
	s_cbranch_execz .LBB180_11
.LBB180_37:                             ;   in Loop: Header=BB180_9 Depth=1
	s_waitcnt lgkmcnt(0)
	v_mov_b32_e32 v17, 0
	v_mov_b32_e32 v18, 0
	s_delay_alu instid0(VALU_DEP_2) | instskip(SKIP_2) | instid1(VALU_DEP_4)
	v_mov_b32_e32 v13, v17
	v_mov_b32_e32 v15, v17
	;; [unrolled: 1-line block ×3, first 2 shown]
	v_dual_mov_b32 v11, v17 :: v_dual_mov_b32 v12, v18
	v_dual_mov_b32 v20, v18 :: v_dual_mov_b32 v19, v17
	v_mov_b32_e32 v14, v18
	v_mov_b32_e32 v16, v18
	v_dual_mov_b32 v10, v18 :: v_dual_mov_b32 v7, v17
	v_dual_mov_b32 v8, v18 :: v_dual_mov_b32 v5, v17
	v_mov_b32_e32 v6, v18
	s_and_saveexec_b32 s45, s3
	s_cbranch_execz .LBB180_43
; %bb.38:                               ;   in Loop: Header=BB180_9 Depth=1
	v_mov_b32_e32 v17, 0
	v_mov_b32_e32 v18, 0
	s_delay_alu instid0(VALU_DEP_2) | instskip(SKIP_2) | instid1(VALU_DEP_4)
	v_mov_b32_e32 v13, v17
	v_mov_b32_e32 v15, v17
	;; [unrolled: 1-line block ×3, first 2 shown]
	v_dual_mov_b32 v11, v17 :: v_dual_mov_b32 v12, v18
	v_dual_mov_b32 v20, v18 :: v_dual_mov_b32 v19, v17
	v_mov_b32_e32 v14, v18
	v_mov_b32_e32 v16, v18
	v_dual_mov_b32 v10, v18 :: v_dual_mov_b32 v7, v17
	v_dual_mov_b32 v8, v18 :: v_dual_mov_b32 v5, v17
	v_mov_b32_e32 v6, v18
	s_and_not1_b32 vcc_lo, exec_lo, s40
	s_cbranch_vccnz .LBB180_43
; %bb.39:                               ;   in Loop: Header=BB180_9 Depth=1
	v_mov_b32_e32 v4, 0
	v_mov_b32_e32 v2, v25
	s_mov_b32 s23, s36
.LBB180_40:                             ;   Parent Loop BB180_9 Depth=1
                                        ; =>  This Inner Loop Header: Depth=2
	s_delay_alu instid0(VALU_DEP_1) | instskip(SKIP_1) | instid1(SALU_CYCLE_1)
	v_ashrrev_i32_e32 v3, 31, v2
	s_add_i32 s23, s23, -1
	s_cmp_eq_u32 s23, 0
	s_delay_alu instid0(VALU_DEP_1) | instskip(SKIP_1) | instid1(VALU_DEP_2)
	v_lshlrev_b64 v[5:6], 4, v[2:3]
	v_add_nc_u32_e32 v2, s33, v2
	v_add_co_u32 v5, vcc_lo, s34, v5
	s_delay_alu instid0(VALU_DEP_3)
	v_add_co_ci_u32_e32 v6, vcc_lo, s35, v6, vcc_lo
	global_load_b128 v[5:8], v[5:6], off
	s_waitcnt vmcnt(0)
	scratch_store_b128 v4, v[5:8], off
	v_add_nc_u32_e32 v4, 16, v4
	s_cbranch_scc0 .LBB180_40
; %bb.41:                               ;   in Loop: Header=BB180_9 Depth=1
	s_ashr_i32 s23, s22, 31
	v_dual_mov_b32 v5, 0 :: v_dual_mov_b32 v4, v53
	v_mov_b32_e32 v6, 0
	s_lshl_b64 s[26:27], s[22:23], 4
	s_mov_b32 s28, s42
	v_add_co_u32 v2, vcc_lo, v54, s26
	v_add_co_ci_u32_e32 v3, vcc_lo, s27, v55, vcc_lo
	v_dual_mov_b32 v8, v6 :: v_dual_mov_b32 v7, v5
	v_dual_mov_b32 v12, v6 :: v_dual_mov_b32 v11, v5
	v_dual_mov_b32 v10, v6 :: v_dual_mov_b32 v9, v5
	v_dual_mov_b32 v16, v6 :: v_dual_mov_b32 v15, v5
	v_dual_mov_b32 v14, v6 :: v_dual_mov_b32 v13, v5
	v_dual_mov_b32 v20, v6 :: v_dual_mov_b32 v19, v5
	v_dual_mov_b32 v18, v6 :: v_dual_mov_b32 v17, v5
	s_mov_b32 s26, s43
	s_mov_b32 s30, s44
	;; [unrolled: 1-line block ×3, first 2 shown]
.LBB180_42:                             ;   Parent Loop BB180_9 Depth=1
                                        ; =>  This Inner Loop Header: Depth=2
	s_ashr_i32 s31, s30, 31
	s_ashr_i32 s29, s28, 31
	s_lshl_b64 s[46:47], s[30:31], 4
	s_lshl_b64 s[48:49], s[28:29], 4
	v_add_co_u32 v34, vcc_lo, v39, s46
	s_ashr_i32 s27, s26, 31
	v_add_co_ci_u32_e32 v35, vcc_lo, s47, v40, vcc_lo
	v_add_co_u32 v68, vcc_lo, v39, s48
	s_lshl_b64 s[50:51], s[26:27], 4
	v_add_co_ci_u32_e32 v69, vcc_lo, s49, v40, vcc_lo
	v_add_co_u32 v72, vcc_lo, v39, s50
	v_add_co_ci_u32_e32 v73, vcc_lo, s51, v40, vcc_lo
	scratch_load_b128 v[56:59], v4, off offset:-8
	global_load_b128 v[60:63], v[2:3], off offset:-8
	s_clause 0x2
	global_load_b128 v[64:67], v[34:35], off
	global_load_b128 v[68:71], v[68:69], off
	;; [unrolled: 1-line block ×3, first 2 shown]
	v_add_co_u32 v2, vcc_lo, v2, 16
	v_add_nc_u32_e32 v4, 16, v4
	v_add_co_ci_u32_e32 v3, vcc_lo, 0, v3, vcc_lo
	s_add_i32 s23, s23, -1
	s_add_i32 s30, s30, 1
	s_add_i32 s28, s28, 1
	;; [unrolled: 1-line block ×3, first 2 shown]
	s_cmp_lg_u32 s23, 0
	s_waitcnt vmcnt(2)
	v_mul_f64 v[76:77], v[58:59], v[66:67]
	v_mul_f64 v[34:35], v[58:59], v[62:63]
	;; [unrolled: 1-line block ×4, first 2 shown]
	s_waitcnt vmcnt(1)
	v_mul_f64 v[78:79], v[58:59], v[70:71]
	v_mul_f64 v[70:71], v[56:57], v[70:71]
	s_waitcnt vmcnt(0)
	v_mul_f64 v[80:81], v[58:59], v[74:75]
	v_mul_f64 v[74:75], v[56:57], v[74:75]
	v_fma_f64 v[34:35], v[56:57], v[60:61], v[34:35]
	v_fma_f64 v[60:61], v[58:59], v[60:61], -v[62:63]
	v_fma_f64 v[62:63], v[56:57], v[64:65], v[76:77]
	v_fma_f64 v[64:65], v[58:59], v[64:65], -v[66:67]
	;; [unrolled: 2-line block ×4, first 2 shown]
	v_add_f64 v[7:8], v[7:8], v[34:35]
	v_add_f64 v[5:6], v[5:6], v[60:61]
	;; [unrolled: 1-line block ×8, first 2 shown]
	s_cbranch_scc1 .LBB180_42
.LBB180_43:                             ;   in Loop: Header=BB180_9 Depth=1
	s_or_b32 exec_lo, exec_lo, s45
	s_delay_alu instid0(SALU_CYCLE_1)
	s_or_b32 exec_lo, exec_lo, s20
	s_and_saveexec_b32 s20, s0
	s_cbranch_execnz .LBB180_12
	s_branch .LBB180_13
.LBB180_44:                             ;   in Loop: Header=BB180_9 Depth=1
	ds_load_b128 v[5:8], v51
	s_or_b32 exec_lo, exec_lo, s20
	s_and_saveexec_b32 s20, s0
	s_cbranch_execz .LBB180_17
.LBB180_45:                             ;   in Loop: Header=BB180_9 Depth=1
	s_waitcnt lgkmcnt(0)
	ds_bpermute_b32 v2, v48, v5
	ds_bpermute_b32 v3, v48, v6
	ds_bpermute_b32 v34, v48, v7
	ds_bpermute_b32 v35, v48, v8
	s_waitcnt lgkmcnt(2)
	v_add_f64 v[2:3], v[5:6], v[2:3]
	s_waitcnt lgkmcnt(0)
	v_add_f64 v[4:5], v[7:8], v[34:35]
	ds_bpermute_b32 v6, v49, v2
	ds_bpermute_b32 v7, v49, v3
	ds_bpermute_b32 v34, v49, v4
	ds_bpermute_b32 v35, v49, v5
	s_waitcnt lgkmcnt(2)
	v_add_f64 v[2:3], v[2:3], v[6:7]
	s_waitcnt lgkmcnt(0)
	v_add_f64 v[7:8], v[4:5], v[34:35]
	;; [unrolled: 8-line block ×3, first 2 shown]
	s_or_b32 exec_lo, exec_lo, s20
	s_and_saveexec_b32 s20, s0
	s_cbranch_execnz .LBB180_18
	s_branch .LBB180_19
.LBB180_46:                             ;   in Loop: Header=BB180_9 Depth=1
	ds_load_b128 v[9:12], v51
	s_or_b32 exec_lo, exec_lo, s20
	s_and_saveexec_b32 s20, s0
	s_cbranch_execz .LBB180_23
.LBB180_47:                             ;   in Loop: Header=BB180_9 Depth=1
	s_waitcnt lgkmcnt(0)
	ds_bpermute_b32 v2, v48, v9
	ds_bpermute_b32 v3, v48, v10
	ds_bpermute_b32 v34, v48, v11
	ds_bpermute_b32 v35, v48, v12
	s_waitcnt lgkmcnt(2)
	v_add_f64 v[2:3], v[9:10], v[2:3]
	s_waitcnt lgkmcnt(0)
	v_add_f64 v[9:10], v[11:12], v[34:35]
	ds_bpermute_b32 v11, v49, v2
	ds_bpermute_b32 v12, v49, v3
	ds_bpermute_b32 v34, v49, v9
	ds_bpermute_b32 v35, v49, v10
	s_waitcnt lgkmcnt(2)
	v_add_f64 v[2:3], v[2:3], v[11:12]
	s_waitcnt lgkmcnt(0)
	v_add_f64 v[11:12], v[9:10], v[34:35]
	;; [unrolled: 8-line block ×3, first 2 shown]
	s_or_b32 exec_lo, exec_lo, s20
	s_and_saveexec_b32 s20, s0
	s_cbranch_execnz .LBB180_24
	s_branch .LBB180_25
.LBB180_48:                             ;   in Loop: Header=BB180_9 Depth=1
	ds_load_b128 v[13:16], v51
	s_or_b32 exec_lo, exec_lo, s20
	s_and_saveexec_b32 s20, s0
	s_cbranch_execz .LBB180_29
.LBB180_49:                             ;   in Loop: Header=BB180_9 Depth=1
	s_waitcnt lgkmcnt(0)
	ds_bpermute_b32 v2, v48, v13
	ds_bpermute_b32 v3, v48, v14
	ds_bpermute_b32 v34, v48, v15
	ds_bpermute_b32 v35, v48, v16
	s_waitcnt lgkmcnt(2)
	v_add_f64 v[2:3], v[13:14], v[2:3]
	s_waitcnt lgkmcnt(0)
	v_add_f64 v[13:14], v[15:16], v[34:35]
	ds_bpermute_b32 v15, v49, v2
	ds_bpermute_b32 v16, v49, v3
	ds_bpermute_b32 v34, v49, v13
	ds_bpermute_b32 v35, v49, v14
	s_waitcnt lgkmcnt(2)
	v_add_f64 v[2:3], v[2:3], v[15:16]
	s_waitcnt lgkmcnt(0)
	v_add_f64 v[15:16], v[13:14], v[34:35]
	;; [unrolled: 8-line block ×3, first 2 shown]
	s_or_b32 exec_lo, exec_lo, s20
	s_and_saveexec_b32 s20, s0
	s_cbranch_execnz .LBB180_30
	s_branch .LBB180_31
.LBB180_50:                             ;   in Loop: Header=BB180_9 Depth=1
	ds_load_b128 v[17:20], v51
	s_or_b32 exec_lo, exec_lo, s20
	s_and_saveexec_b32 s20, s0
	s_cbranch_execz .LBB180_35
.LBB180_51:                             ;   in Loop: Header=BB180_9 Depth=1
	s_waitcnt lgkmcnt(0)
	ds_bpermute_b32 v2, v48, v17
	ds_bpermute_b32 v3, v48, v18
	ds_bpermute_b32 v34, v48, v19
	ds_bpermute_b32 v35, v48, v20
	s_waitcnt lgkmcnt(2)
	v_add_f64 v[2:3], v[17:18], v[2:3]
	s_waitcnt lgkmcnt(0)
	v_add_f64 v[17:18], v[19:20], v[34:35]
	ds_bpermute_b32 v19, v49, v2
	ds_bpermute_b32 v20, v49, v3
	ds_bpermute_b32 v34, v49, v17
	ds_bpermute_b32 v35, v49, v18
	s_waitcnt lgkmcnt(2)
	v_add_f64 v[2:3], v[2:3], v[19:20]
	s_waitcnt lgkmcnt(0)
	v_add_f64 v[19:20], v[17:18], v[34:35]
	;; [unrolled: 8-line block ×3, first 2 shown]
	s_or_b32 exec_lo, exec_lo, s20
	s_and_saveexec_b32 s23, s5
	s_cbranch_execz .LBB180_8
.LBB180_52:                             ;   in Loop: Header=BB180_9 Depth=1
	v_mul_f64 v[2:3], s[18:19], v[7:8]
	v_mul_f64 v[7:8], s[16:17], v[7:8]
	;; [unrolled: 1-line block ×6, first 2 shown]
	s_waitcnt lgkmcnt(0)
	v_mul_f64 v[58:59], s[18:19], v[19:20]
	v_mul_f64 v[19:20], s[16:17], v[19:20]
	s_mul_i32 s20, s37, s24
	s_delay_alu instid0(SALU_CYCLE_1) | instskip(NEXT) | instid1(SALU_CYCLE_1)
	s_add_i32 s20, s20, s14
	s_lshl_b64 s[26:27], s[20:21], 4
	s_delay_alu instid0(SALU_CYCLE_1) | instskip(SKIP_2) | instid1(SALU_CYCLE_1)
	s_add_u32 s26, s38, s26
	s_addc_u32 s27, s39, s27
	s_add_i32 s20, s20, s24
	s_lshl_b64 s[28:29], s[20:21], 4
	s_delay_alu instid0(SALU_CYCLE_1) | instskip(SKIP_2) | instid1(SALU_CYCLE_1)
	s_add_u32 s28, s38, s28
	s_addc_u32 s29, s39, s29
	;; [unrolled: 5-line block ×3, first 2 shown]
	s_add_i32 s20, s20, s24
	s_lshl_b64 s[46:47], s[20:21], 4
	s_delay_alu instid0(SALU_CYCLE_1)
	s_add_u32 s46, s38, s46
	s_addc_u32 s47, s39, s47
	v_fma_f64 v[2:3], s[16:17], v[5:6], -v[2:3]
	v_fma_f64 v[4:5], s[18:19], v[5:6], v[7:8]
	v_fma_f64 v[6:7], s[16:17], v[9:10], -v[34:35]
	v_fma_f64 v[8:9], s[18:19], v[9:10], v[11:12]
	;; [unrolled: 2-line block ×4, first 2 shown]
	s_clause 0x3
	global_store_b128 v1, v[2:5], s[26:27]
	global_store_b128 v1, v[6:9], s[28:29]
	global_store_b128 v1, v[10:13], s[30:31]
	global_store_b128 v1, v[14:17], s[46:47]
	s_branch .LBB180_8
.LBB180_53:
	s_mov_b32 s37, 0
.LBB180_54:
	s_delay_alu instid0(SALU_CYCLE_1)
	s_cmp_ge_i32 s37, s13
	s_cbranch_scc1 .LBB180_76
; %bb.55:
	v_cmp_gt_u32_e64 s1, 16, v42
	s_waitcnt lgkmcnt(0)
	v_lshlrev_b32_e32 v17, 4, v22
	v_cmp_gt_u32_e64 s0, 32, v0
	v_cmp_gt_u32_e64 s2, 8, v0
	v_cmp_eq_u32_e64 s3, 0, v0
	v_cndmask_b32_e64 v1, 0, 1, s1
	v_cmp_gt_u32_e64 s1, 24, v42
	v_cmp_ge_i32_e64 s4, s12, v45
	s_cmp_gt_i32 s36, 0
	s_mov_b32 s15, 0
	v_lshlrev_b32_e32 v1, 4, v1
	v_cndmask_b32_e64 v2, 0, 1, s1
	v_cmp_gt_u32_e64 s1, 28, v42
	s_cselect_b32 s20, -1, 0
	s_lshl_b64 s[14:15], s[14:15], 4
	v_add_lshl_u32 v18, v1, v42, 2
	v_lshlrev_b32_e32 v2, 3, v2
	v_cndmask_b32_e64 v3, 0, 1, s1
	v_cmp_gt_u32_e64 s1, 30, v42
	v_add_nc_u32_e32 v1, s33, v21
	v_cmp_ge_i32_e32 vcc_lo, s12, v44
	v_add_lshl_u32 v19, v2, v42, 2
	v_lshlrev_b32_e32 v3, 2, v3
	v_cndmask_b32_e64 v4, 0, 1, s1
	v_cmp_ne_u32_e64 s1, 31, v42
	v_ashrrev_i32_e32 v2, 31, v1
	v_add_nc_u32_e32 v0, s33, v1
	v_add_lshl_u32 v20, v3, v42, 2
	v_lshlrev_b32_e32 v4, 1, v4
	v_add_co_ci_u32_e64 v5, s1, 0, v42, s1
	v_cmp_eq_u32_e64 s1, 0, v22
	v_ashrrev_i32_e32 v22, 31, v21
	s_delay_alu instid0(VALU_DEP_4)
	v_add_lshl_u32 v25, v4, v42, 2
	v_lshlrev_b64 v[7:8], 4, v[1:2]
	v_ashrrev_i32_e32 v1, 31, v0
	v_lshlrev_b32_e32 v26, 2, v5
	v_lshlrev_b64 v[3:4], 4, v[21:22]
	s_add_u32 s12, s38, s14
	s_addc_u32 s14, s39, s15
	v_lshlrev_b64 v[1:2], 4, v[0:1]
	v_and_b32_e32 v27, 0x70, v43
	s_delay_alu instid0(VALU_DEP_3) | instskip(SKIP_3) | instid1(VALU_DEP_1)
	v_add_co_u32 v5, s5, s34, v3
	v_add_nc_u32_e32 v3, s33, v0
	v_add_co_ci_u32_e64 v6, s5, s35, v4, s5
	v_add_co_u32 v7, s5, s34, v7
	v_add_co_ci_u32_e64 v8, s5, s35, v8, s5
	s_delay_alu instid0(VALU_DEP_4) | instskip(SKIP_1) | instid1(VALU_DEP_1)
	v_ashrrev_i32_e32 v4, 31, v3
	v_add_co_u32 v9, s5, s34, v1
	v_add_co_ci_u32_e64 v10, s5, s35, v2, s5
	s_and_b32 s5, s20, s4
	s_add_u32 s4, s6, s10
	v_lshlrev_b64 v[0:1], 4, v[3:4]
	s_addc_u32 s6, s7, s11
	s_add_u32 s4, s8, s4
	s_addc_u32 s6, s9, s6
	v_add_co_u32 v2, s4, s4, v23
	s_delay_alu instid0(VALU_DEP_1) | instskip(SKIP_4) | instid1(VALU_DEP_1)
	v_add_co_ci_u32_e64 v3, s4, s6, v24, s4
	v_add_co_u32 v11, s4, s34, v0
	v_mov_b32_e32 v0, 0
	v_add_co_ci_u32_e64 v12, s4, s35, v1, s4
	v_add_co_u32 v22, s4, v2, 8
	v_add_co_ci_u32_e64 v23, s4, 0, v3, s4
	s_mul_i32 s6, s37, s25
	s_branch .LBB180_57
.LBB180_56:                             ;   in Loop: Header=BB180_57 Depth=1
	s_or_b32 exec_lo, exec_lo, s4
	s_add_i32 s37, s37, 1
	s_add_i32 s6, s6, s25
	s_cmp_lt_i32 s37, s13
	s_cbranch_scc0 .LBB180_76
.LBB180_57:                             ; =>This Loop Header: Depth=1
                                        ;     Child Loop BB180_69 Depth 2
                                        ;     Child Loop BB180_71 Depth 2
                                        ; implicit-def: $vgpr13_vgpr14
                                        ; implicit-def: $vgpr15_vgpr16
	s_and_saveexec_b32 s4, vcc_lo
	s_delay_alu instid0(SALU_CYCLE_1)
	s_xor_b32 s7, exec_lo, s4
	s_cbranch_execnz .LBB180_66
; %bb.58:                               ;   in Loop: Header=BB180_57 Depth=1
	s_and_not1_saveexec_b32 s8, s7
	s_cbranch_execnz .LBB180_67
.LBB180_59:                             ;   in Loop: Header=BB180_57 Depth=1
	s_or_b32 exec_lo, exec_lo, s8
	s_and_saveexec_b32 s4, s0
	s_cbranch_execz .LBB180_61
.LBB180_60:                             ;   in Loop: Header=BB180_57 Depth=1
	s_waitcnt lgkmcnt(0)
	v_mov_b32_e32 v1, v0
	v_mov_b32_e32 v2, v0
	;; [unrolled: 1-line block ×3, first 2 shown]
	ds_store_b128 v17, v[0:3]
.LBB180_61:                             ;   in Loop: Header=BB180_57 Depth=1
	s_or_b32 exec_lo, exec_lo, s4
	s_waitcnt lgkmcnt(0)
	ds_bpermute_b32 v1, v18, v13
	ds_bpermute_b32 v2, v18, v14
	;; [unrolled: 1-line block ×4, first 2 shown]
	s_waitcnt lgkmcnt(0)
	s_waitcnt_vscnt null, 0x0
	s_barrier
	buffer_gl0_inv
	v_add_f64 v[1:2], v[13:14], v[1:2]
	v_add_f64 v[3:4], v[15:16], v[3:4]
	ds_bpermute_b32 v13, v19, v1
	ds_bpermute_b32 v14, v19, v2
	ds_bpermute_b32 v15, v19, v3
	ds_bpermute_b32 v16, v19, v4
	s_waitcnt lgkmcnt(2)
	v_add_f64 v[1:2], v[1:2], v[13:14]
	s_waitcnt lgkmcnt(0)
	v_add_f64 v[3:4], v[3:4], v[15:16]
	ds_bpermute_b32 v13, v20, v1
	ds_bpermute_b32 v14, v20, v2
	ds_bpermute_b32 v15, v20, v3
	ds_bpermute_b32 v16, v20, v4
	s_waitcnt lgkmcnt(2)
	v_add_f64 v[1:2], v[1:2], v[13:14]
	s_waitcnt lgkmcnt(0)
	;; [unrolled: 8-line block ×3, first 2 shown]
	v_add_f64 v[13:14], v[3:4], v[15:16]
	ds_bpermute_b32 v3, v26, v1
	ds_bpermute_b32 v4, v26, v2
	;; [unrolled: 1-line block ×4, first 2 shown]
	s_and_saveexec_b32 s4, s1
	s_cbranch_execz .LBB180_63
; %bb.62:                               ;   in Loop: Header=BB180_57 Depth=1
	s_waitcnt lgkmcnt(0)
	v_add_f64 v[15:16], v[13:14], v[15:16]
	v_add_f64 v[13:14], v[1:2], v[3:4]
	ds_store_b128 v27, v[13:16]
.LBB180_63:                             ;   in Loop: Header=BB180_57 Depth=1
	s_or_b32 exec_lo, exec_lo, s4
	s_waitcnt lgkmcnt(2)
	v_mov_b32_e32 v3, 0
	v_mov_b32_e32 v4, 0
	s_delay_alu instid0(VALU_DEP_2)
	v_mov_b32_e32 v1, v3
	s_waitcnt lgkmcnt(0)
	s_barrier
	buffer_gl0_inv
	v_mov_b32_e32 v2, v4
	s_and_saveexec_b32 s4, s2
	s_cbranch_execnz .LBB180_73
; %bb.64:                               ;   in Loop: Header=BB180_57 Depth=1
	s_or_b32 exec_lo, exec_lo, s4
	s_and_saveexec_b32 s4, s0
	s_cbranch_execnz .LBB180_74
.LBB180_65:                             ;   in Loop: Header=BB180_57 Depth=1
	s_or_b32 exec_lo, exec_lo, s4
	s_and_saveexec_b32 s4, s3
	s_cbranch_execz .LBB180_56
	s_branch .LBB180_75
.LBB180_66:                             ;   in Loop: Header=BB180_57 Depth=1
	s_waitcnt lgkmcnt(0)
	s_clause 0x2
	global_load_b128 v[1:4], v[7:8], off
	global_load_b128 v[13:16], v[9:10], off
	;; [unrolled: 1-line block ×3, first 2 shown]
	s_mul_i32 s8, s37, s25
	s_delay_alu instid0(SALU_CYCLE_1) | instskip(NEXT) | instid1(SALU_CYCLE_1)
	s_ashr_i32 s9, s8, 31
	s_lshl_b64 s[8:9], s[8:9], 4
	s_delay_alu instid0(SALU_CYCLE_1) | instskip(NEXT) | instid1(VALU_DEP_1)
	v_add_co_u32 v54, s4, v39, s8
	v_add_co_ci_u32_e64 v55, s4, s9, v40, s4
	global_load_b128 v[32:35], v[5:6], off
	s_clause 0x1
	global_load_b128 v[42:45], v[54:55], off
	global_load_b128 v[46:49], v[54:55], off offset:16
	s_waitcnt vmcnt(5)
	scratch_store_b128 v36, v[1:4], off
	scratch_load_b128 v[1:4], off, off offset:16
	global_load_b128 v[50:53], v[54:55], off offset:32
	s_waitcnt vmcnt(6)
	scratch_store_b128 v37, v[13:16], off
	scratch_load_b128 v[13:16], off, off offset:32
	;; [unrolled: 4-line block ×3, first 2 shown]
	s_waitcnt vmcnt(7)
	scratch_store_b128 off, v[32:35], off
	s_waitcnt vmcnt(6)
	v_mul_f64 v[58:59], v[44:45], v[34:35]
	v_mul_f64 v[44:45], v[44:45], v[32:33]
	s_delay_alu instid0(VALU_DEP_2) | instskip(NEXT) | instid1(VALU_DEP_2)
	v_fma_f64 v[58:59], v[42:43], v[32:33], v[58:59]
	v_fma_f64 v[42:43], v[42:43], v[34:35], -v[44:45]
	s_delay_alu instid0(VALU_DEP_2) | instskip(NEXT) | instid1(VALU_DEP_2)
	v_add_f64 v[58:59], v[58:59], 0
	v_add_f64 v[42:43], v[42:43], 0
	s_waitcnt vmcnt(4)
	v_mul_f64 v[44:45], v[48:49], v[3:4]
	v_mul_f64 v[48:49], v[48:49], v[1:2]
	s_waitcnt vmcnt(2)
	v_mul_f64 v[60:61], v[52:53], v[15:16]
	v_mul_f64 v[52:53], v[52:53], v[13:14]
	s_delay_alu instid0(VALU_DEP_4) | instskip(NEXT) | instid1(VALU_DEP_4)
	v_fma_f64 v[1:2], v[46:47], v[1:2], v[44:45]
	v_fma_f64 v[3:4], v[46:47], v[3:4], -v[48:49]
	s_waitcnt vmcnt(0)
	v_mul_f64 v[44:45], v[56:57], v[30:31]
	v_mul_f64 v[46:47], v[56:57], v[28:29]
	v_fma_f64 v[13:14], v[50:51], v[13:14], v[60:61]
	v_fma_f64 v[15:16], v[50:51], v[15:16], -v[52:53]
	v_add_f64 v[1:2], v[58:59], v[1:2]
	v_add_f64 v[3:4], v[42:43], v[3:4]
	v_fma_f64 v[28:29], v[54:55], v[28:29], v[44:45]
	v_fma_f64 v[30:31], v[54:55], v[30:31], -v[46:47]
	s_delay_alu instid0(VALU_DEP_4) | instskip(NEXT) | instid1(VALU_DEP_4)
	v_add_f64 v[1:2], v[1:2], v[13:14]
	v_add_f64 v[3:4], v[3:4], v[15:16]
	s_delay_alu instid0(VALU_DEP_2) | instskip(NEXT) | instid1(VALU_DEP_2)
	v_add_f64 v[13:14], v[1:2], v[28:29]
	v_add_f64 v[15:16], v[3:4], v[30:31]
	s_and_not1_saveexec_b32 s8, s7
	s_cbranch_execz .LBB180_59
.LBB180_67:                             ;   in Loop: Header=BB180_57 Depth=1
	v_mov_b32_e32 v13, 0
	v_mov_b32_e32 v14, 0
	s_delay_alu instid0(VALU_DEP_1)
	v_dual_mov_b32 v16, v14 :: v_dual_mov_b32 v15, v13
	s_and_saveexec_b32 s9, s5
	s_cbranch_execz .LBB180_72
; %bb.68:                               ;   in Loop: Header=BB180_57 Depth=1
	s_waitcnt lgkmcnt(0)
	v_mov_b32_e32 v3, 0
	v_mov_b32_e32 v1, v21
	s_mov_b32 s7, s36
.LBB180_69:                             ;   Parent Loop BB180_57 Depth=1
                                        ; =>  This Inner Loop Header: Depth=2
	s_delay_alu instid0(VALU_DEP_1) | instskip(SKIP_1) | instid1(SALU_CYCLE_1)
	v_ashrrev_i32_e32 v2, 31, v1
	s_add_i32 s7, s7, -1
	s_cmp_eq_u32 s7, 0
	s_delay_alu instid0(VALU_DEP_1) | instskip(SKIP_1) | instid1(VALU_DEP_2)
	v_lshlrev_b64 v[13:14], 4, v[1:2]
	v_add_nc_u32_e32 v1, s33, v1
	v_add_co_u32 v13, s4, s34, v13
	s_delay_alu instid0(VALU_DEP_1)
	v_add_co_ci_u32_e64 v14, s4, s35, v14, s4
	global_load_b128 v[13:16], v[13:14], off
	s_waitcnt vmcnt(0)
	scratch_store_b128 v3, v[13:16], off
	v_add_nc_u32_e32 v3, 16, v3
	s_cbranch_scc0 .LBB180_69
; %bb.70:                               ;   in Loop: Header=BB180_57 Depth=1
	s_ashr_i32 s7, s6, 31
	v_mov_b32_e32 v13, 0
	v_dual_mov_b32 v14, 0 :: v_dual_mov_b32 v3, v41
	s_lshl_b64 s[10:11], s[6:7], 4
	s_mov_b32 s7, s36
	v_add_co_u32 v1, s4, v22, s10
	s_delay_alu instid0(VALU_DEP_1)
	v_add_co_ci_u32_e64 v2, s4, s11, v23, s4
	v_dual_mov_b32 v16, v14 :: v_dual_mov_b32 v15, v13
	.p2align	6
.LBB180_71:                             ;   Parent Loop BB180_57 Depth=1
                                        ; =>  This Inner Loop Header: Depth=2
	global_load_b128 v[28:31], v[1:2], off offset:-8
	scratch_load_b128 v[32:35], v3, off offset:-8
	v_add_co_u32 v1, s4, v1, 16
	v_add_nc_u32_e32 v3, 16, v3
	v_add_co_ci_u32_e64 v2, s4, 0, v2, s4
	s_add_i32 s7, s7, -1
	s_delay_alu instid0(SALU_CYCLE_1) | instskip(SKIP_3) | instid1(VALU_DEP_2)
	s_cmp_lg_u32 s7, 0
	s_waitcnt vmcnt(0)
	v_mul_f64 v[42:43], v[30:31], v[34:35]
	v_mul_f64 v[30:31], v[30:31], v[32:33]
	v_fma_f64 v[32:33], v[28:29], v[32:33], v[42:43]
	s_delay_alu instid0(VALU_DEP_2) | instskip(NEXT) | instid1(VALU_DEP_2)
	v_fma_f64 v[28:29], v[28:29], v[34:35], -v[30:31]
	v_add_f64 v[13:14], v[13:14], v[32:33]
	s_delay_alu instid0(VALU_DEP_2)
	v_add_f64 v[15:16], v[15:16], v[28:29]
	s_cbranch_scc1 .LBB180_71
.LBB180_72:                             ;   in Loop: Header=BB180_57 Depth=1
	s_or_b32 exec_lo, exec_lo, s9
	s_delay_alu instid0(SALU_CYCLE_1)
	s_or_b32 exec_lo, exec_lo, s8
	s_and_saveexec_b32 s4, s0
	s_cbranch_execnz .LBB180_60
	s_branch .LBB180_61
.LBB180_73:                             ;   in Loop: Header=BB180_57 Depth=1
	ds_load_b128 v[1:4], v17
	s_or_b32 exec_lo, exec_lo, s4
	s_and_saveexec_b32 s4, s0
	s_cbranch_execz .LBB180_65
.LBB180_74:                             ;   in Loop: Header=BB180_57 Depth=1
	s_waitcnt lgkmcnt(0)
	ds_bpermute_b32 v13, v20, v1
	ds_bpermute_b32 v14, v20, v2
	ds_bpermute_b32 v15, v20, v3
	ds_bpermute_b32 v16, v20, v4
	s_waitcnt lgkmcnt(2)
	v_add_f64 v[1:2], v[1:2], v[13:14]
	s_waitcnt lgkmcnt(0)
	v_add_f64 v[3:4], v[3:4], v[15:16]
	ds_bpermute_b32 v13, v25, v1
	ds_bpermute_b32 v14, v25, v2
	ds_bpermute_b32 v15, v25, v3
	ds_bpermute_b32 v16, v25, v4
	s_waitcnt lgkmcnt(2)
	v_add_f64 v[1:2], v[1:2], v[13:14]
	s_waitcnt lgkmcnt(0)
	v_add_f64 v[3:4], v[3:4], v[15:16]
	;; [unrolled: 8-line block ×3, first 2 shown]
	s_or_b32 exec_lo, exec_lo, s4
	s_and_saveexec_b32 s4, s3
	s_cbranch_execz .LBB180_56
.LBB180_75:                             ;   in Loop: Header=BB180_57 Depth=1
	s_waitcnt lgkmcnt(0)
	s_delay_alu instid0(VALU_DEP_1) | instskip(SKIP_3) | instid1(SALU_CYCLE_1)
	v_mul_f64 v[13:14], s[18:19], v[3:4]
	v_mul_f64 v[3:4], s[16:17], v[3:4]
	s_mul_hi_u32 s9, s37, s24
	s_mul_i32 s8, s37, s24
	s_lshl_b64 s[8:9], s[8:9], 4
	s_delay_alu instid0(SALU_CYCLE_1) | instskip(SKIP_1) | instid1(VALU_DEP_2)
	s_add_u32 s8, s12, s8
	s_addc_u32 s9, s14, s9
	v_fma_f64 v[13:14], s[16:17], v[1:2], -v[13:14]
	s_delay_alu instid0(VALU_DEP_2)
	v_fma_f64 v[15:16], s[18:19], v[1:2], v[3:4]
	global_store_b128 v0, v[13:16], s[8:9]
	s_branch .LBB180_56
.LBB180_76:
	s_nop 0
	s_sendmsg sendmsg(MSG_DEALLOC_VGPRS)
	s_endpgm
	.section	.rodata,"a",@progbits
	.p2align	6, 0x0
	.amdhsa_kernel _ZL23rocblas_gemvt_sn_kernelILb1ELi256ELi4Ei19rocblas_complex_numIdEPKS1_S1_EviiT4_lPKT3_lilS7_lilPT5_i
		.amdhsa_group_segment_fixed_size 512
		.amdhsa_private_segment_fixed_size 80
		.amdhsa_kernarg_size 360
		.amdhsa_user_sgpr_count 14
		.amdhsa_user_sgpr_dispatch_ptr 0
		.amdhsa_user_sgpr_queue_ptr 0
		.amdhsa_user_sgpr_kernarg_segment_ptr 1
		.amdhsa_user_sgpr_dispatch_id 0
		.amdhsa_user_sgpr_private_segment_size 0
		.amdhsa_wavefront_size32 1
		.amdhsa_uses_dynamic_stack 0
		.amdhsa_enable_private_segment 1
		.amdhsa_system_sgpr_workgroup_id_x 1
		.amdhsa_system_sgpr_workgroup_id_y 0
		.amdhsa_system_sgpr_workgroup_id_z 1
		.amdhsa_system_sgpr_workgroup_info 0
		.amdhsa_system_vgpr_workitem_id 0
		.amdhsa_next_free_vgpr 128
		.amdhsa_next_free_sgpr 52
		.amdhsa_reserve_vcc 1
		.amdhsa_float_round_mode_32 0
		.amdhsa_float_round_mode_16_64 0
		.amdhsa_float_denorm_mode_32 3
		.amdhsa_float_denorm_mode_16_64 3
		.amdhsa_dx10_clamp 1
		.amdhsa_ieee_mode 1
		.amdhsa_fp16_overflow 0
		.amdhsa_workgroup_processor_mode 1
		.amdhsa_memory_ordered 1
		.amdhsa_forward_progress 0
		.amdhsa_shared_vgpr_count 0
		.amdhsa_exception_fp_ieee_invalid_op 0
		.amdhsa_exception_fp_denorm_src 0
		.amdhsa_exception_fp_ieee_div_zero 0
		.amdhsa_exception_fp_ieee_overflow 0
		.amdhsa_exception_fp_ieee_underflow 0
		.amdhsa_exception_fp_ieee_inexact 0
		.amdhsa_exception_int_div_zero 0
	.end_amdhsa_kernel
	.section	.text._ZL23rocblas_gemvt_sn_kernelILb1ELi256ELi4Ei19rocblas_complex_numIdEPKS1_S1_EviiT4_lPKT3_lilS7_lilPT5_i,"axG",@progbits,_ZL23rocblas_gemvt_sn_kernelILb1ELi256ELi4Ei19rocblas_complex_numIdEPKS1_S1_EviiT4_lPKT3_lilS7_lilPT5_i,comdat
.Lfunc_end180:
	.size	_ZL23rocblas_gemvt_sn_kernelILb1ELi256ELi4Ei19rocblas_complex_numIdEPKS1_S1_EviiT4_lPKT3_lilS7_lilPT5_i, .Lfunc_end180-_ZL23rocblas_gemvt_sn_kernelILb1ELi256ELi4Ei19rocblas_complex_numIdEPKS1_S1_EviiT4_lPKT3_lilS7_lilPT5_i
                                        ; -- End function
	.section	.AMDGPU.csdata,"",@progbits
; Kernel info:
; codeLenInByte = 7604
; NumSgprs: 54
; NumVgprs: 128
; ScratchSize: 80
; MemoryBound: 0
; FloatMode: 240
; IeeeMode: 1
; LDSByteSize: 512 bytes/workgroup (compile time only)
; SGPRBlocks: 6
; VGPRBlocks: 15
; NumSGPRsForWavesPerEU: 54
; NumVGPRsForWavesPerEU: 128
; Occupancy: 10
; WaveLimiterHint : 1
; COMPUTE_PGM_RSRC2:SCRATCH_EN: 1
; COMPUTE_PGM_RSRC2:USER_SGPR: 14
; COMPUTE_PGM_RSRC2:TRAP_HANDLER: 0
; COMPUTE_PGM_RSRC2:TGID_X_EN: 1
; COMPUTE_PGM_RSRC2:TGID_Y_EN: 0
; COMPUTE_PGM_RSRC2:TGID_Z_EN: 1
; COMPUTE_PGM_RSRC2:TIDIG_COMP_CNT: 0
	.section	.text._ZL23rocblas_gemvt_sn_kernelILb1ELi256ELi4El19rocblas_complex_numIdEPKS1_S1_EviiT4_lPKT3_lilS7_lilPT5_i,"axG",@progbits,_ZL23rocblas_gemvt_sn_kernelILb1ELi256ELi4El19rocblas_complex_numIdEPKS1_S1_EviiT4_lPKT3_lilS7_lilPT5_i,comdat
	.globl	_ZL23rocblas_gemvt_sn_kernelILb1ELi256ELi4El19rocblas_complex_numIdEPKS1_S1_EviiT4_lPKT3_lilS7_lilPT5_i ; -- Begin function _ZL23rocblas_gemvt_sn_kernelILb1ELi256ELi4El19rocblas_complex_numIdEPKS1_S1_EviiT4_lPKT3_lilS7_lilPT5_i
	.p2align	8
	.type	_ZL23rocblas_gemvt_sn_kernelILb1ELi256ELi4El19rocblas_complex_numIdEPKS1_S1_EviiT4_lPKT3_lilS7_lilPT5_i,@function
_ZL23rocblas_gemvt_sn_kernelILb1ELi256ELi4El19rocblas_complex_numIdEPKS1_S1_EviiT4_lPKT3_lilS7_lilPT5_i: ; @_ZL23rocblas_gemvt_sn_kernelILb1ELi256ELi4El19rocblas_complex_numIdEPKS1_S1_EviiT4_lPKT3_lilS7_lilPT5_i
; %bb.0:
	s_load_b256 s[4:11], s[0:1], 0x8
	s_mov_b32 s25, 0
	s_waitcnt lgkmcnt(0)
	s_mul_i32 s3, s15, s7
	s_mul_hi_u32 s7, s15, s6
	s_mul_i32 s2, s15, s6
	s_add_i32 s3, s7, s3
	s_delay_alu instid0(SALU_CYCLE_1) | instskip(NEXT) | instid1(SALU_CYCLE_1)
	s_lshl_b64 s[2:3], s[2:3], 4
	s_add_u32 s2, s4, s2
	s_addc_u32 s3, s5, s3
	s_load_b128 s[16:19], s[2:3], 0x0
	s_clause 0x2
	s_load_b64 s[12:13], s[0:1], 0x0
	s_load_b32 s24, s[0:1], 0x68
	s_load_b128 s[20:23], s[0:1], 0x50
	s_waitcnt lgkmcnt(0)
	s_ashr_i32 s36, s13, 31
	v_cmp_neq_f64_e64 s2, s[16:17], 0
	v_cmp_neq_f64_e64 s3, s[18:19], 0
	s_mul_hi_u32 s4, s13, s15
	s_mul_i32 s6, s36, s15
	s_mul_i32 s5, s13, s15
	s_add_i32 s4, s4, s6
	s_mul_hi_u32 s7, s5, s24
	s_mul_i32 s4, s4, s24
	s_mul_i32 s34, s5, s24
	s_add_i32 s35, s7, s4
	s_delay_alu instid0(VALU_DEP_1)
	s_or_b32 s2, s2, s3
	s_mov_b32 s3, -1
	s_and_b32 vcc_lo, exec_lo, s2
	v_cmp_eq_u32_e64 s2, 0, v0
	s_cbranch_vccnz .LBB181_5
; %bb.1:
	s_cmp_gt_i32 s13, 0
	s_cselect_b32 s3, -1, 0
	s_delay_alu instid0(VALU_DEP_1) | instid1(SALU_CYCLE_1)
	s_and_b32 s2, s2, s3
	s_delay_alu instid0(SALU_CYCLE_1)
	s_and_saveexec_b32 s6, s2
	s_cbranch_execz .LBB181_4
; %bb.2:
	s_mov_b32 s2, s15
	s_mov_b32 s15, 0
	v_mov_b32_e32 v1, 0
	s_lshl_b64 s[4:5], s[34:35], 4
	s_lshl_b64 s[26:27], s[14:15], 4
	s_mov_b32 s15, s2
	s_add_u32 s2, s4, s26
	s_addc_u32 s3, s5, s27
	s_add_u32 s2, s2, s22
	v_mov_b32_e32 v2, v1
	v_mov_b32_e32 v3, v1
	;; [unrolled: 1-line block ×3, first 2 shown]
	s_addc_u32 s3, s3, s23
	s_add_u32 s2, s2, 8
	s_addc_u32 s3, s3, 0
	s_lshl_b64 s[4:5], s[24:25], 4
	s_mov_b32 s7, s13
.LBB181_3:                              ; =>This Inner Loop Header: Depth=1
	s_delay_alu instid0(SALU_CYCLE_1)
	s_add_i32 s7, s7, -1
	global_store_b128 v1, v[1:4], s[2:3] offset:-8
	s_add_u32 s2, s2, s4
	s_addc_u32 s3, s3, s5
	s_cmp_eq_u32 s7, 0
	s_cbranch_scc0 .LBB181_3
.LBB181_4:
	s_or_b32 exec_lo, exec_lo, s6
	s_mov_b32 s3, 0
.LBB181_5:
	s_delay_alu instid0(SALU_CYCLE_1)
	s_and_not1_b32 vcc_lo, exec_lo, s3
	s_cbranch_vccnz .LBB181_76
; %bb.6:
	s_clause 0x3
	s_load_b32 s26, s[0:1], 0x28
	s_load_b32 s28, s[0:1], 0x48
	s_load_b128 s[4:7], s[0:1], 0x30
	s_load_b64 s[2:3], s[0:1], 0x40
	s_mul_i32 s0, s15, s21
	s_mul_hi_u32 s1, s15, s20
	s_mul_i32 s20, s15, s20
	s_add_i32 s21, s1, s0
	v_and_b32_e32 v44, 31, v0
	s_lshl_b64 s[20:21], s[20:21], 4
	v_cmp_gt_u32_e64 s0, 32, v0
	v_mbcnt_lo_u32_b32 v48, -1, 0
	v_lshrrev_b32_e32 v47, 1, v0
	v_add_nc_u32_e64 v40, 0, 16
	v_add_nc_u32_e64 v41, 0, 32
	;; [unrolled: 1-line block ×3, first 2 shown]
	v_or_b32_e64 v43, 0, 8
	s_waitcnt lgkmcnt(0)
	s_ashr_i32 s27, s26, 31
	s_ashr_i32 s29, s28, 31
	s_mul_i32 s1, s15, s5
	s_add_u32 s5, s6, s20
	s_addc_u32 s25, s7, s21
	s_lshl_b64 s[30:31], s[2:3], 4
	s_mul_hi_u32 s37, s15, s4
	s_add_u32 s33, s5, s30
	s_addc_u32 s40, s25, s31
	s_lshl_b64 s[2:3], s[34:35], 4
	s_mul_i32 s4, s15, s4
	s_add_u32 s41, s22, s2
	s_addc_u32 s42, s23, s3
	s_add_i32 s5, s37, s1
	v_cmp_gt_u32_e64 s1, 8, v0
	s_lshl_b64 s[22:23], s[4:5], 4
	s_delay_alu instid0(SALU_CYCLE_1) | instskip(SKIP_2) | instid1(SALU_CYCLE_1)
	s_add_u32 s2, s8, s22
	s_addc_u32 s3, s9, s23
	s_lshl_b64 s[10:11], s[10:11], 4
	s_add_u32 s2, s2, s10
	s_addc_u32 s3, s3, s11
	s_lshl_b32 s4, s14, 10
	s_ashr_i32 s5, s12, 31
	v_lshl_or_b32 v25, v0, 2, s4
	s_lshr_b32 s4, s36, 30
	s_lshr_b32 s5, s5, 30
	s_add_i32 s4, s13, s4
	s_add_i32 s5, s12, s5
	v_ashrrev_i32_e32 v26, 31, v25
	s_and_b32 s43, s4, -4
	s_and_b32 s4, s5, -4
	v_add_nc_u32_e32 v50, 4, v25
	s_sub_i32 s25, s12, s4
	v_lshlrev_b64 v[23:24], 4, v[25:26]
	v_or_b32_e32 v49, 1, v25
	v_or_b32_e32 v46, 2, v25
	v_add_nc_u32_e32 v51, s25, v25
	v_or_b32_e32 v45, 3, v25
	s_cmp_lt_i32 s43, 1
	v_add_co_u32 v21, vcc_lo, s2, v23
	v_add_co_ci_u32_e32 v22, vcc_lo, s3, v24, vcc_lo
	s_cbranch_scc1 .LBB181_53
; %bb.7:
	v_cmp_gt_u32_e32 vcc_lo, 16, v48
	v_mad_i64_i32 v[7:8], null, s28, v45, 0
	s_mov_b32 s15, 0
	s_cmp_gt_i32 s25, 0
	v_cndmask_b32_e64 v1, 0, 1, vcc_lo
	v_cmp_gt_u32_e32 vcc_lo, 24, v48
	s_cselect_b32 s44, -1, 0
	s_lshl_b64 s[34:35], s[14:15], 4
	v_cmp_ge_i32_e64 s2, s12, v50
	v_lshlrev_b32_e32 v1, 4, v1
	v_cndmask_b32_e64 v2, 0, 1, vcc_lo
	v_cmp_gt_u32_e32 vcc_lo, 28, v48
	s_add_u32 s45, s41, s34
	s_addc_u32 s46, s42, s35
	s_add_u32 s34, s6, s30
	v_lshlrev_b32_e32 v2, 3, v2
	v_cndmask_b32_e64 v3, 0, 1, vcc_lo
	v_cmp_gt_u32_e32 vcc_lo, 30, v48
	s_addc_u32 s35, s7, s31
	s_add_u32 s34, s34, s20
	v_add_lshl_u32 v53, v2, v48, 2
	v_lshlrev_b32_e32 v3, 2, v3
	v_cndmask_b32_e64 v4, 0, 1, vcc_lo
	v_cmp_ne_u32_e32 vcc_lo, 31, v48
	v_dual_mov_b32 v37, v22 :: v_dual_mov_b32 v36, v21
	v_add_lshl_u32 v52, v1, v48, 2
	s_delay_alu instid0(VALU_DEP_4) | instskip(SKIP_3) | instid1(VALU_DEP_4)
	v_lshlrev_b32_e32 v4, 1, v4
	v_mad_i64_i32 v[1:2], null, s28, v25, 0
	v_add_co_ci_u32_e32 v5, vcc_lo, 0, v48, vcc_lo
	v_add_lshl_u32 v54, v3, v48, 2
	v_add_lshl_u32 v55, v4, v48, 2
	v_mad_i64_i32 v[3:4], null, s28, v49, 0
	s_delay_alu instid0(VALU_DEP_4)
	v_lshlrev_b32_e32 v56, 2, v5
	v_lshlrev_b64 v[1:2], 4, v[1:2]
	v_mad_i64_i32 v[5:6], null, s28, v46, 0
	s_addc_u32 s35, s35, s21
	v_cmp_ge_i32_e64 s3, s12, v51
	v_lshlrev_b64 v[3:4], 4, v[3:4]
	s_delay_alu instid0(VALU_DEP_4) | instskip(SKIP_2) | instid1(VALU_DEP_4)
	v_add_co_u32 v26, vcc_lo, s33, v1
	v_add_co_ci_u32_e32 v27, vcc_lo, s40, v2, vcc_lo
	v_lshlrev_b64 v[5:6], 4, v[5:6]
	v_add_co_u32 v28, vcc_lo, s33, v3
	v_add_co_ci_u32_e32 v29, vcc_lo, s40, v4, vcc_lo
	v_lshlrev_b64 v[3:4], 4, v[7:8]
	s_delay_alu instid0(VALU_DEP_4) | instskip(SKIP_2) | instid1(VALU_DEP_4)
	v_add_co_u32 v30, vcc_lo, s33, v5
	v_add_co_ci_u32_e32 v31, vcc_lo, s40, v6, vcc_lo
	v_cmp_eq_u32_e64 s4, 0, v44
	v_add_co_u32 v32, vcc_lo, s33, v3
	v_add_co_ci_u32_e32 v33, vcc_lo, s40, v4, vcc_lo
	v_add_co_u32 v34, vcc_lo, s34, v1
	v_lshlrev_b32_e32 v57, 4, v44
	v_and_b32_e32 v58, 0x70, v47
	v_cmp_eq_u32_e64 s5, 0, v0
	v_or_b32_e64 v59, 0, 8
	v_add_co_ci_u32_e32 v35, vcc_lo, s35, v2, vcc_lo
	v_mov_b32_e32 v1, 0
	s_lshl_b64 s[34:35], s[28:29], 4
	s_lshl_b64 s[36:37], s[26:27], 6
	;; [unrolled: 1-line block ×3, first 2 shown]
	s_branch .LBB181_9
.LBB181_8:                              ;   in Loop: Header=BB181_9 Depth=1
	s_or_b32 exec_lo, exec_lo, s47
	v_add_co_u32 v36, vcc_lo, v36, s36
	v_add_co_ci_u32_e32 v37, vcc_lo, s37, v37, vcc_lo
	s_add_i32 s15, s15, 4
	s_delay_alu instid0(SALU_CYCLE_1)
	s_cmp_ge_i32 s15, s43
	s_cbranch_scc1 .LBB181_54
.LBB181_9:                              ; =>This Loop Header: Depth=1
                                        ;     Child Loop BB181_40 Depth 2
                                        ;     Child Loop BB181_42 Depth 2
                                        ; implicit-def: $vgpr17_vgpr18
                                        ; implicit-def: $vgpr19_vgpr20
                                        ; implicit-def: $vgpr13_vgpr14
                                        ; implicit-def: $vgpr15_vgpr16
                                        ; implicit-def: $vgpr9_vgpr10
                                        ; implicit-def: $vgpr11_vgpr12
                                        ; implicit-def: $vgpr7_vgpr8
                                        ; implicit-def: $vgpr5_vgpr6
	s_and_saveexec_b32 s47, s2
	s_delay_alu instid0(SALU_CYCLE_1)
	s_xor_b32 s47, exec_lo, s47
	s_cbranch_execnz .LBB181_36
; %bb.10:                               ;   in Loop: Header=BB181_9 Depth=1
	s_and_not1_saveexec_b32 s47, s47
	s_cbranch_execnz .LBB181_37
.LBB181_11:                             ;   in Loop: Header=BB181_9 Depth=1
	s_or_b32 exec_lo, exec_lo, s47
	s_and_saveexec_b32 s47, s0
	s_cbranch_execz .LBB181_13
.LBB181_12:                             ;   in Loop: Header=BB181_9 Depth=1
	v_mov_b32_e32 v2, v1
	v_mov_b32_e32 v3, v1
	;; [unrolled: 1-line block ×3, first 2 shown]
	ds_store_b128 v57, v[1:4]
.LBB181_13:                             ;   in Loop: Header=BB181_9 Depth=1
	s_or_b32 exec_lo, exec_lo, s47
	ds_bpermute_b32 v2, v52, v7
	ds_bpermute_b32 v3, v52, v8
	;; [unrolled: 1-line block ×4, first 2 shown]
	s_waitcnt lgkmcnt(0)
	s_waitcnt_vscnt null, 0x0
	s_barrier
	buffer_gl0_inv
	v_add_f64 v[2:3], v[7:8], v[2:3]
	v_add_f64 v[4:5], v[5:6], v[38:39]
	ds_bpermute_b32 v6, v53, v2
	ds_bpermute_b32 v7, v53, v3
	ds_bpermute_b32 v38, v53, v4
	ds_bpermute_b32 v39, v53, v5
	s_waitcnt lgkmcnt(2)
	v_add_f64 v[2:3], v[2:3], v[6:7]
	s_waitcnt lgkmcnt(0)
	v_add_f64 v[4:5], v[4:5], v[38:39]
	ds_bpermute_b32 v6, v54, v2
	ds_bpermute_b32 v7, v54, v3
	ds_bpermute_b32 v38, v54, v4
	ds_bpermute_b32 v39, v54, v5
	s_waitcnt lgkmcnt(2)
	v_add_f64 v[2:3], v[2:3], v[6:7]
	s_waitcnt lgkmcnt(0)
	;; [unrolled: 8-line block ×3, first 2 shown]
	v_add_f64 v[6:7], v[4:5], v[38:39]
	ds_bpermute_b32 v4, v56, v2
	ds_bpermute_b32 v5, v56, v3
	;; [unrolled: 1-line block ×4, first 2 shown]
	s_and_saveexec_b32 s47, s4
	s_cbranch_execz .LBB181_15
; %bb.14:                               ;   in Loop: Header=BB181_9 Depth=1
	s_waitcnt lgkmcnt(0)
	v_add_f64 v[6:7], v[6:7], v[38:39]
	v_add_f64 v[4:5], v[2:3], v[4:5]
	ds_store_b128 v58, v[4:7]
.LBB181_15:                             ;   in Loop: Header=BB181_9 Depth=1
	s_or_b32 exec_lo, exec_lo, s47
	v_mov_b32_e32 v7, 0
	v_mov_b32_e32 v8, 0
	s_waitcnt lgkmcnt(2)
	s_delay_alu instid0(VALU_DEP_2)
	v_mov_b32_e32 v5, v7
	s_waitcnt lgkmcnt(0)
	s_barrier
	buffer_gl0_inv
	v_mov_b32_e32 v6, v8
	s_and_saveexec_b32 s47, s1
	s_cbranch_execnz .LBB181_44
; %bb.16:                               ;   in Loop: Header=BB181_9 Depth=1
	s_or_b32 exec_lo, exec_lo, s47
	s_and_saveexec_b32 s47, s0
	s_cbranch_execnz .LBB181_45
.LBB181_17:                             ;   in Loop: Header=BB181_9 Depth=1
	s_or_b32 exec_lo, exec_lo, s47
	s_and_saveexec_b32 s47, s0
	s_cbranch_execz .LBB181_19
.LBB181_18:                             ;   in Loop: Header=BB181_9 Depth=1
	v_mov_b32_e32 v2, v1
	v_mov_b32_e32 v3, v1
	;; [unrolled: 1-line block ×3, first 2 shown]
	ds_store_b128 v57, v[1:4]
.LBB181_19:                             ;   in Loop: Header=BB181_9 Depth=1
	s_or_b32 exec_lo, exec_lo, s47
	ds_bpermute_b32 v2, v52, v9
	ds_bpermute_b32 v3, v52, v10
	;; [unrolled: 1-line block ×4, first 2 shown]
	s_waitcnt lgkmcnt(0)
	s_barrier
	buffer_gl0_inv
	v_add_f64 v[2:3], v[9:10], v[2:3]
	v_add_f64 v[9:10], v[11:12], v[38:39]
	ds_bpermute_b32 v11, v53, v2
	ds_bpermute_b32 v12, v53, v3
	ds_bpermute_b32 v38, v53, v9
	ds_bpermute_b32 v39, v53, v10
	s_waitcnt lgkmcnt(2)
	v_add_f64 v[2:3], v[2:3], v[11:12]
	s_waitcnt lgkmcnt(0)
	v_add_f64 v[9:10], v[9:10], v[38:39]
	ds_bpermute_b32 v11, v54, v2
	ds_bpermute_b32 v12, v54, v3
	ds_bpermute_b32 v38, v54, v9
	ds_bpermute_b32 v39, v54, v10
	s_waitcnt lgkmcnt(2)
	v_add_f64 v[2:3], v[2:3], v[11:12]
	s_waitcnt lgkmcnt(0)
	;; [unrolled: 8-line block ×3, first 2 shown]
	v_add_f64 v[11:12], v[9:10], v[38:39]
	ds_bpermute_b32 v9, v56, v2
	ds_bpermute_b32 v10, v56, v3
	;; [unrolled: 1-line block ×4, first 2 shown]
	s_and_saveexec_b32 s47, s4
	s_cbranch_execz .LBB181_21
; %bb.20:                               ;   in Loop: Header=BB181_9 Depth=1
	s_waitcnt lgkmcnt(0)
	v_add_f64 v[11:12], v[11:12], v[38:39]
	v_add_f64 v[9:10], v[2:3], v[9:10]
	ds_store_b128 v58, v[9:12]
.LBB181_21:                             ;   in Loop: Header=BB181_9 Depth=1
	s_or_b32 exec_lo, exec_lo, s47
	v_mov_b32_e32 v11, 0
	v_mov_b32_e32 v12, 0
	s_waitcnt lgkmcnt(2)
	s_delay_alu instid0(VALU_DEP_2)
	v_mov_b32_e32 v9, v11
	s_waitcnt lgkmcnt(0)
	s_barrier
	buffer_gl0_inv
	v_mov_b32_e32 v10, v12
	s_and_saveexec_b32 s47, s1
	s_cbranch_execnz .LBB181_46
; %bb.22:                               ;   in Loop: Header=BB181_9 Depth=1
	s_or_b32 exec_lo, exec_lo, s47
	s_and_saveexec_b32 s47, s0
	s_cbranch_execnz .LBB181_47
.LBB181_23:                             ;   in Loop: Header=BB181_9 Depth=1
	s_or_b32 exec_lo, exec_lo, s47
	s_and_saveexec_b32 s47, s0
	s_cbranch_execz .LBB181_25
.LBB181_24:                             ;   in Loop: Header=BB181_9 Depth=1
	v_mov_b32_e32 v2, v1
	v_mov_b32_e32 v3, v1
	;; [unrolled: 1-line block ×3, first 2 shown]
	ds_store_b128 v57, v[1:4]
.LBB181_25:                             ;   in Loop: Header=BB181_9 Depth=1
	s_or_b32 exec_lo, exec_lo, s47
	ds_bpermute_b32 v2, v52, v13
	ds_bpermute_b32 v3, v52, v14
	;; [unrolled: 1-line block ×4, first 2 shown]
	s_waitcnt lgkmcnt(0)
	s_barrier
	buffer_gl0_inv
	v_add_f64 v[2:3], v[13:14], v[2:3]
	v_add_f64 v[13:14], v[15:16], v[38:39]
	ds_bpermute_b32 v15, v53, v2
	ds_bpermute_b32 v16, v53, v3
	ds_bpermute_b32 v38, v53, v13
	ds_bpermute_b32 v39, v53, v14
	s_waitcnt lgkmcnt(2)
	v_add_f64 v[2:3], v[2:3], v[15:16]
	s_waitcnt lgkmcnt(0)
	v_add_f64 v[13:14], v[13:14], v[38:39]
	ds_bpermute_b32 v15, v54, v2
	ds_bpermute_b32 v16, v54, v3
	ds_bpermute_b32 v38, v54, v13
	ds_bpermute_b32 v39, v54, v14
	s_waitcnt lgkmcnt(2)
	v_add_f64 v[2:3], v[2:3], v[15:16]
	s_waitcnt lgkmcnt(0)
	;; [unrolled: 8-line block ×3, first 2 shown]
	v_add_f64 v[15:16], v[13:14], v[38:39]
	ds_bpermute_b32 v13, v56, v2
	ds_bpermute_b32 v14, v56, v3
	;; [unrolled: 1-line block ×4, first 2 shown]
	s_and_saveexec_b32 s47, s4
	s_cbranch_execz .LBB181_27
; %bb.26:                               ;   in Loop: Header=BB181_9 Depth=1
	s_waitcnt lgkmcnt(0)
	v_add_f64 v[15:16], v[15:16], v[38:39]
	v_add_f64 v[13:14], v[2:3], v[13:14]
	ds_store_b128 v58, v[13:16]
.LBB181_27:                             ;   in Loop: Header=BB181_9 Depth=1
	s_or_b32 exec_lo, exec_lo, s47
	v_mov_b32_e32 v15, 0
	v_mov_b32_e32 v16, 0
	s_waitcnt lgkmcnt(2)
	s_delay_alu instid0(VALU_DEP_2)
	v_mov_b32_e32 v13, v15
	s_waitcnt lgkmcnt(0)
	s_barrier
	buffer_gl0_inv
	v_mov_b32_e32 v14, v16
	s_and_saveexec_b32 s47, s1
	s_cbranch_execnz .LBB181_48
; %bb.28:                               ;   in Loop: Header=BB181_9 Depth=1
	s_or_b32 exec_lo, exec_lo, s47
	s_and_saveexec_b32 s47, s0
	s_cbranch_execnz .LBB181_49
.LBB181_29:                             ;   in Loop: Header=BB181_9 Depth=1
	s_or_b32 exec_lo, exec_lo, s47
	s_and_saveexec_b32 s47, s0
	s_cbranch_execz .LBB181_31
.LBB181_30:                             ;   in Loop: Header=BB181_9 Depth=1
	v_mov_b32_e32 v2, v1
	v_mov_b32_e32 v3, v1
	;; [unrolled: 1-line block ×3, first 2 shown]
	ds_store_b128 v57, v[1:4]
.LBB181_31:                             ;   in Loop: Header=BB181_9 Depth=1
	s_or_b32 exec_lo, exec_lo, s47
	ds_bpermute_b32 v2, v52, v17
	ds_bpermute_b32 v3, v52, v18
	;; [unrolled: 1-line block ×4, first 2 shown]
	s_waitcnt lgkmcnt(0)
	s_barrier
	buffer_gl0_inv
	v_add_f64 v[2:3], v[17:18], v[2:3]
	v_add_f64 v[17:18], v[19:20], v[38:39]
	ds_bpermute_b32 v19, v53, v2
	ds_bpermute_b32 v20, v53, v3
	ds_bpermute_b32 v38, v53, v17
	ds_bpermute_b32 v39, v53, v18
	s_waitcnt lgkmcnt(2)
	v_add_f64 v[2:3], v[2:3], v[19:20]
	s_waitcnt lgkmcnt(0)
	v_add_f64 v[17:18], v[17:18], v[38:39]
	ds_bpermute_b32 v19, v54, v2
	ds_bpermute_b32 v20, v54, v3
	ds_bpermute_b32 v38, v54, v17
	ds_bpermute_b32 v39, v54, v18
	s_waitcnt lgkmcnt(2)
	v_add_f64 v[2:3], v[2:3], v[19:20]
	s_waitcnt lgkmcnt(0)
	;; [unrolled: 8-line block ×3, first 2 shown]
	v_add_f64 v[19:20], v[17:18], v[38:39]
	ds_bpermute_b32 v17, v56, v2
	ds_bpermute_b32 v18, v56, v3
	;; [unrolled: 1-line block ×4, first 2 shown]
	s_and_saveexec_b32 s47, s4
	s_cbranch_execz .LBB181_33
; %bb.32:                               ;   in Loop: Header=BB181_9 Depth=1
	s_waitcnt lgkmcnt(0)
	v_add_f64 v[19:20], v[19:20], v[38:39]
	v_add_f64 v[17:18], v[2:3], v[17:18]
	ds_store_b128 v58, v[17:20]
.LBB181_33:                             ;   in Loop: Header=BB181_9 Depth=1
	s_or_b32 exec_lo, exec_lo, s47
	v_mov_b32_e32 v19, 0
	v_mov_b32_e32 v20, 0
	s_waitcnt lgkmcnt(2)
	s_delay_alu instid0(VALU_DEP_2)
	v_mov_b32_e32 v17, v19
	s_waitcnt lgkmcnt(0)
	s_barrier
	buffer_gl0_inv
	v_mov_b32_e32 v18, v20
	s_and_saveexec_b32 s47, s1
	s_cbranch_execnz .LBB181_50
; %bb.34:                               ;   in Loop: Header=BB181_9 Depth=1
	s_or_b32 exec_lo, exec_lo, s47
	s_and_saveexec_b32 s47, s0
	s_cbranch_execnz .LBB181_51
.LBB181_35:                             ;   in Loop: Header=BB181_9 Depth=1
	s_or_b32 exec_lo, exec_lo, s47
	s_and_saveexec_b32 s47, s5
	s_cbranch_execz .LBB181_8
	s_branch .LBB181_52
.LBB181_36:                             ;   in Loop: Header=BB181_9 Depth=1
	s_clause 0x2
	global_load_b128 v[2:5], v[28:29], off
	global_load_b128 v[6:9], v[30:31], off
	;; [unrolled: 1-line block ×3, first 2 shown]
	s_mul_i32 s49, s15, s27
	s_mul_hi_u32 s50, s15, s26
	s_mul_i32 s48, s15, s26
	s_or_b32 s51, s15, 1
	s_add_i32 s49, s50, s49
	s_mul_i32 s55, s51, s27
	s_mul_hi_u32 s56, s51, s26
	s_lshl_b64 s[48:49], s[48:49], 4
	s_or_b32 s52, s15, 2
	s_mul_i32 s50, s51, s26
	s_waitcnt lgkmcnt(0)
	v_add_co_u32 v18, vcc_lo, v21, s48
	s_add_i32 s51, s56, s55
	s_or_b32 s53, s15, 3
	s_mul_i32 s57, s52, s27
	s_mul_hi_u32 s58, s52, s26
	v_add_co_ci_u32_e32 v19, vcc_lo, s49, v22, vcc_lo
	s_lshl_b64 s[48:49], s[50:51], 4
	s_mul_i32 s52, s52, s26
	s_mul_i32 s59, s53, s27
	s_mul_hi_u32 s60, s53, s26
	s_mul_i32 s54, s53, s26
	s_add_i32 s53, s58, s57
	v_add_co_u32 v38, vcc_lo, v21, s48
	s_lshl_b64 s[50:51], s[52:53], 4
	s_add_i32 s55, s60, s59
	v_add_co_ci_u32_e32 v39, vcc_lo, s49, v22, vcc_lo
	v_add_co_u32 v116, vcc_lo, v21, s50
	s_lshl_b64 s[52:53], s[54:55], 4
	v_add_co_ci_u32_e32 v117, vcc_lo, s51, v22, vcc_lo
	v_add_co_u32 v120, vcc_lo, v21, s52
	v_add_co_ci_u32_e32 v121, vcc_lo, s53, v22, vcc_lo
	global_load_b128 v[60:63], v[26:27], off
	s_clause 0x4
	global_load_b128 v[14:17], v[18:19], off
	global_load_b128 v[64:67], v[38:39], off
	;; [unrolled: 1-line block ×4, first 2 shown]
	global_load_b128 v[76:79], v[18:19], off offset:16
	s_waitcnt vmcnt(8)
	scratch_store_b128 v40, v[2:5], off
	scratch_load_b128 v[2:5], off, off offset:16
	s_clause 0x2
	global_load_b128 v[80:83], v[38:39], off offset:16
	global_load_b128 v[84:87], v[116:117], off offset:16
	;; [unrolled: 1-line block ×3, first 2 shown]
	s_waitcnt vmcnt(11)
	scratch_store_b128 v41, v[6:9], off
	scratch_load_b128 v[6:9], off, off offset:32
	s_clause 0x4
	global_load_b128 v[92:95], v[18:19], off offset:32
	global_load_b128 v[96:99], v[38:39], off offset:32
	;; [unrolled: 1-line block ×5, first 2 shown]
	s_waitcnt vmcnt(16)
	scratch_store_b128 v42, v[10:13], off
	scratch_load_b128 v[10:13], off, off offset:48
	s_clause 0x2
	global_load_b128 v[112:115], v[38:39], off offset:48
	global_load_b128 v[116:119], v[116:117], off offset:48
	;; [unrolled: 1-line block ×3, first 2 shown]
	s_waitcnt vmcnt(19)
	scratch_store_b128 off, v[60:63], off
	s_waitcnt vmcnt(18)
	v_mul_f64 v[18:19], v[62:63], v[16:17]
	v_mul_f64 v[16:17], v[60:61], v[16:17]
	s_waitcnt vmcnt(17)
	v_mul_f64 v[38:39], v[62:63], v[66:67]
	v_mul_f64 v[66:67], v[60:61], v[66:67]
	;; [unrolled: 3-line block ×4, first 2 shown]
	v_fma_f64 v[18:19], v[60:61], v[14:15], v[18:19]
	v_fma_f64 v[14:15], v[62:63], v[14:15], -v[16:17]
	v_fma_f64 v[38:39], v[60:61], v[64:65], v[38:39]
	v_fma_f64 v[64:65], v[62:63], v[64:65], -v[66:67]
	;; [unrolled: 2-line block ×4, first 2 shown]
	v_add_f64 v[18:19], v[18:19], 0
	v_add_f64 v[14:15], v[14:15], 0
	;; [unrolled: 1-line block ×7, first 2 shown]
	s_waitcnt vmcnt(13)
	v_mul_f64 v[16:17], v[4:5], v[78:79]
	v_mul_f64 v[78:79], v[2:3], v[78:79]
	s_waitcnt vmcnt(12)
	v_mul_f64 v[128:129], v[4:5], v[82:83]
	v_mul_f64 v[82:83], v[2:3], v[82:83]
	;; [unrolled: 3-line block ×5, first 2 shown]
	s_waitcnt vmcnt(7)
	v_mul_f64 v[130:131], v[8:9], v[98:99]
	v_fma_f64 v[16:17], v[2:3], v[76:77], v[16:17]
	v_fma_f64 v[76:77], v[4:5], v[76:77], -v[78:79]
	v_mul_f64 v[78:79], v[6:7], v[98:99]
	s_waitcnt vmcnt(6)
	v_mul_f64 v[98:99], v[8:9], v[102:103]
	v_fma_f64 v[128:129], v[2:3], v[80:81], v[128:129]
	v_fma_f64 v[80:81], v[4:5], v[80:81], -v[82:83]
	v_mul_f64 v[82:83], v[6:7], v[102:103]
	s_waitcnt vmcnt(5)
	v_mul_f64 v[102:103], v[8:9], v[106:107]
	v_fma_f64 v[66:67], v[2:3], v[84:85], v[66:67]
	v_fma_f64 v[84:85], v[4:5], v[84:85], -v[86:87]
	v_mul_f64 v[86:87], v[6:7], v[106:107]
	v_add_f64 v[106:107], v[124:125], 0
	v_fma_f64 v[2:3], v[2:3], v[88:89], v[74:75]
	v_fma_f64 v[4:5], v[4:5], v[88:89], -v[90:91]
	s_waitcnt vmcnt(3)
	v_mul_f64 v[74:75], v[12:13], v[110:111]
	v_mul_f64 v[88:89], v[10:11], v[110:111]
	s_waitcnt vmcnt(2)
	v_mul_f64 v[90:91], v[12:13], v[114:115]
	v_mul_f64 v[110:111], v[10:11], v[114:115]
	s_waitcnt vmcnt(1)
	v_mul_f64 v[114:115], v[12:13], v[118:119]
	v_fma_f64 v[124:125], v[6:7], v[92:93], v[126:127]
	v_fma_f64 v[92:93], v[8:9], v[92:93], -v[94:95]
	v_mul_f64 v[94:95], v[10:11], v[118:119]
	s_waitcnt vmcnt(0)
	v_mul_f64 v[118:119], v[12:13], v[122:123]
	v_fma_f64 v[126:127], v[6:7], v[96:97], v[130:131]
	v_add_f64 v[16:17], v[18:19], v[16:17]
	v_add_f64 v[14:15], v[14:15], v[76:77]
	v_fma_f64 v[78:79], v[8:9], v[96:97], -v[78:79]
	v_mul_f64 v[96:97], v[10:11], v[122:123]
	v_fma_f64 v[98:99], v[6:7], v[100:101], v[98:99]
	v_add_f64 v[18:19], v[38:39], v[128:129]
	v_fma_f64 v[82:83], v[8:9], v[100:101], -v[82:83]
	v_fma_f64 v[6:7], v[6:7], v[104:105], v[102:103]
	v_add_f64 v[38:39], v[64:65], v[80:81]
	v_fma_f64 v[8:9], v[8:9], v[104:105], -v[86:87]
	v_add_f64 v[64:65], v[106:107], v[66:67]
	v_add_f64 v[66:67], v[68:69], v[84:85]
	;; [unrolled: 1-line block ×4, first 2 shown]
	v_fma_f64 v[68:69], v[10:11], v[108:109], v[74:75]
	v_fma_f64 v[70:71], v[12:13], v[108:109], -v[88:89]
	v_fma_f64 v[72:73], v[10:11], v[112:113], v[90:91]
	v_fma_f64 v[74:75], v[12:13], v[112:113], -v[110:111]
	;; [unrolled: 2-line block ×3, first 2 shown]
	v_fma_f64 v[84:85], v[10:11], v[120:121], v[118:119]
	v_add_f64 v[10:11], v[16:17], v[124:125]
	v_fma_f64 v[86:87], v[12:13], v[120:121], -v[96:97]
	v_add_f64 v[12:13], v[14:15], v[92:93]
	v_add_f64 v[14:15], v[18:19], v[126:127]
	;; [unrolled: 1-line block ×15, first 2 shown]
	s_and_not1_saveexec_b32 s47, s47
	s_cbranch_execz .LBB181_11
.LBB181_37:                             ;   in Loop: Header=BB181_9 Depth=1
	s_waitcnt lgkmcnt(0)
	v_mov_b32_e32 v17, 0
	v_mov_b32_e32 v18, 0
	s_delay_alu instid0(VALU_DEP_2) | instskip(SKIP_2) | instid1(VALU_DEP_4)
	v_mov_b32_e32 v13, v17
	v_mov_b32_e32 v15, v17
	;; [unrolled: 1-line block ×3, first 2 shown]
	v_dual_mov_b32 v11, v17 :: v_dual_mov_b32 v12, v18
	v_dual_mov_b32 v20, v18 :: v_dual_mov_b32 v19, v17
	v_mov_b32_e32 v14, v18
	v_mov_b32_e32 v16, v18
	v_dual_mov_b32 v10, v18 :: v_dual_mov_b32 v7, v17
	v_dual_mov_b32 v8, v18 :: v_dual_mov_b32 v5, v17
	v_mov_b32_e32 v6, v18
	s_and_saveexec_b32 s48, s3
	s_cbranch_execz .LBB181_43
; %bb.38:                               ;   in Loop: Header=BB181_9 Depth=1
	v_mov_b32_e32 v17, 0
	v_mov_b32_e32 v18, 0
	s_delay_alu instid0(VALU_DEP_2) | instskip(SKIP_2) | instid1(VALU_DEP_4)
	v_mov_b32_e32 v13, v17
	v_mov_b32_e32 v15, v17
	;; [unrolled: 1-line block ×3, first 2 shown]
	v_dual_mov_b32 v11, v17 :: v_dual_mov_b32 v12, v18
	v_dual_mov_b32 v20, v18 :: v_dual_mov_b32 v19, v17
	v_mov_b32_e32 v14, v18
	v_mov_b32_e32 v16, v18
	v_dual_mov_b32 v10, v18 :: v_dual_mov_b32 v7, v17
	v_dual_mov_b32 v8, v18 :: v_dual_mov_b32 v5, v17
	v_mov_b32_e32 v6, v18
	s_and_not1_b32 vcc_lo, exec_lo, s44
	s_cbranch_vccnz .LBB181_43
; %bb.39:                               ;   in Loop: Header=BB181_9 Depth=1
	v_mov_b32_e32 v2, v34
	v_dual_mov_b32 v4, 0 :: v_dual_mov_b32 v3, v35
	s_mov_b32 s49, s25
.LBB181_40:                             ;   Parent Loop BB181_9 Depth=1
                                        ; =>  This Inner Loop Header: Depth=2
	global_load_b128 v[5:8], v[2:3], off
	v_add_co_u32 v2, vcc_lo, v2, s34
	v_add_co_ci_u32_e32 v3, vcc_lo, s35, v3, vcc_lo
	s_add_i32 s49, s49, -1
	s_delay_alu instid0(SALU_CYCLE_1)
	s_cmp_eq_u32 s49, 0
	s_waitcnt vmcnt(0)
	scratch_store_b128 v4, v[5:8], off
	v_add_nc_u32_e32 v4, 16, v4
	s_cbranch_scc0 .LBB181_40
; %bb.41:                               ;   in Loop: Header=BB181_9 Depth=1
	v_dual_mov_b32 v5, 0 :: v_dual_mov_b32 v2, v36
	v_dual_mov_b32 v6, 0 :: v_dual_mov_b32 v3, v37
	v_mov_b32_e32 v4, v59
	s_mov_b32 s49, s25
	s_delay_alu instid0(VALU_DEP_2)
	v_mov_b32_e32 v8, v6
	v_mov_b32_e32 v12, v6
	;; [unrolled: 1-line block ×6, first 2 shown]
	v_dual_mov_b32 v18, v6 :: v_dual_mov_b32 v17, v5
	v_mov_b32_e32 v7, v5
	v_mov_b32_e32 v11, v5
	;; [unrolled: 1-line block ×6, first 2 shown]
.LBB181_42:                             ;   Parent Loop BB181_9 Depth=1
                                        ; =>  This Inner Loop Header: Depth=2
	v_add_co_u32 v38, vcc_lo, v2, s38
	v_add_co_ci_u32_e32 v39, vcc_lo, s39, v3, vcc_lo
	scratch_load_b128 v[60:63], v4, off offset:-8
	v_add_co_u32 v72, vcc_lo, v38, s38
	v_add_co_ci_u32_e32 v73, vcc_lo, s39, v39, vcc_lo
	global_load_b128 v[64:67], v[2:3], off
	v_add_co_u32 v76, vcc_lo, v72, s38
	v_add_co_ci_u32_e32 v77, vcc_lo, s39, v73, vcc_lo
	v_add_co_u32 v2, vcc_lo, v2, 16
	s_clause 0x2
	global_load_b128 v[68:71], v[38:39], off
	global_load_b128 v[72:75], v[72:73], off
	global_load_b128 v[76:79], v[76:77], off
	v_add_nc_u32_e32 v4, 16, v4
	v_add_co_ci_u32_e32 v3, vcc_lo, 0, v3, vcc_lo
	s_add_i32 s49, s49, -1
	s_delay_alu instid0(SALU_CYCLE_1)
	s_cmp_lg_u32 s49, 0
	s_waitcnt vmcnt(3)
	v_mul_f64 v[38:39], v[62:63], v[66:67]
	v_mul_f64 v[66:67], v[60:61], v[66:67]
	s_waitcnt vmcnt(2)
	v_mul_f64 v[80:81], v[62:63], v[70:71]
	v_mul_f64 v[70:71], v[60:61], v[70:71]
	s_waitcnt vmcnt(1)
	v_mul_f64 v[82:83], v[62:63], v[74:75]
	v_mul_f64 v[74:75], v[60:61], v[74:75]
	s_waitcnt vmcnt(0)
	v_mul_f64 v[84:85], v[62:63], v[78:79]
	v_mul_f64 v[78:79], v[60:61], v[78:79]
	v_fma_f64 v[38:39], v[60:61], v[64:65], v[38:39]
	v_fma_f64 v[64:65], v[62:63], v[64:65], -v[66:67]
	v_fma_f64 v[66:67], v[60:61], v[68:69], v[80:81]
	v_fma_f64 v[68:69], v[62:63], v[68:69], -v[70:71]
	;; [unrolled: 2-line block ×4, first 2 shown]
	v_add_f64 v[7:8], v[7:8], v[38:39]
	v_add_f64 v[5:6], v[5:6], v[64:65]
	;; [unrolled: 1-line block ×8, first 2 shown]
	s_cbranch_scc1 .LBB181_42
.LBB181_43:                             ;   in Loop: Header=BB181_9 Depth=1
	s_or_b32 exec_lo, exec_lo, s48
	s_delay_alu instid0(SALU_CYCLE_1)
	s_or_b32 exec_lo, exec_lo, s47
	s_and_saveexec_b32 s47, s0
	s_cbranch_execnz .LBB181_12
	s_branch .LBB181_13
.LBB181_44:                             ;   in Loop: Header=BB181_9 Depth=1
	ds_load_b128 v[5:8], v57
	s_or_b32 exec_lo, exec_lo, s47
	s_and_saveexec_b32 s47, s0
	s_cbranch_execz .LBB181_17
.LBB181_45:                             ;   in Loop: Header=BB181_9 Depth=1
	s_waitcnt lgkmcnt(0)
	ds_bpermute_b32 v2, v54, v5
	ds_bpermute_b32 v3, v54, v6
	ds_bpermute_b32 v38, v54, v7
	ds_bpermute_b32 v39, v54, v8
	s_waitcnt lgkmcnt(2)
	v_add_f64 v[2:3], v[5:6], v[2:3]
	s_waitcnt lgkmcnt(0)
	v_add_f64 v[4:5], v[7:8], v[38:39]
	ds_bpermute_b32 v6, v55, v2
	ds_bpermute_b32 v7, v55, v3
	ds_bpermute_b32 v38, v55, v4
	ds_bpermute_b32 v39, v55, v5
	s_waitcnt lgkmcnt(2)
	v_add_f64 v[2:3], v[2:3], v[6:7]
	s_waitcnt lgkmcnt(0)
	v_add_f64 v[7:8], v[4:5], v[38:39]
	;; [unrolled: 8-line block ×3, first 2 shown]
	s_or_b32 exec_lo, exec_lo, s47
	s_and_saveexec_b32 s47, s0
	s_cbranch_execnz .LBB181_18
	s_branch .LBB181_19
.LBB181_46:                             ;   in Loop: Header=BB181_9 Depth=1
	ds_load_b128 v[9:12], v57
	s_or_b32 exec_lo, exec_lo, s47
	s_and_saveexec_b32 s47, s0
	s_cbranch_execz .LBB181_23
.LBB181_47:                             ;   in Loop: Header=BB181_9 Depth=1
	s_waitcnt lgkmcnt(0)
	ds_bpermute_b32 v2, v54, v9
	ds_bpermute_b32 v3, v54, v10
	ds_bpermute_b32 v38, v54, v11
	ds_bpermute_b32 v39, v54, v12
	s_waitcnt lgkmcnt(2)
	v_add_f64 v[2:3], v[9:10], v[2:3]
	s_waitcnt lgkmcnt(0)
	v_add_f64 v[9:10], v[11:12], v[38:39]
	ds_bpermute_b32 v11, v55, v2
	ds_bpermute_b32 v12, v55, v3
	ds_bpermute_b32 v38, v55, v9
	ds_bpermute_b32 v39, v55, v10
	s_waitcnt lgkmcnt(2)
	v_add_f64 v[2:3], v[2:3], v[11:12]
	s_waitcnt lgkmcnt(0)
	v_add_f64 v[11:12], v[9:10], v[38:39]
	;; [unrolled: 8-line block ×3, first 2 shown]
	s_or_b32 exec_lo, exec_lo, s47
	s_and_saveexec_b32 s47, s0
	s_cbranch_execnz .LBB181_24
	s_branch .LBB181_25
.LBB181_48:                             ;   in Loop: Header=BB181_9 Depth=1
	ds_load_b128 v[13:16], v57
	s_or_b32 exec_lo, exec_lo, s47
	s_and_saveexec_b32 s47, s0
	s_cbranch_execz .LBB181_29
.LBB181_49:                             ;   in Loop: Header=BB181_9 Depth=1
	s_waitcnt lgkmcnt(0)
	ds_bpermute_b32 v2, v54, v13
	ds_bpermute_b32 v3, v54, v14
	ds_bpermute_b32 v38, v54, v15
	ds_bpermute_b32 v39, v54, v16
	s_waitcnt lgkmcnt(2)
	v_add_f64 v[2:3], v[13:14], v[2:3]
	s_waitcnt lgkmcnt(0)
	v_add_f64 v[13:14], v[15:16], v[38:39]
	ds_bpermute_b32 v15, v55, v2
	ds_bpermute_b32 v16, v55, v3
	ds_bpermute_b32 v38, v55, v13
	ds_bpermute_b32 v39, v55, v14
	s_waitcnt lgkmcnt(2)
	v_add_f64 v[2:3], v[2:3], v[15:16]
	s_waitcnt lgkmcnt(0)
	v_add_f64 v[15:16], v[13:14], v[38:39]
	;; [unrolled: 8-line block ×3, first 2 shown]
	s_or_b32 exec_lo, exec_lo, s47
	s_and_saveexec_b32 s47, s0
	s_cbranch_execnz .LBB181_30
	s_branch .LBB181_31
.LBB181_50:                             ;   in Loop: Header=BB181_9 Depth=1
	ds_load_b128 v[17:20], v57
	s_or_b32 exec_lo, exec_lo, s47
	s_and_saveexec_b32 s47, s0
	s_cbranch_execz .LBB181_35
.LBB181_51:                             ;   in Loop: Header=BB181_9 Depth=1
	s_waitcnt lgkmcnt(0)
	ds_bpermute_b32 v2, v54, v17
	ds_bpermute_b32 v3, v54, v18
	ds_bpermute_b32 v38, v54, v19
	ds_bpermute_b32 v39, v54, v20
	s_waitcnt lgkmcnt(2)
	v_add_f64 v[2:3], v[17:18], v[2:3]
	s_waitcnt lgkmcnt(0)
	v_add_f64 v[17:18], v[19:20], v[38:39]
	ds_bpermute_b32 v19, v55, v2
	ds_bpermute_b32 v20, v55, v3
	ds_bpermute_b32 v38, v55, v17
	ds_bpermute_b32 v39, v55, v18
	s_waitcnt lgkmcnt(2)
	v_add_f64 v[2:3], v[2:3], v[19:20]
	s_waitcnt lgkmcnt(0)
	v_add_f64 v[19:20], v[17:18], v[38:39]
	;; [unrolled: 8-line block ×3, first 2 shown]
	s_or_b32 exec_lo, exec_lo, s47
	s_and_saveexec_b32 s47, s5
	s_cbranch_execz .LBB181_8
.LBB181_52:                             ;   in Loop: Header=BB181_9 Depth=1
	v_mul_f64 v[2:3], s[18:19], v[7:8]
	v_mul_f64 v[7:8], s[16:17], v[7:8]
	;; [unrolled: 1-line block ×6, first 2 shown]
	s_waitcnt lgkmcnt(0)
	v_mul_f64 v[62:63], s[18:19], v[19:20]
	v_mul_f64 v[19:20], s[16:17], v[19:20]
	s_mul_hi_u32 s49, s15, s24
	s_mul_i32 s48, s15, s24
	s_delay_alu instid0(SALU_CYCLE_1) | instskip(NEXT) | instid1(SALU_CYCLE_1)
	s_lshl_b64 s[48:49], s[48:49], 4
	s_add_u32 s48, s45, s48
	s_addc_u32 s49, s46, s49
	s_or_b32 s50, s15, 1
	s_delay_alu instid0(SALU_CYCLE_1) | instskip(SKIP_1) | instid1(SALU_CYCLE_1)
	s_mul_hi_u32 s51, s50, s24
	s_mul_i32 s50, s50, s24
	s_lshl_b64 s[50:51], s[50:51], 4
	s_delay_alu instid0(SALU_CYCLE_1) | instskip(SKIP_2) | instid1(SALU_CYCLE_1)
	s_add_u32 s50, s45, s50
	s_addc_u32 s51, s46, s51
	s_or_b32 s52, s15, 2
	s_mul_hi_u32 s53, s52, s24
	s_mul_i32 s52, s52, s24
	s_delay_alu instid0(SALU_CYCLE_1) | instskip(NEXT) | instid1(SALU_CYCLE_1)
	s_lshl_b64 s[52:53], s[52:53], 4
	s_add_u32 s52, s45, s52
	s_addc_u32 s53, s46, s53
	s_or_b32 s54, s15, 3
	s_delay_alu instid0(SALU_CYCLE_1) | instskip(SKIP_1) | instid1(SALU_CYCLE_1)
	s_mul_hi_u32 s55, s54, s24
	s_mul_i32 s54, s54, s24
	s_lshl_b64 s[54:55], s[54:55], 4
	v_fma_f64 v[2:3], s[16:17], v[5:6], -v[2:3]
	v_fma_f64 v[4:5], s[18:19], v[5:6], v[7:8]
	v_fma_f64 v[6:7], s[16:17], v[9:10], -v[38:39]
	v_fma_f64 v[8:9], s[18:19], v[9:10], v[11:12]
	;; [unrolled: 2-line block ×4, first 2 shown]
	s_add_u32 s54, s45, s54
	s_addc_u32 s55, s46, s55
	s_clause 0x3
	global_store_b128 v1, v[2:5], s[48:49]
	global_store_b128 v1, v[6:9], s[50:51]
	;; [unrolled: 1-line block ×4, first 2 shown]
	s_branch .LBB181_8
.LBB181_53:
	s_mov_b32 s15, 0
.LBB181_54:
	s_delay_alu instid0(SALU_CYCLE_1)
	s_cmp_ge_i32 s15, s13
	s_cbranch_scc1 .LBB181_76
; %bb.55:
	v_cmp_gt_u32_e64 s1, 16, v48
	v_mad_i64_i32 v[7:8], null, s28, v46, 0
	v_cmp_gt_u32_e64 s0, 32, v0
	v_cmp_gt_u32_e64 s2, 8, v0
	s_delay_alu instid0(VALU_DEP_4) | instskip(SKIP_3) | instid1(VALU_DEP_4)
	v_cndmask_b32_e64 v1, 0, 1, s1
	v_cmp_gt_u32_e64 s1, 24, v48
	v_cmp_eq_u32_e64 s3, 0, v0
	v_mad_i64_i32 v[11:12], null, s28, v45, 0
	v_lshlrev_b32_e32 v1, 4, v1
	s_delay_alu instid0(VALU_DEP_4)
	v_cndmask_b32_e64 v2, 0, 1, s1
	v_cmp_gt_u32_e64 s1, 28, v48
	v_lshlrev_b64 v[9:10], 4, v[7:8]
	v_cmp_ge_i32_e64 s4, s12, v51
	v_add_lshl_u32 v27, v1, v48, 2
	v_lshlrev_b32_e32 v2, 3, v2
	v_cndmask_b32_e64 v3, 0, 1, s1
	v_cmp_gt_u32_e64 s1, 30, v48
	s_cmp_gt_i32 s25, 0
	s_mov_b32 s35, 0
	v_add_lshl_u32 v28, v2, v48, 2
	v_lshlrev_b32_e32 v3, 2, v3
	v_cndmask_b32_e64 v4, 0, 1, s1
	v_mad_i64_i32 v[1:2], null, s28, v25, 0
	v_cmp_ne_u32_e64 s1, 31, v48
	s_delay_alu instid0(VALU_DEP_4) | instskip(NEXT) | instid1(VALU_DEP_4)
	v_add_lshl_u32 v29, v3, v48, 2
	v_lshlrev_b32_e32 v4, 1, v4
	s_mov_b32 s34, s14
	s_cselect_b32 s36, -1, 0
	v_add_co_ci_u32_e64 v5, s1, 0, v48, s1
	s_delay_alu instid0(VALU_DEP_2) | instskip(SKIP_2) | instid1(VALU_DEP_4)
	v_add_lshl_u32 v30, v4, v48, 2
	v_mad_i64_i32 v[3:4], null, s28, v49, 0
	v_lshlrev_b64 v[0:1], 4, v[1:2]
	v_lshlrev_b32_e32 v31, 2, v5
	s_lshl_b64 s[34:35], s[34:35], 4
	v_cmp_ge_i32_e32 vcc_lo, s12, v50
	s_add_u32 s12, s41, s34
	s_addc_u32 s14, s42, s35
	s_delay_alu instid0(VALU_DEP_4) | instskip(SKIP_1) | instid1(VALU_DEP_1)
	v_lshlrev_b64 v[2:3], 4, v[3:4]
	v_add_co_u32 v5, s5, s33, v0
	v_add_co_ci_u32_e64 v6, s5, s40, v1, s5
	v_lshlrev_b32_e32 v26, 4, v44
	s_delay_alu instid0(VALU_DEP_4) | instskip(NEXT) | instid1(VALU_DEP_1)
	v_add_co_u32 v7, s5, s33, v2
	v_add_co_ci_u32_e64 v8, s5, s40, v3, s5
	v_add_co_u32 v9, s5, s33, v9
	s_delay_alu instid0(VALU_DEP_1)
	v_add_co_ci_u32_e64 v10, s5, s40, v10, s5
	v_lshlrev_b64 v[2:3], 4, v[11:12]
	s_and_b32 s5, s36, s4
	s_add_u32 s4, s6, s30
	s_addc_u32 s6, s7, s31
	s_add_u32 s30, s4, s20
	s_mul_i32 s4, s27, s15
	s_mul_hi_u32 s7, s26, s15
	s_addc_u32 s31, s6, s21
	s_add_i32 s7, s7, s4
	s_mul_i32 s6, s26, s15
	v_add_co_u32 v11, s4, s33, v2
	s_lshl_b64 s[20:21], s[6:7], 4
	v_add_co_ci_u32_e64 v12, s4, s40, v3, s4
	s_lshl_b64 s[6:7], s[28:29], 4
	s_add_u32 s4, s22, s20
	s_addc_u32 s20, s23, s21
	s_add_u32 s4, s4, s10
	s_addc_u32 s10, s20, s11
	;; [unrolled: 2-line block ×3, first 2 shown]
	v_add_co_u32 v2, s4, s4, v23
	s_delay_alu instid0(VALU_DEP_1)
	v_add_co_ci_u32_e64 v3, s4, s8, v24, s4
	v_add_co_u32 v13, s4, s30, v0
	v_mov_b32_e32 v0, 0
	v_add_co_ci_u32_e64 v14, s4, s31, v1, s4
	v_add_co_u32 v15, s4, v2, 8
	v_cmp_eq_u32_e64 s1, 0, v44
	v_and_b32_e32 v25, 0x70, v47
	v_add_co_ci_u32_e64 v16, s4, 0, v3, s4
	s_lshl_b64 s[8:9], s[26:27], 4
	s_branch .LBB181_57
.LBB181_56:                             ;   in Loop: Header=BB181_57 Depth=1
	s_or_b32 exec_lo, exec_lo, s4
	v_add_co_u32 v15, s4, v15, s8
	s_delay_alu instid0(VALU_DEP_1) | instskip(SKIP_1) | instid1(SALU_CYCLE_1)
	v_add_co_ci_u32_e64 v16, s4, s9, v16, s4
	s_add_i32 s15, s15, 1
	s_cmp_lt_i32 s15, s13
	s_cbranch_scc0 .LBB181_76
.LBB181_57:                             ; =>This Loop Header: Depth=1
                                        ;     Child Loop BB181_69 Depth 2
                                        ;     Child Loop BB181_71 Depth 2
                                        ; implicit-def: $vgpr17_vgpr18
                                        ; implicit-def: $vgpr19_vgpr20
	s_and_saveexec_b32 s4, vcc_lo
	s_delay_alu instid0(SALU_CYCLE_1)
	s_xor_b32 s10, exec_lo, s4
	s_cbranch_execnz .LBB181_66
; %bb.58:                               ;   in Loop: Header=BB181_57 Depth=1
	s_and_not1_saveexec_b32 s10, s10
	s_cbranch_execnz .LBB181_67
.LBB181_59:                             ;   in Loop: Header=BB181_57 Depth=1
	s_or_b32 exec_lo, exec_lo, s10
	s_and_saveexec_b32 s4, s0
	s_cbranch_execz .LBB181_61
.LBB181_60:                             ;   in Loop: Header=BB181_57 Depth=1
	s_waitcnt lgkmcnt(0)
	v_mov_b32_e32 v1, v0
	v_mov_b32_e32 v2, v0
	v_mov_b32_e32 v3, v0
	ds_store_b128 v26, v[0:3]
.LBB181_61:                             ;   in Loop: Header=BB181_57 Depth=1
	s_or_b32 exec_lo, exec_lo, s4
	s_waitcnt lgkmcnt(0)
	ds_bpermute_b32 v1, v27, v17
	ds_bpermute_b32 v2, v27, v18
	;; [unrolled: 1-line block ×4, first 2 shown]
	s_waitcnt lgkmcnt(0)
	s_waitcnt_vscnt null, 0x0
	s_barrier
	buffer_gl0_inv
	v_add_f64 v[1:2], v[17:18], v[1:2]
	v_add_f64 v[3:4], v[19:20], v[3:4]
	ds_bpermute_b32 v17, v28, v1
	ds_bpermute_b32 v18, v28, v2
	ds_bpermute_b32 v19, v28, v3
	ds_bpermute_b32 v20, v28, v4
	s_waitcnt lgkmcnt(2)
	v_add_f64 v[1:2], v[1:2], v[17:18]
	s_waitcnt lgkmcnt(0)
	v_add_f64 v[3:4], v[3:4], v[19:20]
	ds_bpermute_b32 v17, v29, v1
	ds_bpermute_b32 v18, v29, v2
	ds_bpermute_b32 v19, v29, v3
	ds_bpermute_b32 v20, v29, v4
	s_waitcnt lgkmcnt(2)
	v_add_f64 v[1:2], v[1:2], v[17:18]
	s_waitcnt lgkmcnt(0)
	;; [unrolled: 8-line block ×3, first 2 shown]
	v_add_f64 v[17:18], v[3:4], v[19:20]
	ds_bpermute_b32 v3, v31, v1
	ds_bpermute_b32 v4, v31, v2
	;; [unrolled: 1-line block ×4, first 2 shown]
	s_and_saveexec_b32 s4, s1
	s_cbranch_execz .LBB181_63
; %bb.62:                               ;   in Loop: Header=BB181_57 Depth=1
	s_waitcnt lgkmcnt(0)
	v_add_f64 v[19:20], v[17:18], v[19:20]
	v_add_f64 v[17:18], v[1:2], v[3:4]
	ds_store_b128 v25, v[17:20]
.LBB181_63:                             ;   in Loop: Header=BB181_57 Depth=1
	s_or_b32 exec_lo, exec_lo, s4
	s_waitcnt lgkmcnt(2)
	v_mov_b32_e32 v3, 0
	v_mov_b32_e32 v4, 0
	s_delay_alu instid0(VALU_DEP_2)
	v_mov_b32_e32 v1, v3
	s_waitcnt lgkmcnt(0)
	s_barrier
	buffer_gl0_inv
	v_mov_b32_e32 v2, v4
	s_and_saveexec_b32 s4, s2
	s_cbranch_execnz .LBB181_73
; %bb.64:                               ;   in Loop: Header=BB181_57 Depth=1
	s_or_b32 exec_lo, exec_lo, s4
	s_and_saveexec_b32 s4, s0
	s_cbranch_execnz .LBB181_74
.LBB181_65:                             ;   in Loop: Header=BB181_57 Depth=1
	s_or_b32 exec_lo, exec_lo, s4
	s_and_saveexec_b32 s4, s3
	s_cbranch_execz .LBB181_56
	s_branch .LBB181_75
.LBB181_66:                             ;   in Loop: Header=BB181_57 Depth=1
	s_waitcnt lgkmcnt(0)
	global_load_b128 v[1:4], v[7:8], off
	s_waitcnt lgkmcnt(0)
	s_clause 0x1
	global_load_b128 v[17:20], v[9:10], off
	global_load_b128 v[32:35], v[11:12], off
	s_mul_i32 s4, s15, s27
	s_mul_hi_u32 s11, s15, s26
	s_mul_i32 s20, s15, s26
	s_add_i32 s21, s11, s4
	s_delay_alu instid0(SALU_CYCLE_1) | instskip(NEXT) | instid1(SALU_CYCLE_1)
	s_lshl_b64 s[20:21], s[20:21], 4
	v_add_co_u32 v23, s4, v21, s20
	s_delay_alu instid0(VALU_DEP_1)
	v_add_co_ci_u32_e64 v24, s4, s21, v22, s4
	global_load_b128 v[36:39], v[5:6], off
	s_clause 0x1
	global_load_b128 v[44:47], v[23:24], off
	global_load_b128 v[48:51], v[23:24], off offset:16
	s_waitcnt vmcnt(5)
	scratch_store_b128 v40, v[1:4], off
	scratch_load_b128 v[1:4], off, off offset:16
	global_load_b128 v[52:55], v[23:24], off offset:32
	s_waitcnt vmcnt(6)
	scratch_store_b128 v41, v[17:20], off
	scratch_load_b128 v[17:20], off, off offset:32
	;; [unrolled: 4-line block ×3, first 2 shown]
	s_waitcnt vmcnt(7)
	scratch_store_b128 off, v[36:39], off
	s_waitcnt vmcnt(6)
	v_mul_f64 v[23:24], v[46:47], v[38:39]
	v_mul_f64 v[46:47], v[46:47], v[36:37]
	s_delay_alu instid0(VALU_DEP_2) | instskip(NEXT) | instid1(VALU_DEP_2)
	v_fma_f64 v[23:24], v[44:45], v[36:37], v[23:24]
	v_fma_f64 v[44:45], v[44:45], v[38:39], -v[46:47]
	s_delay_alu instid0(VALU_DEP_2) | instskip(NEXT) | instid1(VALU_DEP_2)
	v_add_f64 v[23:24], v[23:24], 0
	v_add_f64 v[44:45], v[44:45], 0
	s_waitcnt vmcnt(4)
	v_mul_f64 v[46:47], v[50:51], v[3:4]
	v_mul_f64 v[50:51], v[50:51], v[1:2]
	s_waitcnt vmcnt(2)
	v_mul_f64 v[60:61], v[54:55], v[19:20]
	v_mul_f64 v[54:55], v[54:55], v[17:18]
	s_delay_alu instid0(VALU_DEP_4) | instskip(NEXT) | instid1(VALU_DEP_4)
	v_fma_f64 v[1:2], v[48:49], v[1:2], v[46:47]
	v_fma_f64 v[3:4], v[48:49], v[3:4], -v[50:51]
	s_waitcnt vmcnt(0)
	v_mul_f64 v[46:47], v[58:59], v[34:35]
	v_mul_f64 v[48:49], v[58:59], v[32:33]
	v_fma_f64 v[17:18], v[52:53], v[17:18], v[60:61]
	v_fma_f64 v[19:20], v[52:53], v[19:20], -v[54:55]
	v_add_f64 v[1:2], v[23:24], v[1:2]
	v_add_f64 v[3:4], v[44:45], v[3:4]
	v_fma_f64 v[23:24], v[56:57], v[32:33], v[46:47]
	v_fma_f64 v[32:33], v[56:57], v[34:35], -v[48:49]
	s_delay_alu instid0(VALU_DEP_4) | instskip(NEXT) | instid1(VALU_DEP_4)
	v_add_f64 v[1:2], v[1:2], v[17:18]
	v_add_f64 v[3:4], v[3:4], v[19:20]
	s_delay_alu instid0(VALU_DEP_2) | instskip(NEXT) | instid1(VALU_DEP_2)
	v_add_f64 v[17:18], v[1:2], v[23:24]
	v_add_f64 v[19:20], v[3:4], v[32:33]
	s_and_not1_saveexec_b32 s10, s10
	s_cbranch_execz .LBB181_59
.LBB181_67:                             ;   in Loop: Header=BB181_57 Depth=1
	s_waitcnt lgkmcnt(0)
	v_mov_b32_e32 v17, 0
	v_mov_b32_e32 v18, 0
	s_delay_alu instid0(VALU_DEP_1)
	v_dual_mov_b32 v20, v18 :: v_dual_mov_b32 v19, v17
	s_and_saveexec_b32 s11, s5
	s_cbranch_execz .LBB181_72
; %bb.68:                               ;   in Loop: Header=BB181_57 Depth=1
	v_mov_b32_e32 v1, v13
	v_dual_mov_b32 v3, 0 :: v_dual_mov_b32 v2, v14
	s_mov_b32 s20, s25
.LBB181_69:                             ;   Parent Loop BB181_57 Depth=1
                                        ; =>  This Inner Loop Header: Depth=2
	global_load_b128 v[17:20], v[1:2], off
	v_add_co_u32 v1, s4, v1, s6
	s_delay_alu instid0(VALU_DEP_1) | instskip(SKIP_1) | instid1(SALU_CYCLE_1)
	v_add_co_ci_u32_e64 v2, s4, s7, v2, s4
	s_add_i32 s20, s20, -1
	s_cmp_eq_u32 s20, 0
	s_waitcnt vmcnt(0)
	scratch_store_b128 v3, v[17:20], off
	v_add_nc_u32_e32 v3, 16, v3
	s_cbranch_scc0 .LBB181_69
; %bb.70:                               ;   in Loop: Header=BB181_57 Depth=1
	v_mov_b32_e32 v17, 0
	v_dual_mov_b32 v18, 0 :: v_dual_mov_b32 v1, v15
	v_dual_mov_b32 v3, v43 :: v_dual_mov_b32 v2, v16
	s_mov_b32 s20, s25
	s_delay_alu instid0(VALU_DEP_2)
	v_dual_mov_b32 v20, v18 :: v_dual_mov_b32 v19, v17
	.p2align	6
.LBB181_71:                             ;   Parent Loop BB181_57 Depth=1
                                        ; =>  This Inner Loop Header: Depth=2
	global_load_b128 v[32:35], v[1:2], off offset:-8
	scratch_load_b128 v[36:39], v3, off offset:-8
	v_add_co_u32 v1, s4, v1, 16
	v_add_nc_u32_e32 v3, 16, v3
	v_add_co_ci_u32_e64 v2, s4, 0, v2, s4
	s_add_i32 s20, s20, -1
	s_delay_alu instid0(SALU_CYCLE_1) | instskip(SKIP_3) | instid1(VALU_DEP_2)
	s_cmp_lg_u32 s20, 0
	s_waitcnt vmcnt(0)
	v_mul_f64 v[23:24], v[34:35], v[38:39]
	v_mul_f64 v[34:35], v[34:35], v[36:37]
	v_fma_f64 v[23:24], v[32:33], v[36:37], v[23:24]
	s_delay_alu instid0(VALU_DEP_2) | instskip(NEXT) | instid1(VALU_DEP_2)
	v_fma_f64 v[32:33], v[32:33], v[38:39], -v[34:35]
	v_add_f64 v[17:18], v[17:18], v[23:24]
	s_delay_alu instid0(VALU_DEP_2)
	v_add_f64 v[19:20], v[19:20], v[32:33]
	s_cbranch_scc1 .LBB181_71
.LBB181_72:                             ;   in Loop: Header=BB181_57 Depth=1
	s_or_b32 exec_lo, exec_lo, s11
	s_delay_alu instid0(SALU_CYCLE_1)
	s_or_b32 exec_lo, exec_lo, s10
	s_and_saveexec_b32 s4, s0
	s_cbranch_execnz .LBB181_60
	s_branch .LBB181_61
.LBB181_73:                             ;   in Loop: Header=BB181_57 Depth=1
	ds_load_b128 v[1:4], v26
	s_or_b32 exec_lo, exec_lo, s4
	s_and_saveexec_b32 s4, s0
	s_cbranch_execz .LBB181_65
.LBB181_74:                             ;   in Loop: Header=BB181_57 Depth=1
	s_waitcnt lgkmcnt(0)
	ds_bpermute_b32 v17, v29, v1
	ds_bpermute_b32 v18, v29, v2
	ds_bpermute_b32 v19, v29, v3
	ds_bpermute_b32 v20, v29, v4
	s_waitcnt lgkmcnt(2)
	v_add_f64 v[1:2], v[1:2], v[17:18]
	s_waitcnt lgkmcnt(0)
	v_add_f64 v[3:4], v[3:4], v[19:20]
	ds_bpermute_b32 v17, v30, v1
	ds_bpermute_b32 v18, v30, v2
	ds_bpermute_b32 v19, v30, v3
	ds_bpermute_b32 v20, v30, v4
	s_waitcnt lgkmcnt(2)
	v_add_f64 v[1:2], v[1:2], v[17:18]
	s_waitcnt lgkmcnt(0)
	v_add_f64 v[3:4], v[3:4], v[19:20]
	ds_bpermute_b32 v17, v31, v1
	ds_bpermute_b32 v18, v31, v2
	ds_bpermute_b32 v19, v31, v3
	ds_bpermute_b32 v20, v31, v4
	s_waitcnt lgkmcnt(2)
	v_add_f64 v[1:2], v[1:2], v[17:18]
	s_waitcnt lgkmcnt(0)
	v_add_f64 v[3:4], v[3:4], v[19:20]
	s_or_b32 exec_lo, exec_lo, s4
	s_and_saveexec_b32 s4, s3
	s_cbranch_execz .LBB181_56
.LBB181_75:                             ;   in Loop: Header=BB181_57 Depth=1
	s_waitcnt lgkmcnt(0)
	s_delay_alu instid0(VALU_DEP_1) | instskip(SKIP_3) | instid1(SALU_CYCLE_1)
	v_mul_f64 v[17:18], s[18:19], v[3:4]
	v_mul_f64 v[3:4], s[16:17], v[3:4]
	s_mul_hi_u32 s11, s15, s24
	s_mul_i32 s10, s15, s24
	s_lshl_b64 s[10:11], s[10:11], 4
	s_delay_alu instid0(SALU_CYCLE_1) | instskip(SKIP_1) | instid1(VALU_DEP_2)
	s_add_u32 s10, s12, s10
	s_addc_u32 s11, s14, s11
	v_fma_f64 v[17:18], s[16:17], v[1:2], -v[17:18]
	s_delay_alu instid0(VALU_DEP_2)
	v_fma_f64 v[19:20], s[18:19], v[1:2], v[3:4]
	global_store_b128 v0, v[17:20], s[10:11]
	s_branch .LBB181_56
.LBB181_76:
	s_nop 0
	s_sendmsg sendmsg(MSG_DEALLOC_VGPRS)
	s_endpgm
	.section	.rodata,"a",@progbits
	.p2align	6, 0x0
	.amdhsa_kernel _ZL23rocblas_gemvt_sn_kernelILb1ELi256ELi4El19rocblas_complex_numIdEPKS1_S1_EviiT4_lPKT3_lilS7_lilPT5_i
		.amdhsa_group_segment_fixed_size 512
		.amdhsa_private_segment_fixed_size 80
		.amdhsa_kernarg_size 360
		.amdhsa_user_sgpr_count 14
		.amdhsa_user_sgpr_dispatch_ptr 0
		.amdhsa_user_sgpr_queue_ptr 0
		.amdhsa_user_sgpr_kernarg_segment_ptr 1
		.amdhsa_user_sgpr_dispatch_id 0
		.amdhsa_user_sgpr_private_segment_size 0
		.amdhsa_wavefront_size32 1
		.amdhsa_uses_dynamic_stack 0
		.amdhsa_enable_private_segment 1
		.amdhsa_system_sgpr_workgroup_id_x 1
		.amdhsa_system_sgpr_workgroup_id_y 0
		.amdhsa_system_sgpr_workgroup_id_z 1
		.amdhsa_system_sgpr_workgroup_info 0
		.amdhsa_system_vgpr_workitem_id 0
		.amdhsa_next_free_vgpr 132
		.amdhsa_next_free_sgpr 61
		.amdhsa_reserve_vcc 1
		.amdhsa_float_round_mode_32 0
		.amdhsa_float_round_mode_16_64 0
		.amdhsa_float_denorm_mode_32 3
		.amdhsa_float_denorm_mode_16_64 3
		.amdhsa_dx10_clamp 1
		.amdhsa_ieee_mode 1
		.amdhsa_fp16_overflow 0
		.amdhsa_workgroup_processor_mode 1
		.amdhsa_memory_ordered 1
		.amdhsa_forward_progress 0
		.amdhsa_shared_vgpr_count 0
		.amdhsa_exception_fp_ieee_invalid_op 0
		.amdhsa_exception_fp_denorm_src 0
		.amdhsa_exception_fp_ieee_div_zero 0
		.amdhsa_exception_fp_ieee_overflow 0
		.amdhsa_exception_fp_ieee_underflow 0
		.amdhsa_exception_fp_ieee_inexact 0
		.amdhsa_exception_int_div_zero 0
	.end_amdhsa_kernel
	.section	.text._ZL23rocblas_gemvt_sn_kernelILb1ELi256ELi4El19rocblas_complex_numIdEPKS1_S1_EviiT4_lPKT3_lilS7_lilPT5_i,"axG",@progbits,_ZL23rocblas_gemvt_sn_kernelILb1ELi256ELi4El19rocblas_complex_numIdEPKS1_S1_EviiT4_lPKT3_lilS7_lilPT5_i,comdat
.Lfunc_end181:
	.size	_ZL23rocblas_gemvt_sn_kernelILb1ELi256ELi4El19rocblas_complex_numIdEPKS1_S1_EviiT4_lPKT3_lilS7_lilPT5_i, .Lfunc_end181-_ZL23rocblas_gemvt_sn_kernelILb1ELi256ELi4El19rocblas_complex_numIdEPKS1_S1_EviiT4_lPKT3_lilS7_lilPT5_i
                                        ; -- End function
	.section	.AMDGPU.csdata,"",@progbits
; Kernel info:
; codeLenInByte = 7676
; NumSgprs: 63
; NumVgprs: 132
; ScratchSize: 80
; MemoryBound: 0
; FloatMode: 240
; IeeeMode: 1
; LDSByteSize: 512 bytes/workgroup (compile time only)
; SGPRBlocks: 7
; VGPRBlocks: 16
; NumSGPRsForWavesPerEU: 63
; NumVGPRsForWavesPerEU: 132
; Occupancy: 10
; WaveLimiterHint : 1
; COMPUTE_PGM_RSRC2:SCRATCH_EN: 1
; COMPUTE_PGM_RSRC2:USER_SGPR: 14
; COMPUTE_PGM_RSRC2:TRAP_HANDLER: 0
; COMPUTE_PGM_RSRC2:TGID_X_EN: 1
; COMPUTE_PGM_RSRC2:TGID_Y_EN: 0
; COMPUTE_PGM_RSRC2:TGID_Z_EN: 1
; COMPUTE_PGM_RSRC2:TIDIG_COMP_CNT: 0
	.section	.text._ZL23rocblas_gemvt_sn_kernelILb1ELi256ELi4Ei19rocblas_complex_numIdES1_S1_EviiT4_lPKT3_lilS5_lilPT5_i,"axG",@progbits,_ZL23rocblas_gemvt_sn_kernelILb1ELi256ELi4Ei19rocblas_complex_numIdES1_S1_EviiT4_lPKT3_lilS5_lilPT5_i,comdat
	.globl	_ZL23rocblas_gemvt_sn_kernelILb1ELi256ELi4Ei19rocblas_complex_numIdES1_S1_EviiT4_lPKT3_lilS5_lilPT5_i ; -- Begin function _ZL23rocblas_gemvt_sn_kernelILb1ELi256ELi4Ei19rocblas_complex_numIdES1_S1_EviiT4_lPKT3_lilS5_lilPT5_i
	.p2align	8
	.type	_ZL23rocblas_gemvt_sn_kernelILb1ELi256ELi4Ei19rocblas_complex_numIdES1_S1_EviiT4_lPKT3_lilS5_lilPT5_i,@function
_ZL23rocblas_gemvt_sn_kernelILb1ELi256ELi4Ei19rocblas_complex_numIdES1_S1_EviiT4_lPKT3_lilS5_lilPT5_i: ; @_ZL23rocblas_gemvt_sn_kernelILb1ELi256ELi4Ei19rocblas_complex_numIdES1_S1_EviiT4_lPKT3_lilS5_lilPT5_i
; %bb.0:
	s_clause 0x3
	s_load_b128 s[8:11], s[0:1], 0x8
	s_load_b64 s[12:13], s[0:1], 0x0
	s_load_b32 s24, s[0:1], 0x70
	s_load_b128 s[4:7], s[0:1], 0x58
	s_mov_b32 s25, 0
	s_waitcnt lgkmcnt(0)
	s_ashr_i32 s28, s13, 31
	v_cmp_neq_f64_e64 s2, s[8:9], 0
	v_cmp_neq_f64_e64 s3, s[10:11], 0
	s_mul_hi_u32 s16, s13, s15
	s_mul_i32 s18, s28, s15
	s_mul_i32 s17, s13, s15
	s_add_i32 s16, s16, s18
	s_mul_hi_u32 s19, s17, s24
	s_mul_i32 s16, s16, s24
	s_mul_i32 s26, s17, s24
	s_add_i32 s27, s19, s16
	s_delay_alu instid0(VALU_DEP_1)
	s_or_b32 s2, s2, s3
	s_mov_b32 s3, -1
	s_and_b32 vcc_lo, exec_lo, s2
	v_cmp_eq_u32_e64 s2, 0, v0
	s_cbranch_vccnz .LBB182_5
; %bb.1:
	s_cmp_gt_i32 s13, 0
	s_cselect_b32 s3, -1, 0
	s_delay_alu instid0(VALU_DEP_1) | instid1(SALU_CYCLE_1)
	s_and_b32 s2, s2, s3
	s_delay_alu instid0(SALU_CYCLE_1)
	s_and_saveexec_b32 s18, s2
	s_cbranch_execz .LBB182_4
; %bb.2:
	s_mov_b32 s2, s15
	s_mov_b32 s15, 0
	v_mov_b32_e32 v1, 0
	s_lshl_b64 s[16:17], s[26:27], 4
	s_lshl_b64 s[20:21], s[14:15], 4
	s_mov_b32 s15, s2
	s_add_u32 s2, s16, s20
	s_addc_u32 s3, s17, s21
	s_add_u32 s2, s2, s6
	v_mov_b32_e32 v2, v1
	v_mov_b32_e32 v3, v1
	;; [unrolled: 1-line block ×3, first 2 shown]
	s_addc_u32 s3, s3, s7
	s_add_u32 s2, s2, 8
	s_addc_u32 s3, s3, 0
	s_lshl_b64 s[16:17], s[24:25], 4
	s_mov_b32 s19, s13
.LBB182_3:                              ; =>This Inner Loop Header: Depth=1
	s_delay_alu instid0(SALU_CYCLE_1)
	s_add_i32 s19, s19, -1
	global_store_b128 v1, v[1:4], s[2:3] offset:-8
	s_add_u32 s2, s2, s16
	s_addc_u32 s3, s3, s17
	s_cmp_eq_u32 s19, 0
	s_cbranch_scc0 .LBB182_3
.LBB182_4:
	s_or_b32 exec_lo, exec_lo, s18
	s_mov_b32 s3, 0
.LBB182_5:
	s_delay_alu instid0(SALU_CYCLE_1)
	s_and_not1_b32 vcc_lo, exec_lo, s3
	s_cbranch_vccnz .LBB182_76
; %bb.6:
	s_clause 0x4
	s_load_b128 s[20:23], s[0:1], 0x38
	s_load_b64 s[2:3], s[0:1], 0x48
	s_load_b128 s[16:19], s[0:1], 0x20
	s_load_b32 s25, s[0:1], 0x30
	s_load_b32 s33, s[0:1], 0x50
	s_mul_i32 s1, s15, s5
	s_mul_hi_u32 s5, s15, s4
	s_mul_i32 s0, s15, s4
	s_add_i32 s1, s5, s1
	v_and_b32_e32 v22, 31, v0
	s_lshl_b64 s[4:5], s[0:1], 4
	v_cmp_gt_u32_e64 s0, 32, v0
	v_mbcnt_lo_u32_b32 v42, -1, 0
	v_lshrrev_b32_e32 v43, 1, v0
	v_add_nc_u32_e64 v36, 0, 16
	v_add_nc_u32_e64 v37, 0, 32
	;; [unrolled: 1-line block ×3, first 2 shown]
	v_or_b32_e64 v41, 0, 8
	s_waitcnt lgkmcnt(0)
	s_add_u32 s1, s22, s4
	s_addc_u32 s4, s23, s5
	s_lshl_b64 s[2:3], s[2:3], 4
	s_mul_i32 s21, s15, s21
	s_add_u32 s34, s1, s2
	s_addc_u32 s35, s4, s3
	s_lshl_b64 s[2:3], s[26:27], 4
	s_mul_hi_u32 s5, s15, s20
	s_add_u32 s38, s6, s2
	s_mul_i32 s4, s15, s20
	s_addc_u32 s39, s7, s3
	s_add_i32 s5, s5, s21
	v_cmp_gt_u32_e64 s1, 8, v0
	s_lshl_b64 s[6:7], s[4:5], 4
	s_delay_alu instid0(SALU_CYCLE_1) | instskip(SKIP_2) | instid1(SALU_CYCLE_1)
	s_add_u32 s2, s16, s6
	s_addc_u32 s3, s17, s7
	s_lshl_b64 s[18:19], s[18:19], 4
	s_add_u32 s2, s2, s18
	s_addc_u32 s3, s3, s19
	s_lshl_b32 s4, s14, 10
	s_lshr_b32 s5, s28, 30
	v_lshl_or_b32 v1, v0, 2, s4
	s_ashr_i32 s4, s12, 31
	s_add_i32 s5, s13, s5
	s_lshr_b32 s4, s4, 30
	s_and_b32 s15, s5, -4
	v_ashrrev_i32_e32 v2, 31, v1
	s_add_i32 s4, s12, s4
	v_mul_lo_u32 v21, v1, s33
	s_and_b32 s4, s4, -4
	v_add_nc_u32_e32 v44, 4, v1
	v_lshlrev_b64 v[23:24], 4, v[1:2]
	s_sub_i32 s36, s12, s4
	s_cmp_lt_i32 s15, 1
	v_add_nc_u32_e32 v45, s36, v1
	s_delay_alu instid0(VALU_DEP_2) | instskip(NEXT) | instid1(VALU_DEP_3)
	v_add_co_u32 v38, vcc_lo, s2, v23
	v_add_co_ci_u32_e32 v39, vcc_lo, s3, v24, vcc_lo
	s_cbranch_scc1 .LBB182_53
; %bb.7:
	v_cmp_gt_u32_e32 vcc_lo, 16, v42
	v_mul_lo_u32 v25, v1, s33
	s_cmp_gt_i32 s36, 0
	v_cmp_ge_i32_e64 s2, s12, v44
	s_cselect_b32 s40, -1, 0
	v_cndmask_b32_e64 v2, 0, 1, vcc_lo
	v_cmp_gt_u32_e32 vcc_lo, 24, v42
	s_lshl_b32 s41, s25, 2
	s_lshl_b32 s42, s25, 1
	v_ashrrev_i32_e32 v26, 31, v25
	v_lshlrev_b32_e32 v2, 4, v2
	v_cndmask_b32_e64 v3, 0, 1, vcc_lo
	v_cmp_gt_u32_e32 vcc_lo, 28, v42
	s_add_u32 s20, s6, s18
	s_addc_u32 s22, s7, s19
	v_add_lshl_u32 v46, v2, v42, 2
	v_lshlrev_b32_e32 v2, 3, v3
	v_cndmask_b32_e64 v4, 0, 1, vcc_lo
	v_cmp_gt_u32_e32 vcc_lo, 30, v42
	s_add_u32 s20, s16, s20
	s_addc_u32 s22, s17, s22
	v_add_lshl_u32 v47, v2, v42, 2
	v_lshlrev_b32_e32 v3, 2, v4
	v_cndmask_b32_e64 v5, 0, 1, vcc_lo
	v_cmp_ne_u32_e32 vcc_lo, 31, v42
	v_cmp_ge_i32_e64 s3, s12, v45
	v_cmp_eq_u32_e64 s4, 0, v22
	v_add_lshl_u32 v48, v3, v42, 2
	v_lshlrev_b32_e32 v1, 1, v5
	v_add_co_ci_u32_e32 v4, vcc_lo, 0, v42, vcc_lo
	v_lshlrev_b64 v[5:6], 4, v[25:26]
	v_lshlrev_b32_e32 v51, 4, v22
	s_delay_alu instid0(VALU_DEP_4) | instskip(SKIP_4) | instid1(VALU_DEP_4)
	v_add_lshl_u32 v49, v1, v42, 2
	v_add_nc_u32_e32 v1, s33, v25
	v_lshlrev_b32_e32 v50, 2, v4
	v_and_b32_e32 v52, 0x70, v43
	v_add_co_u32 v26, vcc_lo, s34, v5
	v_add_nc_u32_e32 v3, s33, v1
	v_ashrrev_i32_e32 v2, 31, v1
	v_add_co_ci_u32_e32 v27, vcc_lo, s35, v6, vcc_lo
	v_cmp_eq_u32_e64 s5, 0, v0
	s_delay_alu instid0(VALU_DEP_4) | instskip(NEXT) | instid1(VALU_DEP_4)
	v_add_nc_u32_e32 v7, s33, v3
	v_lshlrev_b64 v[1:2], 4, v[1:2]
	v_ashrrev_i32_e32 v4, 31, v3
	v_or_b32_e64 v53, 0, 8
	s_mov_b32 s21, 0
	v_ashrrev_i32_e32 v8, 31, v7
	s_mul_i32 s43, s25, 3
	v_lshlrev_b64 v[3:4], 4, v[3:4]
	v_add_co_u32 v28, vcc_lo, s34, v1
	v_add_co_ci_u32_e32 v29, vcc_lo, s35, v2, vcc_lo
	v_lshlrev_b64 v[1:2], 4, v[7:8]
	s_delay_alu instid0(VALU_DEP_4) | instskip(SKIP_2) | instid1(VALU_DEP_3)
	v_add_co_u32 v30, vcc_lo, s34, v3
	v_add_co_ci_u32_e32 v31, vcc_lo, s35, v4, vcc_lo
	s_mov_b32 s44, s25
	v_add_co_u32 v32, vcc_lo, s34, v1
	s_delay_alu instid0(VALU_DEP_4) | instskip(SKIP_3) | instid1(VALU_DEP_2)
	v_add_co_ci_u32_e32 v33, vcc_lo, s35, v2, vcc_lo
	v_add_co_u32 v1, vcc_lo, s20, v23
	v_add_co_ci_u32_e32 v2, vcc_lo, s22, v24, vcc_lo
	s_mov_b32 s22, s21
	v_add_co_u32 v54, vcc_lo, v1, 8
	v_mov_b32_e32 v1, 0
	s_delay_alu instid0(VALU_DEP_3)
	v_add_co_ci_u32_e32 v55, vcc_lo, 0, v2, vcc_lo
	s_mov_b32 s37, 0
	s_branch .LBB182_9
.LBB182_8:                              ;   in Loop: Header=BB182_9 Depth=1
	s_or_b32 exec_lo, exec_lo, s23
	s_add_i32 s37, s37, 4
	s_add_i32 s44, s44, s41
	;; [unrolled: 1-line block ×5, first 2 shown]
	s_cmp_ge_i32 s37, s15
	s_cbranch_scc1 .LBB182_54
.LBB182_9:                              ; =>This Loop Header: Depth=1
                                        ;     Child Loop BB182_40 Depth 2
                                        ;     Child Loop BB182_42 Depth 2
                                        ; implicit-def: $vgpr17_vgpr18
                                        ; implicit-def: $vgpr19_vgpr20
                                        ; implicit-def: $vgpr13_vgpr14
                                        ; implicit-def: $vgpr15_vgpr16
                                        ; implicit-def: $vgpr9_vgpr10
                                        ; implicit-def: $vgpr11_vgpr12
                                        ; implicit-def: $vgpr7_vgpr8
                                        ; implicit-def: $vgpr5_vgpr6
	s_and_saveexec_b32 s20, s2
	s_delay_alu instid0(SALU_CYCLE_1)
	s_xor_b32 s20, exec_lo, s20
	s_cbranch_execnz .LBB182_36
; %bb.10:                               ;   in Loop: Header=BB182_9 Depth=1
	s_and_not1_saveexec_b32 s20, s20
	s_cbranch_execnz .LBB182_37
.LBB182_11:                             ;   in Loop: Header=BB182_9 Depth=1
	s_or_b32 exec_lo, exec_lo, s20
	s_and_saveexec_b32 s20, s0
	s_cbranch_execz .LBB182_13
.LBB182_12:                             ;   in Loop: Header=BB182_9 Depth=1
	v_mov_b32_e32 v2, v1
	v_mov_b32_e32 v3, v1
	;; [unrolled: 1-line block ×3, first 2 shown]
	ds_store_b128 v51, v[1:4]
.LBB182_13:                             ;   in Loop: Header=BB182_9 Depth=1
	s_or_b32 exec_lo, exec_lo, s20
	ds_bpermute_b32 v2, v46, v7
	ds_bpermute_b32 v3, v46, v8
	;; [unrolled: 1-line block ×4, first 2 shown]
	s_waitcnt lgkmcnt(0)
	s_waitcnt_vscnt null, 0x0
	s_barrier
	buffer_gl0_inv
	v_add_f64 v[2:3], v[7:8], v[2:3]
	v_add_f64 v[4:5], v[5:6], v[34:35]
	ds_bpermute_b32 v6, v47, v2
	ds_bpermute_b32 v7, v47, v3
	ds_bpermute_b32 v34, v47, v4
	ds_bpermute_b32 v35, v47, v5
	s_waitcnt lgkmcnt(2)
	v_add_f64 v[2:3], v[2:3], v[6:7]
	s_waitcnt lgkmcnt(0)
	v_add_f64 v[4:5], v[4:5], v[34:35]
	ds_bpermute_b32 v6, v48, v2
	ds_bpermute_b32 v7, v48, v3
	ds_bpermute_b32 v34, v48, v4
	ds_bpermute_b32 v35, v48, v5
	s_waitcnt lgkmcnt(2)
	v_add_f64 v[2:3], v[2:3], v[6:7]
	s_waitcnt lgkmcnt(0)
	;; [unrolled: 8-line block ×3, first 2 shown]
	v_add_f64 v[6:7], v[4:5], v[34:35]
	ds_bpermute_b32 v4, v50, v2
	ds_bpermute_b32 v5, v50, v3
	;; [unrolled: 1-line block ×4, first 2 shown]
	s_and_saveexec_b32 s20, s4
	s_cbranch_execz .LBB182_15
; %bb.14:                               ;   in Loop: Header=BB182_9 Depth=1
	s_waitcnt lgkmcnt(0)
	v_add_f64 v[6:7], v[6:7], v[34:35]
	v_add_f64 v[4:5], v[2:3], v[4:5]
	ds_store_b128 v52, v[4:7]
.LBB182_15:                             ;   in Loop: Header=BB182_9 Depth=1
	s_or_b32 exec_lo, exec_lo, s20
	v_mov_b32_e32 v7, 0
	v_mov_b32_e32 v8, 0
	s_waitcnt lgkmcnt(2)
	s_delay_alu instid0(VALU_DEP_2)
	v_mov_b32_e32 v5, v7
	s_waitcnt lgkmcnt(0)
	s_barrier
	buffer_gl0_inv
	v_mov_b32_e32 v6, v8
	s_and_saveexec_b32 s20, s1
	s_cbranch_execnz .LBB182_44
; %bb.16:                               ;   in Loop: Header=BB182_9 Depth=1
	s_or_b32 exec_lo, exec_lo, s20
	s_and_saveexec_b32 s20, s0
	s_cbranch_execnz .LBB182_45
.LBB182_17:                             ;   in Loop: Header=BB182_9 Depth=1
	s_or_b32 exec_lo, exec_lo, s20
	s_and_saveexec_b32 s20, s0
	s_cbranch_execz .LBB182_19
.LBB182_18:                             ;   in Loop: Header=BB182_9 Depth=1
	v_mov_b32_e32 v2, v1
	v_mov_b32_e32 v3, v1
	;; [unrolled: 1-line block ×3, first 2 shown]
	ds_store_b128 v51, v[1:4]
.LBB182_19:                             ;   in Loop: Header=BB182_9 Depth=1
	s_or_b32 exec_lo, exec_lo, s20
	ds_bpermute_b32 v2, v46, v9
	ds_bpermute_b32 v3, v46, v10
	;; [unrolled: 1-line block ×4, first 2 shown]
	s_waitcnt lgkmcnt(0)
	s_barrier
	buffer_gl0_inv
	v_add_f64 v[2:3], v[9:10], v[2:3]
	v_add_f64 v[9:10], v[11:12], v[34:35]
	ds_bpermute_b32 v11, v47, v2
	ds_bpermute_b32 v12, v47, v3
	ds_bpermute_b32 v34, v47, v9
	ds_bpermute_b32 v35, v47, v10
	s_waitcnt lgkmcnt(2)
	v_add_f64 v[2:3], v[2:3], v[11:12]
	s_waitcnt lgkmcnt(0)
	v_add_f64 v[9:10], v[9:10], v[34:35]
	ds_bpermute_b32 v11, v48, v2
	ds_bpermute_b32 v12, v48, v3
	ds_bpermute_b32 v34, v48, v9
	ds_bpermute_b32 v35, v48, v10
	s_waitcnt lgkmcnt(2)
	v_add_f64 v[2:3], v[2:3], v[11:12]
	s_waitcnt lgkmcnt(0)
	;; [unrolled: 8-line block ×3, first 2 shown]
	v_add_f64 v[11:12], v[9:10], v[34:35]
	ds_bpermute_b32 v9, v50, v2
	ds_bpermute_b32 v10, v50, v3
	;; [unrolled: 1-line block ×4, first 2 shown]
	s_and_saveexec_b32 s20, s4
	s_cbranch_execz .LBB182_21
; %bb.20:                               ;   in Loop: Header=BB182_9 Depth=1
	s_waitcnt lgkmcnt(0)
	v_add_f64 v[11:12], v[11:12], v[34:35]
	v_add_f64 v[9:10], v[2:3], v[9:10]
	ds_store_b128 v52, v[9:12]
.LBB182_21:                             ;   in Loop: Header=BB182_9 Depth=1
	s_or_b32 exec_lo, exec_lo, s20
	v_mov_b32_e32 v11, 0
	v_mov_b32_e32 v12, 0
	s_waitcnt lgkmcnt(2)
	s_delay_alu instid0(VALU_DEP_2)
	v_mov_b32_e32 v9, v11
	s_waitcnt lgkmcnt(0)
	s_barrier
	buffer_gl0_inv
	v_mov_b32_e32 v10, v12
	s_and_saveexec_b32 s20, s1
	s_cbranch_execnz .LBB182_46
; %bb.22:                               ;   in Loop: Header=BB182_9 Depth=1
	s_or_b32 exec_lo, exec_lo, s20
	s_and_saveexec_b32 s20, s0
	s_cbranch_execnz .LBB182_47
.LBB182_23:                             ;   in Loop: Header=BB182_9 Depth=1
	s_or_b32 exec_lo, exec_lo, s20
	s_and_saveexec_b32 s20, s0
	s_cbranch_execz .LBB182_25
.LBB182_24:                             ;   in Loop: Header=BB182_9 Depth=1
	v_mov_b32_e32 v2, v1
	v_mov_b32_e32 v3, v1
	;; [unrolled: 1-line block ×3, first 2 shown]
	ds_store_b128 v51, v[1:4]
.LBB182_25:                             ;   in Loop: Header=BB182_9 Depth=1
	s_or_b32 exec_lo, exec_lo, s20
	ds_bpermute_b32 v2, v46, v13
	ds_bpermute_b32 v3, v46, v14
	;; [unrolled: 1-line block ×4, first 2 shown]
	s_waitcnt lgkmcnt(0)
	s_barrier
	buffer_gl0_inv
	v_add_f64 v[2:3], v[13:14], v[2:3]
	v_add_f64 v[13:14], v[15:16], v[34:35]
	ds_bpermute_b32 v15, v47, v2
	ds_bpermute_b32 v16, v47, v3
	ds_bpermute_b32 v34, v47, v13
	ds_bpermute_b32 v35, v47, v14
	s_waitcnt lgkmcnt(2)
	v_add_f64 v[2:3], v[2:3], v[15:16]
	s_waitcnt lgkmcnt(0)
	v_add_f64 v[13:14], v[13:14], v[34:35]
	ds_bpermute_b32 v15, v48, v2
	ds_bpermute_b32 v16, v48, v3
	ds_bpermute_b32 v34, v48, v13
	ds_bpermute_b32 v35, v48, v14
	s_waitcnt lgkmcnt(2)
	v_add_f64 v[2:3], v[2:3], v[15:16]
	s_waitcnt lgkmcnt(0)
	;; [unrolled: 8-line block ×3, first 2 shown]
	v_add_f64 v[15:16], v[13:14], v[34:35]
	ds_bpermute_b32 v13, v50, v2
	ds_bpermute_b32 v14, v50, v3
	ds_bpermute_b32 v34, v50, v15
	ds_bpermute_b32 v35, v50, v16
	s_and_saveexec_b32 s20, s4
	s_cbranch_execz .LBB182_27
; %bb.26:                               ;   in Loop: Header=BB182_9 Depth=1
	s_waitcnt lgkmcnt(0)
	v_add_f64 v[15:16], v[15:16], v[34:35]
	v_add_f64 v[13:14], v[2:3], v[13:14]
	ds_store_b128 v52, v[13:16]
.LBB182_27:                             ;   in Loop: Header=BB182_9 Depth=1
	s_or_b32 exec_lo, exec_lo, s20
	v_mov_b32_e32 v15, 0
	v_mov_b32_e32 v16, 0
	s_waitcnt lgkmcnt(2)
	s_delay_alu instid0(VALU_DEP_2)
	v_mov_b32_e32 v13, v15
	s_waitcnt lgkmcnt(0)
	s_barrier
	buffer_gl0_inv
	v_mov_b32_e32 v14, v16
	s_and_saveexec_b32 s20, s1
	s_cbranch_execnz .LBB182_48
; %bb.28:                               ;   in Loop: Header=BB182_9 Depth=1
	s_or_b32 exec_lo, exec_lo, s20
	s_and_saveexec_b32 s20, s0
	s_cbranch_execnz .LBB182_49
.LBB182_29:                             ;   in Loop: Header=BB182_9 Depth=1
	s_or_b32 exec_lo, exec_lo, s20
	s_and_saveexec_b32 s20, s0
	s_cbranch_execz .LBB182_31
.LBB182_30:                             ;   in Loop: Header=BB182_9 Depth=1
	v_mov_b32_e32 v2, v1
	v_mov_b32_e32 v3, v1
	;; [unrolled: 1-line block ×3, first 2 shown]
	ds_store_b128 v51, v[1:4]
.LBB182_31:                             ;   in Loop: Header=BB182_9 Depth=1
	s_or_b32 exec_lo, exec_lo, s20
	ds_bpermute_b32 v2, v46, v17
	ds_bpermute_b32 v3, v46, v18
	;; [unrolled: 1-line block ×4, first 2 shown]
	s_waitcnt lgkmcnt(0)
	s_barrier
	buffer_gl0_inv
	v_add_f64 v[2:3], v[17:18], v[2:3]
	v_add_f64 v[17:18], v[19:20], v[34:35]
	ds_bpermute_b32 v19, v47, v2
	ds_bpermute_b32 v20, v47, v3
	ds_bpermute_b32 v34, v47, v17
	ds_bpermute_b32 v35, v47, v18
	s_waitcnt lgkmcnt(2)
	v_add_f64 v[2:3], v[2:3], v[19:20]
	s_waitcnt lgkmcnt(0)
	v_add_f64 v[17:18], v[17:18], v[34:35]
	ds_bpermute_b32 v19, v48, v2
	ds_bpermute_b32 v20, v48, v3
	ds_bpermute_b32 v34, v48, v17
	ds_bpermute_b32 v35, v48, v18
	s_waitcnt lgkmcnt(2)
	v_add_f64 v[2:3], v[2:3], v[19:20]
	s_waitcnt lgkmcnt(0)
	;; [unrolled: 8-line block ×3, first 2 shown]
	v_add_f64 v[19:20], v[17:18], v[34:35]
	ds_bpermute_b32 v17, v50, v2
	ds_bpermute_b32 v18, v50, v3
	;; [unrolled: 1-line block ×4, first 2 shown]
	s_and_saveexec_b32 s20, s4
	s_cbranch_execz .LBB182_33
; %bb.32:                               ;   in Loop: Header=BB182_9 Depth=1
	s_waitcnt lgkmcnt(0)
	v_add_f64 v[19:20], v[19:20], v[34:35]
	v_add_f64 v[17:18], v[2:3], v[17:18]
	ds_store_b128 v52, v[17:20]
.LBB182_33:                             ;   in Loop: Header=BB182_9 Depth=1
	s_or_b32 exec_lo, exec_lo, s20
	v_mov_b32_e32 v19, 0
	v_mov_b32_e32 v20, 0
	s_waitcnt lgkmcnt(2)
	s_delay_alu instid0(VALU_DEP_2)
	v_mov_b32_e32 v17, v19
	s_waitcnt lgkmcnt(0)
	s_barrier
	buffer_gl0_inv
	v_mov_b32_e32 v18, v20
	s_and_saveexec_b32 s20, s1
	s_cbranch_execnz .LBB182_50
; %bb.34:                               ;   in Loop: Header=BB182_9 Depth=1
	s_or_b32 exec_lo, exec_lo, s20
	s_and_saveexec_b32 s20, s0
	s_cbranch_execnz .LBB182_51
.LBB182_35:                             ;   in Loop: Header=BB182_9 Depth=1
	s_or_b32 exec_lo, exec_lo, s20
	s_and_saveexec_b32 s23, s5
	s_cbranch_execz .LBB182_8
	s_branch .LBB182_52
.LBB182_36:                             ;   in Loop: Header=BB182_9 Depth=1
	s_clause 0x2
	global_load_b128 v[2:5], v[28:29], off
	global_load_b128 v[6:9], v[30:31], off
	;; [unrolled: 1-line block ×3, first 2 shown]
	s_mul_i32 s26, s37, s25
	global_load_b128 v[56:59], v[26:27], off
	s_ashr_i32 s27, s26, 31
	s_add_i32 s28, s26, s25
	s_lshl_b64 s[26:27], s[26:27], 4
	s_ashr_i32 s29, s28, 31
	s_waitcnt lgkmcnt(0)
	v_add_co_u32 v18, vcc_lo, v38, s26
	s_add_i32 s30, s28, s25
	v_add_co_ci_u32_e32 v19, vcc_lo, s27, v39, vcc_lo
	s_lshl_b64 s[26:27], s[28:29], 4
	s_ashr_i32 s31, s30, 31
	s_add_i32 s28, s30, s25
	v_add_co_u32 v34, vcc_lo, v38, s26
	s_lshl_b64 s[30:31], s[30:31], 4
	v_add_co_ci_u32_e32 v35, vcc_lo, s27, v39, vcc_lo
	s_ashr_i32 s29, s28, 31
	v_add_co_u32 v112, vcc_lo, v38, s30
	s_lshl_b64 s[26:27], s[28:29], 4
	v_add_co_ci_u32_e32 v113, vcc_lo, s31, v39, vcc_lo
	v_add_co_u32 v116, vcc_lo, v38, s26
	v_add_co_ci_u32_e32 v117, vcc_lo, s27, v39, vcc_lo
	s_clause 0x4
	global_load_b128 v[14:17], v[18:19], off
	global_load_b128 v[60:63], v[34:35], off
	;; [unrolled: 1-line block ×4, first 2 shown]
	global_load_b128 v[72:75], v[18:19], off offset:16
	s_waitcnt vmcnt(8)
	scratch_store_b128 v36, v[2:5], off
	scratch_load_b128 v[2:5], off, off offset:16
	s_clause 0x2
	global_load_b128 v[76:79], v[34:35], off offset:16
	global_load_b128 v[80:83], v[112:113], off offset:16
	;; [unrolled: 1-line block ×3, first 2 shown]
	s_waitcnt vmcnt(11)
	scratch_store_b128 v37, v[6:9], off
	scratch_load_b128 v[6:9], off, off offset:32
	s_clause 0x4
	global_load_b128 v[88:91], v[18:19], off offset:32
	global_load_b128 v[92:95], v[34:35], off offset:32
	global_load_b128 v[96:99], v[112:113], off offset:32
	global_load_b128 v[100:103], v[116:117], off offset:32
	global_load_b128 v[104:107], v[18:19], off offset:48
	s_waitcnt vmcnt(16)
	scratch_store_b128 v40, v[10:13], off
	scratch_load_b128 v[10:13], off, off offset:48
	s_clause 0x2
	global_load_b128 v[108:111], v[34:35], off offset:48
	global_load_b128 v[112:115], v[112:113], off offset:48
	;; [unrolled: 1-line block ×3, first 2 shown]
	s_waitcnt vmcnt(19)
	scratch_store_b128 off, v[56:59], off
	s_waitcnt vmcnt(18)
	v_mul_f64 v[18:19], v[58:59], v[16:17]
	v_mul_f64 v[16:17], v[56:57], v[16:17]
	s_waitcnt vmcnt(17)
	v_mul_f64 v[34:35], v[58:59], v[62:63]
	v_mul_f64 v[62:63], v[56:57], v[62:63]
	;; [unrolled: 3-line block ×4, first 2 shown]
	v_fma_f64 v[18:19], v[56:57], v[14:15], v[18:19]
	v_fma_f64 v[14:15], v[58:59], v[14:15], -v[16:17]
	v_fma_f64 v[34:35], v[56:57], v[60:61], v[34:35]
	v_fma_f64 v[60:61], v[58:59], v[60:61], -v[62:63]
	;; [unrolled: 2-line block ×4, first 2 shown]
	v_add_f64 v[18:19], v[18:19], 0
	v_add_f64 v[14:15], v[14:15], 0
	;; [unrolled: 1-line block ×7, first 2 shown]
	s_waitcnt vmcnt(13)
	v_mul_f64 v[16:17], v[4:5], v[74:75]
	v_mul_f64 v[74:75], v[2:3], v[74:75]
	s_waitcnt vmcnt(12)
	v_mul_f64 v[124:125], v[4:5], v[78:79]
	v_mul_f64 v[78:79], v[2:3], v[78:79]
	;; [unrolled: 3-line block ×5, first 2 shown]
	s_waitcnt vmcnt(7)
	v_mul_f64 v[126:127], v[8:9], v[94:95]
	v_fma_f64 v[16:17], v[2:3], v[72:73], v[16:17]
	v_fma_f64 v[72:73], v[4:5], v[72:73], -v[74:75]
	v_mul_f64 v[74:75], v[6:7], v[94:95]
	s_waitcnt vmcnt(6)
	v_mul_f64 v[94:95], v[8:9], v[98:99]
	v_fma_f64 v[124:125], v[2:3], v[76:77], v[124:125]
	v_fma_f64 v[76:77], v[4:5], v[76:77], -v[78:79]
	v_mul_f64 v[78:79], v[6:7], v[98:99]
	;; [unrolled: 5-line block ×3, first 2 shown]
	v_add_f64 v[102:103], v[120:121], 0
	v_fma_f64 v[2:3], v[2:3], v[84:85], v[70:71]
	v_fma_f64 v[4:5], v[4:5], v[84:85], -v[86:87]
	s_waitcnt vmcnt(3)
	v_mul_f64 v[70:71], v[12:13], v[106:107]
	v_mul_f64 v[84:85], v[10:11], v[106:107]
	s_waitcnt vmcnt(2)
	v_mul_f64 v[86:87], v[12:13], v[110:111]
	v_mul_f64 v[106:107], v[10:11], v[110:111]
	s_waitcnt vmcnt(1)
	v_mul_f64 v[110:111], v[12:13], v[114:115]
	v_fma_f64 v[120:121], v[6:7], v[88:89], v[122:123]
	v_fma_f64 v[88:89], v[8:9], v[88:89], -v[90:91]
	v_mul_f64 v[90:91], v[10:11], v[114:115]
	s_waitcnt vmcnt(0)
	v_mul_f64 v[114:115], v[12:13], v[118:119]
	v_fma_f64 v[122:123], v[6:7], v[92:93], v[126:127]
	v_add_f64 v[16:17], v[18:19], v[16:17]
	v_add_f64 v[14:15], v[14:15], v[72:73]
	v_fma_f64 v[74:75], v[8:9], v[92:93], -v[74:75]
	v_mul_f64 v[92:93], v[10:11], v[118:119]
	v_fma_f64 v[94:95], v[6:7], v[96:97], v[94:95]
	v_add_f64 v[18:19], v[34:35], v[124:125]
	v_fma_f64 v[78:79], v[8:9], v[96:97], -v[78:79]
	v_fma_f64 v[6:7], v[6:7], v[100:101], v[98:99]
	v_add_f64 v[34:35], v[60:61], v[76:77]
	v_fma_f64 v[8:9], v[8:9], v[100:101], -v[82:83]
	v_add_f64 v[60:61], v[102:103], v[62:63]
	v_add_f64 v[62:63], v[64:65], v[80:81]
	;; [unrolled: 1-line block ×4, first 2 shown]
	v_fma_f64 v[64:65], v[10:11], v[104:105], v[70:71]
	v_fma_f64 v[66:67], v[12:13], v[104:105], -v[84:85]
	v_fma_f64 v[68:69], v[10:11], v[108:109], v[86:87]
	v_fma_f64 v[70:71], v[12:13], v[108:109], -v[106:107]
	v_fma_f64 v[72:73], v[10:11], v[112:113], v[110:111]
	v_fma_f64 v[76:77], v[12:13], v[112:113], -v[90:91]
	v_fma_f64 v[80:81], v[10:11], v[116:117], v[114:115]
	v_add_f64 v[10:11], v[16:17], v[120:121]
	v_fma_f64 v[82:83], v[12:13], v[116:117], -v[92:93]
	v_add_f64 v[12:13], v[14:15], v[88:89]
	v_add_f64 v[14:15], v[18:19], v[122:123]
	;; [unrolled: 1-line block ×15, first 2 shown]
	s_and_not1_saveexec_b32 s20, s20
	s_cbranch_execz .LBB182_11
.LBB182_37:                             ;   in Loop: Header=BB182_9 Depth=1
	s_waitcnt lgkmcnt(0)
	v_mov_b32_e32 v17, 0
	v_mov_b32_e32 v18, 0
	s_delay_alu instid0(VALU_DEP_2) | instskip(SKIP_2) | instid1(VALU_DEP_4)
	v_mov_b32_e32 v13, v17
	v_mov_b32_e32 v15, v17
	;; [unrolled: 1-line block ×3, first 2 shown]
	v_dual_mov_b32 v11, v17 :: v_dual_mov_b32 v12, v18
	v_dual_mov_b32 v20, v18 :: v_dual_mov_b32 v19, v17
	v_mov_b32_e32 v14, v18
	v_mov_b32_e32 v16, v18
	v_dual_mov_b32 v10, v18 :: v_dual_mov_b32 v7, v17
	v_dual_mov_b32 v8, v18 :: v_dual_mov_b32 v5, v17
	v_mov_b32_e32 v6, v18
	s_and_saveexec_b32 s45, s3
	s_cbranch_execz .LBB182_43
; %bb.38:                               ;   in Loop: Header=BB182_9 Depth=1
	v_mov_b32_e32 v17, 0
	v_mov_b32_e32 v18, 0
	s_delay_alu instid0(VALU_DEP_2) | instskip(SKIP_2) | instid1(VALU_DEP_4)
	v_mov_b32_e32 v13, v17
	v_mov_b32_e32 v15, v17
	;; [unrolled: 1-line block ×3, first 2 shown]
	v_dual_mov_b32 v11, v17 :: v_dual_mov_b32 v12, v18
	v_dual_mov_b32 v20, v18 :: v_dual_mov_b32 v19, v17
	v_mov_b32_e32 v14, v18
	v_mov_b32_e32 v16, v18
	v_dual_mov_b32 v10, v18 :: v_dual_mov_b32 v7, v17
	v_dual_mov_b32 v8, v18 :: v_dual_mov_b32 v5, v17
	v_mov_b32_e32 v6, v18
	s_and_not1_b32 vcc_lo, exec_lo, s40
	s_cbranch_vccnz .LBB182_43
; %bb.39:                               ;   in Loop: Header=BB182_9 Depth=1
	v_mov_b32_e32 v4, 0
	v_mov_b32_e32 v2, v25
	s_mov_b32 s23, s36
.LBB182_40:                             ;   Parent Loop BB182_9 Depth=1
                                        ; =>  This Inner Loop Header: Depth=2
	s_delay_alu instid0(VALU_DEP_1) | instskip(SKIP_1) | instid1(SALU_CYCLE_1)
	v_ashrrev_i32_e32 v3, 31, v2
	s_add_i32 s23, s23, -1
	s_cmp_eq_u32 s23, 0
	s_delay_alu instid0(VALU_DEP_1) | instskip(SKIP_1) | instid1(VALU_DEP_2)
	v_lshlrev_b64 v[5:6], 4, v[2:3]
	v_add_nc_u32_e32 v2, s33, v2
	v_add_co_u32 v5, vcc_lo, s34, v5
	s_delay_alu instid0(VALU_DEP_3)
	v_add_co_ci_u32_e32 v6, vcc_lo, s35, v6, vcc_lo
	global_load_b128 v[5:8], v[5:6], off
	s_waitcnt vmcnt(0)
	scratch_store_b128 v4, v[5:8], off
	v_add_nc_u32_e32 v4, 16, v4
	s_cbranch_scc0 .LBB182_40
; %bb.41:                               ;   in Loop: Header=BB182_9 Depth=1
	s_ashr_i32 s23, s22, 31
	v_dual_mov_b32 v5, 0 :: v_dual_mov_b32 v4, v53
	v_mov_b32_e32 v6, 0
	s_lshl_b64 s[26:27], s[22:23], 4
	s_mov_b32 s28, s42
	v_add_co_u32 v2, vcc_lo, v54, s26
	v_add_co_ci_u32_e32 v3, vcc_lo, s27, v55, vcc_lo
	v_dual_mov_b32 v8, v6 :: v_dual_mov_b32 v7, v5
	v_dual_mov_b32 v12, v6 :: v_dual_mov_b32 v11, v5
	;; [unrolled: 1-line block ×7, first 2 shown]
	s_mov_b32 s26, s43
	s_mov_b32 s30, s44
	;; [unrolled: 1-line block ×3, first 2 shown]
.LBB182_42:                             ;   Parent Loop BB182_9 Depth=1
                                        ; =>  This Inner Loop Header: Depth=2
	s_ashr_i32 s31, s30, 31
	s_ashr_i32 s29, s28, 31
	s_lshl_b64 s[46:47], s[30:31], 4
	s_lshl_b64 s[48:49], s[28:29], 4
	v_add_co_u32 v34, vcc_lo, v38, s46
	s_ashr_i32 s27, s26, 31
	v_add_co_ci_u32_e32 v35, vcc_lo, s47, v39, vcc_lo
	v_add_co_u32 v68, vcc_lo, v38, s48
	s_lshl_b64 s[50:51], s[26:27], 4
	v_add_co_ci_u32_e32 v69, vcc_lo, s49, v39, vcc_lo
	v_add_co_u32 v72, vcc_lo, v38, s50
	v_add_co_ci_u32_e32 v73, vcc_lo, s51, v39, vcc_lo
	scratch_load_b128 v[56:59], v4, off offset:-8
	global_load_b128 v[60:63], v[2:3], off offset:-8
	s_clause 0x2
	global_load_b128 v[64:67], v[34:35], off
	global_load_b128 v[68:71], v[68:69], off
	;; [unrolled: 1-line block ×3, first 2 shown]
	v_add_co_u32 v2, vcc_lo, v2, 16
	v_add_nc_u32_e32 v4, 16, v4
	v_add_co_ci_u32_e32 v3, vcc_lo, 0, v3, vcc_lo
	s_add_i32 s23, s23, -1
	s_add_i32 s30, s30, 1
	s_add_i32 s28, s28, 1
	;; [unrolled: 1-line block ×3, first 2 shown]
	s_cmp_lg_u32 s23, 0
	s_waitcnt vmcnt(2)
	v_mul_f64 v[76:77], v[58:59], v[66:67]
	v_mul_f64 v[34:35], v[58:59], v[62:63]
	;; [unrolled: 1-line block ×4, first 2 shown]
	s_waitcnt vmcnt(1)
	v_mul_f64 v[78:79], v[58:59], v[70:71]
	v_mul_f64 v[70:71], v[56:57], v[70:71]
	s_waitcnt vmcnt(0)
	v_mul_f64 v[80:81], v[58:59], v[74:75]
	v_mul_f64 v[74:75], v[56:57], v[74:75]
	v_fma_f64 v[34:35], v[56:57], v[60:61], v[34:35]
	v_fma_f64 v[60:61], v[58:59], v[60:61], -v[62:63]
	v_fma_f64 v[62:63], v[56:57], v[64:65], v[76:77]
	v_fma_f64 v[64:65], v[58:59], v[64:65], -v[66:67]
	;; [unrolled: 2-line block ×4, first 2 shown]
	v_add_f64 v[7:8], v[7:8], v[34:35]
	v_add_f64 v[5:6], v[5:6], v[60:61]
	;; [unrolled: 1-line block ×8, first 2 shown]
	s_cbranch_scc1 .LBB182_42
.LBB182_43:                             ;   in Loop: Header=BB182_9 Depth=1
	s_or_b32 exec_lo, exec_lo, s45
	s_delay_alu instid0(SALU_CYCLE_1)
	s_or_b32 exec_lo, exec_lo, s20
	s_and_saveexec_b32 s20, s0
	s_cbranch_execnz .LBB182_12
	s_branch .LBB182_13
.LBB182_44:                             ;   in Loop: Header=BB182_9 Depth=1
	ds_load_b128 v[5:8], v51
	s_or_b32 exec_lo, exec_lo, s20
	s_and_saveexec_b32 s20, s0
	s_cbranch_execz .LBB182_17
.LBB182_45:                             ;   in Loop: Header=BB182_9 Depth=1
	s_waitcnt lgkmcnt(0)
	ds_bpermute_b32 v2, v48, v5
	ds_bpermute_b32 v3, v48, v6
	ds_bpermute_b32 v34, v48, v7
	ds_bpermute_b32 v35, v48, v8
	s_waitcnt lgkmcnt(2)
	v_add_f64 v[2:3], v[5:6], v[2:3]
	s_waitcnt lgkmcnt(0)
	v_add_f64 v[4:5], v[7:8], v[34:35]
	ds_bpermute_b32 v6, v49, v2
	ds_bpermute_b32 v7, v49, v3
	ds_bpermute_b32 v34, v49, v4
	ds_bpermute_b32 v35, v49, v5
	s_waitcnt lgkmcnt(2)
	v_add_f64 v[2:3], v[2:3], v[6:7]
	s_waitcnt lgkmcnt(0)
	v_add_f64 v[7:8], v[4:5], v[34:35]
	;; [unrolled: 8-line block ×3, first 2 shown]
	s_or_b32 exec_lo, exec_lo, s20
	s_and_saveexec_b32 s20, s0
	s_cbranch_execnz .LBB182_18
	s_branch .LBB182_19
.LBB182_46:                             ;   in Loop: Header=BB182_9 Depth=1
	ds_load_b128 v[9:12], v51
	s_or_b32 exec_lo, exec_lo, s20
	s_and_saveexec_b32 s20, s0
	s_cbranch_execz .LBB182_23
.LBB182_47:                             ;   in Loop: Header=BB182_9 Depth=1
	s_waitcnt lgkmcnt(0)
	ds_bpermute_b32 v2, v48, v9
	ds_bpermute_b32 v3, v48, v10
	ds_bpermute_b32 v34, v48, v11
	ds_bpermute_b32 v35, v48, v12
	s_waitcnt lgkmcnt(2)
	v_add_f64 v[2:3], v[9:10], v[2:3]
	s_waitcnt lgkmcnt(0)
	v_add_f64 v[9:10], v[11:12], v[34:35]
	ds_bpermute_b32 v11, v49, v2
	ds_bpermute_b32 v12, v49, v3
	ds_bpermute_b32 v34, v49, v9
	ds_bpermute_b32 v35, v49, v10
	s_waitcnt lgkmcnt(2)
	v_add_f64 v[2:3], v[2:3], v[11:12]
	s_waitcnt lgkmcnt(0)
	v_add_f64 v[11:12], v[9:10], v[34:35]
	;; [unrolled: 8-line block ×3, first 2 shown]
	s_or_b32 exec_lo, exec_lo, s20
	s_and_saveexec_b32 s20, s0
	s_cbranch_execnz .LBB182_24
	s_branch .LBB182_25
.LBB182_48:                             ;   in Loop: Header=BB182_9 Depth=1
	ds_load_b128 v[13:16], v51
	s_or_b32 exec_lo, exec_lo, s20
	s_and_saveexec_b32 s20, s0
	s_cbranch_execz .LBB182_29
.LBB182_49:                             ;   in Loop: Header=BB182_9 Depth=1
	s_waitcnt lgkmcnt(0)
	ds_bpermute_b32 v2, v48, v13
	ds_bpermute_b32 v3, v48, v14
	ds_bpermute_b32 v34, v48, v15
	ds_bpermute_b32 v35, v48, v16
	s_waitcnt lgkmcnt(2)
	v_add_f64 v[2:3], v[13:14], v[2:3]
	s_waitcnt lgkmcnt(0)
	v_add_f64 v[13:14], v[15:16], v[34:35]
	ds_bpermute_b32 v15, v49, v2
	ds_bpermute_b32 v16, v49, v3
	ds_bpermute_b32 v34, v49, v13
	ds_bpermute_b32 v35, v49, v14
	s_waitcnt lgkmcnt(2)
	v_add_f64 v[2:3], v[2:3], v[15:16]
	s_waitcnt lgkmcnt(0)
	v_add_f64 v[15:16], v[13:14], v[34:35]
	;; [unrolled: 8-line block ×3, first 2 shown]
	s_or_b32 exec_lo, exec_lo, s20
	s_and_saveexec_b32 s20, s0
	s_cbranch_execnz .LBB182_30
	s_branch .LBB182_31
.LBB182_50:                             ;   in Loop: Header=BB182_9 Depth=1
	ds_load_b128 v[17:20], v51
	s_or_b32 exec_lo, exec_lo, s20
	s_and_saveexec_b32 s20, s0
	s_cbranch_execz .LBB182_35
.LBB182_51:                             ;   in Loop: Header=BB182_9 Depth=1
	s_waitcnt lgkmcnt(0)
	ds_bpermute_b32 v2, v48, v17
	ds_bpermute_b32 v3, v48, v18
	ds_bpermute_b32 v34, v48, v19
	ds_bpermute_b32 v35, v48, v20
	s_waitcnt lgkmcnt(2)
	v_add_f64 v[2:3], v[17:18], v[2:3]
	s_waitcnt lgkmcnt(0)
	v_add_f64 v[17:18], v[19:20], v[34:35]
	ds_bpermute_b32 v19, v49, v2
	ds_bpermute_b32 v20, v49, v3
	ds_bpermute_b32 v34, v49, v17
	ds_bpermute_b32 v35, v49, v18
	s_waitcnt lgkmcnt(2)
	v_add_f64 v[2:3], v[2:3], v[19:20]
	s_waitcnt lgkmcnt(0)
	v_add_f64 v[19:20], v[17:18], v[34:35]
	ds_bpermute_b32 v17, v50, v2
	ds_bpermute_b32 v18, v50, v3
	ds_bpermute_b32 v34, v50, v19
	ds_bpermute_b32 v35, v50, v20
	s_waitcnt lgkmcnt(2)
	v_add_f64 v[17:18], v[2:3], v[17:18]
	s_waitcnt lgkmcnt(0)
	v_add_f64 v[19:20], v[19:20], v[34:35]
	s_or_b32 exec_lo, exec_lo, s20
	s_and_saveexec_b32 s23, s5
	s_cbranch_execz .LBB182_8
.LBB182_52:                             ;   in Loop: Header=BB182_9 Depth=1
	v_mul_f64 v[2:3], s[10:11], v[7:8]
	v_mul_f64 v[7:8], s[8:9], v[7:8]
	;; [unrolled: 1-line block ×6, first 2 shown]
	s_waitcnt lgkmcnt(0)
	v_mul_f64 v[58:59], s[10:11], v[19:20]
	v_mul_f64 v[19:20], s[8:9], v[19:20]
	s_mul_i32 s20, s37, s24
	s_delay_alu instid0(SALU_CYCLE_1) | instskip(NEXT) | instid1(SALU_CYCLE_1)
	s_add_i32 s20, s20, s14
	s_lshl_b64 s[26:27], s[20:21], 4
	s_delay_alu instid0(SALU_CYCLE_1) | instskip(SKIP_2) | instid1(SALU_CYCLE_1)
	s_add_u32 s26, s38, s26
	s_addc_u32 s27, s39, s27
	s_add_i32 s20, s20, s24
	s_lshl_b64 s[28:29], s[20:21], 4
	s_delay_alu instid0(SALU_CYCLE_1) | instskip(SKIP_2) | instid1(SALU_CYCLE_1)
	s_add_u32 s28, s38, s28
	s_addc_u32 s29, s39, s29
	;; [unrolled: 5-line block ×3, first 2 shown]
	s_add_i32 s20, s20, s24
	s_lshl_b64 s[46:47], s[20:21], 4
	s_delay_alu instid0(SALU_CYCLE_1)
	s_add_u32 s46, s38, s46
	s_addc_u32 s47, s39, s47
	v_fma_f64 v[2:3], s[8:9], v[5:6], -v[2:3]
	v_fma_f64 v[4:5], s[10:11], v[5:6], v[7:8]
	v_fma_f64 v[6:7], s[8:9], v[9:10], -v[34:35]
	v_fma_f64 v[8:9], s[10:11], v[9:10], v[11:12]
	;; [unrolled: 2-line block ×4, first 2 shown]
	s_clause 0x3
	global_store_b128 v1, v[2:5], s[26:27]
	global_store_b128 v1, v[6:9], s[28:29]
	;; [unrolled: 1-line block ×4, first 2 shown]
	s_branch .LBB182_8
.LBB182_53:
	s_mov_b32 s37, 0
.LBB182_54:
	s_delay_alu instid0(SALU_CYCLE_1)
	s_cmp_ge_i32 s37, s13
	s_cbranch_scc1 .LBB182_76
; %bb.55:
	v_cmp_gt_u32_e64 s1, 16, v42
	s_waitcnt lgkmcnt(0)
	v_lshlrev_b32_e32 v17, 4, v22
	v_cmp_gt_u32_e64 s0, 32, v0
	v_cmp_gt_u32_e64 s2, 8, v0
	v_cmp_eq_u32_e64 s3, 0, v0
	v_cndmask_b32_e64 v1, 0, 1, s1
	v_cmp_gt_u32_e64 s1, 24, v42
	v_cmp_ge_i32_e64 s4, s12, v45
	s_cmp_gt_i32 s36, 0
	s_mov_b32 s15, 0
	v_lshlrev_b32_e32 v1, 4, v1
	v_cndmask_b32_e64 v2, 0, 1, s1
	v_cmp_gt_u32_e64 s1, 28, v42
	s_cselect_b32 s20, -1, 0
	s_lshl_b64 s[14:15], s[14:15], 4
	v_add_lshl_u32 v18, v1, v42, 2
	v_lshlrev_b32_e32 v2, 3, v2
	v_cndmask_b32_e64 v3, 0, 1, s1
	v_cmp_gt_u32_e64 s1, 30, v42
	v_add_nc_u32_e32 v1, s33, v21
	v_cmp_ge_i32_e32 vcc_lo, s12, v44
	v_add_lshl_u32 v19, v2, v42, 2
	v_lshlrev_b32_e32 v3, 2, v3
	v_cndmask_b32_e64 v4, 0, 1, s1
	v_cmp_ne_u32_e64 s1, 31, v42
	v_ashrrev_i32_e32 v2, 31, v1
	v_add_nc_u32_e32 v0, s33, v1
	v_add_lshl_u32 v20, v3, v42, 2
	v_lshlrev_b32_e32 v4, 1, v4
	v_add_co_ci_u32_e64 v5, s1, 0, v42, s1
	v_cmp_eq_u32_e64 s1, 0, v22
	v_ashrrev_i32_e32 v22, 31, v21
	s_delay_alu instid0(VALU_DEP_4)
	v_add_lshl_u32 v25, v4, v42, 2
	v_lshlrev_b64 v[7:8], 4, v[1:2]
	v_ashrrev_i32_e32 v1, 31, v0
	v_lshlrev_b32_e32 v26, 2, v5
	v_lshlrev_b64 v[3:4], 4, v[21:22]
	s_add_u32 s12, s38, s14
	s_addc_u32 s14, s39, s15
	v_lshlrev_b64 v[1:2], 4, v[0:1]
	v_and_b32_e32 v27, 0x70, v43
	s_delay_alu instid0(VALU_DEP_3) | instskip(SKIP_3) | instid1(VALU_DEP_1)
	v_add_co_u32 v5, s5, s34, v3
	v_add_nc_u32_e32 v3, s33, v0
	v_add_co_ci_u32_e64 v6, s5, s35, v4, s5
	v_add_co_u32 v7, s5, s34, v7
	v_add_co_ci_u32_e64 v8, s5, s35, v8, s5
	s_delay_alu instid0(VALU_DEP_4) | instskip(SKIP_1) | instid1(VALU_DEP_1)
	v_ashrrev_i32_e32 v4, 31, v3
	v_add_co_u32 v9, s5, s34, v1
	v_add_co_ci_u32_e64 v10, s5, s35, v2, s5
	s_and_b32 s5, s20, s4
	s_add_u32 s4, s6, s18
	v_lshlrev_b64 v[0:1], 4, v[3:4]
	s_addc_u32 s6, s7, s19
	s_add_u32 s4, s16, s4
	s_addc_u32 s6, s17, s6
	v_add_co_u32 v2, s4, s4, v23
	s_delay_alu instid0(VALU_DEP_1) | instskip(SKIP_4) | instid1(VALU_DEP_1)
	v_add_co_ci_u32_e64 v3, s4, s6, v24, s4
	v_add_co_u32 v11, s4, s34, v0
	v_mov_b32_e32 v0, 0
	v_add_co_ci_u32_e64 v12, s4, s35, v1, s4
	v_add_co_u32 v22, s4, v2, 8
	v_add_co_ci_u32_e64 v23, s4, 0, v3, s4
	s_mul_i32 s6, s37, s25
	s_branch .LBB182_57
.LBB182_56:                             ;   in Loop: Header=BB182_57 Depth=1
	s_or_b32 exec_lo, exec_lo, s4
	s_add_i32 s37, s37, 1
	s_add_i32 s6, s6, s25
	s_cmp_lt_i32 s37, s13
	s_cbranch_scc0 .LBB182_76
.LBB182_57:                             ; =>This Loop Header: Depth=1
                                        ;     Child Loop BB182_69 Depth 2
                                        ;     Child Loop BB182_71 Depth 2
                                        ; implicit-def: $vgpr13_vgpr14
                                        ; implicit-def: $vgpr15_vgpr16
	s_and_saveexec_b32 s4, vcc_lo
	s_delay_alu instid0(SALU_CYCLE_1)
	s_xor_b32 s7, exec_lo, s4
	s_cbranch_execnz .LBB182_66
; %bb.58:                               ;   in Loop: Header=BB182_57 Depth=1
	s_and_not1_saveexec_b32 s15, s7
	s_cbranch_execnz .LBB182_67
.LBB182_59:                             ;   in Loop: Header=BB182_57 Depth=1
	s_or_b32 exec_lo, exec_lo, s15
	s_and_saveexec_b32 s4, s0
	s_cbranch_execz .LBB182_61
.LBB182_60:                             ;   in Loop: Header=BB182_57 Depth=1
	s_waitcnt lgkmcnt(0)
	v_mov_b32_e32 v1, v0
	v_mov_b32_e32 v2, v0
	;; [unrolled: 1-line block ×3, first 2 shown]
	ds_store_b128 v17, v[0:3]
.LBB182_61:                             ;   in Loop: Header=BB182_57 Depth=1
	s_or_b32 exec_lo, exec_lo, s4
	s_waitcnt lgkmcnt(0)
	ds_bpermute_b32 v1, v18, v13
	ds_bpermute_b32 v2, v18, v14
	ds_bpermute_b32 v3, v18, v15
	ds_bpermute_b32 v4, v18, v16
	s_waitcnt lgkmcnt(0)
	s_waitcnt_vscnt null, 0x0
	s_barrier
	buffer_gl0_inv
	v_add_f64 v[1:2], v[13:14], v[1:2]
	v_add_f64 v[3:4], v[15:16], v[3:4]
	ds_bpermute_b32 v13, v19, v1
	ds_bpermute_b32 v14, v19, v2
	ds_bpermute_b32 v15, v19, v3
	ds_bpermute_b32 v16, v19, v4
	s_waitcnt lgkmcnt(2)
	v_add_f64 v[1:2], v[1:2], v[13:14]
	s_waitcnt lgkmcnt(0)
	v_add_f64 v[3:4], v[3:4], v[15:16]
	ds_bpermute_b32 v13, v20, v1
	ds_bpermute_b32 v14, v20, v2
	ds_bpermute_b32 v15, v20, v3
	ds_bpermute_b32 v16, v20, v4
	s_waitcnt lgkmcnt(2)
	v_add_f64 v[1:2], v[1:2], v[13:14]
	s_waitcnt lgkmcnt(0)
	;; [unrolled: 8-line block ×3, first 2 shown]
	v_add_f64 v[13:14], v[3:4], v[15:16]
	ds_bpermute_b32 v3, v26, v1
	ds_bpermute_b32 v4, v26, v2
	;; [unrolled: 1-line block ×4, first 2 shown]
	s_and_saveexec_b32 s4, s1
	s_cbranch_execz .LBB182_63
; %bb.62:                               ;   in Loop: Header=BB182_57 Depth=1
	s_waitcnt lgkmcnt(0)
	v_add_f64 v[15:16], v[13:14], v[15:16]
	v_add_f64 v[13:14], v[1:2], v[3:4]
	ds_store_b128 v27, v[13:16]
.LBB182_63:                             ;   in Loop: Header=BB182_57 Depth=1
	s_or_b32 exec_lo, exec_lo, s4
	s_waitcnt lgkmcnt(2)
	v_mov_b32_e32 v3, 0
	v_mov_b32_e32 v4, 0
	s_delay_alu instid0(VALU_DEP_2)
	v_mov_b32_e32 v1, v3
	s_waitcnt lgkmcnt(0)
	s_barrier
	buffer_gl0_inv
	v_mov_b32_e32 v2, v4
	s_and_saveexec_b32 s4, s2
	s_cbranch_execnz .LBB182_73
; %bb.64:                               ;   in Loop: Header=BB182_57 Depth=1
	s_or_b32 exec_lo, exec_lo, s4
	s_and_saveexec_b32 s4, s0
	s_cbranch_execnz .LBB182_74
.LBB182_65:                             ;   in Loop: Header=BB182_57 Depth=1
	s_or_b32 exec_lo, exec_lo, s4
	s_and_saveexec_b32 s4, s3
	s_cbranch_execz .LBB182_56
	s_branch .LBB182_75
.LBB182_66:                             ;   in Loop: Header=BB182_57 Depth=1
	s_waitcnt lgkmcnt(0)
	s_clause 0x2
	global_load_b128 v[1:4], v[7:8], off
	global_load_b128 v[13:16], v[9:10], off
	;; [unrolled: 1-line block ×3, first 2 shown]
	s_mul_i32 s16, s37, s25
	s_delay_alu instid0(SALU_CYCLE_1) | instskip(NEXT) | instid1(SALU_CYCLE_1)
	s_ashr_i32 s17, s16, 31
	s_lshl_b64 s[16:17], s[16:17], 4
	s_delay_alu instid0(SALU_CYCLE_1) | instskip(NEXT) | instid1(VALU_DEP_1)
	v_add_co_u32 v54, s4, v38, s16
	v_add_co_ci_u32_e64 v55, s4, s17, v39, s4
	global_load_b128 v[32:35], v[5:6], off
	s_clause 0x1
	global_load_b128 v[42:45], v[54:55], off
	global_load_b128 v[46:49], v[54:55], off offset:16
	s_waitcnt vmcnt(5)
	scratch_store_b128 v36, v[1:4], off
	scratch_load_b128 v[1:4], off, off offset:16
	global_load_b128 v[50:53], v[54:55], off offset:32
	s_waitcnt vmcnt(6)
	scratch_store_b128 v37, v[13:16], off
	scratch_load_b128 v[13:16], off, off offset:32
	;; [unrolled: 4-line block ×3, first 2 shown]
	s_waitcnt vmcnt(7)
	scratch_store_b128 off, v[32:35], off
	s_waitcnt vmcnt(6)
	v_mul_f64 v[58:59], v[44:45], v[34:35]
	v_mul_f64 v[44:45], v[44:45], v[32:33]
	s_delay_alu instid0(VALU_DEP_2) | instskip(NEXT) | instid1(VALU_DEP_2)
	v_fma_f64 v[58:59], v[42:43], v[32:33], v[58:59]
	v_fma_f64 v[42:43], v[42:43], v[34:35], -v[44:45]
	s_delay_alu instid0(VALU_DEP_2) | instskip(NEXT) | instid1(VALU_DEP_2)
	v_add_f64 v[58:59], v[58:59], 0
	v_add_f64 v[42:43], v[42:43], 0
	s_waitcnt vmcnt(4)
	v_mul_f64 v[44:45], v[48:49], v[3:4]
	v_mul_f64 v[48:49], v[48:49], v[1:2]
	s_waitcnt vmcnt(2)
	v_mul_f64 v[60:61], v[52:53], v[15:16]
	v_mul_f64 v[52:53], v[52:53], v[13:14]
	s_delay_alu instid0(VALU_DEP_4) | instskip(NEXT) | instid1(VALU_DEP_4)
	v_fma_f64 v[1:2], v[46:47], v[1:2], v[44:45]
	v_fma_f64 v[3:4], v[46:47], v[3:4], -v[48:49]
	s_waitcnt vmcnt(0)
	v_mul_f64 v[44:45], v[56:57], v[30:31]
	v_mul_f64 v[46:47], v[56:57], v[28:29]
	v_fma_f64 v[13:14], v[50:51], v[13:14], v[60:61]
	v_fma_f64 v[15:16], v[50:51], v[15:16], -v[52:53]
	v_add_f64 v[1:2], v[58:59], v[1:2]
	v_add_f64 v[3:4], v[42:43], v[3:4]
	v_fma_f64 v[28:29], v[54:55], v[28:29], v[44:45]
	v_fma_f64 v[30:31], v[54:55], v[30:31], -v[46:47]
	s_delay_alu instid0(VALU_DEP_4) | instskip(NEXT) | instid1(VALU_DEP_4)
	v_add_f64 v[1:2], v[1:2], v[13:14]
	v_add_f64 v[3:4], v[3:4], v[15:16]
	s_delay_alu instid0(VALU_DEP_2) | instskip(NEXT) | instid1(VALU_DEP_2)
	v_add_f64 v[13:14], v[1:2], v[28:29]
	v_add_f64 v[15:16], v[3:4], v[30:31]
	s_and_not1_saveexec_b32 s15, s7
	s_cbranch_execz .LBB182_59
.LBB182_67:                             ;   in Loop: Header=BB182_57 Depth=1
	v_mov_b32_e32 v13, 0
	v_mov_b32_e32 v14, 0
	s_delay_alu instid0(VALU_DEP_1)
	v_dual_mov_b32 v16, v14 :: v_dual_mov_b32 v15, v13
	s_and_saveexec_b32 s16, s5
	s_cbranch_execz .LBB182_72
; %bb.68:                               ;   in Loop: Header=BB182_57 Depth=1
	s_waitcnt lgkmcnt(0)
	v_mov_b32_e32 v3, 0
	v_mov_b32_e32 v1, v21
	s_mov_b32 s7, s36
.LBB182_69:                             ;   Parent Loop BB182_57 Depth=1
                                        ; =>  This Inner Loop Header: Depth=2
	s_delay_alu instid0(VALU_DEP_1) | instskip(SKIP_1) | instid1(SALU_CYCLE_1)
	v_ashrrev_i32_e32 v2, 31, v1
	s_add_i32 s7, s7, -1
	s_cmp_eq_u32 s7, 0
	s_delay_alu instid0(VALU_DEP_1) | instskip(SKIP_1) | instid1(VALU_DEP_2)
	v_lshlrev_b64 v[13:14], 4, v[1:2]
	v_add_nc_u32_e32 v1, s33, v1
	v_add_co_u32 v13, s4, s34, v13
	s_delay_alu instid0(VALU_DEP_1)
	v_add_co_ci_u32_e64 v14, s4, s35, v14, s4
	global_load_b128 v[13:16], v[13:14], off
	s_waitcnt vmcnt(0)
	scratch_store_b128 v3, v[13:16], off
	v_add_nc_u32_e32 v3, 16, v3
	s_cbranch_scc0 .LBB182_69
; %bb.70:                               ;   in Loop: Header=BB182_57 Depth=1
	s_ashr_i32 s7, s6, 31
	v_mov_b32_e32 v13, 0
	v_dual_mov_b32 v14, 0 :: v_dual_mov_b32 v3, v41
	s_lshl_b64 s[18:19], s[6:7], 4
	s_mov_b32 s7, s36
	v_add_co_u32 v1, s4, v22, s18
	s_delay_alu instid0(VALU_DEP_1)
	v_add_co_ci_u32_e64 v2, s4, s19, v23, s4
	v_dual_mov_b32 v16, v14 :: v_dual_mov_b32 v15, v13
	.p2align	6
.LBB182_71:                             ;   Parent Loop BB182_57 Depth=1
                                        ; =>  This Inner Loop Header: Depth=2
	global_load_b128 v[28:31], v[1:2], off offset:-8
	scratch_load_b128 v[32:35], v3, off offset:-8
	v_add_co_u32 v1, s4, v1, 16
	v_add_nc_u32_e32 v3, 16, v3
	v_add_co_ci_u32_e64 v2, s4, 0, v2, s4
	s_add_i32 s7, s7, -1
	s_delay_alu instid0(SALU_CYCLE_1) | instskip(SKIP_3) | instid1(VALU_DEP_2)
	s_cmp_lg_u32 s7, 0
	s_waitcnt vmcnt(0)
	v_mul_f64 v[42:43], v[30:31], v[34:35]
	v_mul_f64 v[30:31], v[30:31], v[32:33]
	v_fma_f64 v[32:33], v[28:29], v[32:33], v[42:43]
	s_delay_alu instid0(VALU_DEP_2) | instskip(NEXT) | instid1(VALU_DEP_2)
	v_fma_f64 v[28:29], v[28:29], v[34:35], -v[30:31]
	v_add_f64 v[13:14], v[13:14], v[32:33]
	s_delay_alu instid0(VALU_DEP_2)
	v_add_f64 v[15:16], v[15:16], v[28:29]
	s_cbranch_scc1 .LBB182_71
.LBB182_72:                             ;   in Loop: Header=BB182_57 Depth=1
	s_or_b32 exec_lo, exec_lo, s16
	s_delay_alu instid0(SALU_CYCLE_1)
	s_or_b32 exec_lo, exec_lo, s15
	s_and_saveexec_b32 s4, s0
	s_cbranch_execnz .LBB182_60
	s_branch .LBB182_61
.LBB182_73:                             ;   in Loop: Header=BB182_57 Depth=1
	ds_load_b128 v[1:4], v17
	s_or_b32 exec_lo, exec_lo, s4
	s_and_saveexec_b32 s4, s0
	s_cbranch_execz .LBB182_65
.LBB182_74:                             ;   in Loop: Header=BB182_57 Depth=1
	s_waitcnt lgkmcnt(0)
	ds_bpermute_b32 v13, v20, v1
	ds_bpermute_b32 v14, v20, v2
	ds_bpermute_b32 v15, v20, v3
	ds_bpermute_b32 v16, v20, v4
	s_waitcnt lgkmcnt(2)
	v_add_f64 v[1:2], v[1:2], v[13:14]
	s_waitcnt lgkmcnt(0)
	v_add_f64 v[3:4], v[3:4], v[15:16]
	ds_bpermute_b32 v13, v25, v1
	ds_bpermute_b32 v14, v25, v2
	ds_bpermute_b32 v15, v25, v3
	ds_bpermute_b32 v16, v25, v4
	s_waitcnt lgkmcnt(2)
	v_add_f64 v[1:2], v[1:2], v[13:14]
	s_waitcnt lgkmcnt(0)
	v_add_f64 v[3:4], v[3:4], v[15:16]
	;; [unrolled: 8-line block ×3, first 2 shown]
	s_or_b32 exec_lo, exec_lo, s4
	s_and_saveexec_b32 s4, s3
	s_cbranch_execz .LBB182_56
.LBB182_75:                             ;   in Loop: Header=BB182_57 Depth=1
	s_waitcnt lgkmcnt(0)
	s_delay_alu instid0(VALU_DEP_1) | instskip(SKIP_3) | instid1(SALU_CYCLE_1)
	v_mul_f64 v[13:14], s[10:11], v[3:4]
	v_mul_f64 v[3:4], s[8:9], v[3:4]
	s_mul_hi_u32 s17, s37, s24
	s_mul_i32 s16, s37, s24
	s_lshl_b64 s[16:17], s[16:17], 4
	s_delay_alu instid0(SALU_CYCLE_1) | instskip(SKIP_1) | instid1(VALU_DEP_2)
	s_add_u32 s16, s12, s16
	s_addc_u32 s17, s14, s17
	v_fma_f64 v[13:14], s[8:9], v[1:2], -v[13:14]
	s_delay_alu instid0(VALU_DEP_2)
	v_fma_f64 v[15:16], s[10:11], v[1:2], v[3:4]
	global_store_b128 v0, v[13:16], s[16:17]
	s_branch .LBB182_56
.LBB182_76:
	s_nop 0
	s_sendmsg sendmsg(MSG_DEALLOC_VGPRS)
	s_endpgm
	.section	.rodata,"a",@progbits
	.p2align	6, 0x0
	.amdhsa_kernel _ZL23rocblas_gemvt_sn_kernelILb1ELi256ELi4Ei19rocblas_complex_numIdES1_S1_EviiT4_lPKT3_lilS5_lilPT5_i
		.amdhsa_group_segment_fixed_size 512
		.amdhsa_private_segment_fixed_size 80
		.amdhsa_kernarg_size 368
		.amdhsa_user_sgpr_count 14
		.amdhsa_user_sgpr_dispatch_ptr 0
		.amdhsa_user_sgpr_queue_ptr 0
		.amdhsa_user_sgpr_kernarg_segment_ptr 1
		.amdhsa_user_sgpr_dispatch_id 0
		.amdhsa_user_sgpr_private_segment_size 0
		.amdhsa_wavefront_size32 1
		.amdhsa_uses_dynamic_stack 0
		.amdhsa_enable_private_segment 1
		.amdhsa_system_sgpr_workgroup_id_x 1
		.amdhsa_system_sgpr_workgroup_id_y 0
		.amdhsa_system_sgpr_workgroup_id_z 1
		.amdhsa_system_sgpr_workgroup_info 0
		.amdhsa_system_vgpr_workitem_id 0
		.amdhsa_next_free_vgpr 128
		.amdhsa_next_free_sgpr 52
		.amdhsa_reserve_vcc 1
		.amdhsa_float_round_mode_32 0
		.amdhsa_float_round_mode_16_64 0
		.amdhsa_float_denorm_mode_32 3
		.amdhsa_float_denorm_mode_16_64 3
		.amdhsa_dx10_clamp 1
		.amdhsa_ieee_mode 1
		.amdhsa_fp16_overflow 0
		.amdhsa_workgroup_processor_mode 1
		.amdhsa_memory_ordered 1
		.amdhsa_forward_progress 0
		.amdhsa_shared_vgpr_count 0
		.amdhsa_exception_fp_ieee_invalid_op 0
		.amdhsa_exception_fp_denorm_src 0
		.amdhsa_exception_fp_ieee_div_zero 0
		.amdhsa_exception_fp_ieee_overflow 0
		.amdhsa_exception_fp_ieee_underflow 0
		.amdhsa_exception_fp_ieee_inexact 0
		.amdhsa_exception_int_div_zero 0
	.end_amdhsa_kernel
	.section	.text._ZL23rocblas_gemvt_sn_kernelILb1ELi256ELi4Ei19rocblas_complex_numIdES1_S1_EviiT4_lPKT3_lilS5_lilPT5_i,"axG",@progbits,_ZL23rocblas_gemvt_sn_kernelILb1ELi256ELi4Ei19rocblas_complex_numIdES1_S1_EviiT4_lPKT3_lilS5_lilPT5_i,comdat
.Lfunc_end182:
	.size	_ZL23rocblas_gemvt_sn_kernelILb1ELi256ELi4Ei19rocblas_complex_numIdES1_S1_EviiT4_lPKT3_lilS5_lilPT5_i, .Lfunc_end182-_ZL23rocblas_gemvt_sn_kernelILb1ELi256ELi4Ei19rocblas_complex_numIdES1_S1_EviiT4_lPKT3_lilS5_lilPT5_i
                                        ; -- End function
	.section	.AMDGPU.csdata,"",@progbits
; Kernel info:
; codeLenInByte = 7568
; NumSgprs: 54
; NumVgprs: 128
; ScratchSize: 80
; MemoryBound: 0
; FloatMode: 240
; IeeeMode: 1
; LDSByteSize: 512 bytes/workgroup (compile time only)
; SGPRBlocks: 6
; VGPRBlocks: 15
; NumSGPRsForWavesPerEU: 54
; NumVGPRsForWavesPerEU: 128
; Occupancy: 10
; WaveLimiterHint : 1
; COMPUTE_PGM_RSRC2:SCRATCH_EN: 1
; COMPUTE_PGM_RSRC2:USER_SGPR: 14
; COMPUTE_PGM_RSRC2:TRAP_HANDLER: 0
; COMPUTE_PGM_RSRC2:TGID_X_EN: 1
; COMPUTE_PGM_RSRC2:TGID_Y_EN: 0
; COMPUTE_PGM_RSRC2:TGID_Z_EN: 1
; COMPUTE_PGM_RSRC2:TIDIG_COMP_CNT: 0
	.section	.text._ZL23rocblas_gemvt_sn_kernelILb1ELi256ELi4El19rocblas_complex_numIdES1_S1_EviiT4_lPKT3_lilS5_lilPT5_i,"axG",@progbits,_ZL23rocblas_gemvt_sn_kernelILb1ELi256ELi4El19rocblas_complex_numIdES1_S1_EviiT4_lPKT3_lilS5_lilPT5_i,comdat
	.globl	_ZL23rocblas_gemvt_sn_kernelILb1ELi256ELi4El19rocblas_complex_numIdES1_S1_EviiT4_lPKT3_lilS5_lilPT5_i ; -- Begin function _ZL23rocblas_gemvt_sn_kernelILb1ELi256ELi4El19rocblas_complex_numIdES1_S1_EviiT4_lPKT3_lilS5_lilPT5_i
	.p2align	8
	.type	_ZL23rocblas_gemvt_sn_kernelILb1ELi256ELi4El19rocblas_complex_numIdES1_S1_EviiT4_lPKT3_lilS5_lilPT5_i,@function
_ZL23rocblas_gemvt_sn_kernelILb1ELi256ELi4El19rocblas_complex_numIdES1_S1_EviiT4_lPKT3_lilS5_lilPT5_i: ; @_ZL23rocblas_gemvt_sn_kernelILb1ELi256ELi4El19rocblas_complex_numIdES1_S1_EviiT4_lPKT3_lilS5_lilPT5_i
; %bb.0:
	s_clause 0x3
	s_load_b128 s[8:11], s[0:1], 0x8
	s_load_b64 s[12:13], s[0:1], 0x0
	s_load_b32 s24, s[0:1], 0x70
	s_load_b128 s[20:23], s[0:1], 0x58
	s_mov_b32 s25, 0
	s_waitcnt lgkmcnt(0)
	s_ashr_i32 s36, s13, 31
	v_cmp_neq_f64_e64 s2, s[8:9], 0
	v_cmp_neq_f64_e64 s3, s[10:11], 0
	s_mul_hi_u32 s4, s13, s15
	s_mul_i32 s6, s36, s15
	s_mul_i32 s5, s13, s15
	s_add_i32 s4, s4, s6
	s_mul_hi_u32 s7, s5, s24
	s_mul_i32 s4, s4, s24
	s_mul_i32 s34, s5, s24
	s_add_i32 s35, s7, s4
	s_delay_alu instid0(VALU_DEP_1)
	s_or_b32 s2, s2, s3
	s_mov_b32 s3, -1
	s_and_b32 vcc_lo, exec_lo, s2
	v_cmp_eq_u32_e64 s2, 0, v0
	s_cbranch_vccnz .LBB183_5
; %bb.1:
	s_cmp_gt_i32 s13, 0
	s_cselect_b32 s3, -1, 0
	s_delay_alu instid0(VALU_DEP_1) | instid1(SALU_CYCLE_1)
	s_and_b32 s2, s2, s3
	s_delay_alu instid0(SALU_CYCLE_1)
	s_and_saveexec_b32 s6, s2
	s_cbranch_execz .LBB183_4
; %bb.2:
	s_mov_b32 s2, s15
	s_mov_b32 s15, 0
	v_mov_b32_e32 v1, 0
	s_lshl_b64 s[4:5], s[34:35], 4
	s_lshl_b64 s[16:17], s[14:15], 4
	s_mov_b32 s15, s2
	s_add_u32 s2, s4, s16
	s_addc_u32 s3, s5, s17
	s_add_u32 s2, s2, s22
	v_mov_b32_e32 v2, v1
	v_mov_b32_e32 v3, v1
	v_mov_b32_e32 v4, v1
	s_addc_u32 s3, s3, s23
	s_add_u32 s2, s2, 8
	s_addc_u32 s3, s3, 0
	s_lshl_b64 s[4:5], s[24:25], 4
	s_mov_b32 s7, s13
.LBB183_3:                              ; =>This Inner Loop Header: Depth=1
	s_delay_alu instid0(SALU_CYCLE_1)
	s_add_i32 s7, s7, -1
	global_store_b128 v1, v[1:4], s[2:3] offset:-8
	s_add_u32 s2, s2, s4
	s_addc_u32 s3, s3, s5
	s_cmp_eq_u32 s7, 0
	s_cbranch_scc0 .LBB183_3
.LBB183_4:
	s_or_b32 exec_lo, exec_lo, s6
	s_mov_b32 s3, 0
.LBB183_5:
	s_delay_alu instid0(SALU_CYCLE_1)
	s_and_not1_b32 vcc_lo, exec_lo, s3
	s_cbranch_vccnz .LBB183_76
; %bb.6:
	s_clause 0x4
	s_load_b32 s26, s[0:1], 0x30
	s_load_b32 s28, s[0:1], 0x50
	s_load_b128 s[4:7], s[0:1], 0x38
	s_load_b64 s[2:3], s[0:1], 0x48
	s_load_b128 s[16:19], s[0:1], 0x20
	s_mul_i32 s1, s15, s21
	s_mul_hi_u32 s21, s15, s20
	s_mul_i32 s0, s15, s20
	s_add_i32 s1, s21, s1
	v_and_b32_e32 v44, 31, v0
	s_lshl_b64 s[20:21], s[0:1], 4
	v_mbcnt_lo_u32_b32 v48, -1, 0
	v_lshrrev_b32_e32 v47, 1, v0
	v_add_nc_u32_e64 v40, 0, 16
	v_add_nc_u32_e64 v41, 0, 32
	;; [unrolled: 1-line block ×3, first 2 shown]
	v_or_b32_e64 v43, 0, 8
	s_waitcnt lgkmcnt(0)
	s_ashr_i32 s27, s26, 31
	s_ashr_i32 s29, s28, 31
	s_add_u32 s0, s6, s20
	s_addc_u32 s1, s7, s21
	s_lshl_b64 s[30:31], s[2:3], 4
	s_mul_i32 s5, s15, s5
	s_add_u32 s33, s0, s30
	s_addc_u32 s40, s1, s31
	s_lshl_b64 s[0:1], s[34:35], 4
	s_mul_hi_u32 s3, s15, s4
	s_add_u32 s41, s22, s0
	s_mul_i32 s2, s15, s4
	s_addc_u32 s42, s23, s1
	s_add_i32 s3, s3, s5
	v_cmp_gt_u32_e64 s0, 32, v0
	s_lshl_b64 s[22:23], s[2:3], 4
	v_cmp_gt_u32_e64 s1, 8, v0
	s_add_u32 s2, s16, s22
	s_addc_u32 s3, s17, s23
	s_lshl_b64 s[18:19], s[18:19], 4
	s_delay_alu instid0(SALU_CYCLE_1)
	s_add_u32 s2, s2, s18
	s_addc_u32 s3, s3, s19
	s_lshl_b32 s4, s14, 10
	s_lshr_b32 s5, s36, 30
	v_lshl_or_b32 v25, v0, 2, s4
	s_ashr_i32 s4, s12, 31
	s_add_i32 s5, s13, s5
	s_lshr_b32 s4, s4, 30
	s_and_b32 s43, s5, -4
	v_ashrrev_i32_e32 v26, 31, v25
	s_add_i32 s4, s12, s4
	v_add_nc_u32_e32 v50, 4, v25
	s_and_b32 s4, s4, -4
	v_or_b32_e32 v49, 1, v25
	v_lshlrev_b64 v[23:24], 4, v[25:26]
	s_sub_i32 s25, s12, s4
	v_or_b32_e32 v46, 2, v25
	v_add_nc_u32_e32 v51, s25, v25
	v_or_b32_e32 v45, 3, v25
	s_cmp_lt_i32 s43, 1
	v_add_co_u32 v21, vcc_lo, s2, v23
	v_add_co_ci_u32_e32 v22, vcc_lo, s3, v24, vcc_lo
	s_cbranch_scc1 .LBB183_53
; %bb.7:
	v_cmp_gt_u32_e32 vcc_lo, 16, v48
	v_mad_i64_i32 v[7:8], null, s28, v45, 0
	s_mov_b32 s15, 0
	s_cmp_gt_i32 s25, 0
	v_cndmask_b32_e64 v1, 0, 1, vcc_lo
	v_cmp_gt_u32_e32 vcc_lo, 24, v48
	s_cselect_b32 s44, -1, 0
	s_lshl_b64 s[34:35], s[14:15], 4
	v_cmp_ge_i32_e64 s2, s12, v50
	v_lshlrev_b32_e32 v1, 4, v1
	v_cndmask_b32_e64 v2, 0, 1, vcc_lo
	v_cmp_gt_u32_e32 vcc_lo, 28, v48
	s_add_u32 s45, s41, s34
	s_addc_u32 s46, s42, s35
	s_add_u32 s34, s6, s30
	v_lshlrev_b32_e32 v2, 3, v2
	v_cndmask_b32_e64 v3, 0, 1, vcc_lo
	v_cmp_gt_u32_e32 vcc_lo, 30, v48
	s_addc_u32 s35, s7, s31
	s_add_u32 s34, s34, s20
	v_add_lshl_u32 v53, v2, v48, 2
	v_lshlrev_b32_e32 v3, 2, v3
	v_cndmask_b32_e64 v4, 0, 1, vcc_lo
	v_cmp_ne_u32_e32 vcc_lo, 31, v48
	v_dual_mov_b32 v37, v22 :: v_dual_mov_b32 v36, v21
	v_add_lshl_u32 v52, v1, v48, 2
	s_delay_alu instid0(VALU_DEP_4) | instskip(SKIP_3) | instid1(VALU_DEP_4)
	v_lshlrev_b32_e32 v4, 1, v4
	v_mad_i64_i32 v[1:2], null, s28, v25, 0
	v_add_co_ci_u32_e32 v5, vcc_lo, 0, v48, vcc_lo
	v_add_lshl_u32 v54, v3, v48, 2
	v_add_lshl_u32 v55, v4, v48, 2
	v_mad_i64_i32 v[3:4], null, s28, v49, 0
	s_delay_alu instid0(VALU_DEP_4)
	v_lshlrev_b32_e32 v56, 2, v5
	v_lshlrev_b64 v[1:2], 4, v[1:2]
	v_mad_i64_i32 v[5:6], null, s28, v46, 0
	s_addc_u32 s35, s35, s21
	v_cmp_ge_i32_e64 s3, s12, v51
	v_lshlrev_b64 v[3:4], 4, v[3:4]
	s_delay_alu instid0(VALU_DEP_4) | instskip(SKIP_2) | instid1(VALU_DEP_4)
	v_add_co_u32 v26, vcc_lo, s33, v1
	v_add_co_ci_u32_e32 v27, vcc_lo, s40, v2, vcc_lo
	v_lshlrev_b64 v[5:6], 4, v[5:6]
	v_add_co_u32 v28, vcc_lo, s33, v3
	v_add_co_ci_u32_e32 v29, vcc_lo, s40, v4, vcc_lo
	v_lshlrev_b64 v[3:4], 4, v[7:8]
	s_delay_alu instid0(VALU_DEP_4) | instskip(SKIP_2) | instid1(VALU_DEP_4)
	v_add_co_u32 v30, vcc_lo, s33, v5
	v_add_co_ci_u32_e32 v31, vcc_lo, s40, v6, vcc_lo
	v_cmp_eq_u32_e64 s4, 0, v44
	v_add_co_u32 v32, vcc_lo, s33, v3
	v_add_co_ci_u32_e32 v33, vcc_lo, s40, v4, vcc_lo
	v_add_co_u32 v34, vcc_lo, s34, v1
	v_lshlrev_b32_e32 v57, 4, v44
	v_and_b32_e32 v58, 0x70, v47
	v_cmp_eq_u32_e64 s5, 0, v0
	v_or_b32_e64 v59, 0, 8
	v_add_co_ci_u32_e32 v35, vcc_lo, s35, v2, vcc_lo
	v_mov_b32_e32 v1, 0
	s_lshl_b64 s[34:35], s[28:29], 4
	s_lshl_b64 s[36:37], s[26:27], 6
	;; [unrolled: 1-line block ×3, first 2 shown]
	s_branch .LBB183_9
.LBB183_8:                              ;   in Loop: Header=BB183_9 Depth=1
	s_or_b32 exec_lo, exec_lo, s47
	v_add_co_u32 v36, vcc_lo, v36, s36
	v_add_co_ci_u32_e32 v37, vcc_lo, s37, v37, vcc_lo
	s_add_i32 s15, s15, 4
	s_delay_alu instid0(SALU_CYCLE_1)
	s_cmp_ge_i32 s15, s43
	s_cbranch_scc1 .LBB183_54
.LBB183_9:                              ; =>This Loop Header: Depth=1
                                        ;     Child Loop BB183_40 Depth 2
                                        ;     Child Loop BB183_42 Depth 2
                                        ; implicit-def: $vgpr17_vgpr18
                                        ; implicit-def: $vgpr19_vgpr20
                                        ; implicit-def: $vgpr13_vgpr14
                                        ; implicit-def: $vgpr15_vgpr16
                                        ; implicit-def: $vgpr9_vgpr10
                                        ; implicit-def: $vgpr11_vgpr12
                                        ; implicit-def: $vgpr7_vgpr8
                                        ; implicit-def: $vgpr5_vgpr6
	s_and_saveexec_b32 s47, s2
	s_delay_alu instid0(SALU_CYCLE_1)
	s_xor_b32 s47, exec_lo, s47
	s_cbranch_execnz .LBB183_36
; %bb.10:                               ;   in Loop: Header=BB183_9 Depth=1
	s_and_not1_saveexec_b32 s47, s47
	s_cbranch_execnz .LBB183_37
.LBB183_11:                             ;   in Loop: Header=BB183_9 Depth=1
	s_or_b32 exec_lo, exec_lo, s47
	s_and_saveexec_b32 s47, s0
	s_cbranch_execz .LBB183_13
.LBB183_12:                             ;   in Loop: Header=BB183_9 Depth=1
	v_mov_b32_e32 v2, v1
	v_mov_b32_e32 v3, v1
	;; [unrolled: 1-line block ×3, first 2 shown]
	ds_store_b128 v57, v[1:4]
.LBB183_13:                             ;   in Loop: Header=BB183_9 Depth=1
	s_or_b32 exec_lo, exec_lo, s47
	ds_bpermute_b32 v2, v52, v7
	ds_bpermute_b32 v3, v52, v8
	;; [unrolled: 1-line block ×4, first 2 shown]
	s_waitcnt lgkmcnt(0)
	s_waitcnt_vscnt null, 0x0
	s_barrier
	buffer_gl0_inv
	v_add_f64 v[2:3], v[7:8], v[2:3]
	v_add_f64 v[4:5], v[5:6], v[38:39]
	ds_bpermute_b32 v6, v53, v2
	ds_bpermute_b32 v7, v53, v3
	ds_bpermute_b32 v38, v53, v4
	ds_bpermute_b32 v39, v53, v5
	s_waitcnt lgkmcnt(2)
	v_add_f64 v[2:3], v[2:3], v[6:7]
	s_waitcnt lgkmcnt(0)
	v_add_f64 v[4:5], v[4:5], v[38:39]
	ds_bpermute_b32 v6, v54, v2
	ds_bpermute_b32 v7, v54, v3
	ds_bpermute_b32 v38, v54, v4
	ds_bpermute_b32 v39, v54, v5
	s_waitcnt lgkmcnt(2)
	v_add_f64 v[2:3], v[2:3], v[6:7]
	s_waitcnt lgkmcnt(0)
	;; [unrolled: 8-line block ×3, first 2 shown]
	v_add_f64 v[6:7], v[4:5], v[38:39]
	ds_bpermute_b32 v4, v56, v2
	ds_bpermute_b32 v5, v56, v3
	ds_bpermute_b32 v38, v56, v6
	ds_bpermute_b32 v39, v56, v7
	s_and_saveexec_b32 s47, s4
	s_cbranch_execz .LBB183_15
; %bb.14:                               ;   in Loop: Header=BB183_9 Depth=1
	s_waitcnt lgkmcnt(0)
	v_add_f64 v[6:7], v[6:7], v[38:39]
	v_add_f64 v[4:5], v[2:3], v[4:5]
	ds_store_b128 v58, v[4:7]
.LBB183_15:                             ;   in Loop: Header=BB183_9 Depth=1
	s_or_b32 exec_lo, exec_lo, s47
	v_mov_b32_e32 v7, 0
	v_mov_b32_e32 v8, 0
	s_waitcnt lgkmcnt(2)
	s_delay_alu instid0(VALU_DEP_2)
	v_mov_b32_e32 v5, v7
	s_waitcnt lgkmcnt(0)
	s_barrier
	buffer_gl0_inv
	v_mov_b32_e32 v6, v8
	s_and_saveexec_b32 s47, s1
	s_cbranch_execnz .LBB183_44
; %bb.16:                               ;   in Loop: Header=BB183_9 Depth=1
	s_or_b32 exec_lo, exec_lo, s47
	s_and_saveexec_b32 s47, s0
	s_cbranch_execnz .LBB183_45
.LBB183_17:                             ;   in Loop: Header=BB183_9 Depth=1
	s_or_b32 exec_lo, exec_lo, s47
	s_and_saveexec_b32 s47, s0
	s_cbranch_execz .LBB183_19
.LBB183_18:                             ;   in Loop: Header=BB183_9 Depth=1
	v_mov_b32_e32 v2, v1
	v_mov_b32_e32 v3, v1
	v_mov_b32_e32 v4, v1
	ds_store_b128 v57, v[1:4]
.LBB183_19:                             ;   in Loop: Header=BB183_9 Depth=1
	s_or_b32 exec_lo, exec_lo, s47
	ds_bpermute_b32 v2, v52, v9
	ds_bpermute_b32 v3, v52, v10
	;; [unrolled: 1-line block ×4, first 2 shown]
	s_waitcnt lgkmcnt(0)
	s_barrier
	buffer_gl0_inv
	v_add_f64 v[2:3], v[9:10], v[2:3]
	v_add_f64 v[9:10], v[11:12], v[38:39]
	ds_bpermute_b32 v11, v53, v2
	ds_bpermute_b32 v12, v53, v3
	ds_bpermute_b32 v38, v53, v9
	ds_bpermute_b32 v39, v53, v10
	s_waitcnt lgkmcnt(2)
	v_add_f64 v[2:3], v[2:3], v[11:12]
	s_waitcnt lgkmcnt(0)
	v_add_f64 v[9:10], v[9:10], v[38:39]
	ds_bpermute_b32 v11, v54, v2
	ds_bpermute_b32 v12, v54, v3
	ds_bpermute_b32 v38, v54, v9
	ds_bpermute_b32 v39, v54, v10
	s_waitcnt lgkmcnt(2)
	v_add_f64 v[2:3], v[2:3], v[11:12]
	s_waitcnt lgkmcnt(0)
	;; [unrolled: 8-line block ×3, first 2 shown]
	v_add_f64 v[11:12], v[9:10], v[38:39]
	ds_bpermute_b32 v9, v56, v2
	ds_bpermute_b32 v10, v56, v3
	;; [unrolled: 1-line block ×4, first 2 shown]
	s_and_saveexec_b32 s47, s4
	s_cbranch_execz .LBB183_21
; %bb.20:                               ;   in Loop: Header=BB183_9 Depth=1
	s_waitcnt lgkmcnt(0)
	v_add_f64 v[11:12], v[11:12], v[38:39]
	v_add_f64 v[9:10], v[2:3], v[9:10]
	ds_store_b128 v58, v[9:12]
.LBB183_21:                             ;   in Loop: Header=BB183_9 Depth=1
	s_or_b32 exec_lo, exec_lo, s47
	v_mov_b32_e32 v11, 0
	v_mov_b32_e32 v12, 0
	s_waitcnt lgkmcnt(2)
	s_delay_alu instid0(VALU_DEP_2)
	v_mov_b32_e32 v9, v11
	s_waitcnt lgkmcnt(0)
	s_barrier
	buffer_gl0_inv
	v_mov_b32_e32 v10, v12
	s_and_saveexec_b32 s47, s1
	s_cbranch_execnz .LBB183_46
; %bb.22:                               ;   in Loop: Header=BB183_9 Depth=1
	s_or_b32 exec_lo, exec_lo, s47
	s_and_saveexec_b32 s47, s0
	s_cbranch_execnz .LBB183_47
.LBB183_23:                             ;   in Loop: Header=BB183_9 Depth=1
	s_or_b32 exec_lo, exec_lo, s47
	s_and_saveexec_b32 s47, s0
	s_cbranch_execz .LBB183_25
.LBB183_24:                             ;   in Loop: Header=BB183_9 Depth=1
	v_mov_b32_e32 v2, v1
	v_mov_b32_e32 v3, v1
	v_mov_b32_e32 v4, v1
	ds_store_b128 v57, v[1:4]
.LBB183_25:                             ;   in Loop: Header=BB183_9 Depth=1
	s_or_b32 exec_lo, exec_lo, s47
	ds_bpermute_b32 v2, v52, v13
	ds_bpermute_b32 v3, v52, v14
	;; [unrolled: 1-line block ×4, first 2 shown]
	s_waitcnt lgkmcnt(0)
	s_barrier
	buffer_gl0_inv
	v_add_f64 v[2:3], v[13:14], v[2:3]
	v_add_f64 v[13:14], v[15:16], v[38:39]
	ds_bpermute_b32 v15, v53, v2
	ds_bpermute_b32 v16, v53, v3
	ds_bpermute_b32 v38, v53, v13
	ds_bpermute_b32 v39, v53, v14
	s_waitcnt lgkmcnt(2)
	v_add_f64 v[2:3], v[2:3], v[15:16]
	s_waitcnt lgkmcnt(0)
	v_add_f64 v[13:14], v[13:14], v[38:39]
	ds_bpermute_b32 v15, v54, v2
	ds_bpermute_b32 v16, v54, v3
	ds_bpermute_b32 v38, v54, v13
	ds_bpermute_b32 v39, v54, v14
	s_waitcnt lgkmcnt(2)
	v_add_f64 v[2:3], v[2:3], v[15:16]
	s_waitcnt lgkmcnt(0)
	;; [unrolled: 8-line block ×3, first 2 shown]
	v_add_f64 v[15:16], v[13:14], v[38:39]
	ds_bpermute_b32 v13, v56, v2
	ds_bpermute_b32 v14, v56, v3
	;; [unrolled: 1-line block ×4, first 2 shown]
	s_and_saveexec_b32 s47, s4
	s_cbranch_execz .LBB183_27
; %bb.26:                               ;   in Loop: Header=BB183_9 Depth=1
	s_waitcnt lgkmcnt(0)
	v_add_f64 v[15:16], v[15:16], v[38:39]
	v_add_f64 v[13:14], v[2:3], v[13:14]
	ds_store_b128 v58, v[13:16]
.LBB183_27:                             ;   in Loop: Header=BB183_9 Depth=1
	s_or_b32 exec_lo, exec_lo, s47
	v_mov_b32_e32 v15, 0
	v_mov_b32_e32 v16, 0
	s_waitcnt lgkmcnt(2)
	s_delay_alu instid0(VALU_DEP_2)
	v_mov_b32_e32 v13, v15
	s_waitcnt lgkmcnt(0)
	s_barrier
	buffer_gl0_inv
	v_mov_b32_e32 v14, v16
	s_and_saveexec_b32 s47, s1
	s_cbranch_execnz .LBB183_48
; %bb.28:                               ;   in Loop: Header=BB183_9 Depth=1
	s_or_b32 exec_lo, exec_lo, s47
	s_and_saveexec_b32 s47, s0
	s_cbranch_execnz .LBB183_49
.LBB183_29:                             ;   in Loop: Header=BB183_9 Depth=1
	s_or_b32 exec_lo, exec_lo, s47
	s_and_saveexec_b32 s47, s0
	s_cbranch_execz .LBB183_31
.LBB183_30:                             ;   in Loop: Header=BB183_9 Depth=1
	v_mov_b32_e32 v2, v1
	v_mov_b32_e32 v3, v1
	;; [unrolled: 1-line block ×3, first 2 shown]
	ds_store_b128 v57, v[1:4]
.LBB183_31:                             ;   in Loop: Header=BB183_9 Depth=1
	s_or_b32 exec_lo, exec_lo, s47
	ds_bpermute_b32 v2, v52, v17
	ds_bpermute_b32 v3, v52, v18
	;; [unrolled: 1-line block ×4, first 2 shown]
	s_waitcnt lgkmcnt(0)
	s_barrier
	buffer_gl0_inv
	v_add_f64 v[2:3], v[17:18], v[2:3]
	v_add_f64 v[17:18], v[19:20], v[38:39]
	ds_bpermute_b32 v19, v53, v2
	ds_bpermute_b32 v20, v53, v3
	ds_bpermute_b32 v38, v53, v17
	ds_bpermute_b32 v39, v53, v18
	s_waitcnt lgkmcnt(2)
	v_add_f64 v[2:3], v[2:3], v[19:20]
	s_waitcnt lgkmcnt(0)
	v_add_f64 v[17:18], v[17:18], v[38:39]
	ds_bpermute_b32 v19, v54, v2
	ds_bpermute_b32 v20, v54, v3
	ds_bpermute_b32 v38, v54, v17
	ds_bpermute_b32 v39, v54, v18
	s_waitcnt lgkmcnt(2)
	v_add_f64 v[2:3], v[2:3], v[19:20]
	s_waitcnt lgkmcnt(0)
	;; [unrolled: 8-line block ×3, first 2 shown]
	v_add_f64 v[19:20], v[17:18], v[38:39]
	ds_bpermute_b32 v17, v56, v2
	ds_bpermute_b32 v18, v56, v3
	;; [unrolled: 1-line block ×4, first 2 shown]
	s_and_saveexec_b32 s47, s4
	s_cbranch_execz .LBB183_33
; %bb.32:                               ;   in Loop: Header=BB183_9 Depth=1
	s_waitcnt lgkmcnt(0)
	v_add_f64 v[19:20], v[19:20], v[38:39]
	v_add_f64 v[17:18], v[2:3], v[17:18]
	ds_store_b128 v58, v[17:20]
.LBB183_33:                             ;   in Loop: Header=BB183_9 Depth=1
	s_or_b32 exec_lo, exec_lo, s47
	v_mov_b32_e32 v19, 0
	v_mov_b32_e32 v20, 0
	s_waitcnt lgkmcnt(2)
	s_delay_alu instid0(VALU_DEP_2)
	v_mov_b32_e32 v17, v19
	s_waitcnt lgkmcnt(0)
	s_barrier
	buffer_gl0_inv
	v_mov_b32_e32 v18, v20
	s_and_saveexec_b32 s47, s1
	s_cbranch_execnz .LBB183_50
; %bb.34:                               ;   in Loop: Header=BB183_9 Depth=1
	s_or_b32 exec_lo, exec_lo, s47
	s_and_saveexec_b32 s47, s0
	s_cbranch_execnz .LBB183_51
.LBB183_35:                             ;   in Loop: Header=BB183_9 Depth=1
	s_or_b32 exec_lo, exec_lo, s47
	s_and_saveexec_b32 s47, s5
	s_cbranch_execz .LBB183_8
	s_branch .LBB183_52
.LBB183_36:                             ;   in Loop: Header=BB183_9 Depth=1
	s_clause 0x2
	global_load_b128 v[2:5], v[28:29], off
	global_load_b128 v[6:9], v[30:31], off
	;; [unrolled: 1-line block ×3, first 2 shown]
	s_mul_i32 s49, s15, s27
	s_mul_hi_u32 s50, s15, s26
	s_mul_i32 s48, s15, s26
	s_or_b32 s51, s15, 1
	s_add_i32 s49, s50, s49
	s_mul_i32 s55, s51, s27
	s_mul_hi_u32 s56, s51, s26
	s_lshl_b64 s[48:49], s[48:49], 4
	s_or_b32 s52, s15, 2
	s_mul_i32 s50, s51, s26
	s_waitcnt lgkmcnt(0)
	v_add_co_u32 v18, vcc_lo, v21, s48
	s_add_i32 s51, s56, s55
	s_or_b32 s53, s15, 3
	s_mul_i32 s57, s52, s27
	s_mul_hi_u32 s58, s52, s26
	v_add_co_ci_u32_e32 v19, vcc_lo, s49, v22, vcc_lo
	s_lshl_b64 s[48:49], s[50:51], 4
	s_mul_i32 s52, s52, s26
	s_mul_i32 s59, s53, s27
	s_mul_hi_u32 s60, s53, s26
	s_mul_i32 s54, s53, s26
	s_add_i32 s53, s58, s57
	v_add_co_u32 v38, vcc_lo, v21, s48
	s_lshl_b64 s[50:51], s[52:53], 4
	s_add_i32 s55, s60, s59
	v_add_co_ci_u32_e32 v39, vcc_lo, s49, v22, vcc_lo
	v_add_co_u32 v116, vcc_lo, v21, s50
	s_lshl_b64 s[52:53], s[54:55], 4
	v_add_co_ci_u32_e32 v117, vcc_lo, s51, v22, vcc_lo
	v_add_co_u32 v120, vcc_lo, v21, s52
	v_add_co_ci_u32_e32 v121, vcc_lo, s53, v22, vcc_lo
	global_load_b128 v[60:63], v[26:27], off
	s_clause 0x4
	global_load_b128 v[14:17], v[18:19], off
	global_load_b128 v[64:67], v[38:39], off
	;; [unrolled: 1-line block ×4, first 2 shown]
	global_load_b128 v[76:79], v[18:19], off offset:16
	s_waitcnt vmcnt(8)
	scratch_store_b128 v40, v[2:5], off
	scratch_load_b128 v[2:5], off, off offset:16
	s_clause 0x2
	global_load_b128 v[80:83], v[38:39], off offset:16
	global_load_b128 v[84:87], v[116:117], off offset:16
	global_load_b128 v[88:91], v[120:121], off offset:16
	s_waitcnt vmcnt(11)
	scratch_store_b128 v41, v[6:9], off
	scratch_load_b128 v[6:9], off, off offset:32
	s_clause 0x4
	global_load_b128 v[92:95], v[18:19], off offset:32
	global_load_b128 v[96:99], v[38:39], off offset:32
	;; [unrolled: 1-line block ×5, first 2 shown]
	s_waitcnt vmcnt(16)
	scratch_store_b128 v42, v[10:13], off
	scratch_load_b128 v[10:13], off, off offset:48
	s_clause 0x2
	global_load_b128 v[112:115], v[38:39], off offset:48
	global_load_b128 v[116:119], v[116:117], off offset:48
	;; [unrolled: 1-line block ×3, first 2 shown]
	s_waitcnt vmcnt(19)
	scratch_store_b128 off, v[60:63], off
	s_waitcnt vmcnt(18)
	v_mul_f64 v[18:19], v[62:63], v[16:17]
	v_mul_f64 v[16:17], v[60:61], v[16:17]
	s_waitcnt vmcnt(17)
	v_mul_f64 v[38:39], v[62:63], v[66:67]
	v_mul_f64 v[66:67], v[60:61], v[66:67]
	;; [unrolled: 3-line block ×4, first 2 shown]
	v_fma_f64 v[18:19], v[60:61], v[14:15], v[18:19]
	v_fma_f64 v[14:15], v[62:63], v[14:15], -v[16:17]
	v_fma_f64 v[38:39], v[60:61], v[64:65], v[38:39]
	v_fma_f64 v[64:65], v[62:63], v[64:65], -v[66:67]
	;; [unrolled: 2-line block ×4, first 2 shown]
	v_add_f64 v[18:19], v[18:19], 0
	v_add_f64 v[14:15], v[14:15], 0
	;; [unrolled: 1-line block ×7, first 2 shown]
	s_waitcnt vmcnt(13)
	v_mul_f64 v[16:17], v[4:5], v[78:79]
	v_mul_f64 v[78:79], v[2:3], v[78:79]
	s_waitcnt vmcnt(12)
	v_mul_f64 v[128:129], v[4:5], v[82:83]
	v_mul_f64 v[82:83], v[2:3], v[82:83]
	;; [unrolled: 3-line block ×5, first 2 shown]
	s_waitcnt vmcnt(7)
	v_mul_f64 v[130:131], v[8:9], v[98:99]
	v_fma_f64 v[16:17], v[2:3], v[76:77], v[16:17]
	v_fma_f64 v[76:77], v[4:5], v[76:77], -v[78:79]
	v_mul_f64 v[78:79], v[6:7], v[98:99]
	s_waitcnt vmcnt(6)
	v_mul_f64 v[98:99], v[8:9], v[102:103]
	v_fma_f64 v[128:129], v[2:3], v[80:81], v[128:129]
	v_fma_f64 v[80:81], v[4:5], v[80:81], -v[82:83]
	v_mul_f64 v[82:83], v[6:7], v[102:103]
	;; [unrolled: 5-line block ×3, first 2 shown]
	v_add_f64 v[106:107], v[124:125], 0
	v_fma_f64 v[2:3], v[2:3], v[88:89], v[74:75]
	v_fma_f64 v[4:5], v[4:5], v[88:89], -v[90:91]
	s_waitcnt vmcnt(3)
	v_mul_f64 v[74:75], v[12:13], v[110:111]
	v_mul_f64 v[88:89], v[10:11], v[110:111]
	s_waitcnt vmcnt(2)
	v_mul_f64 v[90:91], v[12:13], v[114:115]
	v_mul_f64 v[110:111], v[10:11], v[114:115]
	s_waitcnt vmcnt(1)
	v_mul_f64 v[114:115], v[12:13], v[118:119]
	v_fma_f64 v[124:125], v[6:7], v[92:93], v[126:127]
	v_fma_f64 v[92:93], v[8:9], v[92:93], -v[94:95]
	v_mul_f64 v[94:95], v[10:11], v[118:119]
	s_waitcnt vmcnt(0)
	v_mul_f64 v[118:119], v[12:13], v[122:123]
	v_fma_f64 v[126:127], v[6:7], v[96:97], v[130:131]
	v_add_f64 v[16:17], v[18:19], v[16:17]
	v_add_f64 v[14:15], v[14:15], v[76:77]
	v_fma_f64 v[78:79], v[8:9], v[96:97], -v[78:79]
	v_mul_f64 v[96:97], v[10:11], v[122:123]
	v_fma_f64 v[98:99], v[6:7], v[100:101], v[98:99]
	v_add_f64 v[18:19], v[38:39], v[128:129]
	v_fma_f64 v[82:83], v[8:9], v[100:101], -v[82:83]
	v_fma_f64 v[6:7], v[6:7], v[104:105], v[102:103]
	v_add_f64 v[38:39], v[64:65], v[80:81]
	v_fma_f64 v[8:9], v[8:9], v[104:105], -v[86:87]
	v_add_f64 v[64:65], v[106:107], v[66:67]
	v_add_f64 v[66:67], v[68:69], v[84:85]
	;; [unrolled: 1-line block ×4, first 2 shown]
	v_fma_f64 v[68:69], v[10:11], v[108:109], v[74:75]
	v_fma_f64 v[70:71], v[12:13], v[108:109], -v[88:89]
	v_fma_f64 v[72:73], v[10:11], v[112:113], v[90:91]
	v_fma_f64 v[74:75], v[12:13], v[112:113], -v[110:111]
	;; [unrolled: 2-line block ×3, first 2 shown]
	v_fma_f64 v[84:85], v[10:11], v[120:121], v[118:119]
	v_add_f64 v[10:11], v[16:17], v[124:125]
	v_fma_f64 v[86:87], v[12:13], v[120:121], -v[96:97]
	v_add_f64 v[12:13], v[14:15], v[92:93]
	v_add_f64 v[14:15], v[18:19], v[126:127]
	;; [unrolled: 1-line block ×15, first 2 shown]
	s_and_not1_saveexec_b32 s47, s47
	s_cbranch_execz .LBB183_11
.LBB183_37:                             ;   in Loop: Header=BB183_9 Depth=1
	s_waitcnt lgkmcnt(0)
	v_mov_b32_e32 v17, 0
	v_mov_b32_e32 v18, 0
	s_delay_alu instid0(VALU_DEP_2) | instskip(SKIP_2) | instid1(VALU_DEP_4)
	v_mov_b32_e32 v13, v17
	v_mov_b32_e32 v15, v17
	;; [unrolled: 1-line block ×3, first 2 shown]
	v_dual_mov_b32 v11, v17 :: v_dual_mov_b32 v12, v18
	v_dual_mov_b32 v20, v18 :: v_dual_mov_b32 v19, v17
	v_mov_b32_e32 v14, v18
	v_mov_b32_e32 v16, v18
	v_dual_mov_b32 v10, v18 :: v_dual_mov_b32 v7, v17
	v_dual_mov_b32 v8, v18 :: v_dual_mov_b32 v5, v17
	v_mov_b32_e32 v6, v18
	s_and_saveexec_b32 s48, s3
	s_cbranch_execz .LBB183_43
; %bb.38:                               ;   in Loop: Header=BB183_9 Depth=1
	v_mov_b32_e32 v17, 0
	v_mov_b32_e32 v18, 0
	s_delay_alu instid0(VALU_DEP_2) | instskip(SKIP_2) | instid1(VALU_DEP_4)
	v_mov_b32_e32 v13, v17
	v_mov_b32_e32 v15, v17
	v_mov_b32_e32 v9, v17
	v_dual_mov_b32 v11, v17 :: v_dual_mov_b32 v12, v18
	v_dual_mov_b32 v20, v18 :: v_dual_mov_b32 v19, v17
	v_mov_b32_e32 v14, v18
	v_mov_b32_e32 v16, v18
	v_dual_mov_b32 v10, v18 :: v_dual_mov_b32 v7, v17
	v_dual_mov_b32 v8, v18 :: v_dual_mov_b32 v5, v17
	v_mov_b32_e32 v6, v18
	s_and_not1_b32 vcc_lo, exec_lo, s44
	s_cbranch_vccnz .LBB183_43
; %bb.39:                               ;   in Loop: Header=BB183_9 Depth=1
	v_mov_b32_e32 v2, v34
	v_dual_mov_b32 v4, 0 :: v_dual_mov_b32 v3, v35
	s_mov_b32 s49, s25
.LBB183_40:                             ;   Parent Loop BB183_9 Depth=1
                                        ; =>  This Inner Loop Header: Depth=2
	global_load_b128 v[5:8], v[2:3], off
	v_add_co_u32 v2, vcc_lo, v2, s34
	v_add_co_ci_u32_e32 v3, vcc_lo, s35, v3, vcc_lo
	s_add_i32 s49, s49, -1
	s_delay_alu instid0(SALU_CYCLE_1)
	s_cmp_eq_u32 s49, 0
	s_waitcnt vmcnt(0)
	scratch_store_b128 v4, v[5:8], off
	v_add_nc_u32_e32 v4, 16, v4
	s_cbranch_scc0 .LBB183_40
; %bb.41:                               ;   in Loop: Header=BB183_9 Depth=1
	v_dual_mov_b32 v5, 0 :: v_dual_mov_b32 v2, v36
	v_dual_mov_b32 v6, 0 :: v_dual_mov_b32 v3, v37
	v_mov_b32_e32 v4, v59
	s_mov_b32 s49, s25
	s_delay_alu instid0(VALU_DEP_2)
	v_mov_b32_e32 v8, v6
	v_mov_b32_e32 v12, v6
	;; [unrolled: 1-line block ×6, first 2 shown]
	v_dual_mov_b32 v18, v6 :: v_dual_mov_b32 v17, v5
	v_mov_b32_e32 v7, v5
	v_mov_b32_e32 v11, v5
	;; [unrolled: 1-line block ×6, first 2 shown]
.LBB183_42:                             ;   Parent Loop BB183_9 Depth=1
                                        ; =>  This Inner Loop Header: Depth=2
	v_add_co_u32 v38, vcc_lo, v2, s38
	v_add_co_ci_u32_e32 v39, vcc_lo, s39, v3, vcc_lo
	scratch_load_b128 v[60:63], v4, off offset:-8
	v_add_co_u32 v72, vcc_lo, v38, s38
	v_add_co_ci_u32_e32 v73, vcc_lo, s39, v39, vcc_lo
	global_load_b128 v[64:67], v[2:3], off
	v_add_co_u32 v76, vcc_lo, v72, s38
	v_add_co_ci_u32_e32 v77, vcc_lo, s39, v73, vcc_lo
	v_add_co_u32 v2, vcc_lo, v2, 16
	s_clause 0x2
	global_load_b128 v[68:71], v[38:39], off
	global_load_b128 v[72:75], v[72:73], off
	;; [unrolled: 1-line block ×3, first 2 shown]
	v_add_nc_u32_e32 v4, 16, v4
	v_add_co_ci_u32_e32 v3, vcc_lo, 0, v3, vcc_lo
	s_add_i32 s49, s49, -1
	s_delay_alu instid0(SALU_CYCLE_1)
	s_cmp_lg_u32 s49, 0
	s_waitcnt vmcnt(3)
	v_mul_f64 v[38:39], v[62:63], v[66:67]
	v_mul_f64 v[66:67], v[60:61], v[66:67]
	s_waitcnt vmcnt(2)
	v_mul_f64 v[80:81], v[62:63], v[70:71]
	v_mul_f64 v[70:71], v[60:61], v[70:71]
	;; [unrolled: 3-line block ×4, first 2 shown]
	v_fma_f64 v[38:39], v[60:61], v[64:65], v[38:39]
	v_fma_f64 v[64:65], v[62:63], v[64:65], -v[66:67]
	v_fma_f64 v[66:67], v[60:61], v[68:69], v[80:81]
	v_fma_f64 v[68:69], v[62:63], v[68:69], -v[70:71]
	;; [unrolled: 2-line block ×4, first 2 shown]
	v_add_f64 v[7:8], v[7:8], v[38:39]
	v_add_f64 v[5:6], v[5:6], v[64:65]
	;; [unrolled: 1-line block ×8, first 2 shown]
	s_cbranch_scc1 .LBB183_42
.LBB183_43:                             ;   in Loop: Header=BB183_9 Depth=1
	s_or_b32 exec_lo, exec_lo, s48
	s_delay_alu instid0(SALU_CYCLE_1)
	s_or_b32 exec_lo, exec_lo, s47
	s_and_saveexec_b32 s47, s0
	s_cbranch_execnz .LBB183_12
	s_branch .LBB183_13
.LBB183_44:                             ;   in Loop: Header=BB183_9 Depth=1
	ds_load_b128 v[5:8], v57
	s_or_b32 exec_lo, exec_lo, s47
	s_and_saveexec_b32 s47, s0
	s_cbranch_execz .LBB183_17
.LBB183_45:                             ;   in Loop: Header=BB183_9 Depth=1
	s_waitcnt lgkmcnt(0)
	ds_bpermute_b32 v2, v54, v5
	ds_bpermute_b32 v3, v54, v6
	ds_bpermute_b32 v38, v54, v7
	ds_bpermute_b32 v39, v54, v8
	s_waitcnt lgkmcnt(2)
	v_add_f64 v[2:3], v[5:6], v[2:3]
	s_waitcnt lgkmcnt(0)
	v_add_f64 v[4:5], v[7:8], v[38:39]
	ds_bpermute_b32 v6, v55, v2
	ds_bpermute_b32 v7, v55, v3
	ds_bpermute_b32 v38, v55, v4
	ds_bpermute_b32 v39, v55, v5
	s_waitcnt lgkmcnt(2)
	v_add_f64 v[2:3], v[2:3], v[6:7]
	s_waitcnt lgkmcnt(0)
	v_add_f64 v[7:8], v[4:5], v[38:39]
	;; [unrolled: 8-line block ×3, first 2 shown]
	s_or_b32 exec_lo, exec_lo, s47
	s_and_saveexec_b32 s47, s0
	s_cbranch_execnz .LBB183_18
	s_branch .LBB183_19
.LBB183_46:                             ;   in Loop: Header=BB183_9 Depth=1
	ds_load_b128 v[9:12], v57
	s_or_b32 exec_lo, exec_lo, s47
	s_and_saveexec_b32 s47, s0
	s_cbranch_execz .LBB183_23
.LBB183_47:                             ;   in Loop: Header=BB183_9 Depth=1
	s_waitcnt lgkmcnt(0)
	ds_bpermute_b32 v2, v54, v9
	ds_bpermute_b32 v3, v54, v10
	ds_bpermute_b32 v38, v54, v11
	ds_bpermute_b32 v39, v54, v12
	s_waitcnt lgkmcnt(2)
	v_add_f64 v[2:3], v[9:10], v[2:3]
	s_waitcnt lgkmcnt(0)
	v_add_f64 v[9:10], v[11:12], v[38:39]
	ds_bpermute_b32 v11, v55, v2
	ds_bpermute_b32 v12, v55, v3
	ds_bpermute_b32 v38, v55, v9
	ds_bpermute_b32 v39, v55, v10
	s_waitcnt lgkmcnt(2)
	v_add_f64 v[2:3], v[2:3], v[11:12]
	s_waitcnt lgkmcnt(0)
	v_add_f64 v[11:12], v[9:10], v[38:39]
	;; [unrolled: 8-line block ×3, first 2 shown]
	s_or_b32 exec_lo, exec_lo, s47
	s_and_saveexec_b32 s47, s0
	s_cbranch_execnz .LBB183_24
	s_branch .LBB183_25
.LBB183_48:                             ;   in Loop: Header=BB183_9 Depth=1
	ds_load_b128 v[13:16], v57
	s_or_b32 exec_lo, exec_lo, s47
	s_and_saveexec_b32 s47, s0
	s_cbranch_execz .LBB183_29
.LBB183_49:                             ;   in Loop: Header=BB183_9 Depth=1
	s_waitcnt lgkmcnt(0)
	ds_bpermute_b32 v2, v54, v13
	ds_bpermute_b32 v3, v54, v14
	ds_bpermute_b32 v38, v54, v15
	ds_bpermute_b32 v39, v54, v16
	s_waitcnt lgkmcnt(2)
	v_add_f64 v[2:3], v[13:14], v[2:3]
	s_waitcnt lgkmcnt(0)
	v_add_f64 v[13:14], v[15:16], v[38:39]
	ds_bpermute_b32 v15, v55, v2
	ds_bpermute_b32 v16, v55, v3
	ds_bpermute_b32 v38, v55, v13
	ds_bpermute_b32 v39, v55, v14
	s_waitcnt lgkmcnt(2)
	v_add_f64 v[2:3], v[2:3], v[15:16]
	s_waitcnt lgkmcnt(0)
	v_add_f64 v[15:16], v[13:14], v[38:39]
	;; [unrolled: 8-line block ×3, first 2 shown]
	s_or_b32 exec_lo, exec_lo, s47
	s_and_saveexec_b32 s47, s0
	s_cbranch_execnz .LBB183_30
	s_branch .LBB183_31
.LBB183_50:                             ;   in Loop: Header=BB183_9 Depth=1
	ds_load_b128 v[17:20], v57
	s_or_b32 exec_lo, exec_lo, s47
	s_and_saveexec_b32 s47, s0
	s_cbranch_execz .LBB183_35
.LBB183_51:                             ;   in Loop: Header=BB183_9 Depth=1
	s_waitcnt lgkmcnt(0)
	ds_bpermute_b32 v2, v54, v17
	ds_bpermute_b32 v3, v54, v18
	ds_bpermute_b32 v38, v54, v19
	ds_bpermute_b32 v39, v54, v20
	s_waitcnt lgkmcnt(2)
	v_add_f64 v[2:3], v[17:18], v[2:3]
	s_waitcnt lgkmcnt(0)
	v_add_f64 v[17:18], v[19:20], v[38:39]
	ds_bpermute_b32 v19, v55, v2
	ds_bpermute_b32 v20, v55, v3
	ds_bpermute_b32 v38, v55, v17
	ds_bpermute_b32 v39, v55, v18
	s_waitcnt lgkmcnt(2)
	v_add_f64 v[2:3], v[2:3], v[19:20]
	s_waitcnt lgkmcnt(0)
	v_add_f64 v[19:20], v[17:18], v[38:39]
	;; [unrolled: 8-line block ×3, first 2 shown]
	s_or_b32 exec_lo, exec_lo, s47
	s_and_saveexec_b32 s47, s5
	s_cbranch_execz .LBB183_8
.LBB183_52:                             ;   in Loop: Header=BB183_9 Depth=1
	v_mul_f64 v[2:3], s[10:11], v[7:8]
	v_mul_f64 v[7:8], s[8:9], v[7:8]
	;; [unrolled: 1-line block ×6, first 2 shown]
	s_waitcnt lgkmcnt(0)
	v_mul_f64 v[62:63], s[10:11], v[19:20]
	v_mul_f64 v[19:20], s[8:9], v[19:20]
	s_mul_hi_u32 s49, s15, s24
	s_mul_i32 s48, s15, s24
	s_delay_alu instid0(SALU_CYCLE_1) | instskip(NEXT) | instid1(SALU_CYCLE_1)
	s_lshl_b64 s[48:49], s[48:49], 4
	s_add_u32 s48, s45, s48
	s_addc_u32 s49, s46, s49
	s_or_b32 s50, s15, 1
	s_delay_alu instid0(SALU_CYCLE_1) | instskip(SKIP_1) | instid1(SALU_CYCLE_1)
	s_mul_hi_u32 s51, s50, s24
	s_mul_i32 s50, s50, s24
	s_lshl_b64 s[50:51], s[50:51], 4
	s_delay_alu instid0(SALU_CYCLE_1) | instskip(SKIP_2) | instid1(SALU_CYCLE_1)
	s_add_u32 s50, s45, s50
	s_addc_u32 s51, s46, s51
	s_or_b32 s52, s15, 2
	s_mul_hi_u32 s53, s52, s24
	s_mul_i32 s52, s52, s24
	s_delay_alu instid0(SALU_CYCLE_1) | instskip(NEXT) | instid1(SALU_CYCLE_1)
	s_lshl_b64 s[52:53], s[52:53], 4
	s_add_u32 s52, s45, s52
	s_addc_u32 s53, s46, s53
	s_or_b32 s54, s15, 3
	s_delay_alu instid0(SALU_CYCLE_1) | instskip(SKIP_1) | instid1(SALU_CYCLE_1)
	s_mul_hi_u32 s55, s54, s24
	s_mul_i32 s54, s54, s24
	s_lshl_b64 s[54:55], s[54:55], 4
	v_fma_f64 v[2:3], s[8:9], v[5:6], -v[2:3]
	v_fma_f64 v[4:5], s[10:11], v[5:6], v[7:8]
	v_fma_f64 v[6:7], s[8:9], v[9:10], -v[38:39]
	v_fma_f64 v[8:9], s[10:11], v[9:10], v[11:12]
	v_fma_f64 v[10:11], s[8:9], v[13:14], -v[60:61]
	v_fma_f64 v[12:13], s[10:11], v[13:14], v[15:16]
	v_fma_f64 v[14:15], s[8:9], v[17:18], -v[62:63]
	v_fma_f64 v[16:17], s[10:11], v[17:18], v[19:20]
	s_add_u32 s54, s45, s54
	s_addc_u32 s55, s46, s55
	s_clause 0x3
	global_store_b128 v1, v[2:5], s[48:49]
	global_store_b128 v1, v[6:9], s[50:51]
	;; [unrolled: 1-line block ×4, first 2 shown]
	s_branch .LBB183_8
.LBB183_53:
	s_mov_b32 s15, 0
.LBB183_54:
	s_delay_alu instid0(SALU_CYCLE_1)
	s_cmp_ge_i32 s15, s13
	s_cbranch_scc1 .LBB183_76
; %bb.55:
	v_cmp_gt_u32_e64 s1, 16, v48
	v_mad_i64_i32 v[7:8], null, s28, v46, 0
	v_cmp_gt_u32_e64 s0, 32, v0
	v_cmp_gt_u32_e64 s2, 8, v0
	s_delay_alu instid0(VALU_DEP_4) | instskip(SKIP_3) | instid1(VALU_DEP_4)
	v_cndmask_b32_e64 v1, 0, 1, s1
	v_cmp_gt_u32_e64 s1, 24, v48
	v_cmp_eq_u32_e64 s3, 0, v0
	v_mad_i64_i32 v[11:12], null, s28, v45, 0
	v_lshlrev_b32_e32 v1, 4, v1
	s_delay_alu instid0(VALU_DEP_4)
	v_cndmask_b32_e64 v2, 0, 1, s1
	v_cmp_gt_u32_e64 s1, 28, v48
	v_lshlrev_b64 v[9:10], 4, v[7:8]
	v_cmp_ge_i32_e64 s4, s12, v51
	v_add_lshl_u32 v27, v1, v48, 2
	v_lshlrev_b32_e32 v2, 3, v2
	v_cndmask_b32_e64 v3, 0, 1, s1
	v_cmp_gt_u32_e64 s1, 30, v48
	s_cmp_gt_i32 s25, 0
	s_mov_b32 s35, 0
	v_add_lshl_u32 v28, v2, v48, 2
	v_lshlrev_b32_e32 v3, 2, v3
	v_cndmask_b32_e64 v4, 0, 1, s1
	v_mad_i64_i32 v[1:2], null, s28, v25, 0
	v_cmp_ne_u32_e64 s1, 31, v48
	s_delay_alu instid0(VALU_DEP_4) | instskip(NEXT) | instid1(VALU_DEP_4)
	v_add_lshl_u32 v29, v3, v48, 2
	v_lshlrev_b32_e32 v4, 1, v4
	s_mov_b32 s34, s14
	s_cselect_b32 s36, -1, 0
	v_add_co_ci_u32_e64 v5, s1, 0, v48, s1
	s_delay_alu instid0(VALU_DEP_2) | instskip(SKIP_2) | instid1(VALU_DEP_4)
	v_add_lshl_u32 v30, v4, v48, 2
	v_mad_i64_i32 v[3:4], null, s28, v49, 0
	v_lshlrev_b64 v[0:1], 4, v[1:2]
	v_lshlrev_b32_e32 v31, 2, v5
	s_lshl_b64 s[34:35], s[34:35], 4
	v_cmp_ge_i32_e32 vcc_lo, s12, v50
	s_add_u32 s12, s41, s34
	s_addc_u32 s14, s42, s35
	s_delay_alu instid0(VALU_DEP_4) | instskip(SKIP_1) | instid1(VALU_DEP_1)
	v_lshlrev_b64 v[2:3], 4, v[3:4]
	v_add_co_u32 v5, s5, s33, v0
	v_add_co_ci_u32_e64 v6, s5, s40, v1, s5
	v_lshlrev_b32_e32 v26, 4, v44
	s_delay_alu instid0(VALU_DEP_4) | instskip(NEXT) | instid1(VALU_DEP_1)
	v_add_co_u32 v7, s5, s33, v2
	v_add_co_ci_u32_e64 v8, s5, s40, v3, s5
	v_add_co_u32 v9, s5, s33, v9
	s_delay_alu instid0(VALU_DEP_1)
	v_add_co_ci_u32_e64 v10, s5, s40, v10, s5
	v_lshlrev_b64 v[2:3], 4, v[11:12]
	s_and_b32 s5, s36, s4
	s_add_u32 s4, s6, s30
	s_addc_u32 s6, s7, s31
	s_add_u32 s30, s4, s20
	s_mul_i32 s4, s27, s15
	s_mul_hi_u32 s7, s26, s15
	s_addc_u32 s31, s6, s21
	s_add_i32 s7, s7, s4
	s_mul_i32 s6, s26, s15
	v_add_co_u32 v11, s4, s33, v2
	s_lshl_b64 s[20:21], s[6:7], 4
	v_add_co_ci_u32_e64 v12, s4, s40, v3, s4
	s_lshl_b64 s[6:7], s[28:29], 4
	s_add_u32 s4, s22, s20
	s_addc_u32 s20, s23, s21
	s_add_u32 s4, s4, s18
	s_addc_u32 s18, s20, s19
	;; [unrolled: 2-line block ×3, first 2 shown]
	v_add_co_u32 v2, s4, s4, v23
	s_delay_alu instid0(VALU_DEP_1)
	v_add_co_ci_u32_e64 v3, s4, s16, v24, s4
	v_add_co_u32 v13, s4, s30, v0
	v_mov_b32_e32 v0, 0
	v_add_co_ci_u32_e64 v14, s4, s31, v1, s4
	v_add_co_u32 v15, s4, v2, 8
	v_cmp_eq_u32_e64 s1, 0, v44
	v_and_b32_e32 v25, 0x70, v47
	v_add_co_ci_u32_e64 v16, s4, 0, v3, s4
	s_lshl_b64 s[16:17], s[26:27], 4
	s_branch .LBB183_57
.LBB183_56:                             ;   in Loop: Header=BB183_57 Depth=1
	s_or_b32 exec_lo, exec_lo, s4
	v_add_co_u32 v15, s4, v15, s16
	s_delay_alu instid0(VALU_DEP_1) | instskip(SKIP_1) | instid1(SALU_CYCLE_1)
	v_add_co_ci_u32_e64 v16, s4, s17, v16, s4
	s_add_i32 s15, s15, 1
	s_cmp_lt_i32 s15, s13
	s_cbranch_scc0 .LBB183_76
.LBB183_57:                             ; =>This Loop Header: Depth=1
                                        ;     Child Loop BB183_69 Depth 2
                                        ;     Child Loop BB183_71 Depth 2
                                        ; implicit-def: $vgpr17_vgpr18
                                        ; implicit-def: $vgpr19_vgpr20
	s_and_saveexec_b32 s4, vcc_lo
	s_delay_alu instid0(SALU_CYCLE_1)
	s_xor_b32 s18, exec_lo, s4
	s_cbranch_execnz .LBB183_66
; %bb.58:                               ;   in Loop: Header=BB183_57 Depth=1
	s_and_not1_saveexec_b32 s18, s18
	s_cbranch_execnz .LBB183_67
.LBB183_59:                             ;   in Loop: Header=BB183_57 Depth=1
	s_or_b32 exec_lo, exec_lo, s18
	s_and_saveexec_b32 s4, s0
	s_cbranch_execz .LBB183_61
.LBB183_60:                             ;   in Loop: Header=BB183_57 Depth=1
	s_waitcnt lgkmcnt(0)
	v_mov_b32_e32 v1, v0
	v_mov_b32_e32 v2, v0
	v_mov_b32_e32 v3, v0
	ds_store_b128 v26, v[0:3]
.LBB183_61:                             ;   in Loop: Header=BB183_57 Depth=1
	s_or_b32 exec_lo, exec_lo, s4
	s_waitcnt lgkmcnt(0)
	ds_bpermute_b32 v1, v27, v17
	ds_bpermute_b32 v2, v27, v18
	;; [unrolled: 1-line block ×4, first 2 shown]
	s_waitcnt lgkmcnt(0)
	s_waitcnt_vscnt null, 0x0
	s_barrier
	buffer_gl0_inv
	v_add_f64 v[1:2], v[17:18], v[1:2]
	v_add_f64 v[3:4], v[19:20], v[3:4]
	ds_bpermute_b32 v17, v28, v1
	ds_bpermute_b32 v18, v28, v2
	ds_bpermute_b32 v19, v28, v3
	ds_bpermute_b32 v20, v28, v4
	s_waitcnt lgkmcnt(2)
	v_add_f64 v[1:2], v[1:2], v[17:18]
	s_waitcnt lgkmcnt(0)
	v_add_f64 v[3:4], v[3:4], v[19:20]
	ds_bpermute_b32 v17, v29, v1
	ds_bpermute_b32 v18, v29, v2
	ds_bpermute_b32 v19, v29, v3
	ds_bpermute_b32 v20, v29, v4
	s_waitcnt lgkmcnt(2)
	v_add_f64 v[1:2], v[1:2], v[17:18]
	s_waitcnt lgkmcnt(0)
	;; [unrolled: 8-line block ×3, first 2 shown]
	v_add_f64 v[17:18], v[3:4], v[19:20]
	ds_bpermute_b32 v3, v31, v1
	ds_bpermute_b32 v4, v31, v2
	;; [unrolled: 1-line block ×4, first 2 shown]
	s_and_saveexec_b32 s4, s1
	s_cbranch_execz .LBB183_63
; %bb.62:                               ;   in Loop: Header=BB183_57 Depth=1
	s_waitcnt lgkmcnt(0)
	v_add_f64 v[19:20], v[17:18], v[19:20]
	v_add_f64 v[17:18], v[1:2], v[3:4]
	ds_store_b128 v25, v[17:20]
.LBB183_63:                             ;   in Loop: Header=BB183_57 Depth=1
	s_or_b32 exec_lo, exec_lo, s4
	s_waitcnt lgkmcnt(2)
	v_mov_b32_e32 v3, 0
	v_mov_b32_e32 v4, 0
	s_delay_alu instid0(VALU_DEP_2)
	v_mov_b32_e32 v1, v3
	s_waitcnt lgkmcnt(0)
	s_barrier
	buffer_gl0_inv
	v_mov_b32_e32 v2, v4
	s_and_saveexec_b32 s4, s2
	s_cbranch_execnz .LBB183_73
; %bb.64:                               ;   in Loop: Header=BB183_57 Depth=1
	s_or_b32 exec_lo, exec_lo, s4
	s_and_saveexec_b32 s4, s0
	s_cbranch_execnz .LBB183_74
.LBB183_65:                             ;   in Loop: Header=BB183_57 Depth=1
	s_or_b32 exec_lo, exec_lo, s4
	s_and_saveexec_b32 s4, s3
	s_cbranch_execz .LBB183_56
	s_branch .LBB183_75
.LBB183_66:                             ;   in Loop: Header=BB183_57 Depth=1
	s_waitcnt lgkmcnt(0)
	global_load_b128 v[1:4], v[7:8], off
	s_waitcnt lgkmcnt(0)
	s_clause 0x1
	global_load_b128 v[17:20], v[9:10], off
	global_load_b128 v[32:35], v[11:12], off
	s_mul_i32 s4, s15, s27
	s_mul_hi_u32 s19, s15, s26
	s_mul_i32 s20, s15, s26
	s_add_i32 s21, s19, s4
	s_delay_alu instid0(SALU_CYCLE_1) | instskip(NEXT) | instid1(SALU_CYCLE_1)
	s_lshl_b64 s[20:21], s[20:21], 4
	v_add_co_u32 v23, s4, v21, s20
	s_delay_alu instid0(VALU_DEP_1)
	v_add_co_ci_u32_e64 v24, s4, s21, v22, s4
	global_load_b128 v[36:39], v[5:6], off
	s_clause 0x1
	global_load_b128 v[44:47], v[23:24], off
	global_load_b128 v[48:51], v[23:24], off offset:16
	s_waitcnt vmcnt(5)
	scratch_store_b128 v40, v[1:4], off
	scratch_load_b128 v[1:4], off, off offset:16
	global_load_b128 v[52:55], v[23:24], off offset:32
	s_waitcnt vmcnt(6)
	scratch_store_b128 v41, v[17:20], off
	scratch_load_b128 v[17:20], off, off offset:32
	;; [unrolled: 4-line block ×3, first 2 shown]
	s_waitcnt vmcnt(7)
	scratch_store_b128 off, v[36:39], off
	s_waitcnt vmcnt(6)
	v_mul_f64 v[23:24], v[46:47], v[38:39]
	v_mul_f64 v[46:47], v[46:47], v[36:37]
	s_delay_alu instid0(VALU_DEP_2) | instskip(NEXT) | instid1(VALU_DEP_2)
	v_fma_f64 v[23:24], v[44:45], v[36:37], v[23:24]
	v_fma_f64 v[44:45], v[44:45], v[38:39], -v[46:47]
	s_delay_alu instid0(VALU_DEP_2) | instskip(NEXT) | instid1(VALU_DEP_2)
	v_add_f64 v[23:24], v[23:24], 0
	v_add_f64 v[44:45], v[44:45], 0
	s_waitcnt vmcnt(4)
	v_mul_f64 v[46:47], v[50:51], v[3:4]
	v_mul_f64 v[50:51], v[50:51], v[1:2]
	s_waitcnt vmcnt(2)
	v_mul_f64 v[60:61], v[54:55], v[19:20]
	v_mul_f64 v[54:55], v[54:55], v[17:18]
	s_delay_alu instid0(VALU_DEP_4) | instskip(NEXT) | instid1(VALU_DEP_4)
	v_fma_f64 v[1:2], v[48:49], v[1:2], v[46:47]
	v_fma_f64 v[3:4], v[48:49], v[3:4], -v[50:51]
	s_waitcnt vmcnt(0)
	v_mul_f64 v[46:47], v[58:59], v[34:35]
	v_mul_f64 v[48:49], v[58:59], v[32:33]
	v_fma_f64 v[17:18], v[52:53], v[17:18], v[60:61]
	v_fma_f64 v[19:20], v[52:53], v[19:20], -v[54:55]
	v_add_f64 v[1:2], v[23:24], v[1:2]
	v_add_f64 v[3:4], v[44:45], v[3:4]
	v_fma_f64 v[23:24], v[56:57], v[32:33], v[46:47]
	v_fma_f64 v[32:33], v[56:57], v[34:35], -v[48:49]
	s_delay_alu instid0(VALU_DEP_4) | instskip(NEXT) | instid1(VALU_DEP_4)
	v_add_f64 v[1:2], v[1:2], v[17:18]
	v_add_f64 v[3:4], v[3:4], v[19:20]
	s_delay_alu instid0(VALU_DEP_2) | instskip(NEXT) | instid1(VALU_DEP_2)
	v_add_f64 v[17:18], v[1:2], v[23:24]
	v_add_f64 v[19:20], v[3:4], v[32:33]
	s_and_not1_saveexec_b32 s18, s18
	s_cbranch_execz .LBB183_59
.LBB183_67:                             ;   in Loop: Header=BB183_57 Depth=1
	s_waitcnt lgkmcnt(0)
	v_mov_b32_e32 v17, 0
	v_mov_b32_e32 v18, 0
	s_delay_alu instid0(VALU_DEP_1)
	v_dual_mov_b32 v20, v18 :: v_dual_mov_b32 v19, v17
	s_and_saveexec_b32 s19, s5
	s_cbranch_execz .LBB183_72
; %bb.68:                               ;   in Loop: Header=BB183_57 Depth=1
	v_mov_b32_e32 v1, v13
	v_dual_mov_b32 v3, 0 :: v_dual_mov_b32 v2, v14
	s_mov_b32 s20, s25
.LBB183_69:                             ;   Parent Loop BB183_57 Depth=1
                                        ; =>  This Inner Loop Header: Depth=2
	global_load_b128 v[17:20], v[1:2], off
	v_add_co_u32 v1, s4, v1, s6
	s_delay_alu instid0(VALU_DEP_1) | instskip(SKIP_1) | instid1(SALU_CYCLE_1)
	v_add_co_ci_u32_e64 v2, s4, s7, v2, s4
	s_add_i32 s20, s20, -1
	s_cmp_eq_u32 s20, 0
	s_waitcnt vmcnt(0)
	scratch_store_b128 v3, v[17:20], off
	v_add_nc_u32_e32 v3, 16, v3
	s_cbranch_scc0 .LBB183_69
; %bb.70:                               ;   in Loop: Header=BB183_57 Depth=1
	v_mov_b32_e32 v17, 0
	v_dual_mov_b32 v18, 0 :: v_dual_mov_b32 v1, v15
	v_dual_mov_b32 v3, v43 :: v_dual_mov_b32 v2, v16
	s_mov_b32 s20, s25
	s_delay_alu instid0(VALU_DEP_2)
	v_dual_mov_b32 v20, v18 :: v_dual_mov_b32 v19, v17
	.p2align	6
.LBB183_71:                             ;   Parent Loop BB183_57 Depth=1
                                        ; =>  This Inner Loop Header: Depth=2
	global_load_b128 v[32:35], v[1:2], off offset:-8
	scratch_load_b128 v[36:39], v3, off offset:-8
	v_add_co_u32 v1, s4, v1, 16
	v_add_nc_u32_e32 v3, 16, v3
	v_add_co_ci_u32_e64 v2, s4, 0, v2, s4
	s_add_i32 s20, s20, -1
	s_delay_alu instid0(SALU_CYCLE_1) | instskip(SKIP_3) | instid1(VALU_DEP_2)
	s_cmp_lg_u32 s20, 0
	s_waitcnt vmcnt(0)
	v_mul_f64 v[23:24], v[34:35], v[38:39]
	v_mul_f64 v[34:35], v[34:35], v[36:37]
	v_fma_f64 v[23:24], v[32:33], v[36:37], v[23:24]
	s_delay_alu instid0(VALU_DEP_2) | instskip(NEXT) | instid1(VALU_DEP_2)
	v_fma_f64 v[32:33], v[32:33], v[38:39], -v[34:35]
	v_add_f64 v[17:18], v[17:18], v[23:24]
	s_delay_alu instid0(VALU_DEP_2)
	v_add_f64 v[19:20], v[19:20], v[32:33]
	s_cbranch_scc1 .LBB183_71
.LBB183_72:                             ;   in Loop: Header=BB183_57 Depth=1
	s_or_b32 exec_lo, exec_lo, s19
	s_delay_alu instid0(SALU_CYCLE_1)
	s_or_b32 exec_lo, exec_lo, s18
	s_and_saveexec_b32 s4, s0
	s_cbranch_execnz .LBB183_60
	s_branch .LBB183_61
.LBB183_73:                             ;   in Loop: Header=BB183_57 Depth=1
	ds_load_b128 v[1:4], v26
	s_or_b32 exec_lo, exec_lo, s4
	s_and_saveexec_b32 s4, s0
	s_cbranch_execz .LBB183_65
.LBB183_74:                             ;   in Loop: Header=BB183_57 Depth=1
	s_waitcnt lgkmcnt(0)
	ds_bpermute_b32 v17, v29, v1
	ds_bpermute_b32 v18, v29, v2
	ds_bpermute_b32 v19, v29, v3
	ds_bpermute_b32 v20, v29, v4
	s_waitcnt lgkmcnt(2)
	v_add_f64 v[1:2], v[1:2], v[17:18]
	s_waitcnt lgkmcnt(0)
	v_add_f64 v[3:4], v[3:4], v[19:20]
	ds_bpermute_b32 v17, v30, v1
	ds_bpermute_b32 v18, v30, v2
	ds_bpermute_b32 v19, v30, v3
	ds_bpermute_b32 v20, v30, v4
	s_waitcnt lgkmcnt(2)
	v_add_f64 v[1:2], v[1:2], v[17:18]
	s_waitcnt lgkmcnt(0)
	v_add_f64 v[3:4], v[3:4], v[19:20]
	;; [unrolled: 8-line block ×3, first 2 shown]
	s_or_b32 exec_lo, exec_lo, s4
	s_and_saveexec_b32 s4, s3
	s_cbranch_execz .LBB183_56
.LBB183_75:                             ;   in Loop: Header=BB183_57 Depth=1
	s_waitcnt lgkmcnt(0)
	s_delay_alu instid0(VALU_DEP_1) | instskip(SKIP_3) | instid1(SALU_CYCLE_1)
	v_mul_f64 v[17:18], s[10:11], v[3:4]
	v_mul_f64 v[3:4], s[8:9], v[3:4]
	s_mul_hi_u32 s19, s15, s24
	s_mul_i32 s18, s15, s24
	s_lshl_b64 s[18:19], s[18:19], 4
	s_delay_alu instid0(SALU_CYCLE_1) | instskip(SKIP_1) | instid1(VALU_DEP_2)
	s_add_u32 s18, s12, s18
	s_addc_u32 s19, s14, s19
	v_fma_f64 v[17:18], s[8:9], v[1:2], -v[17:18]
	s_delay_alu instid0(VALU_DEP_2)
	v_fma_f64 v[19:20], s[10:11], v[1:2], v[3:4]
	global_store_b128 v0, v[17:20], s[18:19]
	s_branch .LBB183_56
.LBB183_76:
	s_nop 0
	s_sendmsg sendmsg(MSG_DEALLOC_VGPRS)
	s_endpgm
	.section	.rodata,"a",@progbits
	.p2align	6, 0x0
	.amdhsa_kernel _ZL23rocblas_gemvt_sn_kernelILb1ELi256ELi4El19rocblas_complex_numIdES1_S1_EviiT4_lPKT3_lilS5_lilPT5_i
		.amdhsa_group_segment_fixed_size 512
		.amdhsa_private_segment_fixed_size 80
		.amdhsa_kernarg_size 368
		.amdhsa_user_sgpr_count 14
		.amdhsa_user_sgpr_dispatch_ptr 0
		.amdhsa_user_sgpr_queue_ptr 0
		.amdhsa_user_sgpr_kernarg_segment_ptr 1
		.amdhsa_user_sgpr_dispatch_id 0
		.amdhsa_user_sgpr_private_segment_size 0
		.amdhsa_wavefront_size32 1
		.amdhsa_uses_dynamic_stack 0
		.amdhsa_enable_private_segment 1
		.amdhsa_system_sgpr_workgroup_id_x 1
		.amdhsa_system_sgpr_workgroup_id_y 0
		.amdhsa_system_sgpr_workgroup_id_z 1
		.amdhsa_system_sgpr_workgroup_info 0
		.amdhsa_system_vgpr_workitem_id 0
		.amdhsa_next_free_vgpr 132
		.amdhsa_next_free_sgpr 61
		.amdhsa_reserve_vcc 1
		.amdhsa_float_round_mode_32 0
		.amdhsa_float_round_mode_16_64 0
		.amdhsa_float_denorm_mode_32 3
		.amdhsa_float_denorm_mode_16_64 3
		.amdhsa_dx10_clamp 1
		.amdhsa_ieee_mode 1
		.amdhsa_fp16_overflow 0
		.amdhsa_workgroup_processor_mode 1
		.amdhsa_memory_ordered 1
		.amdhsa_forward_progress 0
		.amdhsa_shared_vgpr_count 0
		.amdhsa_exception_fp_ieee_invalid_op 0
		.amdhsa_exception_fp_denorm_src 0
		.amdhsa_exception_fp_ieee_div_zero 0
		.amdhsa_exception_fp_ieee_overflow 0
		.amdhsa_exception_fp_ieee_underflow 0
		.amdhsa_exception_fp_ieee_inexact 0
		.amdhsa_exception_int_div_zero 0
	.end_amdhsa_kernel
	.section	.text._ZL23rocblas_gemvt_sn_kernelILb1ELi256ELi4El19rocblas_complex_numIdES1_S1_EviiT4_lPKT3_lilS5_lilPT5_i,"axG",@progbits,_ZL23rocblas_gemvt_sn_kernelILb1ELi256ELi4El19rocblas_complex_numIdES1_S1_EviiT4_lPKT3_lilS5_lilPT5_i,comdat
.Lfunc_end183:
	.size	_ZL23rocblas_gemvt_sn_kernelILb1ELi256ELi4El19rocblas_complex_numIdES1_S1_EviiT4_lPKT3_lilS5_lilPT5_i, .Lfunc_end183-_ZL23rocblas_gemvt_sn_kernelILb1ELi256ELi4El19rocblas_complex_numIdES1_S1_EviiT4_lPKT3_lilS5_lilPT5_i
                                        ; -- End function
	.section	.AMDGPU.csdata,"",@progbits
; Kernel info:
; codeLenInByte = 7640
; NumSgprs: 63
; NumVgprs: 132
; ScratchSize: 80
; MemoryBound: 0
; FloatMode: 240
; IeeeMode: 1
; LDSByteSize: 512 bytes/workgroup (compile time only)
; SGPRBlocks: 7
; VGPRBlocks: 16
; NumSGPRsForWavesPerEU: 63
; NumVGPRsForWavesPerEU: 132
; Occupancy: 10
; WaveLimiterHint : 1
; COMPUTE_PGM_RSRC2:SCRATCH_EN: 1
; COMPUTE_PGM_RSRC2:USER_SGPR: 14
; COMPUTE_PGM_RSRC2:TRAP_HANDLER: 0
; COMPUTE_PGM_RSRC2:TGID_X_EN: 1
; COMPUTE_PGM_RSRC2:TGID_Y_EN: 0
; COMPUTE_PGM_RSRC2:TGID_Z_EN: 1
; COMPUTE_PGM_RSRC2:TIDIG_COMP_CNT: 0
	.section	.text._ZL20rocblas_gemvt_kernelILb1ELi256E19rocblas_complex_numIdEPKS1_S1_EviiT2_lPKT1_lilS7_lilS4_lPT3_lili,"axG",@progbits,_ZL20rocblas_gemvt_kernelILb1ELi256E19rocblas_complex_numIdEPKS1_S1_EviiT2_lPKT1_lilS7_lilS4_lPT3_lili,comdat
	.globl	_ZL20rocblas_gemvt_kernelILb1ELi256E19rocblas_complex_numIdEPKS1_S1_EviiT2_lPKT1_lilS7_lilS4_lPT3_lili ; -- Begin function _ZL20rocblas_gemvt_kernelILb1ELi256E19rocblas_complex_numIdEPKS1_S1_EviiT2_lPKT1_lilS7_lilS4_lPT3_lili
	.p2align	8
	.type	_ZL20rocblas_gemvt_kernelILb1ELi256E19rocblas_complex_numIdEPKS1_S1_EviiT2_lPKT1_lilS7_lilS4_lPT3_lili,@function
_ZL20rocblas_gemvt_kernelILb1ELi256E19rocblas_complex_numIdEPKS1_S1_EviiT2_lPKT1_lilS7_lilS4_lPT3_lili: ; @_ZL20rocblas_gemvt_kernelILb1ELi256E19rocblas_complex_numIdEPKS1_S1_EviiT2_lPKT1_lilS7_lilS4_lPT3_lili
; %bb.0:
	s_load_b256 s[4:11], s[0:1], 0x8
	s_waitcnt lgkmcnt(0)
	s_mul_i32 s3, s15, s7
	s_mul_hi_u32 s7, s15, s6
	s_mul_i32 s2, s15, s6
	s_add_i32 s3, s7, s3
	s_delay_alu instid0(SALU_CYCLE_1) | instskip(NEXT) | instid1(SALU_CYCLE_1)
	s_lshl_b64 s[2:3], s[2:3], 4
	s_add_u32 s2, s4, s2
	s_addc_u32 s3, s5, s3
	s_load_b128 s[4:7], s[2:3], 0x0
	s_load_b256 s[16:23], s[0:1], 0x50
	s_waitcnt lgkmcnt(0)
	v_cmp_neq_f64_e64 s12, s[4:5], 0
	v_cmp_neq_f64_e64 s13, s[6:7], 0
	s_mul_i32 s2, s15, s21
	s_mul_hi_u32 s3, s15, s20
	s_delay_alu instid0(SALU_CYCLE_1) | instskip(SKIP_1) | instid1(SALU_CYCLE_1)
	s_add_i32 s3, s3, s2
	s_mul_i32 s2, s15, s20
	s_lshl_b64 s[2:3], s[2:3], 4
	s_delay_alu instid0(SALU_CYCLE_1) | instskip(SKIP_3) | instid1(VALU_DEP_1)
	s_add_u32 s2, s18, s2
	s_addc_u32 s3, s19, s3
	s_load_b128 s[24:27], s[2:3], 0x0
	s_mov_b32 s3, -1
	s_or_b32 s2, s12, s13
	s_delay_alu instid0(SALU_CYCLE_1)
	s_and_b32 vcc_lo, exec_lo, s2
	s_cbranch_vccnz .LBB184_2
; %bb.1:
	s_waitcnt lgkmcnt(0)
	v_cmp_neq_f64_e64 s3, s[24:25], 1.0
	v_cmp_neq_f64_e64 s12, s[26:27], 0
	s_delay_alu instid0(VALU_DEP_1)
	s_or_b32 s3, s3, s12
.LBB184_2:
	s_delay_alu instid0(SALU_CYCLE_1)
	s_and_not1_b32 vcc_lo, exec_lo, s3
	s_cbranch_vccnz .LBB184_38
; %bb.3:
	s_clause 0x2
	s_load_b64 s[12:13], s[0:1], 0x80
	s_load_b64 s[18:19], s[0:1], 0x70
	s_load_b32 s33, s[0:1], 0x78
	s_xor_b32 s20, s2, -1
	s_mov_b32 s34, 0
	s_waitcnt lgkmcnt(0)
	s_mul_i32 s3, s15, s13
	s_mul_hi_u32 s13, s15, s12
	s_mul_i32 s2, s15, s12
	s_add_i32 s3, s13, s3
	s_delay_alu instid0(SALU_CYCLE_1) | instskip(NEXT) | instid1(SALU_CYCLE_1)
	s_lshl_b64 s[2:3], s[2:3], 4
	s_add_u32 s21, s22, s2
	s_addc_u32 s3, s23, s3
	s_lshl_b64 s[12:13], s[18:19], 4
	v_cmp_eq_u32_e64 s2, 0, v0
	s_add_u32 s30, s21, s12
	s_addc_u32 s31, s3, s13
	s_and_not1_b32 vcc_lo, exec_lo, s20
	s_cbranch_vccnz .LBB184_8
; %bb.4:
	s_mov_b32 s3, 0
                                        ; implicit-def: $vgpr3_vgpr4
                                        ; implicit-def: $sgpr12_sgpr13
	s_and_saveexec_b32 s18, s2
	s_cbranch_execz .LBB184_9
; %bb.5:
	v_cmp_neq_f64_e64 s2, s[24:25], 0
	v_cmp_neq_f64_e64 s12, s[26:27], 0
	v_mov_b32_e32 v3, 0
	v_mov_b32_e32 v4, 0
	s_delay_alu instid0(VALU_DEP_2) | instskip(SKIP_1) | instid1(VALU_DEP_2)
	v_mov_b32_e32 v1, v3
	s_mul_hi_i32 s13, s33, s14
	v_mov_b32_e32 v2, v4
	s_or_b32 s2, s2, s12
	s_mul_i32 s12, s33, s14
	s_and_not1_b32 vcc_lo, exec_lo, s2
	s_cbranch_vccnz .LBB184_7
; %bb.6:
	s_lshl_b64 s[20:21], s[12:13], 4
	s_delay_alu instid0(SALU_CYCLE_1)
	s_add_u32 s20, s30, s20
	s_addc_u32 s21, s31, s21
	s_load_b128 s[20:23], s[20:21], 0x0
	s_waitcnt lgkmcnt(0)
	v_mul_f64 v[1:2], s[26:27], s[22:23]
	v_mul_f64 v[3:4], s[24:25], s[22:23]
	s_delay_alu instid0(VALU_DEP_2) | instskip(NEXT) | instid1(VALU_DEP_2)
	v_fma_f64 v[1:2], s[24:25], s[20:21], -v[1:2]
	v_fma_f64 v[3:4], s[26:27], s[20:21], v[3:4]
.LBB184_7:
	s_mov_b32 s34, exec_lo
	s_or_b32 exec_lo, exec_lo, s18
	s_delay_alu instid0(SALU_CYCLE_1)
	s_and_b32 vcc_lo, exec_lo, s3
	s_cbranch_vccnz .LBB184_10
	s_branch .LBB184_36
.LBB184_8:
                                        ; implicit-def: $vgpr3_vgpr4
                                        ; implicit-def: $sgpr12_sgpr13
	s_cbranch_execnz .LBB184_10
	s_branch .LBB184_36
.LBB184_9:
	s_or_b32 exec_lo, exec_lo, s18
	s_delay_alu instid0(SALU_CYCLE_1)
	s_and_b32 vcc_lo, exec_lo, s3
	s_cbranch_vccz .LBB184_36
.LBB184_10:
	s_clause 0x4
	s_load_b128 s[20:23], s[0:1], 0x30
	s_load_b32 s35, s[0:1], 0x0
	s_load_b32 s18, s[0:1], 0x28
	s_load_b64 s[2:3], s[0:1], 0x40
	s_load_b32 s0, s[0:1], 0x48
	v_mov_b32_e32 v3, 0
	s_mul_i32 s13, s15, s17
	s_mul_hi_u32 s19, s15, s16
	s_mul_i32 s12, s15, s16
	s_add_i32 s13, s19, s13
	s_mov_b32 s17, 0
	s_waitcnt lgkmcnt(0)
	s_mul_i32 s1, s15, s21
	v_cmp_gt_i32_e32 vcc_lo, s35, v0
	v_mov_b32_e32 v4, 0
	s_mul_hi_u32 s16, s15, s20
	s_mul_i32 s20, s15, s20
	s_ashr_i32 s15, s35, 31
	v_cndmask_b32_e32 v1, 0, v0, vcc_lo
	s_lshr_b32 s15, s15, 24
	s_add_i32 s21, s16, s1
	s_add_i32 s1, s35, s15
	s_mul_hi_i32 s19, s18, s14
	v_lshlrev_b32_e32 v9, 4, v1
	v_dual_mov_b32 v1, v3 :: v_dual_mov_b32 v2, v4
	s_and_b32 s16, s1, 0xffffff00
	s_cmpk_lt_i32 s35, 0x100
	s_mul_i32 s18, s18, s14
	s_cbranch_scc1 .LBB184_13
; %bb.11:
	s_lshl_b64 s[28:29], s[18:19], 4
	s_lshl_b64 s[36:37], s[20:21], 4
	s_ashr_i32 s1, s0, 31
	s_add_u32 s15, s28, s36
	v_mad_i64_i32 v[1:2], null, s0, v0, 0
	s_addc_u32 s36, s29, s37
	s_lshl_b64 s[28:29], s[10:11], 4
	v_mov_b32_e32 v3, 0
	s_add_u32 s15, s15, s28
	s_addc_u32 s28, s36, s29
	s_add_u32 s15, s8, s15
	s_addc_u32 s28, s9, s28
	v_add_co_u32 v5, s15, s15, v9
	s_lshl_b64 s[36:37], s[2:3], 4
	v_lshlrev_b64 v[1:2], 4, v[1:2]
	v_add_co_ci_u32_e64 v6, null, s28, 0, s15
	s_lshl_b64 s[28:29], s[12:13], 4
	s_add_u32 s15, s22, s36
	s_addc_u32 s36, s23, s37
	s_add_u32 s15, s15, s28
	s_addc_u32 s28, s36, s29
	v_add_co_u32 v1, vcc_lo, s15, v1
	v_add_co_ci_u32_e32 v2, vcc_lo, s28, v2, vcc_lo
	v_mov_b32_e32 v4, 0
	v_add_co_u32 v5, vcc_lo, v5, 8
	v_add_co_ci_u32_e32 v6, vcc_lo, 0, v6, vcc_lo
	v_add_co_u32 v7, vcc_lo, v1, 8
	v_add_co_ci_u32_e32 v8, vcc_lo, 0, v2, vcc_lo
	v_dual_mov_b32 v1, v3 :: v_dual_mov_b32 v2, v4
	s_lshl_b64 s[28:29], s[0:1], 12
	.p2align	6
.LBB184_12:                             ; =>This Inner Loop Header: Depth=1
	global_load_b128 v[10:13], v[5:6], off offset:-8
	global_load_b128 v[14:17], v[7:8], off offset:-8
	v_add_co_u32 v5, vcc_lo, 0x1000, v5
	v_add_co_ci_u32_e32 v6, vcc_lo, 0, v6, vcc_lo
	v_add_co_u32 v7, vcc_lo, v7, s28
	v_add_co_ci_u32_e32 v8, vcc_lo, s29, v8, vcc_lo
	s_addk_i32 s17, 0x100
	s_delay_alu instid0(SALU_CYCLE_1) | instskip(SKIP_3) | instid1(VALU_DEP_2)
	s_cmp_ge_i32 s17, s16
	s_waitcnt vmcnt(0)
	v_mul_f64 v[18:19], v[12:13], v[16:17]
	v_mul_f64 v[12:13], v[12:13], v[14:15]
	v_fma_f64 v[14:15], v[10:11], v[14:15], v[18:19]
	s_delay_alu instid0(VALU_DEP_2) | instskip(NEXT) | instid1(VALU_DEP_2)
	v_fma_f64 v[10:11], v[10:11], v[16:17], -v[12:13]
	v_add_f64 v[1:2], v[1:2], v[14:15]
	s_delay_alu instid0(VALU_DEP_2)
	v_add_f64 v[3:4], v[3:4], v[10:11]
	s_cbranch_scc0 .LBB184_12
.LBB184_13:
	v_add_nc_u32_e32 v5, s16, v0
	s_mov_b32 s1, exec_lo
	s_delay_alu instid0(VALU_DEP_1)
	v_cmpx_gt_i32_e64 s35, v5
	s_cbranch_execz .LBB184_15
; %bb.14:
	v_mad_i64_i32 v[6:7], null, s0, v5, 0
	s_lshl_b64 s[20:21], s[20:21], 4
	s_delay_alu instid0(SALU_CYCLE_1) | instskip(SKIP_2) | instid1(SALU_CYCLE_1)
	s_add_u32 s15, s8, s20
	s_addc_u32 s17, s9, s21
	s_lshl_b64 s[8:9], s[10:11], 4
	s_add_u32 s15, s15, s8
	s_addc_u32 s20, s17, s9
	s_lshl_b64 s[8:9], s[12:13], 4
	s_lshl_b64 s[10:11], s[18:19], 4
	v_lshlrev_b64 v[5:6], 4, v[6:7]
	s_add_u32 s0, s22, s8
	s_addc_u32 s8, s23, s9
	s_lshl_b64 s[2:3], s[2:3], 4
	s_delay_alu instid0(SALU_CYCLE_1)
	s_add_u32 s0, s0, s2
	s_addc_u32 s8, s8, s3
	s_ashr_i32 s17, s16, 31
	v_add_co_u32 v5, vcc_lo, s0, v5
	s_lshl_b64 s[2:3], s[16:17], 4
	v_add_co_ci_u32_e32 v6, vcc_lo, s8, v6, vcc_lo
	s_add_u32 s0, s2, s10
	s_addc_u32 s3, s3, s11
	s_add_u32 s2, s0, s15
	s_addc_u32 s3, s3, s20
	global_load_b128 v[5:8], v[5:6], off
	global_load_b128 v[9:12], v9, s[2:3]
	s_waitcnt vmcnt(0)
	v_mul_f64 v[13:14], v[11:12], v[7:8]
	v_mul_f64 v[11:12], v[11:12], v[5:6]
	s_delay_alu instid0(VALU_DEP_2) | instskip(NEXT) | instid1(VALU_DEP_2)
	v_fma_f64 v[5:6], v[9:10], v[5:6], v[13:14]
	v_fma_f64 v[7:8], v[9:10], v[7:8], -v[11:12]
	s_delay_alu instid0(VALU_DEP_2) | instskip(NEXT) | instid1(VALU_DEP_2)
	v_add_f64 v[1:2], v[1:2], v[5:6]
	v_add_f64 v[3:4], v[3:4], v[7:8]
.LBB184_15:
	s_or_b32 exec_lo, exec_lo, s1
	v_lshlrev_b32_e32 v5, 4, v0
	s_mov_b32 s0, exec_lo
	ds_store_b128 v5, v[1:4]
	s_waitcnt lgkmcnt(0)
	s_barrier
	buffer_gl0_inv
	v_cmpx_gt_u32_e32 0x80, v0
	s_cbranch_execz .LBB184_17
; %bb.16:
	ds_load_b128 v[1:4], v5 offset:2048
	ds_load_b128 v[6:9], v5
	s_waitcnt lgkmcnt(0)
	v_add_f64 v[1:2], v[1:2], v[6:7]
	v_add_f64 v[3:4], v[3:4], v[8:9]
	ds_store_b128 v5, v[1:4]
.LBB184_17:
	s_or_b32 exec_lo, exec_lo, s0
	s_delay_alu instid0(SALU_CYCLE_1)
	s_mov_b32 s0, exec_lo
	s_waitcnt lgkmcnt(0)
	s_barrier
	buffer_gl0_inv
	v_cmpx_gt_u32_e32 64, v0
	s_cbranch_execz .LBB184_19
; %bb.18:
	ds_load_b128 v[1:4], v5 offset:1024
	ds_load_b128 v[6:9], v5
	s_waitcnt lgkmcnt(0)
	v_add_f64 v[1:2], v[1:2], v[6:7]
	v_add_f64 v[3:4], v[3:4], v[8:9]
	ds_store_b128 v5, v[1:4]
.LBB184_19:
	s_or_b32 exec_lo, exec_lo, s0
	s_delay_alu instid0(SALU_CYCLE_1)
	s_mov_b32 s0, exec_lo
	;; [unrolled: 16-line block ×6, first 2 shown]
	s_waitcnt lgkmcnt(0)
	s_barrier
	buffer_gl0_inv
	v_cmpx_gt_u32_e32 2, v0
	s_cbranch_execz .LBB184_29
; %bb.28:
	ds_load_b128 v[1:4], v5
	ds_load_b128 v[6:9], v5 offset:32
	s_waitcnt lgkmcnt(0)
	v_add_f64 v[1:2], v[6:7], v[1:2]
	v_add_f64 v[3:4], v[8:9], v[3:4]
	ds_store_b128 v5, v[1:4]
.LBB184_29:
	s_or_b32 exec_lo, exec_lo, s0
	v_cmp_eq_u32_e32 vcc_lo, 0, v0
	s_waitcnt lgkmcnt(0)
	s_barrier
	buffer_gl0_inv
	s_and_saveexec_b32 s0, vcc_lo
	s_cbranch_execz .LBB184_31
; %bb.30:
	v_mov_b32_e32 v8, 0
	ds_load_b128 v[0:3], v8
	ds_load_b128 v[4:7], v8 offset:16
	s_waitcnt lgkmcnt(0)
	v_add_f64 v[0:1], v[4:5], v[0:1]
	v_add_f64 v[2:3], v[6:7], v[2:3]
	ds_store_b128 v8, v[0:3]
.LBB184_31:
	s_or_b32 exec_lo, exec_lo, s0
	s_waitcnt lgkmcnt(0)
	s_barrier
	buffer_gl0_inv
                                        ; implicit-def: $vgpr3_vgpr4
                                        ; implicit-def: $sgpr12_sgpr13
	s_and_saveexec_b32 s0, vcc_lo
	s_cbranch_execz .LBB184_35
; %bb.32:
	v_mov_b32_e32 v0, 0
	v_cmp_neq_f64_e64 s1, s[24:25], 0
	v_cmp_neq_f64_e64 s2, s[26:27], 0
	s_mul_hi_i32 s13, s33, s14
	s_mul_i32 s12, s33, s14
	ds_load_b128 v[3:6], v0
	s_waitcnt lgkmcnt(0)
	v_mul_f64 v[0:1], s[6:7], v[5:6]
	v_mul_f64 v[5:6], s[4:5], v[5:6]
	s_or_b32 s1, s1, s2
	s_delay_alu instid0(SALU_CYCLE_1) | instskip(NEXT) | instid1(VALU_DEP_2)
	s_and_not1_b32 vcc_lo, exec_lo, s1
	v_fma_f64 v[1:2], s[4:5], v[3:4], -v[0:1]
	s_delay_alu instid0(VALU_DEP_2)
	v_fma_f64 v[3:4], s[6:7], v[3:4], v[5:6]
	s_cbranch_vccnz .LBB184_34
; %bb.33:
	s_lshl_b64 s[2:3], s[12:13], 4
	s_delay_alu instid0(SALU_CYCLE_1)
	s_add_u32 s2, s30, s2
	s_addc_u32 s3, s31, s3
	s_load_b128 s[4:7], s[2:3], 0x0
	s_waitcnt lgkmcnt(0)
	v_mul_f64 v[5:6], s[26:27], s[6:7]
	v_mul_f64 v[7:8], s[24:25], s[6:7]
	s_delay_alu instid0(VALU_DEP_2) | instskip(NEXT) | instid1(VALU_DEP_2)
	v_fma_f64 v[5:6], s[24:25], s[4:5], -v[5:6]
	v_fma_f64 v[7:8], s[26:27], s[4:5], v[7:8]
	s_delay_alu instid0(VALU_DEP_2) | instskip(NEXT) | instid1(VALU_DEP_2)
	v_add_f64 v[1:2], v[1:2], v[5:6]
	v_add_f64 v[3:4], v[3:4], v[7:8]
.LBB184_34:
	s_or_b32 s34, s34, exec_lo
.LBB184_35:
	s_or_b32 exec_lo, exec_lo, s0
.LBB184_36:
	s_and_saveexec_b32 s0, s34
	s_cbranch_execz .LBB184_38
; %bb.37:
	s_lshl_b64 s[0:1], s[12:13], 4
	v_mov_b32_e32 v0, 0
	s_add_u32 s0, s30, s0
	s_addc_u32 s1, s31, s1
	global_store_b128 v0, v[1:4], s[0:1]
.LBB184_38:
	s_nop 0
	s_sendmsg sendmsg(MSG_DEALLOC_VGPRS)
	s_endpgm
	.section	.rodata,"a",@progbits
	.p2align	6, 0x0
	.amdhsa_kernel _ZL20rocblas_gemvt_kernelILb1ELi256E19rocblas_complex_numIdEPKS1_S1_EviiT2_lPKT1_lilS7_lilS4_lPT3_lili
		.amdhsa_group_segment_fixed_size 4096
		.amdhsa_private_segment_fixed_size 0
		.amdhsa_kernarg_size 140
		.amdhsa_user_sgpr_count 14
		.amdhsa_user_sgpr_dispatch_ptr 0
		.amdhsa_user_sgpr_queue_ptr 0
		.amdhsa_user_sgpr_kernarg_segment_ptr 1
		.amdhsa_user_sgpr_dispatch_id 0
		.amdhsa_user_sgpr_private_segment_size 0
		.amdhsa_wavefront_size32 1
		.amdhsa_uses_dynamic_stack 0
		.amdhsa_enable_private_segment 0
		.amdhsa_system_sgpr_workgroup_id_x 1
		.amdhsa_system_sgpr_workgroup_id_y 0
		.amdhsa_system_sgpr_workgroup_id_z 1
		.amdhsa_system_sgpr_workgroup_info 0
		.amdhsa_system_vgpr_workitem_id 0
		.amdhsa_next_free_vgpr 20
		.amdhsa_next_free_sgpr 38
		.amdhsa_reserve_vcc 1
		.amdhsa_float_round_mode_32 0
		.amdhsa_float_round_mode_16_64 0
		.amdhsa_float_denorm_mode_32 3
		.amdhsa_float_denorm_mode_16_64 3
		.amdhsa_dx10_clamp 1
		.amdhsa_ieee_mode 1
		.amdhsa_fp16_overflow 0
		.amdhsa_workgroup_processor_mode 1
		.amdhsa_memory_ordered 1
		.amdhsa_forward_progress 0
		.amdhsa_shared_vgpr_count 0
		.amdhsa_exception_fp_ieee_invalid_op 0
		.amdhsa_exception_fp_denorm_src 0
		.amdhsa_exception_fp_ieee_div_zero 0
		.amdhsa_exception_fp_ieee_overflow 0
		.amdhsa_exception_fp_ieee_underflow 0
		.amdhsa_exception_fp_ieee_inexact 0
		.amdhsa_exception_int_div_zero 0
	.end_amdhsa_kernel
	.section	.text._ZL20rocblas_gemvt_kernelILb1ELi256E19rocblas_complex_numIdEPKS1_S1_EviiT2_lPKT1_lilS7_lilS4_lPT3_lili,"axG",@progbits,_ZL20rocblas_gemvt_kernelILb1ELi256E19rocblas_complex_numIdEPKS1_S1_EviiT2_lPKT1_lilS7_lilS4_lPT3_lili,comdat
.Lfunc_end184:
	.size	_ZL20rocblas_gemvt_kernelILb1ELi256E19rocblas_complex_numIdEPKS1_S1_EviiT2_lPKT1_lilS7_lilS4_lPT3_lili, .Lfunc_end184-_ZL20rocblas_gemvt_kernelILb1ELi256E19rocblas_complex_numIdEPKS1_S1_EviiT2_lPKT1_lilS7_lilS4_lPT3_lili
                                        ; -- End function
	.section	.AMDGPU.csdata,"",@progbits
; Kernel info:
; codeLenInByte = 2004
; NumSgprs: 40
; NumVgprs: 20
; ScratchSize: 0
; MemoryBound: 0
; FloatMode: 240
; IeeeMode: 1
; LDSByteSize: 4096 bytes/workgroup (compile time only)
; SGPRBlocks: 4
; VGPRBlocks: 2
; NumSGPRsForWavesPerEU: 40
; NumVGPRsForWavesPerEU: 20
; Occupancy: 16
; WaveLimiterHint : 1
; COMPUTE_PGM_RSRC2:SCRATCH_EN: 0
; COMPUTE_PGM_RSRC2:USER_SGPR: 14
; COMPUTE_PGM_RSRC2:TRAP_HANDLER: 0
; COMPUTE_PGM_RSRC2:TGID_X_EN: 1
; COMPUTE_PGM_RSRC2:TGID_Y_EN: 0
; COMPUTE_PGM_RSRC2:TGID_Z_EN: 1
; COMPUTE_PGM_RSRC2:TIDIG_COMP_CNT: 0
	.section	.text._ZL20rocblas_gemvt_kernelILb1ELi256E19rocblas_complex_numIdES1_S1_EviiT2_lPKT1_lilS5_lilS2_lPT3_lili,"axG",@progbits,_ZL20rocblas_gemvt_kernelILb1ELi256E19rocblas_complex_numIdES1_S1_EviiT2_lPKT1_lilS5_lilS2_lPT3_lili,comdat
	.globl	_ZL20rocblas_gemvt_kernelILb1ELi256E19rocblas_complex_numIdES1_S1_EviiT2_lPKT1_lilS5_lilS2_lPT3_lili ; -- Begin function _ZL20rocblas_gemvt_kernelILb1ELi256E19rocblas_complex_numIdES1_S1_EviiT2_lPKT1_lilS5_lilS2_lPT3_lili
	.p2align	8
	.type	_ZL20rocblas_gemvt_kernelILb1ELi256E19rocblas_complex_numIdES1_S1_EviiT2_lPKT1_lilS5_lilS2_lPT3_lili,@function
_ZL20rocblas_gemvt_kernelILb1ELi256E19rocblas_complex_numIdES1_S1_EviiT2_lPKT1_lilS5_lilS2_lPT3_lili: ; @_ZL20rocblas_gemvt_kernelILb1ELi256E19rocblas_complex_numIdES1_S1_EviiT2_lPKT1_lilS5_lilS2_lPT3_lili
; %bb.0:
	s_clause 0x2
	s_load_b128 s[8:11], s[0:1], 0x8
	s_load_b128 s[4:7], s[0:1], 0x58
	s_load_b64 s[12:13], s[0:1], 0x68
	s_waitcnt lgkmcnt(0)
	v_cmp_neq_f64_e64 s2, s[8:9], 0
	v_cmp_neq_f64_e64 s3, s[10:11], 0
	s_delay_alu instid0(VALU_DEP_1)
	s_or_b32 s2, s2, s3
	s_mov_b32 s3, -1
	s_and_b32 vcc_lo, exec_lo, s2
	s_cbranch_vccnz .LBB185_2
; %bb.1:
	v_cmp_neq_f64_e64 s3, s[6:7], 1.0
	v_cmp_neq_f64_e64 s16, s[12:13], 0
	s_delay_alu instid0(VALU_DEP_1)
	s_or_b32 s3, s3, s16
.LBB185_2:
	s_delay_alu instid0(SALU_CYCLE_1)
	s_and_not1_b32 vcc_lo, exec_lo, s3
	s_cbranch_vccnz .LBB185_38
; %bb.3:
	s_clause 0x2
	s_load_b64 s[20:21], s[0:1], 0x90
	s_load_b128 s[16:19], s[0:1], 0x78
	s_load_b32 s33, s[0:1], 0x88
	s_xor_b32 s22, s2, -1
	s_mov_b32 s34, 0
	s_waitcnt lgkmcnt(0)
	s_mul_i32 s3, s15, s21
	s_mul_hi_u32 s21, s15, s20
	s_mul_i32 s2, s15, s20
	s_add_i32 s3, s21, s3
	s_delay_alu instid0(SALU_CYCLE_1) | instskip(NEXT) | instid1(SALU_CYCLE_1)
	s_lshl_b64 s[2:3], s[2:3], 4
	s_add_u32 s20, s16, s2
	s_addc_u32 s3, s17, s3
	s_lshl_b64 s[16:17], s[18:19], 4
	v_cmp_eq_u32_e64 s2, 0, v0
	s_add_u32 s30, s20, s16
	s_addc_u32 s31, s3, s17
	s_and_not1_b32 vcc_lo, exec_lo, s22
	s_cbranch_vccnz .LBB185_8
; %bb.4:
	s_mov_b32 s3, 0
                                        ; implicit-def: $vgpr3_vgpr4
                                        ; implicit-def: $sgpr16_sgpr17
	s_and_saveexec_b32 s18, s2
	s_cbranch_execz .LBB185_9
; %bb.5:
	v_cmp_neq_f64_e64 s2, s[6:7], 0
	v_cmp_neq_f64_e64 s16, s[12:13], 0
	v_mov_b32_e32 v3, 0
	v_mov_b32_e32 v4, 0
	s_delay_alu instid0(VALU_DEP_2) | instskip(SKIP_1) | instid1(VALU_DEP_2)
	v_mov_b32_e32 v1, v3
	s_mul_hi_i32 s17, s33, s14
	v_mov_b32_e32 v2, v4
	s_or_b32 s2, s2, s16
	s_mul_i32 s16, s33, s14
	s_and_not1_b32 vcc_lo, exec_lo, s2
	s_cbranch_vccnz .LBB185_7
; %bb.6:
	s_lshl_b64 s[20:21], s[16:17], 4
	s_delay_alu instid0(SALU_CYCLE_1)
	s_add_u32 s20, s30, s20
	s_addc_u32 s21, s31, s21
	s_load_b128 s[20:23], s[20:21], 0x0
	s_waitcnt lgkmcnt(0)
	v_mul_f64 v[1:2], s[12:13], s[22:23]
	v_mul_f64 v[3:4], s[6:7], s[22:23]
	s_delay_alu instid0(VALU_DEP_2) | instskip(NEXT) | instid1(VALU_DEP_2)
	v_fma_f64 v[1:2], s[6:7], s[20:21], -v[1:2]
	v_fma_f64 v[3:4], s[12:13], s[20:21], v[3:4]
.LBB185_7:
	s_mov_b32 s34, exec_lo
	s_or_b32 exec_lo, exec_lo, s18
	s_delay_alu instid0(SALU_CYCLE_1)
	s_and_b32 vcc_lo, exec_lo, s3
	s_cbranch_vccnz .LBB185_10
	s_branch .LBB185_36
.LBB185_8:
                                        ; implicit-def: $vgpr3_vgpr4
                                        ; implicit-def: $sgpr16_sgpr17
	s_cbranch_execnz .LBB185_10
	s_branch .LBB185_36
.LBB185_9:
	s_or_b32 exec_lo, exec_lo, s18
	s_delay_alu instid0(SALU_CYCLE_1)
	s_and_b32 vcc_lo, exec_lo, s3
	s_cbranch_vccz .LBB185_36
.LBB185_10:
	s_clause 0x5
	s_load_b128 s[16:19], s[0:1], 0x38
	s_load_b32 s35, s[0:1], 0x0
	s_load_b32 s24, s[0:1], 0x30
	s_load_b128 s[20:23], s[0:1], 0x20
	s_load_b64 s[2:3], s[0:1], 0x48
	s_load_b32 s0, s[0:1], 0x50
	v_mov_b32_e32 v3, 0
	s_mul_i32 s5, s15, s5
	s_mul_hi_u32 s25, s15, s4
	s_mul_i32 s4, s15, s4
	s_add_i32 s5, s25, s5
	s_mov_b32 s36, 0
	s_waitcnt lgkmcnt(0)
	s_mul_i32 s1, s15, s17
	v_cmp_gt_i32_e32 vcc_lo, s35, v0
	v_mov_b32_e32 v4, 0
	s_mul_hi_u32 s17, s15, s16
	s_mul_i32 s26, s15, s16
	s_ashr_i32 s15, s35, 31
	v_cndmask_b32_e32 v1, 0, v0, vcc_lo
	s_lshr_b32 s15, s15, 24
	s_add_i32 s27, s17, s1
	s_add_i32 s1, s35, s15
	s_mul_hi_i32 s25, s24, s14
	v_lshlrev_b32_e32 v9, 4, v1
	v_dual_mov_b32 v1, v3 :: v_dual_mov_b32 v2, v4
	s_and_b32 s16, s1, 0xffffff00
	s_cmpk_lt_i32 s35, 0x100
	s_mul_i32 s24, s24, s14
	s_cbranch_scc1 .LBB185_13
; %bb.11:
	s_lshl_b64 s[28:29], s[24:25], 4
	s_lshl_b64 s[38:39], s[26:27], 4
	s_ashr_i32 s1, s0, 31
	v_mad_i64_i32 v[1:2], null, s0, v0, 0
	s_add_u32 s15, s28, s38
	s_addc_u32 s17, s29, s39
	s_lshl_b64 s[28:29], s[22:23], 4
	v_mov_b32_e32 v3, 0
	s_add_u32 s15, s15, s28
	s_addc_u32 s17, s17, s29
	s_add_u32 s15, s20, s15
	s_addc_u32 s17, s21, s17
	v_add_co_u32 v5, s15, s15, v9
	s_lshl_b64 s[38:39], s[2:3], 4
	v_lshlrev_b64 v[1:2], 4, v[1:2]
	s_lshl_b64 s[28:29], s[4:5], 4
	v_add_co_ci_u32_e64 v6, null, s17, 0, s15
	s_add_u32 s15, s18, s38
	s_addc_u32 s17, s19, s39
	s_add_u32 s15, s15, s28
	s_addc_u32 s17, s17, s29
	v_add_co_u32 v1, vcc_lo, s15, v1
	v_add_co_ci_u32_e32 v2, vcc_lo, s17, v2, vcc_lo
	v_mov_b32_e32 v4, 0
	v_add_co_u32 v5, vcc_lo, v5, 8
	v_add_co_ci_u32_e32 v6, vcc_lo, 0, v6, vcc_lo
	v_add_co_u32 v7, vcc_lo, v1, 8
	v_add_co_ci_u32_e32 v8, vcc_lo, 0, v2, vcc_lo
	v_dual_mov_b32 v1, v3 :: v_dual_mov_b32 v2, v4
	s_lshl_b64 s[28:29], s[0:1], 12
	.p2align	6
.LBB185_12:                             ; =>This Inner Loop Header: Depth=1
	global_load_b128 v[10:13], v[5:6], off offset:-8
	global_load_b128 v[14:17], v[7:8], off offset:-8
	v_add_co_u32 v5, vcc_lo, 0x1000, v5
	v_add_co_ci_u32_e32 v6, vcc_lo, 0, v6, vcc_lo
	v_add_co_u32 v7, vcc_lo, v7, s28
	v_add_co_ci_u32_e32 v8, vcc_lo, s29, v8, vcc_lo
	s_addk_i32 s36, 0x100
	s_delay_alu instid0(SALU_CYCLE_1) | instskip(SKIP_3) | instid1(VALU_DEP_2)
	s_cmp_ge_i32 s36, s16
	s_waitcnt vmcnt(0)
	v_mul_f64 v[18:19], v[12:13], v[16:17]
	v_mul_f64 v[12:13], v[12:13], v[14:15]
	v_fma_f64 v[14:15], v[10:11], v[14:15], v[18:19]
	s_delay_alu instid0(VALU_DEP_2) | instskip(NEXT) | instid1(VALU_DEP_2)
	v_fma_f64 v[10:11], v[10:11], v[16:17], -v[12:13]
	v_add_f64 v[1:2], v[1:2], v[14:15]
	s_delay_alu instid0(VALU_DEP_2)
	v_add_f64 v[3:4], v[3:4], v[10:11]
	s_cbranch_scc0 .LBB185_12
.LBB185_13:
	v_add_nc_u32_e32 v5, s16, v0
	s_mov_b32 s1, exec_lo
	s_delay_alu instid0(VALU_DEP_1)
	v_cmpx_gt_i32_e64 s35, v5
	s_cbranch_execz .LBB185_15
; %bb.14:
	v_mad_i64_i32 v[6:7], null, s0, v5, 0
	s_lshl_b64 s[26:27], s[26:27], 4
	s_delay_alu instid0(SALU_CYCLE_1) | instskip(SKIP_2) | instid1(SALU_CYCLE_1)
	s_add_u32 s15, s20, s26
	s_addc_u32 s17, s21, s27
	s_lshl_b64 s[20:21], s[22:23], 4
	s_add_u32 s15, s15, s20
	s_addc_u32 s22, s17, s21
	s_lshl_b64 s[4:5], s[4:5], 4
	s_lshl_b64 s[20:21], s[24:25], 4
	v_lshlrev_b64 v[5:6], 4, v[6:7]
	s_add_u32 s0, s18, s4
	s_addc_u32 s4, s19, s5
	s_lshl_b64 s[2:3], s[2:3], 4
	s_delay_alu instid0(SALU_CYCLE_1)
	s_add_u32 s0, s0, s2
	s_addc_u32 s4, s4, s3
	s_ashr_i32 s17, s16, 31
	v_add_co_u32 v5, vcc_lo, s0, v5
	s_lshl_b64 s[2:3], s[16:17], 4
	v_add_co_ci_u32_e32 v6, vcc_lo, s4, v6, vcc_lo
	s_add_u32 s0, s2, s20
	s_addc_u32 s3, s3, s21
	s_add_u32 s2, s0, s15
	s_addc_u32 s3, s3, s22
	global_load_b128 v[5:8], v[5:6], off
	global_load_b128 v[9:12], v9, s[2:3]
	s_waitcnt vmcnt(0)
	v_mul_f64 v[13:14], v[11:12], v[7:8]
	v_mul_f64 v[11:12], v[11:12], v[5:6]
	s_delay_alu instid0(VALU_DEP_2) | instskip(NEXT) | instid1(VALU_DEP_2)
	v_fma_f64 v[5:6], v[9:10], v[5:6], v[13:14]
	v_fma_f64 v[7:8], v[9:10], v[7:8], -v[11:12]
	s_delay_alu instid0(VALU_DEP_2) | instskip(NEXT) | instid1(VALU_DEP_2)
	v_add_f64 v[1:2], v[1:2], v[5:6]
	v_add_f64 v[3:4], v[3:4], v[7:8]
.LBB185_15:
	s_or_b32 exec_lo, exec_lo, s1
	v_lshlrev_b32_e32 v5, 4, v0
	s_mov_b32 s0, exec_lo
	ds_store_b128 v5, v[1:4]
	s_waitcnt lgkmcnt(0)
	s_barrier
	buffer_gl0_inv
	v_cmpx_gt_u32_e32 0x80, v0
	s_cbranch_execz .LBB185_17
; %bb.16:
	ds_load_b128 v[1:4], v5 offset:2048
	ds_load_b128 v[6:9], v5
	s_waitcnt lgkmcnt(0)
	v_add_f64 v[1:2], v[1:2], v[6:7]
	v_add_f64 v[3:4], v[3:4], v[8:9]
	ds_store_b128 v5, v[1:4]
.LBB185_17:
	s_or_b32 exec_lo, exec_lo, s0
	s_delay_alu instid0(SALU_CYCLE_1)
	s_mov_b32 s0, exec_lo
	s_waitcnt lgkmcnt(0)
	s_barrier
	buffer_gl0_inv
	v_cmpx_gt_u32_e32 64, v0
	s_cbranch_execz .LBB185_19
; %bb.18:
	ds_load_b128 v[1:4], v5 offset:1024
	ds_load_b128 v[6:9], v5
	s_waitcnt lgkmcnt(0)
	v_add_f64 v[1:2], v[1:2], v[6:7]
	v_add_f64 v[3:4], v[3:4], v[8:9]
	ds_store_b128 v5, v[1:4]
.LBB185_19:
	s_or_b32 exec_lo, exec_lo, s0
	s_delay_alu instid0(SALU_CYCLE_1)
	s_mov_b32 s0, exec_lo
	;; [unrolled: 16-line block ×6, first 2 shown]
	s_waitcnt lgkmcnt(0)
	s_barrier
	buffer_gl0_inv
	v_cmpx_gt_u32_e32 2, v0
	s_cbranch_execz .LBB185_29
; %bb.28:
	ds_load_b128 v[1:4], v5
	ds_load_b128 v[6:9], v5 offset:32
	s_waitcnt lgkmcnt(0)
	v_add_f64 v[1:2], v[6:7], v[1:2]
	v_add_f64 v[3:4], v[8:9], v[3:4]
	ds_store_b128 v5, v[1:4]
.LBB185_29:
	s_or_b32 exec_lo, exec_lo, s0
	v_cmp_eq_u32_e32 vcc_lo, 0, v0
	s_waitcnt lgkmcnt(0)
	s_barrier
	buffer_gl0_inv
	s_and_saveexec_b32 s0, vcc_lo
	s_cbranch_execz .LBB185_31
; %bb.30:
	v_mov_b32_e32 v8, 0
	ds_load_b128 v[0:3], v8
	ds_load_b128 v[4:7], v8 offset:16
	s_waitcnt lgkmcnt(0)
	v_add_f64 v[0:1], v[4:5], v[0:1]
	v_add_f64 v[2:3], v[6:7], v[2:3]
	ds_store_b128 v8, v[0:3]
.LBB185_31:
	s_or_b32 exec_lo, exec_lo, s0
	s_waitcnt lgkmcnt(0)
	s_barrier
	buffer_gl0_inv
                                        ; implicit-def: $vgpr3_vgpr4
                                        ; implicit-def: $sgpr16_sgpr17
	s_and_saveexec_b32 s0, vcc_lo
	s_cbranch_execz .LBB185_35
; %bb.32:
	v_mov_b32_e32 v0, 0
	v_cmp_neq_f64_e64 s1, s[6:7], 0
	v_cmp_neq_f64_e64 s2, s[12:13], 0
	s_mul_hi_i32 s17, s33, s14
	s_mul_i32 s16, s33, s14
	ds_load_b128 v[3:6], v0
	s_waitcnt lgkmcnt(0)
	v_mul_f64 v[0:1], s[10:11], v[5:6]
	v_mul_f64 v[5:6], s[8:9], v[5:6]
	s_or_b32 s1, s1, s2
	s_delay_alu instid0(SALU_CYCLE_1) | instskip(NEXT) | instid1(VALU_DEP_2)
	s_and_not1_b32 vcc_lo, exec_lo, s1
	v_fma_f64 v[1:2], s[8:9], v[3:4], -v[0:1]
	s_delay_alu instid0(VALU_DEP_2)
	v_fma_f64 v[3:4], s[10:11], v[3:4], v[5:6]
	s_cbranch_vccnz .LBB185_34
; %bb.33:
	s_lshl_b64 s[2:3], s[16:17], 4
	s_delay_alu instid0(SALU_CYCLE_1)
	s_add_u32 s2, s30, s2
	s_addc_u32 s3, s31, s3
	s_load_b128 s[8:11], s[2:3], 0x0
	s_waitcnt lgkmcnt(0)
	v_mul_f64 v[5:6], s[12:13], s[10:11]
	v_mul_f64 v[7:8], s[6:7], s[10:11]
	s_delay_alu instid0(VALU_DEP_2) | instskip(NEXT) | instid1(VALU_DEP_2)
	v_fma_f64 v[5:6], s[6:7], s[8:9], -v[5:6]
	v_fma_f64 v[7:8], s[12:13], s[8:9], v[7:8]
	s_delay_alu instid0(VALU_DEP_2) | instskip(NEXT) | instid1(VALU_DEP_2)
	v_add_f64 v[1:2], v[1:2], v[5:6]
	v_add_f64 v[3:4], v[3:4], v[7:8]
.LBB185_34:
	s_or_b32 s34, s34, exec_lo
.LBB185_35:
	s_or_b32 exec_lo, exec_lo, s0
.LBB185_36:
	s_and_saveexec_b32 s0, s34
	s_cbranch_execz .LBB185_38
; %bb.37:
	s_lshl_b64 s[0:1], s[16:17], 4
	v_mov_b32_e32 v0, 0
	s_add_u32 s0, s30, s0
	s_addc_u32 s1, s31, s1
	global_store_b128 v0, v[1:4], s[0:1]
.LBB185_38:
	s_nop 0
	s_sendmsg sendmsg(MSG_DEALLOC_VGPRS)
	s_endpgm
	.section	.rodata,"a",@progbits
	.p2align	6, 0x0
	.amdhsa_kernel _ZL20rocblas_gemvt_kernelILb1ELi256E19rocblas_complex_numIdES1_S1_EviiT2_lPKT1_lilS5_lilS2_lPT3_lili
		.amdhsa_group_segment_fixed_size 4096
		.amdhsa_private_segment_fixed_size 0
		.amdhsa_kernarg_size 156
		.amdhsa_user_sgpr_count 14
		.amdhsa_user_sgpr_dispatch_ptr 0
		.amdhsa_user_sgpr_queue_ptr 0
		.amdhsa_user_sgpr_kernarg_segment_ptr 1
		.amdhsa_user_sgpr_dispatch_id 0
		.amdhsa_user_sgpr_private_segment_size 0
		.amdhsa_wavefront_size32 1
		.amdhsa_uses_dynamic_stack 0
		.amdhsa_enable_private_segment 0
		.amdhsa_system_sgpr_workgroup_id_x 1
		.amdhsa_system_sgpr_workgroup_id_y 0
		.amdhsa_system_sgpr_workgroup_id_z 1
		.amdhsa_system_sgpr_workgroup_info 0
		.amdhsa_system_vgpr_workitem_id 0
		.amdhsa_next_free_vgpr 20
		.amdhsa_next_free_sgpr 40
		.amdhsa_reserve_vcc 1
		.amdhsa_float_round_mode_32 0
		.amdhsa_float_round_mode_16_64 0
		.amdhsa_float_denorm_mode_32 3
		.amdhsa_float_denorm_mode_16_64 3
		.amdhsa_dx10_clamp 1
		.amdhsa_ieee_mode 1
		.amdhsa_fp16_overflow 0
		.amdhsa_workgroup_processor_mode 1
		.amdhsa_memory_ordered 1
		.amdhsa_forward_progress 0
		.amdhsa_shared_vgpr_count 0
		.amdhsa_exception_fp_ieee_invalid_op 0
		.amdhsa_exception_fp_denorm_src 0
		.amdhsa_exception_fp_ieee_div_zero 0
		.amdhsa_exception_fp_ieee_overflow 0
		.amdhsa_exception_fp_ieee_underflow 0
		.amdhsa_exception_fp_ieee_inexact 0
		.amdhsa_exception_int_div_zero 0
	.end_amdhsa_kernel
	.section	.text._ZL20rocblas_gemvt_kernelILb1ELi256E19rocblas_complex_numIdES1_S1_EviiT2_lPKT1_lilS5_lilS2_lPT3_lili,"axG",@progbits,_ZL20rocblas_gemvt_kernelILb1ELi256E19rocblas_complex_numIdES1_S1_EviiT2_lPKT1_lilS5_lilS2_lPT3_lili,comdat
.Lfunc_end185:
	.size	_ZL20rocblas_gemvt_kernelILb1ELi256E19rocblas_complex_numIdES1_S1_EviiT2_lPKT1_lilS5_lilS2_lPT3_lili, .Lfunc_end185-_ZL20rocblas_gemvt_kernelILb1ELi256E19rocblas_complex_numIdES1_S1_EviiT2_lPKT1_lilS5_lilS2_lPT3_lili
                                        ; -- End function
	.section	.AMDGPU.csdata,"",@progbits
; Kernel info:
; codeLenInByte = 1932
; NumSgprs: 42
; NumVgprs: 20
; ScratchSize: 0
; MemoryBound: 0
; FloatMode: 240
; IeeeMode: 1
; LDSByteSize: 4096 bytes/workgroup (compile time only)
; SGPRBlocks: 5
; VGPRBlocks: 2
; NumSGPRsForWavesPerEU: 42
; NumVGPRsForWavesPerEU: 20
; Occupancy: 16
; WaveLimiterHint : 1
; COMPUTE_PGM_RSRC2:SCRATCH_EN: 0
; COMPUTE_PGM_RSRC2:USER_SGPR: 14
; COMPUTE_PGM_RSRC2:TRAP_HANDLER: 0
; COMPUTE_PGM_RSRC2:TGID_X_EN: 1
; COMPUTE_PGM_RSRC2:TGID_Y_EN: 0
; COMPUTE_PGM_RSRC2:TGID_Z_EN: 1
; COMPUTE_PGM_RSRC2:TIDIG_COMP_CNT: 0
	.section	.text._ZL32rocblas_gemvt_warp_reduce_kernelILb1ELi1024Ei19rocblas_complex_numIdEPKS1_S1_EviiT3_lPKT2_lT1_lS7_lS8_lS4_lPT4_lS8_li,"axG",@progbits,_ZL32rocblas_gemvt_warp_reduce_kernelILb1ELi1024Ei19rocblas_complex_numIdEPKS1_S1_EviiT3_lPKT2_lT1_lS7_lS8_lS4_lPT4_lS8_li,comdat
	.globl	_ZL32rocblas_gemvt_warp_reduce_kernelILb1ELi1024Ei19rocblas_complex_numIdEPKS1_S1_EviiT3_lPKT2_lT1_lS7_lS8_lS4_lPT4_lS8_li ; -- Begin function _ZL32rocblas_gemvt_warp_reduce_kernelILb1ELi1024Ei19rocblas_complex_numIdEPKS1_S1_EviiT3_lPKT2_lT1_lS7_lS8_lS4_lPT4_lS8_li
	.p2align	8
	.type	_ZL32rocblas_gemvt_warp_reduce_kernelILb1ELi1024Ei19rocblas_complex_numIdEPKS1_S1_EviiT3_lPKT2_lT1_lS7_lS8_lS4_lPT4_lS8_li,@function
_ZL32rocblas_gemvt_warp_reduce_kernelILb1ELi1024Ei19rocblas_complex_numIdEPKS1_S1_EviiT3_lPKT2_lT1_lS7_lS8_lS4_lPT4_lS8_li: ; @_ZL32rocblas_gemvt_warp_reduce_kernelILb1ELi1024Ei19rocblas_complex_numIdEPKS1_S1_EviiT3_lPKT2_lT1_lS7_lS8_lS4_lPT4_lS8_li
; %bb.0:
	s_load_b256 s[4:11], s[0:1], 0x8
	s_waitcnt lgkmcnt(0)
	s_mul_i32 s3, s15, s7
	s_mul_hi_u32 s7, s15, s6
	s_mul_i32 s2, s15, s6
	s_add_i32 s3, s7, s3
	s_delay_alu instid0(SALU_CYCLE_1) | instskip(NEXT) | instid1(SALU_CYCLE_1)
	s_lshl_b64 s[2:3], s[2:3], 4
	s_add_u32 s2, s4, s2
	s_addc_u32 s3, s5, s3
	s_load_b128 s[4:7], s[2:3], 0x0
	s_load_b256 s[16:23], s[0:1], 0x50
	s_waitcnt lgkmcnt(0)
	v_cmp_neq_f64_e64 s12, s[4:5], 0
	v_cmp_neq_f64_e64 s13, s[6:7], 0
	s_mul_i32 s2, s15, s21
	s_mul_hi_u32 s3, s15, s20
	s_delay_alu instid0(SALU_CYCLE_1) | instskip(SKIP_1) | instid1(SALU_CYCLE_1)
	s_add_i32 s3, s3, s2
	s_mul_i32 s2, s15, s20
	s_lshl_b64 s[2:3], s[2:3], 4
	s_delay_alu instid0(SALU_CYCLE_1) | instskip(SKIP_3) | instid1(VALU_DEP_1)
	s_add_u32 s2, s18, s2
	s_addc_u32 s3, s19, s3
	s_load_b128 s[24:27], s[2:3], 0x0
	s_mov_b32 s3, -1
	s_or_b32 s2, s12, s13
	s_delay_alu instid0(SALU_CYCLE_1)
	s_and_b32 vcc_lo, exec_lo, s2
	s_cbranch_vccnz .LBB186_2
; %bb.1:
	s_waitcnt lgkmcnt(0)
	v_cmp_neq_f64_e64 s3, s[24:25], 1.0
	v_cmp_neq_f64_e64 s12, s[26:27], 0
	s_delay_alu instid0(VALU_DEP_1)
	s_or_b32 s3, s3, s12
.LBB186_2:
	s_delay_alu instid0(SALU_CYCLE_1)
	s_and_not1_b32 vcc_lo, exec_lo, s3
	s_cbranch_vccnz .LBB186_31
; %bb.3:
	s_clause 0x2
	s_load_b64 s[12:13], s[0:1], 0x80
	s_load_b64 s[18:19], s[0:1], 0x70
	s_load_b32 s28, s[0:1], 0x78
	s_xor_b32 s20, s2, -1
	s_mov_b32 s29, 0
	s_waitcnt lgkmcnt(0)
	s_mul_i32 s3, s15, s13
	s_mul_hi_u32 s13, s15, s12
	s_mul_i32 s2, s15, s12
	s_add_i32 s3, s13, s3
	s_delay_alu instid0(SALU_CYCLE_1) | instskip(NEXT) | instid1(SALU_CYCLE_1)
	s_lshl_b64 s[2:3], s[2:3], 4
	s_add_u32 s21, s22, s2
	s_addc_u32 s3, s23, s3
	s_lshl_b64 s[12:13], s[18:19], 4
	v_cmp_eq_u32_e64 s2, 0, v0
	s_add_u32 s18, s21, s12
	s_addc_u32 s19, s3, s13
	s_and_not1_b32 vcc_lo, exec_lo, s20
	s_cbranch_vccnz .LBB186_8
; %bb.4:
	s_mov_b32 s3, 0
                                        ; implicit-def: $vgpr3_vgpr4
                                        ; implicit-def: $sgpr12_sgpr13
	s_and_saveexec_b32 s20, s2
	s_cbranch_execz .LBB186_9
; %bb.5:
	v_cmp_neq_f64_e64 s2, s[24:25], 0
	v_cmp_neq_f64_e64 s12, s[26:27], 0
	v_mov_b32_e32 v3, 0
	v_mov_b32_e32 v4, 0
	s_delay_alu instid0(VALU_DEP_1) | instskip(NEXT) | instid1(VALU_DEP_4)
	v_dual_mov_b32 v1, v3 :: v_dual_mov_b32 v2, v4
	s_or_b32 s2, s2, s12
	s_mul_i32 s12, s14, s28
	s_and_not1_b32 vcc_lo, exec_lo, s2
	s_ashr_i32 s13, s12, 31
	s_cbranch_vccnz .LBB186_7
; %bb.6:
	s_lshl_b64 s[22:23], s[12:13], 4
	s_delay_alu instid0(SALU_CYCLE_1)
	s_add_u32 s22, s18, s22
	s_addc_u32 s23, s19, s23
	s_load_b128 s[36:39], s[22:23], 0x0
	s_waitcnt lgkmcnt(0)
	v_mul_f64 v[1:2], s[26:27], s[38:39]
	v_mul_f64 v[3:4], s[24:25], s[38:39]
	s_delay_alu instid0(VALU_DEP_2) | instskip(NEXT) | instid1(VALU_DEP_2)
	v_fma_f64 v[1:2], s[24:25], s[36:37], -v[1:2]
	v_fma_f64 v[3:4], s[26:27], s[36:37], v[3:4]
.LBB186_7:
	s_mov_b32 s29, exec_lo
	s_or_b32 exec_lo, exec_lo, s20
	s_delay_alu instid0(SALU_CYCLE_1)
	s_and_b32 vcc_lo, exec_lo, s3
	s_cbranch_vccnz .LBB186_10
	s_branch .LBB186_29
.LBB186_8:
                                        ; implicit-def: $vgpr3_vgpr4
                                        ; implicit-def: $sgpr12_sgpr13
	s_cbranch_execnz .LBB186_10
	s_branch .LBB186_29
.LBB186_9:
	s_or_b32 exec_lo, exec_lo, s20
	s_delay_alu instid0(SALU_CYCLE_1)
	s_and_b32 vcc_lo, exec_lo, s3
	s_cbranch_vccz .LBB186_29
.LBB186_10:
	s_clause 0x4
	s_load_b128 s[20:23], s[0:1], 0x30
	s_load_b64 s[12:13], s[0:1], 0x40
	s_load_b32 s3, s[0:1], 0x0
	s_load_b32 s30, s[0:1], 0x28
	;; [unrolled: 1-line block ×3, first 2 shown]
	s_mul_i32 s2, s15, s17
	s_mul_hi_u32 s17, s15, s16
	s_mul_i32 s16, s15, s16
	s_add_i32 s17, s17, s2
	v_mov_b32_e32 v1, 0
	s_lshl_b64 s[16:17], s[16:17], 4
	s_waitcnt lgkmcnt(0)
	s_add_u32 s0, s22, s16
	s_addc_u32 s16, s23, s17
	v_cmp_gt_i32_e32 vcc_lo, s3, v0
	v_mov_b32_e32 v2, 0
	s_lshl_b64 s[12:13], s[12:13], 4
	s_mul_i32 s2, s15, s21
	s_add_u32 s21, s0, s12
	v_cndmask_b32_e32 v3, 0, v0, vcc_lo
	s_addc_u32 s22, s16, s13
	s_ashr_i32 s0, s3, 31
	s_mul_hi_u32 s17, s15, s20
	s_lshr_b32 s0, s0, 22
	v_dual_mov_b32 v4, v2 :: v_dual_lshlrev_b32 v9, 4, v3
	v_mov_b32_e32 v3, v1
	s_add_i32 s0, s3, s0
	s_mul_i32 s16, s14, s30
	s_mul_i32 s12, s15, s20
	s_add_i32 s13, s17, s2
	s_and_b32 s2, s0, 0xfffffc00
	s_mov_b32 s20, 0
	s_ashr_i32 s17, s16, 31
	s_mov_b32 s15, exec_lo
	v_cmpx_gt_i32_e64 s2, v0
	s_cbranch_execz .LBB186_14
; %bb.11:
	s_lshl_b64 s[30:31], s[12:13], 4
	s_lshl_b64 s[34:35], s[10:11], 4
	s_lshl_b32 s23, s1, 10
	s_add_u32 s0, s30, s34
	s_addc_u32 s33, s31, s35
	s_lshl_b64 s[30:31], s[16:17], 4
	v_dual_mov_b32 v1, 0 :: v_dual_mov_b32 v10, v0
	s_add_u32 s0, s0, s30
	s_addc_u32 s30, s33, s31
	s_add_u32 s0, s8, s0
	s_addc_u32 s30, s9, s30
	v_add_co_u32 v3, s0, s0, v9
	s_delay_alu instid0(VALU_DEP_1) | instskip(SKIP_2) | instid1(VALU_DEP_4)
	v_add_co_ci_u32_e64 v4, null, s30, 0, s0
	v_mov_b32_e32 v2, 0
	v_mul_lo_u32 v5, v0, s1
	v_add_co_u32 v7, vcc_lo, v3, 8
	s_delay_alu instid0(VALU_DEP_4) | instskip(NEXT) | instid1(VALU_DEP_4)
	v_add_co_ci_u32_e32 v8, vcc_lo, 0, v4, vcc_lo
	v_dual_mov_b32 v4, v2 :: v_dual_mov_b32 v3, v1
	s_set_inst_prefetch_distance 0x1
	.p2align	6
.LBB186_12:                             ; =>This Inner Loop Header: Depth=1
	s_delay_alu instid0(VALU_DEP_4) | instskip(SKIP_1) | instid1(VALU_DEP_2)
	v_ashrrev_i32_e32 v6, 31, v5
	v_add_nc_u32_e32 v10, 0x400, v10
	v_lshlrev_b64 v[11:12], 4, v[5:6]
	s_delay_alu instid0(VALU_DEP_2) | instskip(SKIP_1) | instid1(VALU_DEP_2)
	v_cmp_le_i32_e64 s0, s2, v10
	v_add_nc_u32_e32 v5, s23, v5
	s_or_b32 s20, s0, s20
	s_delay_alu instid0(VALU_DEP_3) | instskip(NEXT) | instid1(VALU_DEP_4)
	v_add_co_u32 v15, vcc_lo, s21, v11
	v_add_co_ci_u32_e32 v16, vcc_lo, s22, v12, vcc_lo
	global_load_b128 v[11:14], v[7:8], off offset:-8
	global_load_b128 v[15:18], v[15:16], off
	v_add_co_u32 v7, vcc_lo, 0x4000, v7
	v_add_co_ci_u32_e32 v8, vcc_lo, 0, v8, vcc_lo
	s_waitcnt vmcnt(0)
	v_mul_f64 v[19:20], v[13:14], v[17:18]
	v_mul_f64 v[13:14], v[13:14], v[15:16]
	s_delay_alu instid0(VALU_DEP_2) | instskip(NEXT) | instid1(VALU_DEP_2)
	v_fma_f64 v[15:16], v[11:12], v[15:16], v[19:20]
	v_fma_f64 v[11:12], v[11:12], v[17:18], -v[13:14]
	s_delay_alu instid0(VALU_DEP_2) | instskip(NEXT) | instid1(VALU_DEP_2)
	v_add_f64 v[3:4], v[3:4], v[15:16]
	v_add_f64 v[1:2], v[1:2], v[11:12]
	s_and_not1_b32 exec_lo, exec_lo, s20
	s_cbranch_execnz .LBB186_12
; %bb.13:
	s_set_inst_prefetch_distance 0x2
	s_or_b32 exec_lo, exec_lo, s20
.LBB186_14:
	s_delay_alu instid0(SALU_CYCLE_1) | instskip(SKIP_2) | instid1(VALU_DEP_1)
	s_or_b32 exec_lo, exec_lo, s15
	v_or_b32_e32 v5, s2, v0
	s_mov_b32 s0, exec_lo
	v_cmpx_gt_i32_e64 s3, v5
	s_cbranch_execz .LBB186_16
; %bb.15:
	v_mul_lo_u32 v5, v5, s1
	s_lshl_b64 s[12:13], s[12:13], 4
	s_delay_alu instid0(SALU_CYCLE_1) | instskip(SKIP_2) | instid1(SALU_CYCLE_1)
	s_add_u32 s1, s8, s12
	s_addc_u32 s3, s9, s13
	s_lshl_b64 s[8:9], s[10:11], 4
	s_add_u32 s1, s1, s8
	s_delay_alu instid0(VALU_DEP_1)
	v_ashrrev_i32_e32 v6, 31, v5
	s_addc_u32 s10, s3, s9
	s_ashr_i32 s3, s2, 31
	s_lshl_b64 s[8:9], s[16:17], 4
	s_lshl_b64 s[2:3], s[2:3], 4
	v_lshlrev_b64 v[5:6], 4, v[5:6]
	s_add_u32 s2, s2, s8
	s_addc_u32 s3, s3, s9
	s_add_u32 s2, s2, s1
	s_addc_u32 s3, s3, s10
	s_delay_alu instid0(VALU_DEP_1)
	v_add_co_u32 v10, vcc_lo, s21, v5
	v_add_co_ci_u32_e32 v11, vcc_lo, s22, v6, vcc_lo
	global_load_b128 v[5:8], v9, s[2:3]
	global_load_b128 v[9:12], v[10:11], off
	s_waitcnt vmcnt(0)
	v_mul_f64 v[13:14], v[7:8], v[11:12]
	v_mul_f64 v[7:8], v[7:8], v[9:10]
	s_delay_alu instid0(VALU_DEP_2) | instskip(NEXT) | instid1(VALU_DEP_2)
	v_fma_f64 v[9:10], v[5:6], v[9:10], v[13:14]
	v_fma_f64 v[5:6], v[5:6], v[11:12], -v[7:8]
	s_delay_alu instid0(VALU_DEP_2) | instskip(NEXT) | instid1(VALU_DEP_2)
	v_add_f64 v[3:4], v[3:4], v[9:10]
	v_add_f64 v[1:2], v[1:2], v[5:6]
.LBB186_16:
	s_or_b32 exec_lo, exec_lo, s0
	v_and_b32_e32 v15, 31, v0
	v_cmp_gt_u32_e32 vcc_lo, 32, v0
	s_delay_alu instid0(VALU_DEP_2)
	v_lshlrev_b32_e32 v11, 4, v15
	s_and_saveexec_b32 s0, vcc_lo
	s_cbranch_execz .LBB186_18
; %bb.17:
	v_mov_b32_e32 v5, 0
	s_delay_alu instid0(VALU_DEP_1)
	v_mov_b32_e32 v6, v5
	v_mov_b32_e32 v7, v5
	v_mov_b32_e32 v8, v5
	ds_store_b128 v11, v[5:8]
.LBB186_18:
	s_or_b32 exec_lo, exec_lo, s0
	v_mbcnt_lo_u32_b32 v14, -1, 0
	s_mov_b32 s1, exec_lo
	s_waitcnt lgkmcnt(0)
	s_barrier
	buffer_gl0_inv
	v_cmp_gt_u32_e64 s0, 16, v14
	s_delay_alu instid0(VALU_DEP_1) | instskip(SKIP_1) | instid1(VALU_DEP_2)
	v_cndmask_b32_e64 v5, 0, 1, s0
	v_cmp_gt_u32_e64 s0, 24, v14
	v_lshlrev_b32_e32 v5, 4, v5
	s_delay_alu instid0(VALU_DEP_1)
	v_add_lshl_u32 v9, v5, v14, 2
	ds_bpermute_b32 v5, v9, v3
	ds_bpermute_b32 v6, v9, v4
	;; [unrolled: 1-line block ×4, first 2 shown]
	s_waitcnt lgkmcnt(2)
	v_add_f64 v[3:4], v[3:4], v[5:6]
	v_cndmask_b32_e64 v5, 0, 1, s0
	s_waitcnt lgkmcnt(0)
	v_add_f64 v[1:2], v[1:2], v[7:8]
	v_cmp_gt_u32_e64 s0, 28, v14
	s_delay_alu instid0(VALU_DEP_3) | instskip(NEXT) | instid1(VALU_DEP_1)
	v_lshlrev_b32_e32 v5, 3, v5
	v_add_lshl_u32 v10, v5, v14, 2
	ds_bpermute_b32 v5, v10, v3
	ds_bpermute_b32 v6, v10, v4
	;; [unrolled: 1-line block ×4, first 2 shown]
	s_waitcnt lgkmcnt(2)
	v_add_f64 v[3:4], v[3:4], v[5:6]
	v_cndmask_b32_e64 v5, 0, 1, s0
	s_waitcnt lgkmcnt(0)
	v_add_f64 v[1:2], v[1:2], v[7:8]
	v_cmp_gt_u32_e64 s0, 30, v14
	s_delay_alu instid0(VALU_DEP_3) | instskip(NEXT) | instid1(VALU_DEP_1)
	v_lshlrev_b32_e32 v5, 2, v5
	v_add_lshl_u32 v12, v5, v14, 2
	ds_bpermute_b32 v5, v12, v3
	ds_bpermute_b32 v6, v12, v4
	;; [unrolled: 1-line block ×4, first 2 shown]
	s_waitcnt lgkmcnt(2)
	v_add_f64 v[3:4], v[3:4], v[5:6]
	s_waitcnt lgkmcnt(0)
	v_add_f64 v[5:6], v[1:2], v[7:8]
	v_cndmask_b32_e64 v1, 0, 1, s0
	v_cmp_ne_u32_e64 s0, 31, v14
	s_delay_alu instid0(VALU_DEP_2) | instskip(NEXT) | instid1(VALU_DEP_1)
	v_lshlrev_b32_e32 v1, 1, v1
	v_add_lshl_u32 v13, v1, v14, 2
	ds_bpermute_b32 v1, v13, v3
	ds_bpermute_b32 v2, v13, v4
	;; [unrolled: 1-line block ×4, first 2 shown]
	s_waitcnt lgkmcnt(2)
	v_add_f64 v[1:2], v[3:4], v[1:2]
	v_add_co_ci_u32_e64 v3, s0, 0, v14, s0
	s_waitcnt lgkmcnt(0)
	v_add_f64 v[5:6], v[5:6], v[7:8]
	s_delay_alu instid0(VALU_DEP_2)
	v_lshlrev_b32_e32 v14, 2, v3
	ds_bpermute_b32 v3, v14, v1
	ds_bpermute_b32 v4, v14, v2
	;; [unrolled: 1-line block ×4, first 2 shown]
	v_cmpx_eq_u32_e32 0, v15
	s_cbranch_execz .LBB186_20
; %bb.19:
	s_waitcnt lgkmcnt(0)
	v_add_f64 v[5:6], v[5:6], v[7:8]
	v_add_f64 v[3:4], v[1:2], v[3:4]
	v_lshrrev_b32_e32 v1, 1, v0
	s_delay_alu instid0(VALU_DEP_1)
	v_and_b32_e32 v1, 0x1f0, v1
	ds_store_b128 v1, v[3:6]
.LBB186_20:
	s_or_b32 exec_lo, exec_lo, s1
	s_waitcnt lgkmcnt(0)
	v_mov_b32_e32 v7, 0
	v_mov_b32_e32 v8, 0
	s_delay_alu instid0(VALU_DEP_2)
	v_mov_b32_e32 v5, v7
	s_barrier
	buffer_gl0_inv
	v_mov_b32_e32 v6, v8
	s_and_saveexec_b32 s0, vcc_lo
	s_cbranch_execz .LBB186_22
; %bb.21:
	ds_load_b128 v[5:8], v11
.LBB186_22:
	s_or_b32 exec_lo, exec_lo, s0
	s_and_saveexec_b32 s0, vcc_lo
	s_cbranch_execz .LBB186_24
; %bb.23:
	s_waitcnt lgkmcnt(0)
	ds_bpermute_b32 v1, v9, v5
	ds_bpermute_b32 v2, v9, v6
	ds_bpermute_b32 v3, v9, v7
	ds_bpermute_b32 v4, v9, v8
	s_waitcnt lgkmcnt(2)
	v_add_f64 v[1:2], v[5:6], v[1:2]
	s_waitcnt lgkmcnt(0)
	v_add_f64 v[3:4], v[7:8], v[3:4]
	ds_bpermute_b32 v5, v10, v1
	ds_bpermute_b32 v6, v10, v2
	ds_bpermute_b32 v7, v10, v3
	ds_bpermute_b32 v8, v10, v4
	s_waitcnt lgkmcnt(2)
	v_add_f64 v[1:2], v[1:2], v[5:6]
	s_waitcnt lgkmcnt(0)
	v_add_f64 v[3:4], v[3:4], v[7:8]
	;; [unrolled: 8-line block ×5, first 2 shown]
.LBB186_24:
	s_or_b32 exec_lo, exec_lo, s0
	s_delay_alu instid0(SALU_CYCLE_1)
	s_mov_b32 s0, exec_lo
                                        ; implicit-def: $vgpr3_vgpr4
                                        ; implicit-def: $sgpr12_sgpr13
	v_cmpx_eq_u32_e32 0, v0
	s_cbranch_execz .LBB186_28
; %bb.25:
	s_waitcnt lgkmcnt(0)
	s_delay_alu instid0(VALU_DEP_2) | instskip(SKIP_4) | instid1(SALU_CYCLE_1)
	v_mul_f64 v[0:1], s[6:7], v[7:8]
	v_mul_f64 v[3:4], s[4:5], v[7:8]
	v_cmp_neq_f64_e64 s1, s[24:25], 0
	v_cmp_neq_f64_e64 s2, s[26:27], 0
	s_mul_i32 s12, s14, s28
	s_ashr_i32 s13, s12, 31
	s_delay_alu instid0(VALU_DEP_4) | instskip(NEXT) | instid1(VALU_DEP_4)
	v_fma_f64 v[1:2], s[4:5], v[5:6], -v[0:1]
	v_fma_f64 v[3:4], s[6:7], v[5:6], v[3:4]
	s_delay_alu instid0(VALU_DEP_3) | instskip(NEXT) | instid1(SALU_CYCLE_1)
	s_or_b32 s1, s1, s2
	s_and_not1_b32 vcc_lo, exec_lo, s1
	s_cbranch_vccnz .LBB186_27
; %bb.26:
	s_lshl_b64 s[2:3], s[12:13], 4
	s_delay_alu instid0(SALU_CYCLE_1)
	s_add_u32 s2, s18, s2
	s_addc_u32 s3, s19, s3
	s_load_b128 s[4:7], s[2:3], 0x0
	s_waitcnt lgkmcnt(0)
	v_mul_f64 v[5:6], s[26:27], s[6:7]
	v_mul_f64 v[7:8], s[24:25], s[6:7]
	s_delay_alu instid0(VALU_DEP_2) | instskip(NEXT) | instid1(VALU_DEP_2)
	v_fma_f64 v[5:6], s[24:25], s[4:5], -v[5:6]
	v_fma_f64 v[7:8], s[26:27], s[4:5], v[7:8]
	s_delay_alu instid0(VALU_DEP_2) | instskip(NEXT) | instid1(VALU_DEP_2)
	v_add_f64 v[1:2], v[1:2], v[5:6]
	v_add_f64 v[3:4], v[3:4], v[7:8]
.LBB186_27:
	s_or_b32 s29, s29, exec_lo
.LBB186_28:
	s_or_b32 exec_lo, exec_lo, s0
.LBB186_29:
	s_and_saveexec_b32 s0, s29
	s_cbranch_execz .LBB186_31
; %bb.30:
	s_lshl_b64 s[0:1], s[12:13], 4
	v_mov_b32_e32 v0, 0
	s_add_u32 s0, s18, s0
	s_addc_u32 s1, s19, s1
	global_store_b128 v0, v[1:4], s[0:1]
.LBB186_31:
	s_nop 0
	s_sendmsg sendmsg(MSG_DEALLOC_VGPRS)
	s_endpgm
	.section	.rodata,"a",@progbits
	.p2align	6, 0x0
	.amdhsa_kernel _ZL32rocblas_gemvt_warp_reduce_kernelILb1ELi1024Ei19rocblas_complex_numIdEPKS1_S1_EviiT3_lPKT2_lT1_lS7_lS8_lS4_lPT4_lS8_li
		.amdhsa_group_segment_fixed_size 512
		.amdhsa_private_segment_fixed_size 0
		.amdhsa_kernarg_size 140
		.amdhsa_user_sgpr_count 14
		.amdhsa_user_sgpr_dispatch_ptr 0
		.amdhsa_user_sgpr_queue_ptr 0
		.amdhsa_user_sgpr_kernarg_segment_ptr 1
		.amdhsa_user_sgpr_dispatch_id 0
		.amdhsa_user_sgpr_private_segment_size 0
		.amdhsa_wavefront_size32 1
		.amdhsa_uses_dynamic_stack 0
		.amdhsa_enable_private_segment 0
		.amdhsa_system_sgpr_workgroup_id_x 1
		.amdhsa_system_sgpr_workgroup_id_y 0
		.amdhsa_system_sgpr_workgroup_id_z 1
		.amdhsa_system_sgpr_workgroup_info 0
		.amdhsa_system_vgpr_workitem_id 0
		.amdhsa_next_free_vgpr 21
		.amdhsa_next_free_sgpr 40
		.amdhsa_reserve_vcc 1
		.amdhsa_float_round_mode_32 0
		.amdhsa_float_round_mode_16_64 0
		.amdhsa_float_denorm_mode_32 3
		.amdhsa_float_denorm_mode_16_64 3
		.amdhsa_dx10_clamp 1
		.amdhsa_ieee_mode 1
		.amdhsa_fp16_overflow 0
		.amdhsa_workgroup_processor_mode 1
		.amdhsa_memory_ordered 1
		.amdhsa_forward_progress 0
		.amdhsa_shared_vgpr_count 0
		.amdhsa_exception_fp_ieee_invalid_op 0
		.amdhsa_exception_fp_denorm_src 0
		.amdhsa_exception_fp_ieee_div_zero 0
		.amdhsa_exception_fp_ieee_overflow 0
		.amdhsa_exception_fp_ieee_underflow 0
		.amdhsa_exception_fp_ieee_inexact 0
		.amdhsa_exception_int_div_zero 0
	.end_amdhsa_kernel
	.section	.text._ZL32rocblas_gemvt_warp_reduce_kernelILb1ELi1024Ei19rocblas_complex_numIdEPKS1_S1_EviiT3_lPKT2_lT1_lS7_lS8_lS4_lPT4_lS8_li,"axG",@progbits,_ZL32rocblas_gemvt_warp_reduce_kernelILb1ELi1024Ei19rocblas_complex_numIdEPKS1_S1_EviiT3_lPKT2_lT1_lS7_lS8_lS4_lPT4_lS8_li,comdat
.Lfunc_end186:
	.size	_ZL32rocblas_gemvt_warp_reduce_kernelILb1ELi1024Ei19rocblas_complex_numIdEPKS1_S1_EviiT3_lPKT2_lT1_lS7_lS8_lS4_lPT4_lS8_li, .Lfunc_end186-_ZL32rocblas_gemvt_warp_reduce_kernelILb1ELi1024Ei19rocblas_complex_numIdEPKS1_S1_EviiT3_lPKT2_lT1_lS7_lS8_lS4_lPT4_lS8_li
                                        ; -- End function
	.section	.AMDGPU.csdata,"",@progbits
; Kernel info:
; codeLenInByte = 2264
; NumSgprs: 42
; NumVgprs: 21
; ScratchSize: 0
; MemoryBound: 0
; FloatMode: 240
; IeeeMode: 1
; LDSByteSize: 512 bytes/workgroup (compile time only)
; SGPRBlocks: 5
; VGPRBlocks: 2
; NumSGPRsForWavesPerEU: 42
; NumVGPRsForWavesPerEU: 21
; Occupancy: 16
; WaveLimiterHint : 1
; COMPUTE_PGM_RSRC2:SCRATCH_EN: 0
; COMPUTE_PGM_RSRC2:USER_SGPR: 14
; COMPUTE_PGM_RSRC2:TRAP_HANDLER: 0
; COMPUTE_PGM_RSRC2:TGID_X_EN: 1
; COMPUTE_PGM_RSRC2:TGID_Y_EN: 0
; COMPUTE_PGM_RSRC2:TGID_Z_EN: 1
; COMPUTE_PGM_RSRC2:TIDIG_COMP_CNT: 0
	.section	.text._ZL32rocblas_gemvt_warp_reduce_kernelILb1ELi1024El19rocblas_complex_numIdEPKS1_S1_EviiT3_lPKT2_lT1_lS7_lS8_lS4_lPT4_lS8_li,"axG",@progbits,_ZL32rocblas_gemvt_warp_reduce_kernelILb1ELi1024El19rocblas_complex_numIdEPKS1_S1_EviiT3_lPKT2_lT1_lS7_lS8_lS4_lPT4_lS8_li,comdat
	.globl	_ZL32rocblas_gemvt_warp_reduce_kernelILb1ELi1024El19rocblas_complex_numIdEPKS1_S1_EviiT3_lPKT2_lT1_lS7_lS8_lS4_lPT4_lS8_li ; -- Begin function _ZL32rocblas_gemvt_warp_reduce_kernelILb1ELi1024El19rocblas_complex_numIdEPKS1_S1_EviiT3_lPKT2_lT1_lS7_lS8_lS4_lPT4_lS8_li
	.p2align	8
	.type	_ZL32rocblas_gemvt_warp_reduce_kernelILb1ELi1024El19rocblas_complex_numIdEPKS1_S1_EviiT3_lPKT2_lT1_lS7_lS8_lS4_lPT4_lS8_li,@function
_ZL32rocblas_gemvt_warp_reduce_kernelILb1ELi1024El19rocblas_complex_numIdEPKS1_S1_EviiT3_lPKT2_lT1_lS7_lS8_lS4_lPT4_lS8_li: ; @_ZL32rocblas_gemvt_warp_reduce_kernelILb1ELi1024El19rocblas_complex_numIdEPKS1_S1_EviiT3_lPKT2_lT1_lS7_lS8_lS4_lPT4_lS8_li
; %bb.0:
	s_load_b512 s[36:51], s[0:1], 0x8
	s_waitcnt lgkmcnt(0)
	s_mul_i32 s3, s15, s39
	s_mul_hi_u32 s4, s15, s38
	s_mul_i32 s2, s15, s38
	s_add_i32 s3, s4, s3
	s_delay_alu instid0(SALU_CYCLE_1) | instskip(NEXT) | instid1(SALU_CYCLE_1)
	s_lshl_b64 s[2:3], s[2:3], 4
	s_add_u32 s2, s36, s2
	s_addc_u32 s3, s37, s3
	s_load_b128 s[4:7], s[2:3], 0x0
	s_load_b512 s[16:31], s[0:1], 0x48
	s_waitcnt lgkmcnt(0)
	v_cmp_neq_f64_e64 s12, s[4:5], 0
	v_cmp_neq_f64_e64 s13, s[6:7], 0
	s_mul_i32 s2, s15, s23
	s_mul_hi_u32 s3, s15, s22
	s_delay_alu instid0(SALU_CYCLE_1) | instskip(SKIP_1) | instid1(SALU_CYCLE_1)
	s_add_i32 s3, s3, s2
	s_mul_i32 s2, s15, s22
	s_lshl_b64 s[2:3], s[2:3], 4
	s_delay_alu instid0(SALU_CYCLE_1) | instskip(SKIP_3) | instid1(VALU_DEP_1)
	s_add_u32 s2, s20, s2
	s_addc_u32 s3, s21, s3
	s_load_b128 s[8:11], s[2:3], 0x0
	s_mov_b32 s3, -1
	s_or_b32 s2, s12, s13
	s_delay_alu instid0(SALU_CYCLE_1)
	s_and_b32 vcc_lo, exec_lo, s2
	s_cbranch_vccnz .LBB187_2
; %bb.1:
	s_waitcnt lgkmcnt(0)
	v_cmp_neq_f64_e64 s3, s[8:9], 1.0
	v_cmp_neq_f64_e64 s12, s[10:11], 0
	s_delay_alu instid0(VALU_DEP_1)
	s_or_b32 s3, s3, s12
.LBB187_2:
	s_delay_alu instid0(SALU_CYCLE_1)
	s_and_not1_b32 vcc_lo, exec_lo, s3
	s_cbranch_vccnz .LBB187_31
; %bb.3:
	s_mul_i32 s3, s15, s31
	s_mul_hi_u32 s13, s15, s30
	s_mul_i32 s12, s15, s30
	s_add_i32 s13, s13, s3
	s_xor_b32 s20, s2, -1
	s_lshl_b64 s[12:13], s[12:13], 4
	s_delay_alu instid0(SALU_CYCLE_1)
	s_add_u32 s12, s24, s12
	s_addc_u32 s13, s25, s13
	s_lshl_b64 s[2:3], s[26:27], 4
	s_mov_b32 s26, 0
	s_add_u32 s24, s12, s2
	v_cmp_eq_u32_e64 s2, 0, v0
	s_addc_u32 s25, s13, s3
	s_and_not1_b32 vcc_lo, exec_lo, s20
	s_cbranch_vccnz .LBB187_8
; %bb.4:
	s_mov_b32 s3, 0
                                        ; implicit-def: $vgpr3_vgpr4
                                        ; implicit-def: $sgpr12_sgpr13
	s_and_saveexec_b32 s20, s2
	s_cbranch_execz .LBB187_9
; %bb.5:
	s_waitcnt lgkmcnt(0)
	v_cmp_neq_f64_e64 s2, s[8:9], 0
	v_cmp_neq_f64_e64 s12, s[10:11], 0
	v_mov_b32_e32 v3, 0
	v_mov_b32_e32 v4, 0
	s_mul_i32 s13, s14, s29
	s_mul_hi_u32 s21, s14, s28
	s_delay_alu instid0(VALU_DEP_2)
	v_mov_b32_e32 v1, v3
	s_add_i32 s13, s21, s13
	v_mov_b32_e32 v2, v4
	s_or_b32 s2, s2, s12
	s_ashr_i32 s12, s14, 31
	s_and_not1_b32 vcc_lo, exec_lo, s2
	s_mul_i32 s12, s12, s28
	s_delay_alu instid0(SALU_CYCLE_1)
	s_add_i32 s13, s13, s12
	s_mul_i32 s12, s14, s28
	s_cbranch_vccnz .LBB187_7
; %bb.6:
	s_lshl_b64 s[22:23], s[12:13], 4
	s_delay_alu instid0(SALU_CYCLE_1)
	s_add_u32 s22, s24, s22
	s_addc_u32 s23, s25, s23
	s_load_b128 s[36:39], s[22:23], 0x0
	s_waitcnt lgkmcnt(0)
	v_mul_f64 v[1:2], s[10:11], s[38:39]
	v_mul_f64 v[3:4], s[8:9], s[38:39]
	s_delay_alu instid0(VALU_DEP_2) | instskip(NEXT) | instid1(VALU_DEP_2)
	v_fma_f64 v[1:2], s[8:9], s[36:37], -v[1:2]
	v_fma_f64 v[3:4], s[10:11], s[36:37], v[3:4]
.LBB187_7:
	s_mov_b32 s26, exec_lo
	s_or_b32 exec_lo, exec_lo, s20
	s_delay_alu instid0(SALU_CYCLE_1)
	s_and_b32 vcc_lo, exec_lo, s3
	s_cbranch_vccnz .LBB187_10
	s_branch .LBB187_29
.LBB187_8:
                                        ; implicit-def: $vgpr3_vgpr4
                                        ; implicit-def: $sgpr12_sgpr13
	s_cbranch_execnz .LBB187_10
	s_branch .LBB187_29
.LBB187_9:
	s_or_b32 exec_lo, exec_lo, s20
	s_delay_alu instid0(SALU_CYCLE_1)
	s_and_b32 vcc_lo, exec_lo, s3
	s_cbranch_vccz .LBB187_29
.LBB187_10:
	s_load_b32 s13, s[0:1], 0x0
	v_mov_b32_e32 v1, 0
	s_mul_i32 s0, s15, s19
	s_mul_hi_u32 s3, s15, s18
	s_mul_i32 s2, s15, s18
	s_add_i32 s3, s3, s0
	s_mul_i32 s12, s15, s47
	s_mul_hi_u32 s18, s15, s46
	s_mul_i32 s20, s15, s46
	s_ashr_i32 s1, s14, 31
	s_mul_i32 s15, s14, s45
	s_mul_hi_u32 s19, s14, s44
	s_add_i32 s21, s18, s12
	s_add_i32 s15, s19, s15
	s_mul_i32 s18, s1, s44
	s_mov_b32 s27, 0
	s_add_i32 s19, s15, s18
	s_mul_i32 s18, s14, s44
	s_mov_b32 s15, exec_lo
	s_waitcnt lgkmcnt(0)
	v_cmp_gt_i32_e32 vcc_lo, s13, v0
	v_mov_b32_e32 v2, 0
	s_ashr_i32 s0, s13, 31
	s_delay_alu instid0(SALU_CYCLE_1) | instskip(SKIP_2) | instid1(SALU_CYCLE_1)
	s_lshr_b32 s0, s0, 22
	v_cndmask_b32_e32 v3, 0, v0, vcc_lo
	s_add_i32 s0, s13, s0
	s_and_b32 s12, s0, 0xfffffc00
	s_delay_alu instid0(VALU_DEP_1)
	v_dual_mov_b32 v4, v2 :: v_dual_lshlrev_b32 v9, 4, v3
	v_mov_b32_e32 v3, v1
	v_cmpx_gt_i32_e64 s12, v0
	s_cbranch_execz .LBB187_14
; %bb.11:
	v_mad_u64_u32 v[3:4], null, s16, v0, 0
	s_lshl_b64 s[30:31], s[50:51], 4
	s_lshl_b64 s[22:23], s[2:3], 4
	s_add_u32 s0, s48, s30
	s_addc_u32 s30, s49, s31
	s_add_u32 s0, s0, s22
	s_addc_u32 s33, s30, s23
	s_delay_alu instid0(VALU_DEP_1)
	v_mov_b32_e32 v1, v4
	s_lshl_b64 s[30:31], s[18:19], 4
	s_lshl_b64 s[34:35], s[20:21], 4
	;; [unrolled: 1-line block ×3, first 2 shown]
	s_add_u32 s34, s30, s34
	v_mad_u64_u32 v[4:5], null, s17, v0, v[1:2]
	s_addc_u32 s35, s31, s35
	s_lshl_b64 s[30:31], s[42:43], 4
	v_dual_mov_b32 v1, 0 :: v_dual_mov_b32 v10, v0
	s_add_u32 s30, s34, s30
	s_addc_u32 s31, s35, s31
	s_delay_alu instid0(VALU_DEP_2) | instskip(SKIP_3) | instid1(VALU_DEP_2)
	v_lshlrev_b64 v[3:4], 4, v[3:4]
	s_add_u32 s30, s40, s30
	s_addc_u32 s31, s41, s31
	v_mov_b32_e32 v2, 0
	v_add_co_u32 v3, vcc_lo, s0, v3
	s_delay_alu instid0(VALU_DEP_3) | instskip(SKIP_1) | instid1(VALU_DEP_1)
	v_add_co_ci_u32_e32 v4, vcc_lo, s33, v4, vcc_lo
	v_add_co_u32 v7, s0, s30, v9
	v_add_co_ci_u32_e64 v8, null, s31, 0, s0
	s_delay_alu instid0(VALU_DEP_4) | instskip(NEXT) | instid1(VALU_DEP_4)
	v_add_co_u32 v5, vcc_lo, v3, 8
	v_add_co_ci_u32_e32 v6, vcc_lo, 0, v4, vcc_lo
	s_delay_alu instid0(VALU_DEP_4) | instskip(NEXT) | instid1(VALU_DEP_4)
	v_add_co_u32 v7, vcc_lo, v7, 8
	v_add_co_ci_u32_e32 v8, vcc_lo, 0, v8, vcc_lo
	v_dual_mov_b32 v4, v2 :: v_dual_mov_b32 v3, v1
	.p2align	6
.LBB187_12:                             ; =>This Inner Loop Header: Depth=1
	global_load_b128 v[11:14], v[7:8], off offset:-8
	global_load_b128 v[15:18], v[5:6], off offset:-8
	v_add_nc_u32_e32 v10, 0x400, v10
	v_add_co_u32 v5, vcc_lo, v5, s22
	v_add_co_ci_u32_e32 v6, vcc_lo, s23, v6, vcc_lo
	s_delay_alu instid0(VALU_DEP_3) | instskip(SKIP_1) | instid1(VALU_DEP_1)
	v_cmp_le_i32_e32 vcc_lo, s12, v10
	v_add_co_u32 v7, s0, 0x4000, v7
	v_add_co_ci_u32_e64 v8, s0, 0, v8, s0
	s_or_b32 s27, vcc_lo, s27
	s_waitcnt vmcnt(0)
	v_mul_f64 v[19:20], v[13:14], v[17:18]
	v_mul_f64 v[13:14], v[13:14], v[15:16]
	s_delay_alu instid0(VALU_DEP_2) | instskip(NEXT) | instid1(VALU_DEP_2)
	v_fma_f64 v[15:16], v[11:12], v[15:16], v[19:20]
	v_fma_f64 v[11:12], v[11:12], v[17:18], -v[13:14]
	s_delay_alu instid0(VALU_DEP_2) | instskip(NEXT) | instid1(VALU_DEP_2)
	v_add_f64 v[3:4], v[3:4], v[15:16]
	v_add_f64 v[1:2], v[1:2], v[11:12]
	s_and_not1_b32 exec_lo, exec_lo, s27
	s_cbranch_execnz .LBB187_12
; %bb.13:
	s_or_b32 exec_lo, exec_lo, s27
.LBB187_14:
	s_delay_alu instid0(SALU_CYCLE_1) | instskip(SKIP_2) | instid1(VALU_DEP_1)
	s_or_b32 exec_lo, exec_lo, s15
	v_or_b32_e32 v5, s12, v0
	s_mov_b32 s0, exec_lo
	v_cmpx_gt_i32_e64 s13, v5
	s_cbranch_execz .LBB187_16
; %bb.15:
	v_ashrrev_i32_e32 v6, 31, v5
	v_mul_lo_u32 v8, v5, s17
	s_lshl_b64 s[20:21], s[20:21], 4
	s_delay_alu instid0(SALU_CYCLE_1) | instskip(NEXT) | instid1(VALU_DEP_2)
	s_add_u32 s13, s40, s20
	v_mul_lo_u32 v10, v6, s16
	v_mad_u64_u32 v[6:7], null, v5, s16, 0
	s_addc_u32 s15, s41, s21
	s_lshl_b64 s[20:21], s[42:43], 4
	s_delay_alu instid0(SALU_CYCLE_1) | instskip(SKIP_2) | instid1(VALU_DEP_1)
	s_add_u32 s20, s13, s20
	s_addc_u32 s15, s15, s21
	s_lshl_b64 s[2:3], s[2:3], 4
	v_add3_u32 v7, v7, v8, v10
	s_lshl_b64 s[16:17], s[18:19], 4
	s_add_u32 s13, s48, s2
	s_addc_u32 s18, s49, s3
	s_lshl_b64 s[2:3], s[50:51], 4
	v_lshlrev_b64 v[5:6], 4, v[6:7]
	s_add_u32 s19, s13, s2
	s_addc_u32 s18, s18, s3
	s_ashr_i32 s13, s12, 31
	s_delay_alu instid0(SALU_CYCLE_1) | instskip(NEXT) | instid1(VALU_DEP_1)
	s_lshl_b64 s[2:3], s[12:13], 4
	v_add_co_u32 v10, vcc_lo, s19, v5
	s_add_u32 s2, s2, s16
	s_addc_u32 s3, s3, s17
	v_add_co_ci_u32_e32 v11, vcc_lo, s18, v6, vcc_lo
	s_add_u32 s2, s2, s20
	s_addc_u32 s3, s3, s15
	global_load_b128 v[5:8], v9, s[2:3]
	global_load_b128 v[9:12], v[10:11], off
	s_waitcnt vmcnt(0)
	v_mul_f64 v[13:14], v[7:8], v[11:12]
	v_mul_f64 v[7:8], v[7:8], v[9:10]
	s_delay_alu instid0(VALU_DEP_2) | instskip(NEXT) | instid1(VALU_DEP_2)
	v_fma_f64 v[9:10], v[5:6], v[9:10], v[13:14]
	v_fma_f64 v[5:6], v[5:6], v[11:12], -v[7:8]
	s_delay_alu instid0(VALU_DEP_2) | instskip(NEXT) | instid1(VALU_DEP_2)
	v_add_f64 v[3:4], v[3:4], v[9:10]
	v_add_f64 v[1:2], v[1:2], v[5:6]
.LBB187_16:
	s_or_b32 exec_lo, exec_lo, s0
	v_and_b32_e32 v15, 31, v0
	v_cmp_gt_u32_e32 vcc_lo, 32, v0
	s_delay_alu instid0(VALU_DEP_2)
	v_lshlrev_b32_e32 v11, 4, v15
	s_and_saveexec_b32 s0, vcc_lo
	s_cbranch_execz .LBB187_18
; %bb.17:
	v_mov_b32_e32 v5, 0
	s_delay_alu instid0(VALU_DEP_1)
	v_mov_b32_e32 v6, v5
	v_mov_b32_e32 v7, v5
	;; [unrolled: 1-line block ×3, first 2 shown]
	ds_store_b128 v11, v[5:8]
.LBB187_18:
	s_or_b32 exec_lo, exec_lo, s0
	v_mbcnt_lo_u32_b32 v14, -1, 0
	s_mov_b32 s2, exec_lo
	s_waitcnt lgkmcnt(0)
	s_barrier
	buffer_gl0_inv
	v_cmp_gt_u32_e64 s0, 16, v14
	s_delay_alu instid0(VALU_DEP_1) | instskip(SKIP_1) | instid1(VALU_DEP_2)
	v_cndmask_b32_e64 v5, 0, 1, s0
	v_cmp_gt_u32_e64 s0, 24, v14
	v_lshlrev_b32_e32 v5, 4, v5
	s_delay_alu instid0(VALU_DEP_1)
	v_add_lshl_u32 v9, v5, v14, 2
	ds_bpermute_b32 v5, v9, v3
	ds_bpermute_b32 v6, v9, v4
	ds_bpermute_b32 v7, v9, v1
	ds_bpermute_b32 v8, v9, v2
	s_waitcnt lgkmcnt(2)
	v_add_f64 v[3:4], v[3:4], v[5:6]
	v_cndmask_b32_e64 v5, 0, 1, s0
	s_waitcnt lgkmcnt(0)
	v_add_f64 v[1:2], v[1:2], v[7:8]
	v_cmp_gt_u32_e64 s0, 28, v14
	s_delay_alu instid0(VALU_DEP_3) | instskip(NEXT) | instid1(VALU_DEP_1)
	v_lshlrev_b32_e32 v5, 3, v5
	v_add_lshl_u32 v10, v5, v14, 2
	ds_bpermute_b32 v5, v10, v3
	ds_bpermute_b32 v6, v10, v4
	;; [unrolled: 1-line block ×4, first 2 shown]
	s_waitcnt lgkmcnt(2)
	v_add_f64 v[3:4], v[3:4], v[5:6]
	v_cndmask_b32_e64 v5, 0, 1, s0
	s_waitcnt lgkmcnt(0)
	v_add_f64 v[1:2], v[1:2], v[7:8]
	v_cmp_gt_u32_e64 s0, 30, v14
	s_delay_alu instid0(VALU_DEP_3) | instskip(NEXT) | instid1(VALU_DEP_1)
	v_lshlrev_b32_e32 v5, 2, v5
	v_add_lshl_u32 v12, v5, v14, 2
	ds_bpermute_b32 v5, v12, v3
	ds_bpermute_b32 v6, v12, v4
	;; [unrolled: 1-line block ×4, first 2 shown]
	s_waitcnt lgkmcnt(2)
	v_add_f64 v[3:4], v[3:4], v[5:6]
	s_waitcnt lgkmcnt(0)
	v_add_f64 v[5:6], v[1:2], v[7:8]
	v_cndmask_b32_e64 v1, 0, 1, s0
	v_cmp_ne_u32_e64 s0, 31, v14
	s_delay_alu instid0(VALU_DEP_2) | instskip(NEXT) | instid1(VALU_DEP_1)
	v_lshlrev_b32_e32 v1, 1, v1
	v_add_lshl_u32 v13, v1, v14, 2
	ds_bpermute_b32 v1, v13, v3
	ds_bpermute_b32 v2, v13, v4
	;; [unrolled: 1-line block ×4, first 2 shown]
	s_waitcnt lgkmcnt(2)
	v_add_f64 v[1:2], v[3:4], v[1:2]
	v_add_co_ci_u32_e64 v3, s0, 0, v14, s0
	s_waitcnt lgkmcnt(0)
	v_add_f64 v[5:6], v[5:6], v[7:8]
	s_delay_alu instid0(VALU_DEP_2)
	v_lshlrev_b32_e32 v14, 2, v3
	ds_bpermute_b32 v3, v14, v1
	ds_bpermute_b32 v4, v14, v2
	;; [unrolled: 1-line block ×4, first 2 shown]
	v_cmpx_eq_u32_e32 0, v15
	s_cbranch_execz .LBB187_20
; %bb.19:
	s_waitcnt lgkmcnt(0)
	v_add_f64 v[5:6], v[5:6], v[7:8]
	v_add_f64 v[3:4], v[1:2], v[3:4]
	v_lshrrev_b32_e32 v1, 1, v0
	s_delay_alu instid0(VALU_DEP_1)
	v_and_b32_e32 v1, 0x1f0, v1
	ds_store_b128 v1, v[3:6]
.LBB187_20:
	s_or_b32 exec_lo, exec_lo, s2
	s_waitcnt lgkmcnt(0)
	v_mov_b32_e32 v7, 0
	v_mov_b32_e32 v8, 0
	s_delay_alu instid0(VALU_DEP_2)
	v_mov_b32_e32 v5, v7
	s_barrier
	buffer_gl0_inv
	v_mov_b32_e32 v6, v8
	s_and_saveexec_b32 s0, vcc_lo
	s_cbranch_execz .LBB187_22
; %bb.21:
	ds_load_b128 v[5:8], v11
.LBB187_22:
	s_or_b32 exec_lo, exec_lo, s0
	s_and_saveexec_b32 s0, vcc_lo
	s_cbranch_execz .LBB187_24
; %bb.23:
	s_waitcnt lgkmcnt(0)
	ds_bpermute_b32 v1, v9, v5
	ds_bpermute_b32 v2, v9, v6
	ds_bpermute_b32 v3, v9, v7
	ds_bpermute_b32 v4, v9, v8
	s_waitcnt lgkmcnt(2)
	v_add_f64 v[1:2], v[5:6], v[1:2]
	s_waitcnt lgkmcnt(0)
	v_add_f64 v[3:4], v[7:8], v[3:4]
	ds_bpermute_b32 v5, v10, v1
	ds_bpermute_b32 v6, v10, v2
	ds_bpermute_b32 v7, v10, v3
	ds_bpermute_b32 v8, v10, v4
	s_waitcnt lgkmcnt(2)
	v_add_f64 v[1:2], v[1:2], v[5:6]
	s_waitcnt lgkmcnt(0)
	v_add_f64 v[3:4], v[3:4], v[7:8]
	;; [unrolled: 8-line block ×5, first 2 shown]
.LBB187_24:
	s_or_b32 exec_lo, exec_lo, s0
	s_delay_alu instid0(SALU_CYCLE_1)
	s_mov_b32 s0, exec_lo
                                        ; implicit-def: $vgpr3_vgpr4
                                        ; implicit-def: $sgpr12_sgpr13
	v_cmpx_eq_u32_e32 0, v0
	s_cbranch_execz .LBB187_28
; %bb.25:
	s_waitcnt lgkmcnt(0)
	s_delay_alu instid0(VALU_DEP_2)
	v_mul_f64 v[0:1], s[6:7], v[7:8]
	v_mul_f64 v[3:4], s[4:5], v[7:8]
	v_cmp_neq_f64_e64 s2, s[8:9], 0
	v_cmp_neq_f64_e64 s3, s[10:11], 0
	s_mul_i32 s1, s1, s28
	s_mul_i32 s12, s14, s28
	s_delay_alu instid0(VALU_DEP_4) | instskip(NEXT) | instid1(VALU_DEP_4)
	v_fma_f64 v[1:2], s[4:5], v[5:6], -v[0:1]
	v_fma_f64 v[3:4], s[6:7], v[5:6], v[3:4]
	s_mul_hi_u32 s4, s14, s28
	s_delay_alu instid0(VALU_DEP_3) | instskip(SKIP_3) | instid1(SALU_CYCLE_1)
	s_or_b32 s2, s2, s3
	s_mul_i32 s3, s14, s29
	s_and_not1_b32 vcc_lo, exec_lo, s2
	s_add_i32 s3, s4, s3
	s_add_i32 s13, s3, s1
	s_cbranch_vccnz .LBB187_27
; %bb.26:
	s_lshl_b64 s[2:3], s[12:13], 4
	s_delay_alu instid0(SALU_CYCLE_1)
	s_add_u32 s2, s24, s2
	s_addc_u32 s3, s25, s3
	s_load_b128 s[4:7], s[2:3], 0x0
	s_waitcnt lgkmcnt(0)
	v_mul_f64 v[5:6], s[10:11], s[6:7]
	v_mul_f64 v[7:8], s[8:9], s[6:7]
	s_delay_alu instid0(VALU_DEP_2) | instskip(NEXT) | instid1(VALU_DEP_2)
	v_fma_f64 v[5:6], s[8:9], s[4:5], -v[5:6]
	v_fma_f64 v[7:8], s[10:11], s[4:5], v[7:8]
	s_delay_alu instid0(VALU_DEP_2) | instskip(NEXT) | instid1(VALU_DEP_2)
	v_add_f64 v[1:2], v[1:2], v[5:6]
	v_add_f64 v[3:4], v[3:4], v[7:8]
.LBB187_27:
	s_or_b32 s26, s26, exec_lo
.LBB187_28:
	s_or_b32 exec_lo, exec_lo, s0
.LBB187_29:
	s_and_saveexec_b32 s0, s26
	s_cbranch_execz .LBB187_31
; %bb.30:
	s_lshl_b64 s[0:1], s[12:13], 4
	v_mov_b32_e32 v0, 0
	s_add_u32 s0, s24, s0
	s_addc_u32 s1, s25, s1
	global_store_b128 v0, v[1:4], s[0:1]
.LBB187_31:
	s_nop 0
	s_sendmsg sendmsg(MSG_DEALLOC_VGPRS)
	s_endpgm
	.section	.rodata,"a",@progbits
	.p2align	6, 0x0
	.amdhsa_kernel _ZL32rocblas_gemvt_warp_reduce_kernelILb1ELi1024El19rocblas_complex_numIdEPKS1_S1_EviiT3_lPKT2_lT1_lS7_lS8_lS4_lPT4_lS8_li
		.amdhsa_group_segment_fixed_size 512
		.amdhsa_private_segment_fixed_size 0
		.amdhsa_kernarg_size 140
		.amdhsa_user_sgpr_count 14
		.amdhsa_user_sgpr_dispatch_ptr 0
		.amdhsa_user_sgpr_queue_ptr 0
		.amdhsa_user_sgpr_kernarg_segment_ptr 1
		.amdhsa_user_sgpr_dispatch_id 0
		.amdhsa_user_sgpr_private_segment_size 0
		.amdhsa_wavefront_size32 1
		.amdhsa_uses_dynamic_stack 0
		.amdhsa_enable_private_segment 0
		.amdhsa_system_sgpr_workgroup_id_x 1
		.amdhsa_system_sgpr_workgroup_id_y 0
		.amdhsa_system_sgpr_workgroup_id_z 1
		.amdhsa_system_sgpr_workgroup_info 0
		.amdhsa_system_vgpr_workitem_id 0
		.amdhsa_next_free_vgpr 21
		.amdhsa_next_free_sgpr 52
		.amdhsa_reserve_vcc 1
		.amdhsa_float_round_mode_32 0
		.amdhsa_float_round_mode_16_64 0
		.amdhsa_float_denorm_mode_32 3
		.amdhsa_float_denorm_mode_16_64 3
		.amdhsa_dx10_clamp 1
		.amdhsa_ieee_mode 1
		.amdhsa_fp16_overflow 0
		.amdhsa_workgroup_processor_mode 1
		.amdhsa_memory_ordered 1
		.amdhsa_forward_progress 0
		.amdhsa_shared_vgpr_count 0
		.amdhsa_exception_fp_ieee_invalid_op 0
		.amdhsa_exception_fp_denorm_src 0
		.amdhsa_exception_fp_ieee_div_zero 0
		.amdhsa_exception_fp_ieee_overflow 0
		.amdhsa_exception_fp_ieee_underflow 0
		.amdhsa_exception_fp_ieee_inexact 0
		.amdhsa_exception_int_div_zero 0
	.end_amdhsa_kernel
	.section	.text._ZL32rocblas_gemvt_warp_reduce_kernelILb1ELi1024El19rocblas_complex_numIdEPKS1_S1_EviiT3_lPKT2_lT1_lS7_lS8_lS4_lPT4_lS8_li,"axG",@progbits,_ZL32rocblas_gemvt_warp_reduce_kernelILb1ELi1024El19rocblas_complex_numIdEPKS1_S1_EviiT3_lPKT2_lT1_lS7_lS8_lS4_lPT4_lS8_li,comdat
.Lfunc_end187:
	.size	_ZL32rocblas_gemvt_warp_reduce_kernelILb1ELi1024El19rocblas_complex_numIdEPKS1_S1_EviiT3_lPKT2_lT1_lS7_lS8_lS4_lPT4_lS8_li, .Lfunc_end187-_ZL32rocblas_gemvt_warp_reduce_kernelILb1ELi1024El19rocblas_complex_numIdEPKS1_S1_EviiT3_lPKT2_lT1_lS7_lS8_lS4_lPT4_lS8_li
                                        ; -- End function
	.section	.AMDGPU.csdata,"",@progbits
; Kernel info:
; codeLenInByte = 2340
; NumSgprs: 54
; NumVgprs: 21
; ScratchSize: 0
; MemoryBound: 0
; FloatMode: 240
; IeeeMode: 1
; LDSByteSize: 512 bytes/workgroup (compile time only)
; SGPRBlocks: 6
; VGPRBlocks: 2
; NumSGPRsForWavesPerEU: 54
; NumVGPRsForWavesPerEU: 21
; Occupancy: 16
; WaveLimiterHint : 0
; COMPUTE_PGM_RSRC2:SCRATCH_EN: 0
; COMPUTE_PGM_RSRC2:USER_SGPR: 14
; COMPUTE_PGM_RSRC2:TRAP_HANDLER: 0
; COMPUTE_PGM_RSRC2:TGID_X_EN: 1
; COMPUTE_PGM_RSRC2:TGID_Y_EN: 0
; COMPUTE_PGM_RSRC2:TGID_Z_EN: 1
; COMPUTE_PGM_RSRC2:TIDIG_COMP_CNT: 0
	.section	.text._ZL32rocblas_gemvt_warp_reduce_kernelILb1ELi1024Ei19rocblas_complex_numIdES1_S1_EviiT3_lPKT2_lT1_lS5_lS6_lS2_lPT4_lS6_li,"axG",@progbits,_ZL32rocblas_gemvt_warp_reduce_kernelILb1ELi1024Ei19rocblas_complex_numIdES1_S1_EviiT3_lPKT2_lT1_lS5_lS6_lS2_lPT4_lS6_li,comdat
	.globl	_ZL32rocblas_gemvt_warp_reduce_kernelILb1ELi1024Ei19rocblas_complex_numIdES1_S1_EviiT3_lPKT2_lT1_lS5_lS6_lS2_lPT4_lS6_li ; -- Begin function _ZL32rocblas_gemvt_warp_reduce_kernelILb1ELi1024Ei19rocblas_complex_numIdES1_S1_EviiT3_lPKT2_lT1_lS5_lS6_lS2_lPT4_lS6_li
	.p2align	8
	.type	_ZL32rocblas_gemvt_warp_reduce_kernelILb1ELi1024Ei19rocblas_complex_numIdES1_S1_EviiT3_lPKT2_lT1_lS5_lS6_lS2_lPT4_lS6_li,@function
_ZL32rocblas_gemvt_warp_reduce_kernelILb1ELi1024Ei19rocblas_complex_numIdES1_S1_EviiT3_lPKT2_lT1_lS5_lS6_lS2_lPT4_lS6_li: ; @_ZL32rocblas_gemvt_warp_reduce_kernelILb1ELi1024Ei19rocblas_complex_numIdES1_S1_EviiT3_lPKT2_lT1_lS5_lS6_lS2_lPT4_lS6_li
; %bb.0:
	s_clause 0x2
	s_load_b128 s[8:11], s[0:1], 0x8
	s_load_b128 s[4:7], s[0:1], 0x58
	s_load_b64 s[12:13], s[0:1], 0x68
	s_waitcnt lgkmcnt(0)
	v_cmp_neq_f64_e64 s2, s[8:9], 0
	v_cmp_neq_f64_e64 s3, s[10:11], 0
	s_delay_alu instid0(VALU_DEP_1)
	s_or_b32 s2, s2, s3
	s_mov_b32 s3, -1
	s_and_b32 vcc_lo, exec_lo, s2
	s_cbranch_vccnz .LBB188_2
; %bb.1:
	v_cmp_neq_f64_e64 s3, s[6:7], 1.0
	v_cmp_neq_f64_e64 s16, s[12:13], 0
	s_delay_alu instid0(VALU_DEP_1)
	s_or_b32 s3, s3, s16
.LBB188_2:
	s_delay_alu instid0(SALU_CYCLE_1)
	s_and_not1_b32 vcc_lo, exec_lo, s3
	s_cbranch_vccnz .LBB188_31
; %bb.3:
	s_clause 0x2
	s_load_b64 s[20:21], s[0:1], 0x90
	s_load_b128 s[16:19], s[0:1], 0x78
	s_load_b32 s26, s[0:1], 0x88
	s_xor_b32 s22, s2, -1
	s_mov_b32 s27, 0
	s_waitcnt lgkmcnt(0)
	s_mul_i32 s3, s15, s21
	s_mul_hi_u32 s21, s15, s20
	s_mul_i32 s2, s15, s20
	s_add_i32 s3, s21, s3
	s_delay_alu instid0(SALU_CYCLE_1) | instskip(NEXT) | instid1(SALU_CYCLE_1)
	s_lshl_b64 s[2:3], s[2:3], 4
	s_add_u32 s20, s16, s2
	s_addc_u32 s3, s17, s3
	s_lshl_b64 s[16:17], s[18:19], 4
	v_cmp_eq_u32_e64 s2, 0, v0
	s_add_u32 s24, s20, s16
	s_addc_u32 s25, s3, s17
	s_and_not1_b32 vcc_lo, exec_lo, s22
	s_cbranch_vccnz .LBB188_8
; %bb.4:
	s_mov_b32 s3, 0
                                        ; implicit-def: $vgpr3_vgpr4
                                        ; implicit-def: $sgpr16_sgpr17
	s_and_saveexec_b32 s18, s2
	s_cbranch_execz .LBB188_9
; %bb.5:
	v_cmp_neq_f64_e64 s2, s[6:7], 0
	v_cmp_neq_f64_e64 s16, s[12:13], 0
	v_mov_b32_e32 v3, 0
	v_mov_b32_e32 v4, 0
	s_delay_alu instid0(VALU_DEP_1) | instskip(NEXT) | instid1(VALU_DEP_4)
	v_dual_mov_b32 v1, v3 :: v_dual_mov_b32 v2, v4
	s_or_b32 s2, s2, s16
	s_mul_i32 s16, s14, s26
	s_and_not1_b32 vcc_lo, exec_lo, s2
	s_ashr_i32 s17, s16, 31
	s_cbranch_vccnz .LBB188_7
; %bb.6:
	s_lshl_b64 s[20:21], s[16:17], 4
	s_delay_alu instid0(SALU_CYCLE_1)
	s_add_u32 s20, s24, s20
	s_addc_u32 s21, s25, s21
	s_load_b128 s[20:23], s[20:21], 0x0
	s_waitcnt lgkmcnt(0)
	v_mul_f64 v[1:2], s[12:13], s[22:23]
	v_mul_f64 v[3:4], s[6:7], s[22:23]
	s_delay_alu instid0(VALU_DEP_2) | instskip(NEXT) | instid1(VALU_DEP_2)
	v_fma_f64 v[1:2], s[6:7], s[20:21], -v[1:2]
	v_fma_f64 v[3:4], s[12:13], s[20:21], v[3:4]
.LBB188_7:
	s_mov_b32 s27, exec_lo
	s_or_b32 exec_lo, exec_lo, s18
	s_delay_alu instid0(SALU_CYCLE_1)
	s_and_b32 vcc_lo, exec_lo, s3
	s_cbranch_vccnz .LBB188_10
	s_branch .LBB188_29
.LBB188_8:
                                        ; implicit-def: $vgpr3_vgpr4
                                        ; implicit-def: $sgpr16_sgpr17
	s_cbranch_execnz .LBB188_10
	s_branch .LBB188_29
.LBB188_9:
	s_or_b32 exec_lo, exec_lo, s18
	s_delay_alu instid0(SALU_CYCLE_1)
	s_and_b32 vcc_lo, exec_lo, s3
	s_cbranch_vccz .LBB188_29
.LBB188_10:
	s_clause 0x5
	s_load_b128 s[20:23], s[0:1], 0x38
	s_load_b64 s[28:29], s[0:1], 0x48
	s_load_b32 s3, s[0:1], 0x0
	s_load_b128 s[16:19], s[0:1], 0x20
	s_load_b32 s30, s[0:1], 0x30
	s_load_b32 s1, s[0:1], 0x50
	s_mul_i32 s2, s15, s5
	s_mul_hi_u32 s5, s15, s4
	s_mul_i32 s4, s15, s4
	s_add_i32 s5, s5, s2
	v_mov_b32_e32 v1, 0
	s_lshl_b64 s[4:5], s[4:5], 4
	s_waitcnt lgkmcnt(0)
	s_add_u32 s0, s22, s4
	s_mul_i32 s2, s15, s21
	v_cmp_gt_i32_e32 vcc_lo, s3, v0
	v_mov_b32_e32 v2, 0
	s_addc_u32 s21, s23, s5
	s_lshl_b64 s[4:5], s[28:29], 4
	s_mul_hi_u32 s28, s15, s20
	v_cndmask_b32_e32 v3, 0, v0, vcc_lo
	s_add_u32 s22, s0, s4
	s_addc_u32 s23, s21, s5
	s_ashr_i32 s0, s3, 31
	s_mul_i32 s4, s15, s20
	s_lshr_b32 s0, s0, 22
	v_dual_mov_b32 v4, v2 :: v_dual_lshlrev_b32 v9, 4, v3
	v_mov_b32_e32 v3, v1
	s_add_i32 s0, s3, s0
	s_mul_i32 s20, s14, s30
	s_add_i32 s5, s28, s2
	s_and_b32 s2, s0, 0xfffffc00
	s_mov_b32 s28, 0
	s_ashr_i32 s21, s20, 31
	s_mov_b32 s15, exec_lo
	v_cmpx_gt_i32_e64 s2, v0
	s_cbranch_execz .LBB188_14
; %bb.11:
	s_lshl_b64 s[30:31], s[4:5], 4
	s_lshl_b64 s[34:35], s[18:19], 4
	s_lshl_b32 s29, s1, 10
	s_add_u32 s0, s30, s34
	s_addc_u32 s33, s31, s35
	s_lshl_b64 s[30:31], s[20:21], 4
	v_dual_mov_b32 v1, 0 :: v_dual_mov_b32 v10, v0
	s_add_u32 s0, s0, s30
	s_addc_u32 s30, s33, s31
	s_add_u32 s0, s16, s0
	s_addc_u32 s30, s17, s30
	v_add_co_u32 v3, s0, s0, v9
	s_delay_alu instid0(VALU_DEP_1) | instskip(SKIP_2) | instid1(VALU_DEP_4)
	v_add_co_ci_u32_e64 v4, null, s30, 0, s0
	v_mov_b32_e32 v2, 0
	v_mul_lo_u32 v5, v0, s1
	v_add_co_u32 v7, vcc_lo, v3, 8
	s_delay_alu instid0(VALU_DEP_4) | instskip(NEXT) | instid1(VALU_DEP_4)
	v_add_co_ci_u32_e32 v8, vcc_lo, 0, v4, vcc_lo
	v_dual_mov_b32 v4, v2 :: v_dual_mov_b32 v3, v1
	s_set_inst_prefetch_distance 0x1
	.p2align	6
.LBB188_12:                             ; =>This Inner Loop Header: Depth=1
	s_delay_alu instid0(VALU_DEP_4) | instskip(SKIP_1) | instid1(VALU_DEP_2)
	v_ashrrev_i32_e32 v6, 31, v5
	v_add_nc_u32_e32 v10, 0x400, v10
	v_lshlrev_b64 v[11:12], 4, v[5:6]
	s_delay_alu instid0(VALU_DEP_2) | instskip(SKIP_1) | instid1(VALU_DEP_2)
	v_cmp_le_i32_e64 s0, s2, v10
	v_add_nc_u32_e32 v5, s29, v5
	s_or_b32 s28, s0, s28
	s_delay_alu instid0(VALU_DEP_3) | instskip(NEXT) | instid1(VALU_DEP_4)
	v_add_co_u32 v15, vcc_lo, s22, v11
	v_add_co_ci_u32_e32 v16, vcc_lo, s23, v12, vcc_lo
	global_load_b128 v[11:14], v[7:8], off offset:-8
	global_load_b128 v[15:18], v[15:16], off
	v_add_co_u32 v7, vcc_lo, 0x4000, v7
	v_add_co_ci_u32_e32 v8, vcc_lo, 0, v8, vcc_lo
	s_waitcnt vmcnt(0)
	v_mul_f64 v[19:20], v[13:14], v[17:18]
	v_mul_f64 v[13:14], v[13:14], v[15:16]
	s_delay_alu instid0(VALU_DEP_2) | instskip(NEXT) | instid1(VALU_DEP_2)
	v_fma_f64 v[15:16], v[11:12], v[15:16], v[19:20]
	v_fma_f64 v[11:12], v[11:12], v[17:18], -v[13:14]
	s_delay_alu instid0(VALU_DEP_2) | instskip(NEXT) | instid1(VALU_DEP_2)
	v_add_f64 v[3:4], v[3:4], v[15:16]
	v_add_f64 v[1:2], v[1:2], v[11:12]
	s_and_not1_b32 exec_lo, exec_lo, s28
	s_cbranch_execnz .LBB188_12
; %bb.13:
	s_set_inst_prefetch_distance 0x2
	s_or_b32 exec_lo, exec_lo, s28
.LBB188_14:
	s_delay_alu instid0(SALU_CYCLE_1) | instskip(SKIP_2) | instid1(VALU_DEP_1)
	s_or_b32 exec_lo, exec_lo, s15
	v_or_b32_e32 v5, s2, v0
	s_mov_b32 s0, exec_lo
	v_cmpx_gt_i32_e64 s3, v5
	s_cbranch_execz .LBB188_16
; %bb.15:
	v_mul_lo_u32 v5, v5, s1
	s_lshl_b64 s[4:5], s[4:5], 4
	s_delay_alu instid0(SALU_CYCLE_1) | instskip(SKIP_2) | instid1(SALU_CYCLE_1)
	s_add_u32 s1, s16, s4
	s_addc_u32 s3, s17, s5
	s_lshl_b64 s[4:5], s[18:19], 4
	s_add_u32 s1, s1, s4
	s_delay_alu instid0(VALU_DEP_1)
	v_ashrrev_i32_e32 v6, 31, v5
	s_addc_u32 s15, s3, s5
	s_ashr_i32 s3, s2, 31
	s_lshl_b64 s[4:5], s[20:21], 4
	s_lshl_b64 s[2:3], s[2:3], 4
	v_lshlrev_b64 v[5:6], 4, v[5:6]
	s_add_u32 s2, s2, s4
	s_addc_u32 s3, s3, s5
	s_add_u32 s2, s2, s1
	s_addc_u32 s3, s3, s15
	s_delay_alu instid0(VALU_DEP_1)
	v_add_co_u32 v10, vcc_lo, s22, v5
	v_add_co_ci_u32_e32 v11, vcc_lo, s23, v6, vcc_lo
	global_load_b128 v[5:8], v9, s[2:3]
	global_load_b128 v[9:12], v[10:11], off
	s_waitcnt vmcnt(0)
	v_mul_f64 v[13:14], v[7:8], v[11:12]
	v_mul_f64 v[7:8], v[7:8], v[9:10]
	s_delay_alu instid0(VALU_DEP_2) | instskip(NEXT) | instid1(VALU_DEP_2)
	v_fma_f64 v[9:10], v[5:6], v[9:10], v[13:14]
	v_fma_f64 v[5:6], v[5:6], v[11:12], -v[7:8]
	s_delay_alu instid0(VALU_DEP_2) | instskip(NEXT) | instid1(VALU_DEP_2)
	v_add_f64 v[3:4], v[3:4], v[9:10]
	v_add_f64 v[1:2], v[1:2], v[5:6]
.LBB188_16:
	s_or_b32 exec_lo, exec_lo, s0
	v_and_b32_e32 v15, 31, v0
	v_cmp_gt_u32_e32 vcc_lo, 32, v0
	s_delay_alu instid0(VALU_DEP_2)
	v_lshlrev_b32_e32 v11, 4, v15
	s_and_saveexec_b32 s0, vcc_lo
	s_cbranch_execz .LBB188_18
; %bb.17:
	v_mov_b32_e32 v5, 0
	s_delay_alu instid0(VALU_DEP_1)
	v_mov_b32_e32 v6, v5
	v_mov_b32_e32 v7, v5
	;; [unrolled: 1-line block ×3, first 2 shown]
	ds_store_b128 v11, v[5:8]
.LBB188_18:
	s_or_b32 exec_lo, exec_lo, s0
	v_mbcnt_lo_u32_b32 v14, -1, 0
	s_mov_b32 s1, exec_lo
	s_waitcnt lgkmcnt(0)
	s_barrier
	buffer_gl0_inv
	v_cmp_gt_u32_e64 s0, 16, v14
	s_delay_alu instid0(VALU_DEP_1) | instskip(SKIP_1) | instid1(VALU_DEP_2)
	v_cndmask_b32_e64 v5, 0, 1, s0
	v_cmp_gt_u32_e64 s0, 24, v14
	v_lshlrev_b32_e32 v5, 4, v5
	s_delay_alu instid0(VALU_DEP_1)
	v_add_lshl_u32 v9, v5, v14, 2
	ds_bpermute_b32 v5, v9, v3
	ds_bpermute_b32 v6, v9, v4
	;; [unrolled: 1-line block ×4, first 2 shown]
	s_waitcnt lgkmcnt(2)
	v_add_f64 v[3:4], v[3:4], v[5:6]
	v_cndmask_b32_e64 v5, 0, 1, s0
	s_waitcnt lgkmcnt(0)
	v_add_f64 v[1:2], v[1:2], v[7:8]
	v_cmp_gt_u32_e64 s0, 28, v14
	s_delay_alu instid0(VALU_DEP_3) | instskip(NEXT) | instid1(VALU_DEP_1)
	v_lshlrev_b32_e32 v5, 3, v5
	v_add_lshl_u32 v10, v5, v14, 2
	ds_bpermute_b32 v5, v10, v3
	ds_bpermute_b32 v6, v10, v4
	ds_bpermute_b32 v7, v10, v1
	ds_bpermute_b32 v8, v10, v2
	s_waitcnt lgkmcnt(2)
	v_add_f64 v[3:4], v[3:4], v[5:6]
	v_cndmask_b32_e64 v5, 0, 1, s0
	s_waitcnt lgkmcnt(0)
	v_add_f64 v[1:2], v[1:2], v[7:8]
	v_cmp_gt_u32_e64 s0, 30, v14
	s_delay_alu instid0(VALU_DEP_3) | instskip(NEXT) | instid1(VALU_DEP_1)
	v_lshlrev_b32_e32 v5, 2, v5
	v_add_lshl_u32 v12, v5, v14, 2
	ds_bpermute_b32 v5, v12, v3
	ds_bpermute_b32 v6, v12, v4
	;; [unrolled: 1-line block ×4, first 2 shown]
	s_waitcnt lgkmcnt(2)
	v_add_f64 v[3:4], v[3:4], v[5:6]
	s_waitcnt lgkmcnt(0)
	v_add_f64 v[5:6], v[1:2], v[7:8]
	v_cndmask_b32_e64 v1, 0, 1, s0
	v_cmp_ne_u32_e64 s0, 31, v14
	s_delay_alu instid0(VALU_DEP_2) | instskip(NEXT) | instid1(VALU_DEP_1)
	v_lshlrev_b32_e32 v1, 1, v1
	v_add_lshl_u32 v13, v1, v14, 2
	ds_bpermute_b32 v1, v13, v3
	ds_bpermute_b32 v2, v13, v4
	;; [unrolled: 1-line block ×4, first 2 shown]
	s_waitcnt lgkmcnt(2)
	v_add_f64 v[1:2], v[3:4], v[1:2]
	v_add_co_ci_u32_e64 v3, s0, 0, v14, s0
	s_waitcnt lgkmcnt(0)
	v_add_f64 v[5:6], v[5:6], v[7:8]
	s_delay_alu instid0(VALU_DEP_2)
	v_lshlrev_b32_e32 v14, 2, v3
	ds_bpermute_b32 v3, v14, v1
	ds_bpermute_b32 v4, v14, v2
	;; [unrolled: 1-line block ×4, first 2 shown]
	v_cmpx_eq_u32_e32 0, v15
	s_cbranch_execz .LBB188_20
; %bb.19:
	s_waitcnt lgkmcnt(0)
	v_add_f64 v[5:6], v[5:6], v[7:8]
	v_add_f64 v[3:4], v[1:2], v[3:4]
	v_lshrrev_b32_e32 v1, 1, v0
	s_delay_alu instid0(VALU_DEP_1)
	v_and_b32_e32 v1, 0x1f0, v1
	ds_store_b128 v1, v[3:6]
.LBB188_20:
	s_or_b32 exec_lo, exec_lo, s1
	s_waitcnt lgkmcnt(0)
	v_mov_b32_e32 v7, 0
	v_mov_b32_e32 v8, 0
	s_delay_alu instid0(VALU_DEP_2)
	v_mov_b32_e32 v5, v7
	s_barrier
	buffer_gl0_inv
	v_mov_b32_e32 v6, v8
	s_and_saveexec_b32 s0, vcc_lo
	s_cbranch_execz .LBB188_22
; %bb.21:
	ds_load_b128 v[5:8], v11
.LBB188_22:
	s_or_b32 exec_lo, exec_lo, s0
	s_and_saveexec_b32 s0, vcc_lo
	s_cbranch_execz .LBB188_24
; %bb.23:
	s_waitcnt lgkmcnt(0)
	ds_bpermute_b32 v1, v9, v5
	ds_bpermute_b32 v2, v9, v6
	ds_bpermute_b32 v3, v9, v7
	ds_bpermute_b32 v4, v9, v8
	s_waitcnt lgkmcnt(2)
	v_add_f64 v[1:2], v[5:6], v[1:2]
	s_waitcnt lgkmcnt(0)
	v_add_f64 v[3:4], v[7:8], v[3:4]
	ds_bpermute_b32 v5, v10, v1
	ds_bpermute_b32 v6, v10, v2
	ds_bpermute_b32 v7, v10, v3
	ds_bpermute_b32 v8, v10, v4
	s_waitcnt lgkmcnt(2)
	v_add_f64 v[1:2], v[1:2], v[5:6]
	s_waitcnt lgkmcnt(0)
	v_add_f64 v[3:4], v[3:4], v[7:8]
	;; [unrolled: 8-line block ×5, first 2 shown]
.LBB188_24:
	s_or_b32 exec_lo, exec_lo, s0
	s_delay_alu instid0(SALU_CYCLE_1)
	s_mov_b32 s0, exec_lo
                                        ; implicit-def: $vgpr3_vgpr4
                                        ; implicit-def: $sgpr16_sgpr17
	v_cmpx_eq_u32_e32 0, v0
	s_cbranch_execz .LBB188_28
; %bb.25:
	s_waitcnt lgkmcnt(0)
	s_delay_alu instid0(VALU_DEP_2) | instskip(SKIP_4) | instid1(SALU_CYCLE_1)
	v_mul_f64 v[0:1], s[10:11], v[7:8]
	v_mul_f64 v[3:4], s[8:9], v[7:8]
	v_cmp_neq_f64_e64 s1, s[6:7], 0
	v_cmp_neq_f64_e64 s2, s[12:13], 0
	s_mul_i32 s16, s14, s26
	s_ashr_i32 s17, s16, 31
	s_delay_alu instid0(VALU_DEP_4) | instskip(NEXT) | instid1(VALU_DEP_4)
	v_fma_f64 v[1:2], s[8:9], v[5:6], -v[0:1]
	v_fma_f64 v[3:4], s[10:11], v[5:6], v[3:4]
	s_delay_alu instid0(VALU_DEP_3) | instskip(NEXT) | instid1(SALU_CYCLE_1)
	s_or_b32 s1, s1, s2
	s_and_not1_b32 vcc_lo, exec_lo, s1
	s_cbranch_vccnz .LBB188_27
; %bb.26:
	s_lshl_b64 s[2:3], s[16:17], 4
	s_delay_alu instid0(SALU_CYCLE_1)
	s_add_u32 s2, s24, s2
	s_addc_u32 s3, s25, s3
	s_load_b128 s[8:11], s[2:3], 0x0
	s_waitcnt lgkmcnt(0)
	v_mul_f64 v[5:6], s[12:13], s[10:11]
	v_mul_f64 v[7:8], s[6:7], s[10:11]
	s_delay_alu instid0(VALU_DEP_2) | instskip(NEXT) | instid1(VALU_DEP_2)
	v_fma_f64 v[5:6], s[6:7], s[8:9], -v[5:6]
	v_fma_f64 v[7:8], s[12:13], s[8:9], v[7:8]
	s_delay_alu instid0(VALU_DEP_2) | instskip(NEXT) | instid1(VALU_DEP_2)
	v_add_f64 v[1:2], v[1:2], v[5:6]
	v_add_f64 v[3:4], v[3:4], v[7:8]
.LBB188_27:
	s_or_b32 s27, s27, exec_lo
.LBB188_28:
	s_or_b32 exec_lo, exec_lo, s0
.LBB188_29:
	s_and_saveexec_b32 s0, s27
	s_cbranch_execz .LBB188_31
; %bb.30:
	s_lshl_b64 s[0:1], s[16:17], 4
	v_mov_b32_e32 v0, 0
	s_add_u32 s0, s24, s0
	s_addc_u32 s1, s25, s1
	global_store_b128 v0, v[1:4], s[0:1]
.LBB188_31:
	s_nop 0
	s_sendmsg sendmsg(MSG_DEALLOC_VGPRS)
	s_endpgm
	.section	.rodata,"a",@progbits
	.p2align	6, 0x0
	.amdhsa_kernel _ZL32rocblas_gemvt_warp_reduce_kernelILb1ELi1024Ei19rocblas_complex_numIdES1_S1_EviiT3_lPKT2_lT1_lS5_lS6_lS2_lPT4_lS6_li
		.amdhsa_group_segment_fixed_size 512
		.amdhsa_private_segment_fixed_size 0
		.amdhsa_kernarg_size 156
		.amdhsa_user_sgpr_count 14
		.amdhsa_user_sgpr_dispatch_ptr 0
		.amdhsa_user_sgpr_queue_ptr 0
		.amdhsa_user_sgpr_kernarg_segment_ptr 1
		.amdhsa_user_sgpr_dispatch_id 0
		.amdhsa_user_sgpr_private_segment_size 0
		.amdhsa_wavefront_size32 1
		.amdhsa_uses_dynamic_stack 0
		.amdhsa_enable_private_segment 0
		.amdhsa_system_sgpr_workgroup_id_x 1
		.amdhsa_system_sgpr_workgroup_id_y 0
		.amdhsa_system_sgpr_workgroup_id_z 1
		.amdhsa_system_sgpr_workgroup_info 0
		.amdhsa_system_vgpr_workitem_id 0
		.amdhsa_next_free_vgpr 21
		.amdhsa_next_free_sgpr 36
		.amdhsa_reserve_vcc 1
		.amdhsa_float_round_mode_32 0
		.amdhsa_float_round_mode_16_64 0
		.amdhsa_float_denorm_mode_32 3
		.amdhsa_float_denorm_mode_16_64 3
		.amdhsa_dx10_clamp 1
		.amdhsa_ieee_mode 1
		.amdhsa_fp16_overflow 0
		.amdhsa_workgroup_processor_mode 1
		.amdhsa_memory_ordered 1
		.amdhsa_forward_progress 0
		.amdhsa_shared_vgpr_count 0
		.amdhsa_exception_fp_ieee_invalid_op 0
		.amdhsa_exception_fp_denorm_src 0
		.amdhsa_exception_fp_ieee_div_zero 0
		.amdhsa_exception_fp_ieee_overflow 0
		.amdhsa_exception_fp_ieee_underflow 0
		.amdhsa_exception_fp_ieee_inexact 0
		.amdhsa_exception_int_div_zero 0
	.end_amdhsa_kernel
	.section	.text._ZL32rocblas_gemvt_warp_reduce_kernelILb1ELi1024Ei19rocblas_complex_numIdES1_S1_EviiT3_lPKT2_lT1_lS5_lS6_lS2_lPT4_lS6_li,"axG",@progbits,_ZL32rocblas_gemvt_warp_reduce_kernelILb1ELi1024Ei19rocblas_complex_numIdES1_S1_EviiT3_lPKT2_lT1_lS5_lS6_lS2_lPT4_lS6_li,comdat
.Lfunc_end188:
	.size	_ZL32rocblas_gemvt_warp_reduce_kernelILb1ELi1024Ei19rocblas_complex_numIdES1_S1_EviiT3_lPKT2_lT1_lS5_lS6_lS2_lPT4_lS6_li, .Lfunc_end188-_ZL32rocblas_gemvt_warp_reduce_kernelILb1ELi1024Ei19rocblas_complex_numIdES1_S1_EviiT3_lPKT2_lT1_lS5_lS6_lS2_lPT4_lS6_li
                                        ; -- End function
	.section	.AMDGPU.csdata,"",@progbits
; Kernel info:
; codeLenInByte = 2192
; NumSgprs: 38
; NumVgprs: 21
; ScratchSize: 0
; MemoryBound: 0
; FloatMode: 240
; IeeeMode: 1
; LDSByteSize: 512 bytes/workgroup (compile time only)
; SGPRBlocks: 4
; VGPRBlocks: 2
; NumSGPRsForWavesPerEU: 38
; NumVGPRsForWavesPerEU: 21
; Occupancy: 16
; WaveLimiterHint : 1
; COMPUTE_PGM_RSRC2:SCRATCH_EN: 0
; COMPUTE_PGM_RSRC2:USER_SGPR: 14
; COMPUTE_PGM_RSRC2:TRAP_HANDLER: 0
; COMPUTE_PGM_RSRC2:TGID_X_EN: 1
; COMPUTE_PGM_RSRC2:TGID_Y_EN: 0
; COMPUTE_PGM_RSRC2:TGID_Z_EN: 1
; COMPUTE_PGM_RSRC2:TIDIG_COMP_CNT: 0
	.section	.text._ZL32rocblas_gemvt_warp_reduce_kernelILb1ELi1024El19rocblas_complex_numIdES1_S1_EviiT3_lPKT2_lT1_lS5_lS6_lS2_lPT4_lS6_li,"axG",@progbits,_ZL32rocblas_gemvt_warp_reduce_kernelILb1ELi1024El19rocblas_complex_numIdES1_S1_EviiT3_lPKT2_lT1_lS5_lS6_lS2_lPT4_lS6_li,comdat
	.globl	_ZL32rocblas_gemvt_warp_reduce_kernelILb1ELi1024El19rocblas_complex_numIdES1_S1_EviiT3_lPKT2_lT1_lS5_lS6_lS2_lPT4_lS6_li ; -- Begin function _ZL32rocblas_gemvt_warp_reduce_kernelILb1ELi1024El19rocblas_complex_numIdES1_S1_EviiT3_lPKT2_lT1_lS5_lS6_lS2_lPT4_lS6_li
	.p2align	8
	.type	_ZL32rocblas_gemvt_warp_reduce_kernelILb1ELi1024El19rocblas_complex_numIdES1_S1_EviiT3_lPKT2_lT1_lS5_lS6_lS2_lPT4_lS6_li,@function
_ZL32rocblas_gemvt_warp_reduce_kernelILb1ELi1024El19rocblas_complex_numIdES1_S1_EviiT3_lPKT2_lT1_lS5_lS6_lS2_lPT4_lS6_li: ; @_ZL32rocblas_gemvt_warp_reduce_kernelILb1ELi1024El19rocblas_complex_numIdES1_S1_EviiT3_lPKT2_lT1_lS5_lS6_lS2_lPT4_lS6_li
; %bb.0:
	s_clause 0x1
	s_load_b128 s[40:43], s[0:1], 0x8
	s_load_b128 s[36:39], s[0:1], 0x60
	s_waitcnt lgkmcnt(0)
	v_cmp_neq_f64_e64 s2, s[40:41], 0
	v_cmp_neq_f64_e64 s3, s[42:43], 0
	s_delay_alu instid0(VALU_DEP_1)
	s_or_b32 s2, s2, s3
	s_mov_b32 s3, -1
	s_and_b32 vcc_lo, exec_lo, s2
	s_cbranch_vccnz .LBB189_2
; %bb.1:
	v_cmp_neq_f64_e64 s3, s[36:37], 1.0
	v_cmp_neq_f64_e64 s4, s[38:39], 0
	s_delay_alu instid0(VALU_DEP_1)
	s_or_b32 s3, s3, s4
.LBB189_2:
	s_delay_alu instid0(SALU_CYCLE_1)
	s_and_not1_b32 vcc_lo, exec_lo, s3
	s_cbranch_vccnz .LBB189_31
; %bb.3:
	s_load_b256 s[4:11], s[0:1], 0x78
	s_xor_b32 s12, s2, -1
	s_mov_b32 s35, 0
	s_waitcnt lgkmcnt(0)
	s_mul_i32 s3, s15, s11
	s_mul_hi_u32 s11, s15, s10
	s_mul_i32 s2, s15, s10
	s_add_i32 s3, s11, s3
	s_delay_alu instid0(SALU_CYCLE_1) | instskip(NEXT) | instid1(SALU_CYCLE_1)
	s_lshl_b64 s[2:3], s[2:3], 4
	s_add_u32 s10, s4, s2
	s_addc_u32 s3, s5, s3
	s_lshl_b64 s[4:5], s[6:7], 4
	v_cmp_eq_u32_e64 s2, 0, v0
	s_add_u32 s33, s10, s4
	s_addc_u32 s34, s3, s5
	s_and_not1_b32 vcc_lo, exec_lo, s12
	s_cbranch_vccnz .LBB189_8
; %bb.4:
	s_mov_b32 s3, 0
                                        ; implicit-def: $vgpr3_vgpr4
                                        ; implicit-def: $sgpr4_sgpr5
	s_and_saveexec_b32 s6, s2
	s_cbranch_execz .LBB189_9
; %bb.5:
	v_cmp_neq_f64_e64 s2, s[36:37], 0
	v_cmp_neq_f64_e64 s4, s[38:39], 0
	v_mov_b32_e32 v3, 0
	v_mov_b32_e32 v4, 0
	s_mul_i32 s5, s14, s9
	s_mul_hi_u32 s7, s14, s8
	s_delay_alu instid0(VALU_DEP_2)
	v_mov_b32_e32 v1, v3
	s_add_i32 s5, s7, s5
	v_mov_b32_e32 v2, v4
	s_or_b32 s2, s2, s4
	s_ashr_i32 s4, s14, 31
	s_and_not1_b32 vcc_lo, exec_lo, s2
	s_mul_i32 s4, s4, s8
	s_delay_alu instid0(SALU_CYCLE_1)
	s_add_i32 s5, s5, s4
	s_mul_i32 s4, s14, s8
	s_cbranch_vccnz .LBB189_7
; %bb.6:
	s_lshl_b64 s[10:11], s[4:5], 4
	s_delay_alu instid0(SALU_CYCLE_1)
	s_add_u32 s10, s33, s10
	s_addc_u32 s11, s34, s11
	s_load_b128 s[16:19], s[10:11], 0x0
	s_waitcnt lgkmcnt(0)
	v_mul_f64 v[1:2], s[38:39], s[18:19]
	v_mul_f64 v[3:4], s[36:37], s[18:19]
	s_delay_alu instid0(VALU_DEP_2) | instskip(NEXT) | instid1(VALU_DEP_2)
	v_fma_f64 v[1:2], s[36:37], s[16:17], -v[1:2]
	v_fma_f64 v[3:4], s[38:39], s[16:17], v[3:4]
.LBB189_7:
	s_mov_b32 s35, exec_lo
	s_or_b32 exec_lo, exec_lo, s6
	s_delay_alu instid0(SALU_CYCLE_1)
	s_and_b32 vcc_lo, exec_lo, s3
	s_cbranch_vccnz .LBB189_10
	s_branch .LBB189_29
.LBB189_8:
                                        ; implicit-def: $vgpr3_vgpr4
                                        ; implicit-def: $sgpr4_sgpr5
	s_cbranch_execnz .LBB189_10
	s_branch .LBB189_29
.LBB189_9:
	s_or_b32 exec_lo, exec_lo, s6
	s_delay_alu instid0(SALU_CYCLE_1)
	s_and_b32 vcc_lo, exec_lo, s3
	s_cbranch_vccz .LBB189_29
.LBB189_10:
	s_clause 0x1
	s_load_b512 s[16:31], s[0:1], 0x20
	s_load_b32 s5, s[0:1], 0x0
	v_mov_b32_e32 v1, 0
	s_ashr_i32 s1, s14, 31
	s_waitcnt lgkmcnt(0)
	s_mul_i32 s0, s15, s31
	v_cmp_gt_i32_e32 vcc_lo, s5, v0
	v_mov_b32_e32 v2, 0
	s_mul_hi_u32 s3, s15, s30
	s_ashr_i32 s11, s5, 31
	s_mul_i32 s4, s15, s23
	v_cndmask_b32_e32 v3, 0, v0, vcc_lo
	s_mul_hi_u32 s6, s15, s22
	s_mul_i32 s7, s14, s21
	s_mul_hi_u32 s12, s14, s20
	s_add_i32 s3, s3, s0
	s_lshr_b32 s0, s11, 22
	v_dual_mov_b32 v4, v2 :: v_dual_lshlrev_b32 v9, 4, v3
	v_mov_b32_e32 v3, v1
	s_mul_i32 s13, s1, s20
	s_add_i32 s11, s6, s4
	s_add_i32 s0, s5, s0
	;; [unrolled: 1-line block ×3, first 2 shown]
	s_mul_i32 s2, s15, s30
	s_mul_i32 s10, s15, s22
	s_and_b32 s4, s0, 0xfffffc00
	s_mov_b32 s21, 0
	s_add_i32 s7, s6, s13
	s_mul_i32 s6, s14, s20
	s_mov_b32 s15, exec_lo
	v_cmpx_gt_i32_e64 s4, v0
	s_cbranch_execz .LBB189_14
; %bb.11:
	v_mad_u64_u32 v[3:4], null, s28, v0, 0
	s_lshl_b64 s[22:23], s[26:27], 4
	s_lshl_b64 s[12:13], s[2:3], 4
	s_add_u32 s0, s24, s22
	s_addc_u32 s20, s25, s23
	s_add_u32 s0, s0, s12
	s_addc_u32 s20, s20, s13
	s_delay_alu instid0(VALU_DEP_1)
	v_mov_b32_e32 v1, v4
	s_lshl_b64 s[22:23], s[6:7], 4
	s_lshl_b64 s[30:31], s[10:11], 4
	;; [unrolled: 1-line block ×3, first 2 shown]
	s_add_u32 s30, s22, s30
	v_mad_u64_u32 v[4:5], null, s29, v0, v[1:2]
	s_addc_u32 s31, s23, s31
	s_lshl_b64 s[22:23], s[18:19], 4
	v_dual_mov_b32 v1, 0 :: v_dual_mov_b32 v10, v0
	s_add_u32 s22, s30, s22
	s_addc_u32 s23, s31, s23
	s_delay_alu instid0(VALU_DEP_2) | instskip(SKIP_3) | instid1(VALU_DEP_2)
	v_lshlrev_b64 v[3:4], 4, v[3:4]
	s_add_u32 s22, s16, s22
	s_addc_u32 s23, s17, s23
	v_mov_b32_e32 v2, 0
	v_add_co_u32 v3, vcc_lo, s0, v3
	s_delay_alu instid0(VALU_DEP_3) | instskip(SKIP_1) | instid1(VALU_DEP_1)
	v_add_co_ci_u32_e32 v4, vcc_lo, s20, v4, vcc_lo
	v_add_co_u32 v7, s0, s22, v9
	v_add_co_ci_u32_e64 v8, null, s23, 0, s0
	s_delay_alu instid0(VALU_DEP_4) | instskip(NEXT) | instid1(VALU_DEP_4)
	v_add_co_u32 v5, vcc_lo, v3, 8
	v_add_co_ci_u32_e32 v6, vcc_lo, 0, v4, vcc_lo
	s_delay_alu instid0(VALU_DEP_4) | instskip(NEXT) | instid1(VALU_DEP_4)
	v_add_co_u32 v7, vcc_lo, v7, 8
	v_add_co_ci_u32_e32 v8, vcc_lo, 0, v8, vcc_lo
	v_dual_mov_b32 v4, v2 :: v_dual_mov_b32 v3, v1
	.p2align	6
.LBB189_12:                             ; =>This Inner Loop Header: Depth=1
	global_load_b128 v[11:14], v[7:8], off offset:-8
	global_load_b128 v[15:18], v[5:6], off offset:-8
	v_add_nc_u32_e32 v10, 0x400, v10
	v_add_co_u32 v5, vcc_lo, v5, s12
	v_add_co_ci_u32_e32 v6, vcc_lo, s13, v6, vcc_lo
	s_delay_alu instid0(VALU_DEP_3) | instskip(SKIP_1) | instid1(VALU_DEP_1)
	v_cmp_le_i32_e32 vcc_lo, s4, v10
	v_add_co_u32 v7, s0, 0x4000, v7
	v_add_co_ci_u32_e64 v8, s0, 0, v8, s0
	s_or_b32 s21, vcc_lo, s21
	s_waitcnt vmcnt(0)
	v_mul_f64 v[19:20], v[13:14], v[17:18]
	v_mul_f64 v[13:14], v[13:14], v[15:16]
	s_delay_alu instid0(VALU_DEP_2) | instskip(NEXT) | instid1(VALU_DEP_2)
	v_fma_f64 v[15:16], v[11:12], v[15:16], v[19:20]
	v_fma_f64 v[11:12], v[11:12], v[17:18], -v[13:14]
	s_delay_alu instid0(VALU_DEP_2) | instskip(NEXT) | instid1(VALU_DEP_2)
	v_add_f64 v[3:4], v[3:4], v[15:16]
	v_add_f64 v[1:2], v[1:2], v[11:12]
	s_and_not1_b32 exec_lo, exec_lo, s21
	s_cbranch_execnz .LBB189_12
; %bb.13:
	s_or_b32 exec_lo, exec_lo, s21
.LBB189_14:
	s_delay_alu instid0(SALU_CYCLE_1) | instskip(SKIP_2) | instid1(VALU_DEP_1)
	s_or_b32 exec_lo, exec_lo, s15
	v_or_b32_e32 v5, s4, v0
	s_mov_b32 s0, exec_lo
	v_cmpx_gt_i32_e64 s5, v5
	s_cbranch_execz .LBB189_16
; %bb.15:
	v_ashrrev_i32_e32 v6, 31, v5
	v_mul_lo_u32 v8, v5, s29
	s_lshl_b64 s[10:11], s[10:11], 4
	s_delay_alu instid0(SALU_CYCLE_1) | instskip(NEXT) | instid1(VALU_DEP_2)
	s_add_u32 s5, s16, s10
	v_mul_lo_u32 v10, v6, s28
	v_mad_u64_u32 v[6:7], null, v5, s28, 0
	s_addc_u32 s12, s17, s11
	s_lshl_b64 s[10:11], s[18:19], 4
	s_delay_alu instid0(SALU_CYCLE_1) | instskip(SKIP_2) | instid1(VALU_DEP_1)
	s_add_u32 s10, s5, s10
	s_addc_u32 s11, s12, s11
	s_lshl_b64 s[2:3], s[2:3], 4
	v_add3_u32 v7, v7, v8, v10
	s_lshl_b64 s[6:7], s[6:7], 4
	s_add_u32 s5, s24, s2
	s_addc_u32 s12, s25, s3
	s_lshl_b64 s[2:3], s[26:27], 4
	v_lshlrev_b64 v[5:6], 4, v[6:7]
	s_add_u32 s13, s5, s2
	s_addc_u32 s12, s12, s3
	s_ashr_i32 s5, s4, 31
	s_delay_alu instid0(SALU_CYCLE_1) | instskip(NEXT) | instid1(VALU_DEP_1)
	s_lshl_b64 s[2:3], s[4:5], 4
	v_add_co_u32 v10, vcc_lo, s13, v5
	s_add_u32 s2, s2, s6
	s_addc_u32 s3, s3, s7
	v_add_co_ci_u32_e32 v11, vcc_lo, s12, v6, vcc_lo
	s_add_u32 s2, s2, s10
	s_addc_u32 s3, s3, s11
	global_load_b128 v[5:8], v9, s[2:3]
	global_load_b128 v[9:12], v[10:11], off
	s_waitcnt vmcnt(0)
	v_mul_f64 v[13:14], v[7:8], v[11:12]
	v_mul_f64 v[7:8], v[7:8], v[9:10]
	s_delay_alu instid0(VALU_DEP_2) | instskip(NEXT) | instid1(VALU_DEP_2)
	v_fma_f64 v[9:10], v[5:6], v[9:10], v[13:14]
	v_fma_f64 v[5:6], v[5:6], v[11:12], -v[7:8]
	s_delay_alu instid0(VALU_DEP_2) | instskip(NEXT) | instid1(VALU_DEP_2)
	v_add_f64 v[3:4], v[3:4], v[9:10]
	v_add_f64 v[1:2], v[1:2], v[5:6]
.LBB189_16:
	s_or_b32 exec_lo, exec_lo, s0
	v_and_b32_e32 v15, 31, v0
	v_cmp_gt_u32_e32 vcc_lo, 32, v0
	s_delay_alu instid0(VALU_DEP_2)
	v_lshlrev_b32_e32 v11, 4, v15
	s_and_saveexec_b32 s0, vcc_lo
	s_cbranch_execz .LBB189_18
; %bb.17:
	v_mov_b32_e32 v5, 0
	s_delay_alu instid0(VALU_DEP_1)
	v_mov_b32_e32 v6, v5
	v_mov_b32_e32 v7, v5
	;; [unrolled: 1-line block ×3, first 2 shown]
	ds_store_b128 v11, v[5:8]
.LBB189_18:
	s_or_b32 exec_lo, exec_lo, s0
	v_mbcnt_lo_u32_b32 v14, -1, 0
	s_mov_b32 s2, exec_lo
	s_waitcnt lgkmcnt(0)
	s_barrier
	buffer_gl0_inv
	v_cmp_gt_u32_e64 s0, 16, v14
	s_delay_alu instid0(VALU_DEP_1) | instskip(SKIP_1) | instid1(VALU_DEP_2)
	v_cndmask_b32_e64 v5, 0, 1, s0
	v_cmp_gt_u32_e64 s0, 24, v14
	v_lshlrev_b32_e32 v5, 4, v5
	s_delay_alu instid0(VALU_DEP_1)
	v_add_lshl_u32 v9, v5, v14, 2
	ds_bpermute_b32 v5, v9, v3
	ds_bpermute_b32 v6, v9, v4
	;; [unrolled: 1-line block ×4, first 2 shown]
	s_waitcnt lgkmcnt(2)
	v_add_f64 v[3:4], v[3:4], v[5:6]
	v_cndmask_b32_e64 v5, 0, 1, s0
	s_waitcnt lgkmcnt(0)
	v_add_f64 v[1:2], v[1:2], v[7:8]
	v_cmp_gt_u32_e64 s0, 28, v14
	s_delay_alu instid0(VALU_DEP_3) | instskip(NEXT) | instid1(VALU_DEP_1)
	v_lshlrev_b32_e32 v5, 3, v5
	v_add_lshl_u32 v10, v5, v14, 2
	ds_bpermute_b32 v5, v10, v3
	ds_bpermute_b32 v6, v10, v4
	;; [unrolled: 1-line block ×4, first 2 shown]
	s_waitcnt lgkmcnt(2)
	v_add_f64 v[3:4], v[3:4], v[5:6]
	v_cndmask_b32_e64 v5, 0, 1, s0
	s_waitcnt lgkmcnt(0)
	v_add_f64 v[1:2], v[1:2], v[7:8]
	v_cmp_gt_u32_e64 s0, 30, v14
	s_delay_alu instid0(VALU_DEP_3) | instskip(NEXT) | instid1(VALU_DEP_1)
	v_lshlrev_b32_e32 v5, 2, v5
	v_add_lshl_u32 v12, v5, v14, 2
	ds_bpermute_b32 v5, v12, v3
	ds_bpermute_b32 v6, v12, v4
	;; [unrolled: 1-line block ×4, first 2 shown]
	s_waitcnt lgkmcnt(2)
	v_add_f64 v[3:4], v[3:4], v[5:6]
	s_waitcnt lgkmcnt(0)
	v_add_f64 v[5:6], v[1:2], v[7:8]
	v_cndmask_b32_e64 v1, 0, 1, s0
	v_cmp_ne_u32_e64 s0, 31, v14
	s_delay_alu instid0(VALU_DEP_2) | instskip(NEXT) | instid1(VALU_DEP_1)
	v_lshlrev_b32_e32 v1, 1, v1
	v_add_lshl_u32 v13, v1, v14, 2
	ds_bpermute_b32 v1, v13, v3
	ds_bpermute_b32 v2, v13, v4
	;; [unrolled: 1-line block ×4, first 2 shown]
	s_waitcnt lgkmcnt(2)
	v_add_f64 v[1:2], v[3:4], v[1:2]
	v_add_co_ci_u32_e64 v3, s0, 0, v14, s0
	s_waitcnt lgkmcnt(0)
	v_add_f64 v[5:6], v[5:6], v[7:8]
	s_delay_alu instid0(VALU_DEP_2)
	v_lshlrev_b32_e32 v14, 2, v3
	ds_bpermute_b32 v3, v14, v1
	ds_bpermute_b32 v4, v14, v2
	ds_bpermute_b32 v7, v14, v5
	ds_bpermute_b32 v8, v14, v6
	v_cmpx_eq_u32_e32 0, v15
	s_cbranch_execz .LBB189_20
; %bb.19:
	s_waitcnt lgkmcnt(0)
	v_add_f64 v[5:6], v[5:6], v[7:8]
	v_add_f64 v[3:4], v[1:2], v[3:4]
	v_lshrrev_b32_e32 v1, 1, v0
	s_delay_alu instid0(VALU_DEP_1)
	v_and_b32_e32 v1, 0x1f0, v1
	ds_store_b128 v1, v[3:6]
.LBB189_20:
	s_or_b32 exec_lo, exec_lo, s2
	s_waitcnt lgkmcnt(0)
	v_mov_b32_e32 v7, 0
	v_mov_b32_e32 v8, 0
	s_delay_alu instid0(VALU_DEP_2)
	v_mov_b32_e32 v5, v7
	s_barrier
	buffer_gl0_inv
	v_mov_b32_e32 v6, v8
	s_and_saveexec_b32 s0, vcc_lo
	s_cbranch_execz .LBB189_22
; %bb.21:
	ds_load_b128 v[5:8], v11
.LBB189_22:
	s_or_b32 exec_lo, exec_lo, s0
	s_and_saveexec_b32 s0, vcc_lo
	s_cbranch_execz .LBB189_24
; %bb.23:
	s_waitcnt lgkmcnt(0)
	ds_bpermute_b32 v1, v9, v5
	ds_bpermute_b32 v2, v9, v6
	ds_bpermute_b32 v3, v9, v7
	ds_bpermute_b32 v4, v9, v8
	s_waitcnt lgkmcnt(2)
	v_add_f64 v[1:2], v[5:6], v[1:2]
	s_waitcnt lgkmcnt(0)
	v_add_f64 v[3:4], v[7:8], v[3:4]
	ds_bpermute_b32 v5, v10, v1
	ds_bpermute_b32 v6, v10, v2
	ds_bpermute_b32 v7, v10, v3
	ds_bpermute_b32 v8, v10, v4
	s_waitcnt lgkmcnt(2)
	v_add_f64 v[1:2], v[1:2], v[5:6]
	s_waitcnt lgkmcnt(0)
	v_add_f64 v[3:4], v[3:4], v[7:8]
	;; [unrolled: 8-line block ×5, first 2 shown]
.LBB189_24:
	s_or_b32 exec_lo, exec_lo, s0
	s_delay_alu instid0(SALU_CYCLE_1)
	s_mov_b32 s0, exec_lo
                                        ; implicit-def: $vgpr3_vgpr4
                                        ; implicit-def: $sgpr4_sgpr5
	v_cmpx_eq_u32_e32 0, v0
	s_cbranch_execz .LBB189_28
; %bb.25:
	s_waitcnt lgkmcnt(0)
	s_delay_alu instid0(VALU_DEP_2)
	v_mul_f64 v[0:1], s[42:43], v[7:8]
	v_mul_f64 v[3:4], s[40:41], v[7:8]
	v_cmp_neq_f64_e64 s2, s[36:37], 0
	v_cmp_neq_f64_e64 s3, s[38:39], 0
	s_mul_hi_u32 s4, s14, s8
	s_mul_i32 s1, s1, s8
	s_delay_alu instid0(VALU_DEP_4) | instskip(NEXT) | instid1(VALU_DEP_4)
	v_fma_f64 v[1:2], s[40:41], v[5:6], -v[0:1]
	v_fma_f64 v[3:4], s[42:43], v[5:6], v[3:4]
	s_delay_alu instid0(VALU_DEP_3)
	s_or_b32 s2, s2, s3
	s_mul_i32 s3, s14, s9
	s_and_not1_b32 vcc_lo, exec_lo, s2
	s_add_i32 s3, s4, s3
	s_mul_i32 s4, s14, s8
	s_add_i32 s5, s3, s1
	s_cbranch_vccnz .LBB189_27
; %bb.26:
	s_lshl_b64 s[2:3], s[4:5], 4
	s_delay_alu instid0(SALU_CYCLE_1)
	s_add_u32 s2, s33, s2
	s_addc_u32 s3, s34, s3
	s_load_b128 s[8:11], s[2:3], 0x0
	s_waitcnt lgkmcnt(0)
	v_mul_f64 v[5:6], s[38:39], s[10:11]
	v_mul_f64 v[7:8], s[36:37], s[10:11]
	s_delay_alu instid0(VALU_DEP_2) | instskip(NEXT) | instid1(VALU_DEP_2)
	v_fma_f64 v[5:6], s[36:37], s[8:9], -v[5:6]
	v_fma_f64 v[7:8], s[38:39], s[8:9], v[7:8]
	s_delay_alu instid0(VALU_DEP_2) | instskip(NEXT) | instid1(VALU_DEP_2)
	v_add_f64 v[1:2], v[1:2], v[5:6]
	v_add_f64 v[3:4], v[3:4], v[7:8]
.LBB189_27:
	s_or_b32 s35, s35, exec_lo
.LBB189_28:
	s_or_b32 exec_lo, exec_lo, s0
.LBB189_29:
	s_and_saveexec_b32 s0, s35
	s_cbranch_execz .LBB189_31
; %bb.30:
	s_lshl_b64 s[0:1], s[4:5], 4
	v_mov_b32_e32 v0, 0
	s_add_u32 s0, s33, s0
	s_addc_u32 s1, s34, s1
	global_store_b128 v0, v[1:4], s[0:1]
.LBB189_31:
	s_nop 0
	s_sendmsg sendmsg(MSG_DEALLOC_VGPRS)
	s_endpgm
	.section	.rodata,"a",@progbits
	.p2align	6, 0x0
	.amdhsa_kernel _ZL32rocblas_gemvt_warp_reduce_kernelILb1ELi1024El19rocblas_complex_numIdES1_S1_EviiT3_lPKT2_lT1_lS5_lS6_lS2_lPT4_lS6_li
		.amdhsa_group_segment_fixed_size 512
		.amdhsa_private_segment_fixed_size 0
		.amdhsa_kernarg_size 156
		.amdhsa_user_sgpr_count 14
		.amdhsa_user_sgpr_dispatch_ptr 0
		.amdhsa_user_sgpr_queue_ptr 0
		.amdhsa_user_sgpr_kernarg_segment_ptr 1
		.amdhsa_user_sgpr_dispatch_id 0
		.amdhsa_user_sgpr_private_segment_size 0
		.amdhsa_wavefront_size32 1
		.amdhsa_uses_dynamic_stack 0
		.amdhsa_enable_private_segment 0
		.amdhsa_system_sgpr_workgroup_id_x 1
		.amdhsa_system_sgpr_workgroup_id_y 0
		.amdhsa_system_sgpr_workgroup_id_z 1
		.amdhsa_system_sgpr_workgroup_info 0
		.amdhsa_system_vgpr_workitem_id 0
		.amdhsa_next_free_vgpr 21
		.amdhsa_next_free_sgpr 44
		.amdhsa_reserve_vcc 1
		.amdhsa_float_round_mode_32 0
		.amdhsa_float_round_mode_16_64 0
		.amdhsa_float_denorm_mode_32 3
		.amdhsa_float_denorm_mode_16_64 3
		.amdhsa_dx10_clamp 1
		.amdhsa_ieee_mode 1
		.amdhsa_fp16_overflow 0
		.amdhsa_workgroup_processor_mode 1
		.amdhsa_memory_ordered 1
		.amdhsa_forward_progress 0
		.amdhsa_shared_vgpr_count 0
		.amdhsa_exception_fp_ieee_invalid_op 0
		.amdhsa_exception_fp_denorm_src 0
		.amdhsa_exception_fp_ieee_div_zero 0
		.amdhsa_exception_fp_ieee_overflow 0
		.amdhsa_exception_fp_ieee_underflow 0
		.amdhsa_exception_fp_ieee_inexact 0
		.amdhsa_exception_int_div_zero 0
	.end_amdhsa_kernel
	.section	.text._ZL32rocblas_gemvt_warp_reduce_kernelILb1ELi1024El19rocblas_complex_numIdES1_S1_EviiT3_lPKT2_lT1_lS5_lS6_lS2_lPT4_lS6_li,"axG",@progbits,_ZL32rocblas_gemvt_warp_reduce_kernelILb1ELi1024El19rocblas_complex_numIdES1_S1_EviiT3_lPKT2_lT1_lS5_lS6_lS2_lPT4_lS6_li,comdat
.Lfunc_end189:
	.size	_ZL32rocblas_gemvt_warp_reduce_kernelILb1ELi1024El19rocblas_complex_numIdES1_S1_EviiT3_lPKT2_lT1_lS5_lS6_lS2_lPT4_lS6_li, .Lfunc_end189-_ZL32rocblas_gemvt_warp_reduce_kernelILb1ELi1024El19rocblas_complex_numIdES1_S1_EviiT3_lPKT2_lT1_lS5_lS6_lS2_lPT4_lS6_li
                                        ; -- End function
	.section	.AMDGPU.csdata,"",@progbits
; Kernel info:
; codeLenInByte = 2264
; NumSgprs: 46
; NumVgprs: 21
; ScratchSize: 0
; MemoryBound: 0
; FloatMode: 240
; IeeeMode: 1
; LDSByteSize: 512 bytes/workgroup (compile time only)
; SGPRBlocks: 5
; VGPRBlocks: 2
; NumSGPRsForWavesPerEU: 46
; NumVGPRsForWavesPerEU: 21
; Occupancy: 16
; WaveLimiterHint : 1
; COMPUTE_PGM_RSRC2:SCRATCH_EN: 0
; COMPUTE_PGM_RSRC2:USER_SGPR: 14
; COMPUTE_PGM_RSRC2:TRAP_HANDLER: 0
; COMPUTE_PGM_RSRC2:TGID_X_EN: 1
; COMPUTE_PGM_RSRC2:TGID_Y_EN: 0
; COMPUTE_PGM_RSRC2:TGID_Z_EN: 1
; COMPUTE_PGM_RSRC2:TIDIG_COMP_CNT: 0
	.section	.text._ZL34rocblas_gemvn_sm_mn_batched_kernelILi32ELi24EPKfS1_KPfEviiT2_lPKT1_lilS7_lilS4_lPT3_lili,"axG",@progbits,_ZL34rocblas_gemvn_sm_mn_batched_kernelILi32ELi24EPKfS1_KPfEviiT2_lPKT1_lilS7_lilS4_lPT3_lili,comdat
	.globl	_ZL34rocblas_gemvn_sm_mn_batched_kernelILi32ELi24EPKfS1_KPfEviiT2_lPKT1_lilS7_lilS4_lPT3_lili ; -- Begin function _ZL34rocblas_gemvn_sm_mn_batched_kernelILi32ELi24EPKfS1_KPfEviiT2_lPKT1_lilS7_lilS4_lPT3_lili
	.p2align	8
	.type	_ZL34rocblas_gemvn_sm_mn_batched_kernelILi32ELi24EPKfS1_KPfEviiT2_lPKT1_lilS7_lilS4_lPT3_lili,@function
_ZL34rocblas_gemvn_sm_mn_batched_kernelILi32ELi24EPKfS1_KPfEviiT2_lPKT1_lilS7_lilS4_lPT3_lili: ; @_ZL34rocblas_gemvn_sm_mn_batched_kernelILi32ELi24EPKfS1_KPfEviiT2_lPKT1_lilS7_lilS4_lPT3_lili
; %bb.0:
	s_endpgm
	.section	.rodata,"a",@progbits
	.p2align	6, 0x0
	.amdhsa_kernel _ZL34rocblas_gemvn_sm_mn_batched_kernelILi32ELi24EPKfS1_KPfEviiT2_lPKT1_lilS7_lilS4_lPT3_lili
		.amdhsa_group_segment_fixed_size 0
		.amdhsa_private_segment_fixed_size 0
		.amdhsa_kernarg_size 140
		.amdhsa_user_sgpr_count 15
		.amdhsa_user_sgpr_dispatch_ptr 0
		.amdhsa_user_sgpr_queue_ptr 0
		.amdhsa_user_sgpr_kernarg_segment_ptr 1
		.amdhsa_user_sgpr_dispatch_id 0
		.amdhsa_user_sgpr_private_segment_size 0
		.amdhsa_wavefront_size32 1
		.amdhsa_uses_dynamic_stack 0
		.amdhsa_enable_private_segment 0
		.amdhsa_system_sgpr_workgroup_id_x 1
		.amdhsa_system_sgpr_workgroup_id_y 0
		.amdhsa_system_sgpr_workgroup_id_z 0
		.amdhsa_system_sgpr_workgroup_info 0
		.amdhsa_system_vgpr_workitem_id 0
		.amdhsa_next_free_vgpr 1
		.amdhsa_next_free_sgpr 1
		.amdhsa_reserve_vcc 0
		.amdhsa_float_round_mode_32 0
		.amdhsa_float_round_mode_16_64 0
		.amdhsa_float_denorm_mode_32 3
		.amdhsa_float_denorm_mode_16_64 3
		.amdhsa_dx10_clamp 1
		.amdhsa_ieee_mode 1
		.amdhsa_fp16_overflow 0
		.amdhsa_workgroup_processor_mode 1
		.amdhsa_memory_ordered 1
		.amdhsa_forward_progress 0
		.amdhsa_shared_vgpr_count 0
		.amdhsa_exception_fp_ieee_invalid_op 0
		.amdhsa_exception_fp_denorm_src 0
		.amdhsa_exception_fp_ieee_div_zero 0
		.amdhsa_exception_fp_ieee_overflow 0
		.amdhsa_exception_fp_ieee_underflow 0
		.amdhsa_exception_fp_ieee_inexact 0
		.amdhsa_exception_int_div_zero 0
	.end_amdhsa_kernel
	.section	.text._ZL34rocblas_gemvn_sm_mn_batched_kernelILi32ELi24EPKfS1_KPfEviiT2_lPKT1_lilS7_lilS4_lPT3_lili,"axG",@progbits,_ZL34rocblas_gemvn_sm_mn_batched_kernelILi32ELi24EPKfS1_KPfEviiT2_lPKT1_lilS7_lilS4_lPT3_lili,comdat
.Lfunc_end190:
	.size	_ZL34rocblas_gemvn_sm_mn_batched_kernelILi32ELi24EPKfS1_KPfEviiT2_lPKT1_lilS7_lilS4_lPT3_lili, .Lfunc_end190-_ZL34rocblas_gemvn_sm_mn_batched_kernelILi32ELi24EPKfS1_KPfEviiT2_lPKT1_lilS7_lilS4_lPT3_lili
                                        ; -- End function
	.section	.AMDGPU.csdata,"",@progbits
; Kernel info:
; codeLenInByte = 4
; NumSgprs: 0
; NumVgprs: 0
; ScratchSize: 0
; MemoryBound: 0
; FloatMode: 240
; IeeeMode: 1
; LDSByteSize: 0 bytes/workgroup (compile time only)
; SGPRBlocks: 0
; VGPRBlocks: 0
; NumSGPRsForWavesPerEU: 1
; NumVGPRsForWavesPerEU: 1
; Occupancy: 12
; WaveLimiterHint : 0
; COMPUTE_PGM_RSRC2:SCRATCH_EN: 0
; COMPUTE_PGM_RSRC2:USER_SGPR: 15
; COMPUTE_PGM_RSRC2:TRAP_HANDLER: 0
; COMPUTE_PGM_RSRC2:TGID_X_EN: 1
; COMPUTE_PGM_RSRC2:TGID_Y_EN: 0
; COMPUTE_PGM_RSRC2:TGID_Z_EN: 0
; COMPUTE_PGM_RSRC2:TIDIG_COMP_CNT: 0
	.section	.text._ZL34rocblas_gemvn_sm_mn_batched_kernelILi32ELi24EPKffKPfEviiT2_lPKT1_lilS7_lilS4_lPT3_lili,"axG",@progbits,_ZL34rocblas_gemvn_sm_mn_batched_kernelILi32ELi24EPKffKPfEviiT2_lPKT1_lilS7_lilS4_lPT3_lili,comdat
	.globl	_ZL34rocblas_gemvn_sm_mn_batched_kernelILi32ELi24EPKffKPfEviiT2_lPKT1_lilS7_lilS4_lPT3_lili ; -- Begin function _ZL34rocblas_gemvn_sm_mn_batched_kernelILi32ELi24EPKffKPfEviiT2_lPKT1_lilS7_lilS4_lPT3_lili
	.p2align	8
	.type	_ZL34rocblas_gemvn_sm_mn_batched_kernelILi32ELi24EPKffKPfEviiT2_lPKT1_lilS7_lilS4_lPT3_lili,@function
_ZL34rocblas_gemvn_sm_mn_batched_kernelILi32ELi24EPKffKPfEviiT2_lPKT1_lilS7_lilS4_lPT3_lili: ; @_ZL34rocblas_gemvn_sm_mn_batched_kernelILi32ELi24EPKffKPfEviiT2_lPKT1_lilS7_lilS4_lPT3_lili
; %bb.0:
	s_endpgm
	.section	.rodata,"a",@progbits
	.p2align	6, 0x0
	.amdhsa_kernel _ZL34rocblas_gemvn_sm_mn_batched_kernelILi32ELi24EPKffKPfEviiT2_lPKT1_lilS7_lilS4_lPT3_lili
		.amdhsa_group_segment_fixed_size 0
		.amdhsa_private_segment_fixed_size 0
		.amdhsa_kernarg_size 140
		.amdhsa_user_sgpr_count 15
		.amdhsa_user_sgpr_dispatch_ptr 0
		.amdhsa_user_sgpr_queue_ptr 0
		.amdhsa_user_sgpr_kernarg_segment_ptr 1
		.amdhsa_user_sgpr_dispatch_id 0
		.amdhsa_user_sgpr_private_segment_size 0
		.amdhsa_wavefront_size32 1
		.amdhsa_uses_dynamic_stack 0
		.amdhsa_enable_private_segment 0
		.amdhsa_system_sgpr_workgroup_id_x 1
		.amdhsa_system_sgpr_workgroup_id_y 0
		.amdhsa_system_sgpr_workgroup_id_z 0
		.amdhsa_system_sgpr_workgroup_info 0
		.amdhsa_system_vgpr_workitem_id 0
		.amdhsa_next_free_vgpr 1
		.amdhsa_next_free_sgpr 1
		.amdhsa_reserve_vcc 0
		.amdhsa_float_round_mode_32 0
		.amdhsa_float_round_mode_16_64 0
		.amdhsa_float_denorm_mode_32 3
		.amdhsa_float_denorm_mode_16_64 3
		.amdhsa_dx10_clamp 1
		.amdhsa_ieee_mode 1
		.amdhsa_fp16_overflow 0
		.amdhsa_workgroup_processor_mode 1
		.amdhsa_memory_ordered 1
		.amdhsa_forward_progress 0
		.amdhsa_shared_vgpr_count 0
		.amdhsa_exception_fp_ieee_invalid_op 0
		.amdhsa_exception_fp_denorm_src 0
		.amdhsa_exception_fp_ieee_div_zero 0
		.amdhsa_exception_fp_ieee_overflow 0
		.amdhsa_exception_fp_ieee_underflow 0
		.amdhsa_exception_fp_ieee_inexact 0
		.amdhsa_exception_int_div_zero 0
	.end_amdhsa_kernel
	.section	.text._ZL34rocblas_gemvn_sm_mn_batched_kernelILi32ELi24EPKffKPfEviiT2_lPKT1_lilS7_lilS4_lPT3_lili,"axG",@progbits,_ZL34rocblas_gemvn_sm_mn_batched_kernelILi32ELi24EPKffKPfEviiT2_lPKT1_lilS7_lilS4_lPT3_lili,comdat
.Lfunc_end191:
	.size	_ZL34rocblas_gemvn_sm_mn_batched_kernelILi32ELi24EPKffKPfEviiT2_lPKT1_lilS7_lilS4_lPT3_lili, .Lfunc_end191-_ZL34rocblas_gemvn_sm_mn_batched_kernelILi32ELi24EPKffKPfEviiT2_lPKT1_lilS7_lilS4_lPT3_lili
                                        ; -- End function
	.section	.AMDGPU.csdata,"",@progbits
; Kernel info:
; codeLenInByte = 4
; NumSgprs: 0
; NumVgprs: 0
; ScratchSize: 0
; MemoryBound: 0
; FloatMode: 240
; IeeeMode: 1
; LDSByteSize: 0 bytes/workgroup (compile time only)
; SGPRBlocks: 0
; VGPRBlocks: 0
; NumSGPRsForWavesPerEU: 1
; NumVGPRsForWavesPerEU: 1
; Occupancy: 12
; WaveLimiterHint : 0
; COMPUTE_PGM_RSRC2:SCRATCH_EN: 0
; COMPUTE_PGM_RSRC2:USER_SGPR: 15
; COMPUTE_PGM_RSRC2:TRAP_HANDLER: 0
; COMPUTE_PGM_RSRC2:TGID_X_EN: 1
; COMPUTE_PGM_RSRC2:TGID_Y_EN: 0
; COMPUTE_PGM_RSRC2:TGID_Z_EN: 0
; COMPUTE_PGM_RSRC2:TIDIG_COMP_CNT: 0
	.section	.text._ZL20rocblas_gemvn_kernelILi64ELi4EiPKfS1_KPfEviiT3_lPKT2_lT1_lS7_lS8_lS4_lPT4_lS8_li,"axG",@progbits,_ZL20rocblas_gemvn_kernelILi64ELi4EiPKfS1_KPfEviiT3_lPKT2_lT1_lS7_lS8_lS4_lPT4_lS8_li,comdat
	.globl	_ZL20rocblas_gemvn_kernelILi64ELi4EiPKfS1_KPfEviiT3_lPKT2_lT1_lS7_lS8_lS4_lPT4_lS8_li ; -- Begin function _ZL20rocblas_gemvn_kernelILi64ELi4EiPKfS1_KPfEviiT3_lPKT2_lT1_lS7_lS8_lS4_lPT4_lS8_li
	.p2align	8
	.type	_ZL20rocblas_gemvn_kernelILi64ELi4EiPKfS1_KPfEviiT3_lPKT2_lT1_lS7_lS8_lS4_lPT4_lS8_li,@function
_ZL20rocblas_gemvn_kernelILi64ELi4EiPKfS1_KPfEviiT3_lPKT2_lT1_lS7_lS8_lS4_lPT4_lS8_li: ; @_ZL20rocblas_gemvn_kernelILi64ELi4EiPKfS1_KPfEviiT3_lPKT2_lT1_lS7_lS8_lS4_lPT4_lS8_li
; %bb.0:
	s_load_b64 s[4:5], s[0:1], 0x9c
	s_waitcnt lgkmcnt(0)
	s_lshr_b32 s3, s4, 16
	s_and_b32 s4, s4, 0xffff
	s_and_b32 s5, s5, 0xffff
	s_mul_i32 s3, s3, s4
	s_delay_alu instid0(SALU_CYCLE_1) | instskip(NEXT) | instid1(SALU_CYCLE_1)
	s_mul_i32 s3, s3, s5
	s_cmpk_lg_i32 s3, 0x100
	s_cbranch_scc1 .LBB192_54
; %bb.1:
	s_clause 0x1
	s_load_b256 s[16:23], s[0:1], 0x8
	s_load_b256 s[4:11], s[0:1], 0x58
	s_mov_b32 s2, s15
	s_waitcnt lgkmcnt(0)
	s_mul_i32 s3, s15, s19
	s_mul_hi_u32 s13, s15, s18
	s_mul_i32 s12, s15, s18
	s_add_i32 s13, s13, s3
	s_mul_i32 s3, s15, s7
	s_lshl_b64 s[12:13], s[12:13], 2
	s_mul_hi_u32 s7, s15, s6
	s_add_u32 s12, s16, s12
	s_addc_u32 s13, s17, s13
	s_add_i32 s7, s7, s3
	s_mul_i32 s6, s15, s6
	s_delay_alu instid0(SALU_CYCLE_1) | instskip(NEXT) | instid1(SALU_CYCLE_1)
	s_lshl_b64 s[6:7], s[6:7], 2
	s_add_u32 s4, s4, s6
	s_addc_u32 s5, s5, s7
	s_load_b32 s16, s[12:13], 0x0
	s_load_b32 s15, s[4:5], 0x0
	s_waitcnt lgkmcnt(0)
	v_cmp_eq_f32_e64 s18, s16, 0
	v_cmp_eq_f32_e64 s3, s15, 1.0
	s_delay_alu instid0(VALU_DEP_1) | instskip(NEXT) | instid1(SALU_CYCLE_1)
	s_and_b32 s3, s18, s3
	s_and_b32 vcc_lo, exec_lo, s3
	s_mov_b32 s3, 0
	s_cbranch_vccnz .LBB192_54
; %bb.2:
	v_cmp_neq_f32_e64 s4, s16, 0
	s_mov_b64 s[12:13], 0
	s_and_b32 vcc_lo, exec_lo, s18
	s_mov_b64 s[6:7], 0
	s_cbranch_vccnz .LBB192_4
; %bb.3:
	s_lshl_b64 s[6:7], s[2:3], 3
	s_delay_alu instid0(SALU_CYCLE_1)
	s_add_u32 s6, s20, s6
	s_addc_u32 s7, s21, s7
	s_lshl_b64 s[20:21], s[22:23], 2
	s_load_b64 s[6:7], s[6:7], 0x0
	s_waitcnt lgkmcnt(0)
	s_add_u32 s6, s6, s20
	s_addc_u32 s7, s7, s21
.LBB192_4:
	s_and_not1_b32 vcc_lo, exec_lo, s4
	s_cbranch_vccnz .LBB192_6
; %bb.5:
	s_load_b128 s[20:23], s[0:1], 0x38
	s_lshl_b64 s[4:5], s[2:3], 3
	s_waitcnt lgkmcnt(0)
	s_add_u32 s4, s20, s4
	s_addc_u32 s5, s21, s5
	s_lshl_b64 s[12:13], s[22:23], 2
	s_load_b64 s[4:5], s[4:5], 0x0
	s_waitcnt lgkmcnt(0)
	s_add_u32 s12, s4, s12
	s_addc_u32 s13, s5, s13
.LBB192_6:
	s_lshl_b64 s[2:3], s[2:3], 3
	v_and_b32_e32 v1, 0x3ff, v0
	s_add_u32 s2, s8, s2
	s_addc_u32 s3, s9, s3
	v_bfe_u32 v13, v0, 10, 10
	s_load_b64 s[20:21], s[2:3], 0x0
	s_clause 0x1
	s_load_b64 s[4:5], s[0:1], 0x0
	s_load_b32 s17, s[0:1], 0x78
	s_lshl_b64 s[10:11], s[10:11], 2
	v_lshl_add_u32 v0, v13, 6, v1
	s_delay_alu instid0(VALU_DEP_1)
	v_cmp_gt_u32_e64 s2, 0x100, v0
	s_waitcnt lgkmcnt(0)
	s_add_u32 s9, s20, s10
	s_addc_u32 s10, s21, s11
	s_and_not1_b32 vcc_lo, exec_lo, s18
	s_cbranch_vccnz .LBB192_13
; %bb.7:
	s_mov_b32 s3, 0
	s_mov_b32 s11, 0
                                        ; implicit-def: $vgpr3
                                        ; implicit-def: $vgpr4_vgpr5
	s_and_saveexec_b32 s8, s2
	s_cbranch_execz .LBB192_14
; %bb.8:
	v_lshl_or_b32 v2, s14, 8, v0
	v_mov_b32_e32 v3, 0
	s_ashr_i32 s19, s4, 31
	s_mov_b32 s18, s4
	s_mov_b32 s2, exec_lo
                                        ; implicit-def: $vgpr4_vgpr5
	s_delay_alu instid0(VALU_DEP_1)
	v_cmpx_gt_i64_e64 s[18:19], v[2:3]
	s_cbranch_execz .LBB192_12
; %bb.9:
	v_mad_u64_u32 v[4:5], null, s17, v2, 0
	s_ashr_i32 s11, s17, 31
	s_delay_alu instid0(VALU_DEP_1) | instid1(SALU_CYCLE_1)
	v_mad_u64_u32 v[6:7], null, s11, v2, v[5:6]
	v_cmp_eq_f32_e64 s11, s15, 0
	s_delay_alu instid0(VALU_DEP_1) | instskip(NEXT) | instid1(VALU_DEP_2)
	s_and_b32 vcc_lo, exec_lo, s11
	v_mov_b32_e32 v5, v6
	s_cbranch_vccnz .LBB192_11
; %bb.10:
	s_delay_alu instid0(VALU_DEP_1) | instskip(NEXT) | instid1(VALU_DEP_1)
	v_lshlrev_b64 v[2:3], 2, v[4:5]
	v_add_co_u32 v2, vcc_lo, s9, v2
	s_delay_alu instid0(VALU_DEP_2)
	v_add_co_ci_u32_e32 v3, vcc_lo, s10, v3, vcc_lo
	global_load_b32 v2, v[2:3], off
	s_waitcnt vmcnt(0)
	v_mul_f32_e32 v3, s15, v2
.LBB192_11:
	s_mov_b32 s11, exec_lo
.LBB192_12:
	s_or_b32 exec_lo, exec_lo, s2
	s_delay_alu instid0(SALU_CYCLE_1) | instskip(SKIP_1) | instid1(SALU_CYCLE_1)
	s_and_b32 s11, s11, exec_lo
	s_or_b32 exec_lo, exec_lo, s8
	s_and_b32 vcc_lo, exec_lo, s3
	s_cbranch_vccnz .LBB192_15
	s_branch .LBB192_52
.LBB192_13:
	s_mov_b32 s11, 0
                                        ; implicit-def: $vgpr3
                                        ; implicit-def: $vgpr4_vgpr5
	s_cbranch_execnz .LBB192_15
	s_branch .LBB192_52
.LBB192_14:
	s_or_b32 exec_lo, exec_lo, s8
	s_delay_alu instid0(SALU_CYCLE_1)
	s_and_b32 vcc_lo, exec_lo, s3
	s_cbranch_vccz .LBB192_52
.LBB192_15:
	s_clause 0x1
	s_load_b32 s18, s[0:1], 0x28
	s_load_b32 s8, s[0:1], 0x48
	s_ashr_i32 s0, s5, 31
	s_lshl_b32 s14, s14, 8
	s_lshr_b32 s0, s0, 28
	v_dual_mov_b32 v14, 0 :: v_dual_lshlrev_b32 v19, 2, v13
	v_dual_mov_b32 v15, 0 :: v_dual_add_nc_u32 v18, s14, v1
	v_dual_mov_b32 v16, 0 :: v_dual_mov_b32 v17, 0
	s_add_i32 s0, s5, s0
	s_mov_b32 s20, exec_lo
	s_and_b32 s19, s0, -16
	s_delay_alu instid0(SALU_CYCLE_1)
	v_cmpx_gt_i32_e64 s19, v19
	s_cbranch_execz .LBB192_27
; %bb.16:
	s_waitcnt lgkmcnt(0)
	v_mul_lo_u32 v3, s18, v19
	v_dual_mov_b32 v15, 0 :: v_dual_add_nc_u32 v2, 64, v18
	v_add_nc_u32_e32 v6, 2, v19
	v_dual_mov_b32 v14, 0 :: v_dual_add_nc_u32 v5, 0xc0, v18
	s_delay_alu instid0(VALU_DEP_3)
	v_cmp_gt_i32_e64 s0, s4, v2
	v_dual_mov_b32 v17, 0 :: v_dual_add_nc_u32 v4, 0x80, v18
	v_add3_u32 v20, v3, s18, v1
	v_mad_u64_u32 v[2:3], null, s18, v6, v[1:2]
	v_cmp_gt_i32_e64 s2, s4, v5
	v_mul_lo_u32 v5, v13, s18
	v_dual_mov_b32 v16, 0 :: v_dual_add_nc_u32 v7, 3, v19
	v_mul_lo_u32 v8, v13, s8
	v_cmp_gt_i32_e64 s1, s4, v4
	v_mul_lo_u32 v22, s8, v6
	s_delay_alu instid0(VALU_DEP_4)
	v_mad_u64_u32 v[3:4], null, s18, v7, v[1:2]
	v_lshl_add_u32 v21, v5, 2, v1
	v_mad_u64_u32 v[4:5], null, s8, v19, s[8:9]
	v_mul_lo_u32 v23, s8, v7
	v_cmp_gt_i32_e32 vcc_lo, s4, v18
	v_lshlrev_b32_e32 v24, 2, v8
	s_lshl_b32 s21, s18, 4
	s_lshl_b32 s23, s8, 4
	s_mov_b32 s22, 0
	s_mov_b32 s24, 0
	s_branch .LBB192_21
.LBB192_17:                             ;   in Loop: Header=BB192_21 Depth=1
	s_or_b32 exec_lo, exec_lo, s27
	s_waitcnt vmcnt(3) lgkmcnt(3)
	v_fmac_f32_e32 v16, v28, v40
	s_waitcnt vmcnt(2) lgkmcnt(2)
	s_delay_alu instid0(VALU_DEP_1) | instskip(SKIP_1) | instid1(VALU_DEP_1)
	v_fmac_f32_e32 v16, v27, v39
	s_waitcnt vmcnt(1) lgkmcnt(1)
	v_fmac_f32_e32 v16, v26, v38
	s_waitcnt vmcnt(0) lgkmcnt(0)
	s_delay_alu instid0(VALU_DEP_1)
	v_fmac_f32_e32 v16, v25, v37
.LBB192_18:                             ;   in Loop: Header=BB192_21 Depth=1
	s_or_b32 exec_lo, exec_lo, s26
	s_waitcnt vmcnt(3) lgkmcnt(3)
	v_fmac_f32_e32 v15, v28, v36
	s_waitcnt vmcnt(2) lgkmcnt(2)
	s_delay_alu instid0(VALU_DEP_1) | instskip(SKIP_1) | instid1(VALU_DEP_1)
	v_fmac_f32_e32 v15, v27, v35
	s_waitcnt vmcnt(1) lgkmcnt(1)
	v_fmac_f32_e32 v15, v26, v34
	s_waitcnt vmcnt(0) lgkmcnt(0)
	s_delay_alu instid0(VALU_DEP_1)
	v_fmac_f32_e32 v15, v25, v33
.LBB192_19:                             ;   in Loop: Header=BB192_21 Depth=1
	s_or_b32 exec_lo, exec_lo, s3
	s_waitcnt vmcnt(3) lgkmcnt(3)
	v_fmac_f32_e32 v14, v28, v32
	s_waitcnt vmcnt(2) lgkmcnt(2)
	s_delay_alu instid0(VALU_DEP_1) | instskip(SKIP_1) | instid1(VALU_DEP_1)
	v_fmac_f32_e32 v14, v27, v30
	s_waitcnt vmcnt(1) lgkmcnt(1)
	v_fmac_f32_e32 v14, v26, v29
	s_waitcnt vmcnt(0) lgkmcnt(0)
	s_delay_alu instid0(VALU_DEP_1)
	v_fmac_f32_e32 v14, v25, v31
.LBB192_20:                             ;   in Loop: Header=BB192_21 Depth=1
	s_or_b32 exec_lo, exec_lo, s25
	v_add_nc_u32_e32 v19, 16, v19
	v_add_nc_u32_e32 v20, s21, v20
	;; [unrolled: 1-line block ×5, first 2 shown]
	v_cmp_le_i32_e64 s3, s19, v19
	s_add_i32 s24, s24, s23
	s_delay_alu instid0(VALU_DEP_1) | instskip(NEXT) | instid1(SALU_CYCLE_1)
	s_or_b32 s22, s3, s22
	s_and_not1_b32 exec_lo, exec_lo, s22
	s_cbranch_execz .LBB192_26
.LBB192_21:                             ; =>This Inner Loop Header: Depth=1
	s_and_saveexec_b32 s25, vcc_lo
	s_cbranch_execz .LBB192_20
; %bb.22:                               ;   in Loop: Header=BB192_21 Depth=1
	v_add_nc_u32_e32 v5, s24, v24
	v_add_nc_u32_e32 v7, s24, v4
	;; [unrolled: 1-line block ×5, first 2 shown]
	v_ashrrev_i32_e32 v6, 31, v5
	v_ashrrev_i32_e32 v8, 31, v7
	;; [unrolled: 1-line block ×5, first 2 shown]
	v_lshlrev_b64 v[5:6], 2, v[5:6]
	v_lshlrev_b64 v[7:8], 2, v[7:8]
	;; [unrolled: 1-line block ×3, first 2 shown]
	s_delay_alu instid0(VALU_DEP_3) | instskip(NEXT) | instid1(VALU_DEP_1)
	v_add_co_u32 v27, s3, s12, v5
	v_add_co_ci_u32_e64 v28, s3, s13, v6, s3
	s_delay_alu instid0(VALU_DEP_4)
	v_add_co_u32 v29, s3, s12, v7
	v_add_nc_u32_e32 v7, s14, v20
	v_add_co_ci_u32_e64 v30, s3, s13, v8, s3
	v_lshlrev_b64 v[5:6], 2, v[11:12]
	v_add_co_u32 v31, s3, s12, v9
	v_add_nc_u32_e32 v11, s14, v2
	v_add_co_ci_u32_e64 v32, s3, s13, v10, s3
	v_lshlrev_b64 v[9:10], 2, v[25:26]
	v_ashrrev_i32_e32 v8, 31, v7
	v_add_nc_u32_e32 v25, s14, v3
	v_add_co_u32 v33, s3, s12, v5
	v_ashrrev_i32_e32 v12, 31, v11
	v_add_co_ci_u32_e64 v34, s3, s13, v6, s3
	v_lshlrev_b64 v[7:8], 2, v[7:8]
	v_add_co_u32 v5, s3, s6, v9
	v_ashrrev_i32_e32 v26, 31, v25
	v_add_co_ci_u32_e64 v6, s3, s7, v10, s3
	v_lshlrev_b64 v[9:10], 2, v[11:12]
	v_add_co_u32 v7, s3, s6, v7
	s_delay_alu instid0(VALU_DEP_4) | instskip(SKIP_1) | instid1(VALU_DEP_4)
	v_lshlrev_b64 v[25:26], 2, v[25:26]
	v_add_co_ci_u32_e64 v8, s3, s7, v8, s3
	v_add_co_u32 v11, s3, s6, v9
	s_delay_alu instid0(VALU_DEP_1) | instskip(NEXT) | instid1(VALU_DEP_4)
	v_add_co_ci_u32_e64 v12, s3, s7, v10, s3
	v_add_co_u32 v9, s3, s6, v25
	s_delay_alu instid0(VALU_DEP_1)
	v_add_co_ci_u32_e64 v10, s3, s7, v26, s3
	s_clause 0x3
	flat_load_b32 v28, v[27:28]
	flat_load_b32 v27, v[29:30]
	;; [unrolled: 1-line block ×4, first 2 shown]
	s_clause 0x3
	flat_load_b32 v32, v[5:6]
	flat_load_b32 v30, v[7:8]
	flat_load_b32 v29, v[11:12]
	flat_load_b32 v31, v[9:10]
	s_and_saveexec_b32 s3, s0
	s_cbranch_execz .LBB192_19
; %bb.23:                               ;   in Loop: Header=BB192_21 Depth=1
	s_clause 0x3
	flat_load_b32 v36, v[5:6] offset:256
	flat_load_b32 v35, v[7:8] offset:256
	flat_load_b32 v34, v[11:12] offset:256
	flat_load_b32 v33, v[9:10] offset:256
	s_and_saveexec_b32 s26, s1
	s_cbranch_execz .LBB192_18
; %bb.24:                               ;   in Loop: Header=BB192_21 Depth=1
	s_clause 0x3
	flat_load_b32 v40, v[5:6] offset:512
	flat_load_b32 v39, v[7:8] offset:512
	flat_load_b32 v38, v[11:12] offset:512
	flat_load_b32 v37, v[9:10] offset:512
	;; [unrolled: 8-line block ×3, first 2 shown]
	s_waitcnt vmcnt(3) lgkmcnt(3)
	v_fmac_f32_e32 v17, v28, v5
	s_waitcnt vmcnt(2) lgkmcnt(2)
	s_delay_alu instid0(VALU_DEP_1) | instskip(SKIP_1) | instid1(VALU_DEP_1)
	v_fmac_f32_e32 v17, v27, v6
	s_waitcnt vmcnt(1) lgkmcnt(1)
	v_fmac_f32_e32 v17, v26, v7
	s_waitcnt vmcnt(0) lgkmcnt(0)
	s_delay_alu instid0(VALU_DEP_1)
	v_fmac_f32_e32 v17, v25, v8
	s_branch .LBB192_17
.LBB192_26:
	s_or_b32 exec_lo, exec_lo, s22
.LBB192_27:
	s_delay_alu instid0(SALU_CYCLE_1) | instskip(SKIP_1) | instid1(SALU_CYCLE_1)
	s_or_b32 exec_lo, exec_lo, s20
	s_sub_i32 s0, s5, s19
	s_cmp_lt_i32 s0, 1
	s_cbranch_scc1 .LBB192_45
; %bb.28:
	v_cmp_gt_i32_e32 vcc_lo, s5, v19
	v_dual_mov_b32 v12, 0 :: v_dual_mov_b32 v11, 0
	v_or_b32_e32 v2, 1, v19
	v_mov_b32_e32 v20, 0
	v_mov_b32_e32 v10, 0
	s_and_saveexec_b32 s1, vcc_lo
	s_cbranch_execz .LBB192_36
; %bb.29:
	s_waitcnt lgkmcnt(0)
	v_mul_lo_u32 v3, v19, s8
	v_dual_mov_b32 v11, 0 :: v_dual_mov_b32 v20, 0
	v_mov_b32_e32 v12, 0
	s_mov_b32 s2, exec_lo
	s_delay_alu instid0(VALU_DEP_3) | instskip(NEXT) | instid1(VALU_DEP_1)
	v_ashrrev_i32_e32 v4, 31, v3
	v_lshlrev_b64 v[3:4], 2, v[3:4]
	s_delay_alu instid0(VALU_DEP_1) | instskip(NEXT) | instid1(VALU_DEP_1)
	v_add_co_u32 v3, s0, s12, v3
	v_add_co_ci_u32_e64 v4, s0, s13, v4, s0
	flat_load_b32 v10, v[3:4]
	v_cmpx_gt_i32_e64 s5, v2
	s_cbranch_execz .LBB192_35
; %bb.30:
	v_mul_lo_u32 v3, v2, s8
	v_mov_b32_e32 v20, 0
	v_mov_b32_e32 v12, 0
	s_mov_b32 s3, exec_lo
	s_delay_alu instid0(VALU_DEP_3) | instskip(NEXT) | instid1(VALU_DEP_1)
	v_ashrrev_i32_e32 v4, 31, v3
	v_lshlrev_b64 v[3:4], 2, v[3:4]
	s_delay_alu instid0(VALU_DEP_1) | instskip(NEXT) | instid1(VALU_DEP_1)
	v_add_co_u32 v3, s0, s12, v3
	v_add_co_ci_u32_e64 v4, s0, s13, v4, s0
	flat_load_b32 v11, v[3:4]
	v_or_b32_e32 v3, 2, v19
	s_delay_alu instid0(VALU_DEP_1)
	v_cmpx_gt_i32_e64 s5, v3
	s_cbranch_execz .LBB192_34
; %bb.31:
	v_mul_lo_u32 v3, v3, s8
	v_mov_b32_e32 v12, 0
	s_mov_b32 s19, exec_lo
	s_delay_alu instid0(VALU_DEP_2) | instskip(NEXT) | instid1(VALU_DEP_1)
	v_ashrrev_i32_e32 v4, 31, v3
	v_lshlrev_b64 v[3:4], 2, v[3:4]
	s_delay_alu instid0(VALU_DEP_1) | instskip(NEXT) | instid1(VALU_DEP_1)
	v_add_co_u32 v3, s0, s12, v3
	v_add_co_ci_u32_e64 v4, s0, s13, v4, s0
	flat_load_b32 v20, v[3:4]
	v_or_b32_e32 v3, 3, v19
	s_delay_alu instid0(VALU_DEP_1)
	v_cmpx_gt_i32_e64 s5, v3
	s_cbranch_execz .LBB192_33
; %bb.32:
	v_mul_lo_u32 v3, v3, s8
	s_delay_alu instid0(VALU_DEP_1) | instskip(NEXT) | instid1(VALU_DEP_1)
	v_ashrrev_i32_e32 v4, 31, v3
	v_lshlrev_b64 v[3:4], 2, v[3:4]
	s_delay_alu instid0(VALU_DEP_1) | instskip(NEXT) | instid1(VALU_DEP_1)
	v_add_co_u32 v3, s0, s12, v3
	v_add_co_ci_u32_e64 v4, s0, s13, v4, s0
	flat_load_b32 v12, v[3:4]
.LBB192_33:
	s_or_b32 exec_lo, exec_lo, s19
.LBB192_34:
	s_delay_alu instid0(SALU_CYCLE_1)
	s_or_b32 exec_lo, exec_lo, s3
.LBB192_35:
	s_delay_alu instid0(SALU_CYCLE_1)
	s_or_b32 exec_lo, exec_lo, s2
.LBB192_36:
	s_delay_alu instid0(SALU_CYCLE_1) | instskip(NEXT) | instid1(SALU_CYCLE_1)
	s_or_b32 exec_lo, exec_lo, s1
	s_mov_b32 s1, exec_lo
	v_cmpx_gt_i32_e64 s4, v18
	s_cbranch_execz .LBB192_44
; %bb.37:
	s_waitcnt lgkmcnt(0)
	v_mul_lo_u32 v3, v19, s18
	v_mul_lo_u32 v5, v2, s18
	v_or_b32_e32 v4, 2, v19
	v_or_b32_e32 v6, 3, v19
	s_mov_b32 s0, exec_lo
	s_delay_alu instid0(VALU_DEP_2)
	v_mul_lo_u32 v7, v4, s18
	v_cndmask_b32_e32 v3, 0, v3, vcc_lo
	v_cmp_gt_i32_e32 vcc_lo, s5, v2
	v_mul_lo_u32 v8, v6, s18
	v_cndmask_b32_e32 v5, 0, v5, vcc_lo
	v_cmp_gt_i32_e32 vcc_lo, s5, v4
	s_delay_alu instid0(VALU_DEP_2) | instskip(SKIP_2) | instid1(VALU_DEP_3)
	v_add_nc_u32_e32 v4, v5, v18
	v_dual_cndmask_b32 v7, 0, v7 :: v_dual_add_nc_u32 v2, v3, v18
	v_cmp_gt_i32_e32 vcc_lo, s5, v6
	v_ashrrev_i32_e32 v5, 31, v4
	s_delay_alu instid0(VALU_DEP_3) | instskip(SKIP_2) | instid1(VALU_DEP_4)
	v_ashrrev_i32_e32 v3, 31, v2
	v_cndmask_b32_e32 v8, 0, v8, vcc_lo
	v_add_nc_u32_e32 v6, v7, v18
	v_lshlrev_b64 v[4:5], 2, v[4:5]
	s_delay_alu instid0(VALU_DEP_4) | instskip(NEXT) | instid1(VALU_DEP_4)
	v_lshlrev_b64 v[2:3], 2, v[2:3]
	v_add_nc_u32_e32 v8, v8, v18
	s_delay_alu instid0(VALU_DEP_4) | instskip(NEXT) | instid1(VALU_DEP_2)
	v_ashrrev_i32_e32 v7, 31, v6
	v_ashrrev_i32_e32 v9, 31, v8
	s_delay_alu instid0(VALU_DEP_2)
	v_lshlrev_b64 v[21:22], 2, v[6:7]
	v_add_co_u32 v6, vcc_lo, s6, v2
	v_add_co_ci_u32_e32 v7, vcc_lo, s7, v3, vcc_lo
	v_add_co_u32 v2, vcc_lo, s6, v4
	v_add_co_ci_u32_e32 v3, vcc_lo, s7, v5, vcc_lo
	flat_load_b32 v23, v[6:7]
	v_add_co_u32 v4, vcc_lo, s6, v21
	v_add_co_ci_u32_e32 v5, vcc_lo, s7, v22, vcc_lo
	v_lshlrev_b64 v[8:9], 2, v[8:9]
	s_clause 0x1
	flat_load_b32 v21, v[2:3]
	flat_load_b32 v22, v[4:5]
	v_add_co_u32 v8, vcc_lo, s6, v8
	v_add_co_ci_u32_e32 v9, vcc_lo, s7, v9, vcc_lo
	flat_load_b32 v19, v[8:9]
	s_waitcnt vmcnt(3) lgkmcnt(3)
	v_fmac_f32_e32 v14, v10, v23
	s_waitcnt vmcnt(2) lgkmcnt(2)
	s_delay_alu instid0(VALU_DEP_1) | instskip(SKIP_1) | instid1(VALU_DEP_1)
	v_dual_fmac_f32 v14, v11, v21 :: v_dual_add_nc_u32 v21, 64, v18
	s_waitcnt vmcnt(1) lgkmcnt(1)
	v_fmac_f32_e32 v14, v20, v22
	s_delay_alu instid0(VALU_DEP_2)
	v_cmpx_gt_i32_e64 s4, v21
	s_cbranch_execz .LBB192_43
; %bb.38:
	s_clause 0x3
	flat_load_b32 v22, v[6:7] offset:256
	flat_load_b32 v23, v[2:3] offset:256
	;; [unrolled: 1-line block ×4, first 2 shown]
	s_mov_b32 s2, exec_lo
	s_waitcnt vmcnt(3) lgkmcnt(3)
	v_fmac_f32_e32 v15, v10, v22
	s_waitcnt vmcnt(2) lgkmcnt(2)
	s_delay_alu instid0(VALU_DEP_1) | instskip(SKIP_1) | instid1(VALU_DEP_1)
	v_dual_fmac_f32 v15, v11, v23 :: v_dual_add_nc_u32 v22, 0x80, v18
	s_waitcnt vmcnt(1) lgkmcnt(1)
	v_fmac_f32_e32 v15, v20, v24
	s_delay_alu instid0(VALU_DEP_2)
	v_cmpx_gt_i32_e64 s4, v22
	s_cbranch_execz .LBB192_42
; %bb.39:
	s_clause 0x3
	flat_load_b32 v23, v[6:7] offset:512
	flat_load_b32 v24, v[2:3] offset:512
	;; [unrolled: 1-line block ×4, first 2 shown]
	v_add_nc_u32_e32 v18, 0xc0, v18
	s_mov_b32 s3, exec_lo
	s_waitcnt vmcnt(3) lgkmcnt(3)
	v_fmac_f32_e32 v16, v10, v23
	s_waitcnt vmcnt(2) lgkmcnt(2)
	s_delay_alu instid0(VALU_DEP_1) | instskip(SKIP_1) | instid1(VALU_DEP_1)
	v_fmac_f32_e32 v16, v11, v24
	s_waitcnt vmcnt(1) lgkmcnt(1)
	v_fmac_f32_e32 v16, v20, v25
	v_cmpx_gt_i32_e64 s4, v18
	s_cbranch_execz .LBB192_41
; %bb.40:
	s_clause 0x3
	flat_load_b32 v6, v[6:7] offset:768
	flat_load_b32 v2, v[2:3] offset:768
	flat_load_b32 v3, v[4:5] offset:768
	flat_load_b32 v4, v[8:9] offset:768
	s_waitcnt vmcnt(3) lgkmcnt(3)
	v_fmac_f32_e32 v17, v10, v6
	s_waitcnt vmcnt(2) lgkmcnt(2)
	s_delay_alu instid0(VALU_DEP_1) | instskip(SKIP_1) | instid1(VALU_DEP_1)
	v_fmac_f32_e32 v17, v11, v2
	s_waitcnt vmcnt(1) lgkmcnt(1)
	v_fmac_f32_e32 v17, v20, v3
	s_waitcnt vmcnt(0) lgkmcnt(0)
	s_delay_alu instid0(VALU_DEP_1)
	v_fmac_f32_e32 v17, v12, v4
.LBB192_41:
	s_or_b32 exec_lo, exec_lo, s3
	s_waitcnt vmcnt(0) lgkmcnt(0)
	v_fmac_f32_e32 v16, v12, v22
.LBB192_42:
	s_or_b32 exec_lo, exec_lo, s2
	s_waitcnt vmcnt(0) lgkmcnt(0)
	v_fmac_f32_e32 v15, v12, v21
.LBB192_43:
	s_or_b32 exec_lo, exec_lo, s0
	s_waitcnt vmcnt(0) lgkmcnt(0)
	v_fmac_f32_e32 v14, v12, v19
.LBB192_44:
	s_or_b32 exec_lo, exec_lo, s1
.LBB192_45:
	v_lshlrev_b32_e32 v2, 8, v13
	s_mov_b32 s0, exec_lo
                                        ; implicit-def: $vgpr3
                                        ; implicit-def: $vgpr4_vgpr5
	s_delay_alu instid0(VALU_DEP_1)
	v_add_lshl_u32 v1, v2, v1, 2
	ds_store_2addr_stride64_b32 v1, v14, v15 offset1:1
	ds_store_2addr_stride64_b32 v1, v16, v17 offset0:2 offset1:3
	s_waitcnt vmcnt(0) lgkmcnt(0)
	s_barrier
	buffer_gl0_inv
	v_cmpx_gt_u32_e32 0x100, v0
	s_cbranch_execz .LBB192_51
; %bb.46:
	v_lshlrev_b32_e32 v5, 2, v0
	s_mov_b32 s2, s11
	s_mov_b32 s1, exec_lo
	ds_load_2addr_stride64_b32 v[1:2], v5 offset1:4
	ds_load_2addr_stride64_b32 v[3:4], v5 offset0:8 offset1:12
	s_waitcnt lgkmcnt(1)
	v_add_f32_e32 v1, v1, v2
	s_waitcnt lgkmcnt(0)
	s_delay_alu instid0(VALU_DEP_1) | instskip(SKIP_1) | instid1(VALU_DEP_2)
	v_add_f32_e32 v2, v3, v1
	v_or_b32_e32 v1, s14, v0
                                        ; implicit-def: $vgpr3
	v_add_f32_e32 v0, v4, v2
	ds_store_b32 v5, v0
                                        ; implicit-def: $vgpr4_vgpr5
	v_cmpx_gt_i32_e64 s4, v1
	s_cbranch_execz .LBB192_50
; %bb.47:
	v_mul_lo_u32 v4, v1, s17
	v_cmp_eq_f32_e64 s2, s15, 0
	v_mul_f32_e32 v3, s16, v0
	s_delay_alu instid0(VALU_DEP_2) | instskip(NEXT) | instid1(VALU_DEP_3)
	s_and_b32 vcc_lo, exec_lo, s2
	v_ashrrev_i32_e32 v5, 31, v4
	s_cbranch_vccnz .LBB192_49
; %bb.48:
	s_delay_alu instid0(VALU_DEP_1) | instskip(NEXT) | instid1(VALU_DEP_1)
	v_lshlrev_b64 v[0:1], 2, v[4:5]
	v_add_co_u32 v0, vcc_lo, s9, v0
	s_delay_alu instid0(VALU_DEP_2)
	v_add_co_ci_u32_e32 v1, vcc_lo, s10, v1, vcc_lo
	global_load_b32 v0, v[0:1], off
	s_waitcnt vmcnt(0)
	v_fmac_f32_e32 v3, s15, v0
.LBB192_49:
	s_or_b32 s2, s11, exec_lo
.LBB192_50:
	s_or_b32 exec_lo, exec_lo, s1
	s_delay_alu instid0(SALU_CYCLE_1) | instskip(SKIP_1) | instid1(SALU_CYCLE_1)
	s_and_not1_b32 s1, s11, exec_lo
	s_and_b32 s2, s2, exec_lo
	s_or_b32 s11, s1, s2
.LBB192_51:
	s_or_b32 exec_lo, exec_lo, s0
.LBB192_52:
	s_and_saveexec_b32 s0, s11
	s_cbranch_execz .LBB192_54
; %bb.53:
	v_lshlrev_b64 v[0:1], 2, v[4:5]
	s_delay_alu instid0(VALU_DEP_1) | instskip(NEXT) | instid1(VALU_DEP_2)
	v_add_co_u32 v0, vcc_lo, s9, v0
	v_add_co_ci_u32_e32 v1, vcc_lo, s10, v1, vcc_lo
	global_store_b32 v[0:1], v3, off
.LBB192_54:
	s_nop 0
	s_sendmsg sendmsg(MSG_DEALLOC_VGPRS)
	s_endpgm
	.section	.rodata,"a",@progbits
	.p2align	6, 0x0
	.amdhsa_kernel _ZL20rocblas_gemvn_kernelILi64ELi4EiPKfS1_KPfEviiT3_lPKT2_lT1_lS7_lS8_lS4_lPT4_lS8_li
		.amdhsa_group_segment_fixed_size 4096
		.amdhsa_private_segment_fixed_size 0
		.amdhsa_kernarg_size 400
		.amdhsa_user_sgpr_count 14
		.amdhsa_user_sgpr_dispatch_ptr 0
		.amdhsa_user_sgpr_queue_ptr 0
		.amdhsa_user_sgpr_kernarg_segment_ptr 1
		.amdhsa_user_sgpr_dispatch_id 0
		.amdhsa_user_sgpr_private_segment_size 0
		.amdhsa_wavefront_size32 1
		.amdhsa_uses_dynamic_stack 0
		.amdhsa_enable_private_segment 0
		.amdhsa_system_sgpr_workgroup_id_x 1
		.amdhsa_system_sgpr_workgroup_id_y 0
		.amdhsa_system_sgpr_workgroup_id_z 1
		.amdhsa_system_sgpr_workgroup_info 0
		.amdhsa_system_vgpr_workitem_id 1
		.amdhsa_next_free_vgpr 41
		.amdhsa_next_free_sgpr 28
		.amdhsa_reserve_vcc 1
		.amdhsa_float_round_mode_32 0
		.amdhsa_float_round_mode_16_64 0
		.amdhsa_float_denorm_mode_32 3
		.amdhsa_float_denorm_mode_16_64 3
		.amdhsa_dx10_clamp 1
		.amdhsa_ieee_mode 1
		.amdhsa_fp16_overflow 0
		.amdhsa_workgroup_processor_mode 1
		.amdhsa_memory_ordered 1
		.amdhsa_forward_progress 0
		.amdhsa_shared_vgpr_count 0
		.amdhsa_exception_fp_ieee_invalid_op 0
		.amdhsa_exception_fp_denorm_src 0
		.amdhsa_exception_fp_ieee_div_zero 0
		.amdhsa_exception_fp_ieee_overflow 0
		.amdhsa_exception_fp_ieee_underflow 0
		.amdhsa_exception_fp_ieee_inexact 0
		.amdhsa_exception_int_div_zero 0
	.end_amdhsa_kernel
	.section	.text._ZL20rocblas_gemvn_kernelILi64ELi4EiPKfS1_KPfEviiT3_lPKT2_lT1_lS7_lS8_lS4_lPT4_lS8_li,"axG",@progbits,_ZL20rocblas_gemvn_kernelILi64ELi4EiPKfS1_KPfEviiT3_lPKT2_lT1_lS7_lS8_lS4_lPT4_lS8_li,comdat
.Lfunc_end192:
	.size	_ZL20rocblas_gemvn_kernelILi64ELi4EiPKfS1_KPfEviiT3_lPKT2_lT1_lS7_lS8_lS4_lPT4_lS8_li, .Lfunc_end192-_ZL20rocblas_gemvn_kernelILi64ELi4EiPKfS1_KPfEviiT3_lPKT2_lT1_lS7_lS8_lS4_lPT4_lS8_li
                                        ; -- End function
	.section	.AMDGPU.csdata,"",@progbits
; Kernel info:
; codeLenInByte = 2908
; NumSgprs: 30
; NumVgprs: 41
; ScratchSize: 0
; MemoryBound: 0
; FloatMode: 240
; IeeeMode: 1
; LDSByteSize: 4096 bytes/workgroup (compile time only)
; SGPRBlocks: 3
; VGPRBlocks: 5
; NumSGPRsForWavesPerEU: 30
; NumVGPRsForWavesPerEU: 41
; Occupancy: 16
; WaveLimiterHint : 1
; COMPUTE_PGM_RSRC2:SCRATCH_EN: 0
; COMPUTE_PGM_RSRC2:USER_SGPR: 14
; COMPUTE_PGM_RSRC2:TRAP_HANDLER: 0
; COMPUTE_PGM_RSRC2:TGID_X_EN: 1
; COMPUTE_PGM_RSRC2:TGID_Y_EN: 0
; COMPUTE_PGM_RSRC2:TGID_Z_EN: 1
; COMPUTE_PGM_RSRC2:TIDIG_COMP_CNT: 1
	.section	.text._ZL20rocblas_gemvn_kernelILi64ELi4ElPKfS1_KPfEviiT3_lPKT2_lT1_lS7_lS8_lS4_lPT4_lS8_li,"axG",@progbits,_ZL20rocblas_gemvn_kernelILi64ELi4ElPKfS1_KPfEviiT3_lPKT2_lT1_lS7_lS8_lS4_lPT4_lS8_li,comdat
	.globl	_ZL20rocblas_gemvn_kernelILi64ELi4ElPKfS1_KPfEviiT3_lPKT2_lT1_lS7_lS8_lS4_lPT4_lS8_li ; -- Begin function _ZL20rocblas_gemvn_kernelILi64ELi4ElPKfS1_KPfEviiT3_lPKT2_lT1_lS7_lS8_lS4_lPT4_lS8_li
	.p2align	8
	.type	_ZL20rocblas_gemvn_kernelILi64ELi4ElPKfS1_KPfEviiT3_lPKT2_lT1_lS7_lS8_lS4_lPT4_lS8_li,@function
_ZL20rocblas_gemvn_kernelILi64ELi4ElPKfS1_KPfEviiT3_lPKT2_lT1_lS7_lS8_lS4_lPT4_lS8_li: ; @_ZL20rocblas_gemvn_kernelILi64ELi4ElPKfS1_KPfEviiT3_lPKT2_lT1_lS7_lS8_lS4_lPT4_lS8_li
; %bb.0:
	s_load_b64 s[4:5], s[0:1], 0x9c
	s_waitcnt lgkmcnt(0)
	s_lshr_b32 s3, s4, 16
	s_and_b32 s4, s4, 0xffff
	s_and_b32 s5, s5, 0xffff
	s_mul_i32 s3, s3, s4
	s_delay_alu instid0(SALU_CYCLE_1) | instskip(NEXT) | instid1(SALU_CYCLE_1)
	s_mul_i32 s3, s3, s5
	s_cmpk_lg_i32 s3, 0x100
	s_cbranch_scc1 .LBB193_54
; %bb.1:
	s_clause 0x1
	s_load_b256 s[16:23], s[0:1], 0x8
	s_load_b256 s[4:11], s[0:1], 0x58
	s_mov_b32 s2, s15
	s_waitcnt lgkmcnt(0)
	s_mul_i32 s3, s15, s19
	s_mul_hi_u32 s13, s15, s18
	s_mul_i32 s12, s15, s18
	s_add_i32 s13, s13, s3
	s_mul_i32 s3, s15, s7
	s_lshl_b64 s[12:13], s[12:13], 2
	s_mul_hi_u32 s7, s15, s6
	s_add_u32 s12, s16, s12
	s_addc_u32 s13, s17, s13
	s_add_i32 s7, s7, s3
	s_mul_i32 s6, s15, s6
	s_delay_alu instid0(SALU_CYCLE_1) | instskip(NEXT) | instid1(SALU_CYCLE_1)
	s_lshl_b64 s[6:7], s[6:7], 2
	s_add_u32 s4, s4, s6
	s_addc_u32 s5, s5, s7
	s_load_b32 s27, s[12:13], 0x0
	s_load_b32 s26, s[4:5], 0x0
	s_waitcnt lgkmcnt(0)
	v_cmp_eq_f32_e64 s15, s27, 0
	v_cmp_eq_f32_e64 s3, s26, 1.0
	s_delay_alu instid0(VALU_DEP_1) | instskip(NEXT) | instid1(SALU_CYCLE_1)
	s_and_b32 s3, s15, s3
	s_and_b32 vcc_lo, exec_lo, s3
	s_mov_b32 s3, 0
	s_cbranch_vccnz .LBB193_54
; %bb.2:
	s_clause 0x1
	s_load_b64 s[16:17], s[0:1], 0x28
	s_load_b64 s[12:13], s[0:1], 0x78
	v_cmp_neq_f32_e64 s28, s27, 0
	s_mov_b64 s[24:25], 0
	s_and_b32 vcc_lo, exec_lo, s15
	s_mov_b64 s[18:19], 0
	s_cbranch_vccnz .LBB193_4
; %bb.3:
	s_lshl_b64 s[4:5], s[2:3], 3
	s_delay_alu instid0(SALU_CYCLE_1)
	s_add_u32 s4, s20, s4
	s_addc_u32 s5, s21, s5
	s_lshl_b64 s[6:7], s[22:23], 2
	s_load_b64 s[4:5], s[4:5], 0x0
	s_waitcnt lgkmcnt(0)
	s_add_u32 s18, s4, s6
	s_addc_u32 s19, s5, s7
.LBB193_4:
	s_clause 0x1
	s_load_b128 s[4:7], s[0:1], 0x38
	s_load_b64 s[20:21], s[0:1], 0x48
	s_and_not1_b32 vcc_lo, exec_lo, s28
	s_cbranch_vccnz .LBB193_6
; %bb.5:
	s_lshl_b64 s[22:23], s[2:3], 3
	s_waitcnt lgkmcnt(0)
	s_add_u32 s4, s4, s22
	s_addc_u32 s5, s5, s23
	s_lshl_b64 s[6:7], s[6:7], 2
	s_load_b64 s[4:5], s[4:5], 0x0
	s_waitcnt lgkmcnt(0)
	s_add_u32 s24, s4, s6
	s_addc_u32 s25, s5, s7
.LBB193_6:
	s_lshl_b64 s[2:3], s[2:3], 3
	v_and_b32_e32 v20, 0x3ff, v0
	s_add_u32 s2, s8, s2
	s_addc_u32 s3, s9, s3
	v_bfe_u32 v21, v0, 10, 10
	s_load_b64 s[2:3], s[2:3], 0x0
	s_waitcnt lgkmcnt(0)
	s_load_b64 s[6:7], s[0:1], 0x0
	s_lshl_b64 s[8:9], s[10:11], 2
	v_lshl_add_u32 v19, v21, 6, v20
	s_delay_alu instid0(VALU_DEP_1)
	v_cmp_gt_u32_e64 s0, 0x100, v19
	s_add_u32 s5, s2, s8
	s_addc_u32 s22, s3, s9
	s_and_not1_b32 vcc_lo, exec_lo, s15
	s_cbranch_vccnz .LBB193_13
; %bb.7:
	s_mov_b32 s1, 0
	s_mov_b32 s23, 0
                                        ; implicit-def: $vgpr1
                                        ; implicit-def: $vgpr2_vgpr3
	s_and_saveexec_b32 s2, s0
	s_cbranch_execz .LBB193_14
; %bb.8:
	v_lshl_or_b32 v0, s14, 8, v19
	v_mov_b32_e32 v1, 0
	s_waitcnt lgkmcnt(0)
	s_ashr_i32 s9, s6, 31
	s_mov_b32 s8, s6
	s_mov_b32 s3, 0
	s_mov_b32 s0, exec_lo
                                        ; implicit-def: $vgpr2_vgpr3
	v_cmpx_gt_i64_e64 s[8:9], v[0:1]
	s_cbranch_execz .LBB193_12
; %bb.9:
	v_mad_u64_u32 v[2:3], null, v0, s12, 0
	v_cmp_eq_f32_e64 s3, s26, 0
	s_delay_alu instid0(VALU_DEP_1) | instskip(NEXT) | instid1(VALU_DEP_2)
	s_and_b32 vcc_lo, exec_lo, s3
	v_mad_u64_u32 v[4:5], null, v0, s13, v[3:4]
	s_delay_alu instid0(VALU_DEP_1)
	v_mov_b32_e32 v3, v4
	s_cbranch_vccnz .LBB193_11
; %bb.10:
	s_delay_alu instid0(VALU_DEP_1) | instskip(NEXT) | instid1(VALU_DEP_1)
	v_lshlrev_b64 v[0:1], 2, v[2:3]
	v_add_co_u32 v0, vcc_lo, s5, v0
	s_delay_alu instid0(VALU_DEP_2)
	v_add_co_ci_u32_e32 v1, vcc_lo, s22, v1, vcc_lo
	global_load_b32 v0, v[0:1], off
	s_waitcnt vmcnt(0)
	v_mul_f32_e32 v1, s26, v0
.LBB193_11:
	s_mov_b32 s3, exec_lo
.LBB193_12:
	s_or_b32 exec_lo, exec_lo, s0
	s_delay_alu instid0(SALU_CYCLE_1) | instskip(SKIP_1) | instid1(SALU_CYCLE_1)
	s_and_b32 s23, s3, exec_lo
	s_or_b32 exec_lo, exec_lo, s2
	s_and_b32 vcc_lo, exec_lo, s1
	s_cbranch_vccnz .LBB193_15
	s_branch .LBB193_52
.LBB193_13:
	s_mov_b32 s23, 0
                                        ; implicit-def: $vgpr1
                                        ; implicit-def: $vgpr2_vgpr3
	s_cbranch_execnz .LBB193_15
	s_branch .LBB193_52
.LBB193_14:
	s_or_b32 exec_lo, exec_lo, s2
	s_delay_alu instid0(SALU_CYCLE_1)
	s_and_b32 vcc_lo, exec_lo, s1
	s_cbranch_vccz .LBB193_52
.LBB193_15:
	s_waitcnt lgkmcnt(0)
	s_ashr_i32 s0, s7, 31
	s_lshl_b32 s28, s14, 8
	s_lshr_b32 s0, s0, 28
	v_dual_mov_b32 v23, 0 :: v_dual_lshlrev_b32 v26, 2, v21
	v_dual_mov_b32 v22, 0 :: v_dual_mov_b32 v25, 0
	v_add_nc_u32_e32 v0, s28, v20
	v_mov_b32_e32 v24, 0
	s_add_i32 s0, s7, s0
	s_mov_b32 s30, exec_lo
	s_and_b32 s29, s0, -16
	s_delay_alu instid0(SALU_CYCLE_1)
	v_cmpx_gt_i32_e64 s29, v26
	s_cbranch_execz .LBB193_27
; %bb.16:
	v_lshlrev_b32_e32 v29, 2, v21
	v_mad_u64_u32 v[5:6], null, s20, v21, 0
	v_add_nc_u32_e32 v2, 64, v0
	v_mad_u64_u32 v[7:8], null, s16, v21, 0
	s_delay_alu instid0(VALU_DEP_4) | instskip(SKIP_1) | instid1(VALU_DEP_4)
	v_or_b32_e32 v25, 3, v29
	v_add_nc_u32_e32 v9, 0x80, v0
	v_cmp_gt_i32_e64 s0, s6, v2
	v_ashrrev_i32_e32 v1, 31, v0
	v_cmp_gt_i32_e32 vcc_lo, s6, v0
	v_mad_u64_u32 v[3:4], null, s16, v25, 0
	v_mad_u64_u32 v[16:17], null, s20, v25, 0
	v_add_nc_u32_e32 v10, 0xc0, v0
	s_lshl_b64 s[8:9], s[16:17], 6
	s_lshl_b64 s[10:11], s[20:21], 6
	s_mov_b32 s31, 0
	s_delay_alu instid0(VALU_DEP_3)
	v_mov_b32_e32 v2, v4
	v_mov_b32_e32 v4, v6
	v_cmp_gt_i32_e64 s1, s6, v9
	v_cmp_gt_i32_e64 s2, s6, v10
	v_mov_b32_e32 v6, v8
	v_mad_u64_u32 v[9:10], null, s17, v25, v[2:3]
	v_or_b32_e32 v31, 2, v29
	v_mad_u64_u32 v[10:11], null, s21, v21, v[4:5]
	s_delay_alu instid0(VALU_DEP_4) | instskip(SKIP_1) | instid1(VALU_DEP_4)
	v_mad_u64_u32 v[11:12], null, s17, v21, v[6:7]
	v_mad_u64_u32 v[12:13], null, s20, v29, s[20:21]
	;; [unrolled: 1-line block ×3, first 2 shown]
	v_mov_b32_e32 v4, v9
	v_mov_b32_e32 v6, v10
	v_lshlrev_b64 v[1:2], 2, v[0:1]
	s_mov_b64 s[14:15], s[24:25]
	s_delay_alu instid0(VALU_DEP_3) | instskip(NEXT) | instid1(VALU_DEP_3)
	v_lshlrev_b64 v[9:10], 2, v[3:4]
	v_lshlrev_b64 v[3:4], 4, v[5:6]
	v_dual_mov_b32 v5, v15 :: v_dual_mov_b32 v6, v13
	s_delay_alu instid0(VALU_DEP_3) | instskip(NEXT) | instid1(VALU_DEP_2)
	v_add_co_u32 v27, s3, s18, v9
	v_mad_u64_u32 v[22:23], null, s17, v31, v[5:6]
	v_mov_b32_e32 v5, v17
	v_add_co_ci_u32_e64 v28, s3, s19, v10, s3
	v_mad_u64_u32 v[9:10], null, s16, v29, s[16:17]
	s_delay_alu instid0(VALU_DEP_3) | instskip(SKIP_2) | instid1(VALU_DEP_4)
	v_mad_u64_u32 v[23:24], null, s21, v25, v[5:6]
	v_mad_u64_u32 v[24:25], null, s20, v31, 0
	v_dual_mov_b32 v8, v11 :: v_dual_mov_b32 v15, v22
	v_mov_b32_e32 v5, v10
	s_delay_alu instid0(VALU_DEP_2) | instskip(NEXT) | instid1(VALU_DEP_2)
	v_lshlrev_b64 v[14:15], 2, v[14:15]
	v_mad_u64_u32 v[10:11], null, s17, v29, v[5:6]
	v_mov_b32_e32 v5, v25
	v_lshlrev_b64 v[7:8], 4, v[7:8]
	s_delay_alu instid0(VALU_DEP_3) | instskip(NEXT) | instid1(VALU_DEP_2)
	v_lshlrev_b64 v[9:10], 2, v[9:10]
	v_mad_u64_u32 v[17:18], null, s21, v29, v[6:7]
	v_add_co_u32 v29, s3, s18, v7
	s_delay_alu instid0(VALU_DEP_1) | instskip(NEXT) | instid1(VALU_DEP_3)
	v_add_co_ci_u32_e64 v30, s3, s19, v8, s3
	v_mov_b32_e32 v13, v17
	v_mov_b32_e32 v17, v23
	v_mad_u64_u32 v[22:23], null, s21, v31, v[5:6]
	v_add_co_u32 v31, s3, s18, v14
	s_delay_alu instid0(VALU_DEP_1) | instskip(SKIP_1) | instid1(VALU_DEP_4)
	v_add_co_ci_u32_e64 v32, s3, s19, v15, s3
	v_add_co_u32 v33, s3, s18, v9
	v_dual_mov_b32 v25, v22 :: v_dual_mov_b32 v22, 0
	v_lshlrev_b64 v[5:6], 2, v[12:13]
	v_lshlrev_b64 v[7:8], 2, v[16:17]
	v_add_co_ci_u32_e64 v34, s3, s19, v10, s3
	s_delay_alu instid0(VALU_DEP_4)
	v_lshlrev_b64 v[9:10], 2, v[24:25]
	v_dual_mov_b32 v23, 0 :: v_dual_mov_b32 v24, 0
	v_mov_b32_e32 v25, 0
	s_branch .LBB193_21
.LBB193_17:                             ;   in Loop: Header=BB193_21 Depth=1
	s_or_b32 exec_lo, exec_lo, s34
	s_waitcnt vmcnt(3) lgkmcnt(3)
	v_fmac_f32_e32 v24, v38, v50
	s_waitcnt vmcnt(2) lgkmcnt(2)
	s_delay_alu instid0(VALU_DEP_1) | instskip(SKIP_1) | instid1(VALU_DEP_1)
	v_fmac_f32_e32 v24, v37, v49
	s_waitcnt vmcnt(1) lgkmcnt(1)
	v_fmac_f32_e32 v24, v36, v48
	s_waitcnt vmcnt(0) lgkmcnt(0)
	s_delay_alu instid0(VALU_DEP_1)
	v_fmac_f32_e32 v24, v35, v47
.LBB193_18:                             ;   in Loop: Header=BB193_21 Depth=1
	s_or_b32 exec_lo, exec_lo, s33
	s_waitcnt vmcnt(3) lgkmcnt(3)
	v_fmac_f32_e32 v23, v38, v46
	s_waitcnt vmcnt(2) lgkmcnt(2)
	s_delay_alu instid0(VALU_DEP_1) | instskip(SKIP_1) | instid1(VALU_DEP_1)
	v_fmac_f32_e32 v23, v37, v45
	s_waitcnt vmcnt(1) lgkmcnt(1)
	v_fmac_f32_e32 v23, v36, v44
	s_waitcnt vmcnt(0) lgkmcnt(0)
	s_delay_alu instid0(VALU_DEP_1)
	v_fmac_f32_e32 v23, v35, v43
.LBB193_19:                             ;   in Loop: Header=BB193_21 Depth=1
	s_or_b32 exec_lo, exec_lo, s3
	s_waitcnt vmcnt(3) lgkmcnt(3)
	v_fmac_f32_e32 v22, v38, v42
	s_waitcnt vmcnt(2) lgkmcnt(2)
	s_delay_alu instid0(VALU_DEP_1) | instskip(SKIP_1) | instid1(VALU_DEP_1)
	v_fmac_f32_e32 v22, v37, v40
	s_waitcnt vmcnt(1) lgkmcnt(1)
	v_fmac_f32_e32 v22, v36, v39
	s_waitcnt vmcnt(0) lgkmcnt(0)
	s_delay_alu instid0(VALU_DEP_1)
	v_fmac_f32_e32 v22, v35, v41
.LBB193_20:                             ;   in Loop: Header=BB193_21 Depth=1
	s_or_b32 exec_lo, exec_lo, s4
	v_add_co_u32 v27, s3, v27, s8
	s_delay_alu instid0(VALU_DEP_1) | instskip(SKIP_4) | instid1(VALU_DEP_1)
	v_add_co_ci_u32_e64 v28, s3, s9, v28, s3
	v_add_co_u32 v29, s3, v29, s8
	v_add_nc_u32_e32 v26, 16, v26
	v_add_co_ci_u32_e64 v30, s3, s9, v30, s3
	v_add_co_u32 v31, s3, v31, s8
	v_add_co_ci_u32_e64 v32, s3, s9, v32, s3
	s_delay_alu instid0(VALU_DEP_4) | instskip(SKIP_1) | instid1(VALU_DEP_1)
	v_cmp_le_i32_e64 s3, s29, v26
	v_add_co_u32 v33, s4, v33, s8
	v_add_co_ci_u32_e64 v34, s4, s9, v34, s4
	s_add_u32 s14, s14, s10
	s_addc_u32 s15, s15, s11
	s_or_b32 s31, s3, s31
	s_delay_alu instid0(SALU_CYCLE_1)
	s_and_not1_b32 exec_lo, exec_lo, s31
	s_cbranch_execz .LBB193_26
.LBB193_21:                             ; =>This Inner Loop Header: Depth=1
	s_and_saveexec_b32 s4, vcc_lo
	s_cbranch_execz .LBB193_20
; %bb.22:                               ;   in Loop: Header=BB193_21 Depth=1
	v_add_co_u32 v35, s3, s14, v3
	s_delay_alu instid0(VALU_DEP_1) | instskip(SKIP_1) | instid1(VALU_DEP_1)
	v_add_co_ci_u32_e64 v36, s3, s15, v4, s3
	v_add_co_u32 v39, s3, s14, v5
	v_add_co_ci_u32_e64 v40, s3, s15, v6, s3
	v_add_co_u32 v41, s3, s14, v9
	s_delay_alu instid0(VALU_DEP_1) | instskip(SKIP_1) | instid1(VALU_DEP_1)
	v_add_co_ci_u32_e64 v42, s3, s15, v10, s3
	v_add_co_u32 v43, s3, s14, v7
	v_add_co_ci_u32_e64 v44, s3, s15, v8, s3
	;; [unrolled: 5-line block ×4, first 2 shown]
	s_clause 0x3
	flat_load_b32 v38, v[35:36]
	flat_load_b32 v37, v[39:40]
	;; [unrolled: 1-line block ×8, first 2 shown]
	s_and_saveexec_b32 s3, s0
	s_cbranch_execz .LBB193_19
; %bb.23:                               ;   in Loop: Header=BB193_21 Depth=1
	flat_load_b32 v46, v[11:12] offset:256
	flat_load_b32 v45, v[13:14] offset:256
	flat_load_b32 v44, v[15:16] offset:256
	flat_load_b32 v43, v[17:18] offset:256
	s_and_saveexec_b32 s33, s1
	s_cbranch_execz .LBB193_18
; %bb.24:                               ;   in Loop: Header=BB193_21 Depth=1
	flat_load_b32 v50, v[11:12] offset:512
	flat_load_b32 v49, v[13:14] offset:512
	flat_load_b32 v48, v[15:16] offset:512
	flat_load_b32 v47, v[17:18] offset:512
	s_and_saveexec_b32 s34, s2
	s_cbranch_execz .LBB193_17
; %bb.25:                               ;   in Loop: Header=BB193_21 Depth=1
	flat_load_b32 v11, v[11:12] offset:768
	flat_load_b32 v12, v[13:14] offset:768
	flat_load_b32 v13, v[15:16] offset:768
	flat_load_b32 v14, v[17:18] offset:768
	s_waitcnt vmcnt(3) lgkmcnt(3)
	v_fmac_f32_e32 v25, v38, v11
	s_waitcnt vmcnt(2) lgkmcnt(2)
	s_delay_alu instid0(VALU_DEP_1) | instskip(SKIP_1) | instid1(VALU_DEP_1)
	v_fmac_f32_e32 v25, v37, v12
	s_waitcnt vmcnt(1) lgkmcnt(1)
	v_fmac_f32_e32 v25, v36, v13
	s_waitcnt vmcnt(0) lgkmcnt(0)
	s_delay_alu instid0(VALU_DEP_1)
	v_fmac_f32_e32 v25, v35, v14
	s_branch .LBB193_17
.LBB193_26:
	s_or_b32 exec_lo, exec_lo, s31
.LBB193_27:
	s_delay_alu instid0(SALU_CYCLE_1) | instskip(SKIP_1) | instid1(SALU_CYCLE_1)
	s_or_b32 exec_lo, exec_lo, s30
	s_sub_i32 s0, s7, s29
	s_cmp_lt_i32 s0, 1
	s_cbranch_scc1 .LBB193_45
; %bb.28:
	v_cmp_gt_i32_e32 vcc_lo, s7, v26
	v_dual_mov_b32 v11, 0 :: v_dual_mov_b32 v12, 0
	v_or_b32_e32 v2, 1, v26
	v_dual_mov_b32 v10, 0 :: v_dual_mov_b32 v9, 0
	s_and_saveexec_b32 s1, vcc_lo
	s_cbranch_execz .LBB193_36
; %bb.29:
	v_mad_u64_u32 v[3:4], null, v26, s20, 0
	v_dual_mov_b32 v12, 0 :: v_dual_mov_b32 v11, 0
	s_mov_b32 s2, exec_lo
	s_delay_alu instid0(VALU_DEP_2) | instskip(NEXT) | instid1(VALU_DEP_1)
	v_dual_mov_b32 v10, 0 :: v_dual_mov_b32 v1, v4
	v_mad_u64_u32 v[4:5], null, v26, s21, v[1:2]
	s_delay_alu instid0(VALU_DEP_1) | instskip(NEXT) | instid1(VALU_DEP_1)
	v_lshlrev_b64 v[3:4], 2, v[3:4]
	v_add_co_u32 v3, s0, s24, v3
	s_delay_alu instid0(VALU_DEP_1)
	v_add_co_ci_u32_e64 v4, s0, s25, v4, s0
	flat_load_b32 v9, v[3:4]
	v_cmpx_gt_i32_e64 s7, v2
	s_cbranch_execz .LBB193_35
; %bb.30:
	v_mad_u64_u32 v[3:4], null, v2, s20, 0
	v_mov_b32_e32 v11, 0
	s_mov_b32 s3, exec_lo
	s_delay_alu instid0(VALU_DEP_2) | instskip(NEXT) | instid1(VALU_DEP_1)
	v_dual_mov_b32 v12, 0 :: v_dual_mov_b32 v1, v4
	v_mad_u64_u32 v[4:5], null, v2, s21, v[1:2]
	v_or_b32_e32 v1, 2, v26
	s_delay_alu instid0(VALU_DEP_2) | instskip(NEXT) | instid1(VALU_DEP_1)
	v_lshlrev_b64 v[3:4], 2, v[3:4]
	v_add_co_u32 v3, s0, s24, v3
	s_delay_alu instid0(VALU_DEP_1)
	v_add_co_ci_u32_e64 v4, s0, s25, v4, s0
	flat_load_b32 v10, v[3:4]
	v_cmpx_gt_i32_e64 s7, v1
	s_cbranch_execz .LBB193_34
; %bb.31:
	v_mad_u64_u32 v[3:4], null, v1, s20, 0
	s_mov_b32 s4, exec_lo
	v_mov_b32_e32 v11, 0
	s_delay_alu instid0(VALU_DEP_2) | instskip(SKIP_1) | instid1(VALU_DEP_2)
	v_mad_u64_u32 v[5:6], null, v1, s21, v[4:5]
	v_or_b32_e32 v1, 3, v26
	v_mov_b32_e32 v4, v5
	s_delay_alu instid0(VALU_DEP_1) | instskip(NEXT) | instid1(VALU_DEP_1)
	v_lshlrev_b64 v[3:4], 2, v[3:4]
	v_add_co_u32 v3, s0, s24, v3
	s_delay_alu instid0(VALU_DEP_1)
	v_add_co_ci_u32_e64 v4, s0, s25, v4, s0
	flat_load_b32 v12, v[3:4]
	v_cmpx_gt_i32_e64 s7, v1
	s_cbranch_execz .LBB193_33
; %bb.32:
	v_mad_u64_u32 v[3:4], null, v1, s20, 0
	s_delay_alu instid0(VALU_DEP_1) | instskip(NEXT) | instid1(VALU_DEP_1)
	v_mad_u64_u32 v[5:6], null, v1, s21, v[4:5]
	v_mov_b32_e32 v4, v5
	s_delay_alu instid0(VALU_DEP_1) | instskip(NEXT) | instid1(VALU_DEP_1)
	v_lshlrev_b64 v[3:4], 2, v[3:4]
	v_add_co_u32 v3, s0, s24, v3
	s_delay_alu instid0(VALU_DEP_1)
	v_add_co_ci_u32_e64 v4, s0, s25, v4, s0
	flat_load_b32 v11, v[3:4]
.LBB193_33:
	s_or_b32 exec_lo, exec_lo, s4
.LBB193_34:
	s_delay_alu instid0(SALU_CYCLE_1)
	s_or_b32 exec_lo, exec_lo, s3
.LBB193_35:
	s_delay_alu instid0(SALU_CYCLE_1)
	s_or_b32 exec_lo, exec_lo, s2
.LBB193_36:
	s_delay_alu instid0(SALU_CYCLE_1) | instskip(NEXT) | instid1(SALU_CYCLE_1)
	s_or_b32 exec_lo, exec_lo, s1
	s_mov_b32 s1, exec_lo
	v_cmpx_gt_i32_e64 s6, v0
	s_cbranch_execz .LBB193_44
; %bb.37:
	v_mad_u64_u32 v[3:4], null, v26, s16, 0
	v_mad_u64_u32 v[5:6], null, v2, s16, 0
	v_or_b32_e32 v28, 2, v26
	v_ashrrev_i32_e32 v1, 31, v0
	v_or_b32_e32 v29, 3, v26
	v_cndmask_b32_e32 v3, 0, v3, vcc_lo
	s_delay_alu instid0(VALU_DEP_4)
	v_cmp_gt_i32_e64 s0, s7, v28
	v_mad_u64_u32 v[13:14], null, v26, s17, v[4:5]
	v_mad_u64_u32 v[14:15], null, v28, s16, 0
	v_lshlrev_b64 v[7:8], 2, v[0:1]
	v_mov_b32_e32 v1, v6
	v_mad_u64_u32 v[16:17], null, v29, s16, 0
	v_cndmask_b32_e32 v4, 0, v13, vcc_lo
	v_cmp_gt_i32_e32 vcc_lo, s7, v2
	s_delay_alu instid0(VALU_DEP_4)
	v_mad_u64_u32 v[26:27], null, v2, s17, v[1:2]
	v_mov_b32_e32 v1, v15
	v_cndmask_b32_e64 v13, 0, v14, s0
	v_mov_b32_e32 v6, v17
	v_cndmask_b32_e32 v2, 0, v5, vcc_lo
	v_lshlrev_b64 v[4:5], 2, v[3:4]
	s_delay_alu instid0(VALU_DEP_2) | instskip(NEXT) | instid1(VALU_DEP_1)
	v_mad_u64_u32 v[17:18], null, v28, s17, v[1:2]
	v_cndmask_b32_e64 v14, 0, v17, s0
	v_mad_u64_u32 v[17:18], null, v29, s17, v[6:7]
	v_cndmask_b32_e32 v3, 0, v26, vcc_lo
	v_add_co_u32 v1, vcc_lo, s18, v4
	v_add_co_ci_u32_e32 v5, vcc_lo, s19, v5, vcc_lo
	s_delay_alu instid0(VALU_DEP_3) | instskip(NEXT) | instid1(VALU_DEP_3)
	v_lshlrev_b64 v[3:4], 2, v[2:3]
	v_add_co_u32 v1, vcc_lo, v1, v7
	s_delay_alu instid0(VALU_DEP_3) | instskip(SKIP_1) | instid1(VALU_DEP_4)
	v_add_co_ci_u32_e32 v2, vcc_lo, v5, v8, vcc_lo
	v_lshlrev_b64 v[5:6], 2, v[13:14]
	v_add_co_u32 v3, vcc_lo, s18, v3
	v_add_co_ci_u32_e32 v4, vcc_lo, s19, v4, vcc_lo
	s_mov_b32 s0, exec_lo
	s_delay_alu instid0(VALU_DEP_2) | instskip(NEXT) | instid1(VALU_DEP_2)
	v_add_co_u32 v3, vcc_lo, v3, v7
	v_add_co_ci_u32_e32 v4, vcc_lo, v4, v8, vcc_lo
	s_clause 0x1
	flat_load_b32 v15, v[1:2]
	flat_load_b32 v18, v[3:4]
	v_cmp_gt_i32_e32 vcc_lo, s7, v29
	v_dual_cndmask_b32 v14, 0, v17 :: v_dual_cndmask_b32 v13, 0, v16
	v_add_co_u32 v5, vcc_lo, s18, v5
	v_add_co_ci_u32_e32 v6, vcc_lo, s19, v6, vcc_lo
	s_delay_alu instid0(VALU_DEP_2) | instskip(NEXT) | instid1(VALU_DEP_2)
	v_add_co_u32 v5, vcc_lo, v5, v7
	v_add_co_ci_u32_e32 v6, vcc_lo, v6, v8, vcc_lo
	flat_load_b32 v16, v[5:6]
	s_waitcnt vmcnt(2) lgkmcnt(2)
	v_fmac_f32_e32 v22, v9, v15
	v_lshlrev_b64 v[13:14], 2, v[13:14]
	s_waitcnt vmcnt(1) lgkmcnt(1)
	s_delay_alu instid0(VALU_DEP_2) | instskip(NEXT) | instid1(VALU_DEP_2)
	v_fmac_f32_e32 v22, v10, v18
	v_add_co_u32 v13, vcc_lo, s18, v13
	s_delay_alu instid0(VALU_DEP_3) | instskip(NEXT) | instid1(VALU_DEP_2)
	v_add_co_ci_u32_e32 v14, vcc_lo, s19, v14, vcc_lo
	v_add_co_u32 v7, vcc_lo, v13, v7
	s_delay_alu instid0(VALU_DEP_2)
	v_add_co_ci_u32_e32 v8, vcc_lo, v14, v8, vcc_lo
	v_add_nc_u32_e32 v14, 64, v0
	flat_load_b32 v13, v[7:8]
	s_waitcnt vmcnt(1) lgkmcnt(1)
	v_fmac_f32_e32 v22, v12, v16
	v_cmpx_gt_i32_e64 s6, v14
	s_cbranch_execz .LBB193_43
; %bb.38:
	s_clause 0x3
	flat_load_b32 v15, v[1:2] offset:256
	flat_load_b32 v16, v[3:4] offset:256
	;; [unrolled: 1-line block ×4, first 2 shown]
	s_mov_b32 s2, exec_lo
	s_waitcnt vmcnt(3) lgkmcnt(3)
	v_fmac_f32_e32 v23, v9, v15
	v_add_nc_u32_e32 v15, 0x80, v0
	s_waitcnt vmcnt(2) lgkmcnt(2)
	s_delay_alu instid0(VALU_DEP_2) | instskip(SKIP_1) | instid1(VALU_DEP_1)
	v_fmac_f32_e32 v23, v10, v16
	s_waitcnt vmcnt(1) lgkmcnt(1)
	v_fmac_f32_e32 v23, v12, v17
	v_cmpx_gt_i32_e64 s6, v15
	s_cbranch_execz .LBB193_42
; %bb.39:
	s_clause 0x3
	flat_load_b32 v16, v[1:2] offset:512
	flat_load_b32 v17, v[3:4] offset:512
	flat_load_b32 v18, v[5:6] offset:512
	flat_load_b32 v15, v[7:8] offset:512
	v_add_nc_u32_e32 v0, 0xc0, v0
	s_mov_b32 s3, exec_lo
	s_waitcnt vmcnt(3) lgkmcnt(3)
	v_fmac_f32_e32 v24, v9, v16
	s_waitcnt vmcnt(2) lgkmcnt(2)
	s_delay_alu instid0(VALU_DEP_1) | instskip(SKIP_1) | instid1(VALU_DEP_1)
	v_fmac_f32_e32 v24, v10, v17
	s_waitcnt vmcnt(1) lgkmcnt(1)
	v_fmac_f32_e32 v24, v12, v18
	v_cmpx_gt_i32_e64 s6, v0
	s_cbranch_execz .LBB193_41
; %bb.40:
	s_clause 0x3
	flat_load_b32 v0, v[1:2] offset:768
	flat_load_b32 v1, v[3:4] offset:768
	;; [unrolled: 1-line block ×4, first 2 shown]
	s_waitcnt vmcnt(3) lgkmcnt(3)
	v_fmac_f32_e32 v25, v9, v0
	s_waitcnt vmcnt(2) lgkmcnt(2)
	s_delay_alu instid0(VALU_DEP_1) | instskip(SKIP_1) | instid1(VALU_DEP_1)
	v_fmac_f32_e32 v25, v10, v1
	s_waitcnt vmcnt(1) lgkmcnt(1)
	v_fmac_f32_e32 v25, v12, v2
	s_waitcnt vmcnt(0) lgkmcnt(0)
	s_delay_alu instid0(VALU_DEP_1)
	v_fmac_f32_e32 v25, v11, v3
.LBB193_41:
	s_or_b32 exec_lo, exec_lo, s3
	s_waitcnt vmcnt(0) lgkmcnt(0)
	v_fmac_f32_e32 v24, v11, v15
.LBB193_42:
	s_or_b32 exec_lo, exec_lo, s2
	s_waitcnt vmcnt(0) lgkmcnt(0)
	v_fmac_f32_e32 v23, v11, v14
.LBB193_43:
	s_or_b32 exec_lo, exec_lo, s0
	s_waitcnt vmcnt(0) lgkmcnt(0)
	v_fmac_f32_e32 v22, v11, v13
.LBB193_44:
	s_or_b32 exec_lo, exec_lo, s1
.LBB193_45:
	v_lshlrev_b32_e32 v0, 8, v21
	s_mov_b32 s0, exec_lo
                                        ; implicit-def: $vgpr1
                                        ; implicit-def: $vgpr2_vgpr3
	s_delay_alu instid0(VALU_DEP_1)
	v_add_lshl_u32 v0, v0, v20, 2
	ds_store_2addr_stride64_b32 v0, v22, v23 offset1:1
	ds_store_2addr_stride64_b32 v0, v24, v25 offset0:2 offset1:3
	s_waitcnt vmcnt(0) lgkmcnt(0)
	s_barrier
	buffer_gl0_inv
	v_cmpx_gt_u32_e32 0x100, v19
	s_cbranch_execz .LBB193_51
; %bb.46:
	v_lshlrev_b32_e32 v5, 2, v19
	v_or_b32_e32 v4, s28, v19
	s_mov_b32 s2, s23
	s_mov_b32 s1, exec_lo
	ds_load_2addr_stride64_b32 v[0:1], v5 offset1:4
	ds_load_2addr_stride64_b32 v[2:3], v5 offset0:8 offset1:12
	s_waitcnt lgkmcnt(1)
	v_add_f32_e32 v0, v0, v1
                                        ; implicit-def: $vgpr1
	s_waitcnt lgkmcnt(0)
	s_delay_alu instid0(VALU_DEP_1) | instskip(NEXT) | instid1(VALU_DEP_1)
	v_add_f32_e32 v0, v2, v0
	v_add_f32_e32 v0, v3, v0
                                        ; implicit-def: $vgpr2_vgpr3
	ds_store_b32 v5, v0
	v_cmpx_gt_i32_e64 s6, v4
	s_cbranch_execz .LBB193_50
; %bb.47:
	v_ashrrev_i32_e32 v1, 31, v4
	v_mul_lo_u32 v5, v4, s13
	v_mad_u64_u32 v[2:3], null, v4, s12, 0
	v_cmp_eq_f32_e64 s2, s26, 0
	s_delay_alu instid0(VALU_DEP_4) | instskip(SKIP_1) | instid1(VALU_DEP_3)
	v_mul_lo_u32 v4, v1, s12
	v_mul_f32_e32 v1, s27, v0
	s_and_b32 vcc_lo, exec_lo, s2
	s_delay_alu instid0(VALU_DEP_2)
	v_add3_u32 v3, v3, v5, v4
	s_cbranch_vccnz .LBB193_49
; %bb.48:
	s_delay_alu instid0(VALU_DEP_1) | instskip(NEXT) | instid1(VALU_DEP_1)
	v_lshlrev_b64 v[4:5], 2, v[2:3]
	v_add_co_u32 v4, vcc_lo, s5, v4
	s_delay_alu instid0(VALU_DEP_2)
	v_add_co_ci_u32_e32 v5, vcc_lo, s22, v5, vcc_lo
	global_load_b32 v0, v[4:5], off
	s_waitcnt vmcnt(0)
	v_fmac_f32_e32 v1, s26, v0
.LBB193_49:
	s_or_b32 s2, s23, exec_lo
.LBB193_50:
	s_or_b32 exec_lo, exec_lo, s1
	s_delay_alu instid0(SALU_CYCLE_1) | instskip(SKIP_1) | instid1(SALU_CYCLE_1)
	s_and_not1_b32 s1, s23, exec_lo
	s_and_b32 s2, s2, exec_lo
	s_or_b32 s23, s1, s2
.LBB193_51:
	s_or_b32 exec_lo, exec_lo, s0
.LBB193_52:
	s_and_saveexec_b32 s0, s23
	s_cbranch_execz .LBB193_54
; %bb.53:
	v_lshlrev_b64 v[2:3], 2, v[2:3]
	s_delay_alu instid0(VALU_DEP_1) | instskip(NEXT) | instid1(VALU_DEP_2)
	v_add_co_u32 v2, vcc_lo, s5, v2
	v_add_co_ci_u32_e32 v3, vcc_lo, s22, v3, vcc_lo
	global_store_b32 v[2:3], v1, off
.LBB193_54:
	s_nop 0
	s_sendmsg sendmsg(MSG_DEALLOC_VGPRS)
	s_endpgm
	.section	.rodata,"a",@progbits
	.p2align	6, 0x0
	.amdhsa_kernel _ZL20rocblas_gemvn_kernelILi64ELi4ElPKfS1_KPfEviiT3_lPKT2_lT1_lS7_lS8_lS4_lPT4_lS8_li
		.amdhsa_group_segment_fixed_size 4096
		.amdhsa_private_segment_fixed_size 0
		.amdhsa_kernarg_size 400
		.amdhsa_user_sgpr_count 14
		.amdhsa_user_sgpr_dispatch_ptr 0
		.amdhsa_user_sgpr_queue_ptr 0
		.amdhsa_user_sgpr_kernarg_segment_ptr 1
		.amdhsa_user_sgpr_dispatch_id 0
		.amdhsa_user_sgpr_private_segment_size 0
		.amdhsa_wavefront_size32 1
		.amdhsa_uses_dynamic_stack 0
		.amdhsa_enable_private_segment 0
		.amdhsa_system_sgpr_workgroup_id_x 1
		.amdhsa_system_sgpr_workgroup_id_y 0
		.amdhsa_system_sgpr_workgroup_id_z 1
		.amdhsa_system_sgpr_workgroup_info 0
		.amdhsa_system_vgpr_workitem_id 1
		.amdhsa_next_free_vgpr 51
		.amdhsa_next_free_sgpr 35
		.amdhsa_reserve_vcc 1
		.amdhsa_float_round_mode_32 0
		.amdhsa_float_round_mode_16_64 0
		.amdhsa_float_denorm_mode_32 3
		.amdhsa_float_denorm_mode_16_64 3
		.amdhsa_dx10_clamp 1
		.amdhsa_ieee_mode 1
		.amdhsa_fp16_overflow 0
		.amdhsa_workgroup_processor_mode 1
		.amdhsa_memory_ordered 1
		.amdhsa_forward_progress 0
		.amdhsa_shared_vgpr_count 0
		.amdhsa_exception_fp_ieee_invalid_op 0
		.amdhsa_exception_fp_denorm_src 0
		.amdhsa_exception_fp_ieee_div_zero 0
		.amdhsa_exception_fp_ieee_overflow 0
		.amdhsa_exception_fp_ieee_underflow 0
		.amdhsa_exception_fp_ieee_inexact 0
		.amdhsa_exception_int_div_zero 0
	.end_amdhsa_kernel
	.section	.text._ZL20rocblas_gemvn_kernelILi64ELi4ElPKfS1_KPfEviiT3_lPKT2_lT1_lS7_lS8_lS4_lPT4_lS8_li,"axG",@progbits,_ZL20rocblas_gemvn_kernelILi64ELi4ElPKfS1_KPfEviiT3_lPKT2_lT1_lS7_lS8_lS4_lPT4_lS8_li,comdat
.Lfunc_end193:
	.size	_ZL20rocblas_gemvn_kernelILi64ELi4ElPKfS1_KPfEviiT3_lPKT2_lT1_lS7_lS8_lS4_lPT4_lS8_li, .Lfunc_end193-_ZL20rocblas_gemvn_kernelILi64ELi4ElPKfS1_KPfEviiT3_lPKT2_lT1_lS7_lS8_lS4_lPT4_lS8_li
                                        ; -- End function
	.section	.AMDGPU.csdata,"",@progbits
; Kernel info:
; codeLenInByte = 3268
; NumSgprs: 37
; NumVgprs: 51
; ScratchSize: 0
; MemoryBound: 0
; FloatMode: 240
; IeeeMode: 1
; LDSByteSize: 4096 bytes/workgroup (compile time only)
; SGPRBlocks: 4
; VGPRBlocks: 6
; NumSGPRsForWavesPerEU: 37
; NumVGPRsForWavesPerEU: 51
; Occupancy: 16
; WaveLimiterHint : 1
; COMPUTE_PGM_RSRC2:SCRATCH_EN: 0
; COMPUTE_PGM_RSRC2:USER_SGPR: 14
; COMPUTE_PGM_RSRC2:TRAP_HANDLER: 0
; COMPUTE_PGM_RSRC2:TGID_X_EN: 1
; COMPUTE_PGM_RSRC2:TGID_Y_EN: 0
; COMPUTE_PGM_RSRC2:TGID_Z_EN: 1
; COMPUTE_PGM_RSRC2:TIDIG_COMP_CNT: 1
	.section	.text._ZL20rocblas_gemvn_kernelILi64ELi4EiPKffKPfEviiT3_lPKT2_lT1_lS7_lS8_lS4_lPT4_lS8_li,"axG",@progbits,_ZL20rocblas_gemvn_kernelILi64ELi4EiPKffKPfEviiT3_lPKT2_lT1_lS7_lS8_lS4_lPT4_lS8_li,comdat
	.globl	_ZL20rocblas_gemvn_kernelILi64ELi4EiPKffKPfEviiT3_lPKT2_lT1_lS7_lS8_lS4_lPT4_lS8_li ; -- Begin function _ZL20rocblas_gemvn_kernelILi64ELi4EiPKffKPfEviiT3_lPKT2_lT1_lS7_lS8_lS4_lPT4_lS8_li
	.p2align	8
	.type	_ZL20rocblas_gemvn_kernelILi64ELi4EiPKffKPfEviiT3_lPKT2_lT1_lS7_lS8_lS4_lPT4_lS8_li,@function
_ZL20rocblas_gemvn_kernelILi64ELi4EiPKffKPfEviiT3_lPKT2_lT1_lS7_lS8_lS4_lPT4_lS8_li: ; @_ZL20rocblas_gemvn_kernelILi64ELi4EiPKffKPfEviiT3_lPKT2_lT1_lS7_lS8_lS4_lPT4_lS8_li
; %bb.0:
	s_load_b64 s[4:5], s[0:1], 0x9c
	s_waitcnt lgkmcnt(0)
	s_lshr_b32 s3, s4, 16
	s_and_b32 s4, s4, 0xffff
	s_and_b32 s5, s5, 0xffff
	s_mul_i32 s3, s3, s4
	s_delay_alu instid0(SALU_CYCLE_1) | instskip(NEXT) | instid1(SALU_CYCLE_1)
	s_mul_i32 s3, s3, s5
	s_cmpk_lg_i32 s3, 0x100
	s_cbranch_scc1 .LBB194_57
; %bb.1:
	s_load_b128 s[4:7], s[0:1], 0x0
	s_waitcnt lgkmcnt(0)
	s_load_b32 s7, s[0:1], 0x58
	v_cmp_eq_f32_e64 s12, s6, 0
	s_waitcnt lgkmcnt(0)
	v_cmp_eq_f32_e64 s3, s7, 1.0
	s_delay_alu instid0(VALU_DEP_1) | instskip(NEXT) | instid1(SALU_CYCLE_1)
	s_and_b32 s3, s12, s3
	s_and_b32 vcc_lo, exec_lo, s3
	s_cbranch_vccnz .LBB194_57
; %bb.2:
	v_cmp_neq_f32_e64 s10, s6, 0
	s_mov_b32 s2, s15
	s_delay_alu instid0(VALU_DEP_1)
	s_and_b32 vcc_lo, exec_lo, s10
	s_cbranch_vccnz .LBB194_4
; %bb.3:
	s_mov_b32 s3, 0
	s_mov_b64 s[8:9], 0
	s_cbranch_execz .LBB194_5
	s_branch .LBB194_6
.LBB194_4:
	s_mov_b32 s3, -1
                                        ; implicit-def: $sgpr8_sgpr9
.LBB194_5:
	s_load_b128 s[16:19], s[0:1], 0x18
	s_mov_b32 s3, 0
	s_delay_alu instid0(SALU_CYCLE_1)
	s_lshl_b64 s[8:9], s[2:3], 3
	s_waitcnt lgkmcnt(0)
	s_add_u32 s8, s16, s8
	s_addc_u32 s9, s17, s9
	s_lshl_b64 s[16:17], s[18:19], 2
	s_load_b64 s[8:9], s[8:9], 0x0
	s_waitcnt lgkmcnt(0)
	s_add_u32 s8, s8, s16
	s_addc_u32 s9, s9, s17
.LBB194_6:
	s_and_not1_b32 vcc_lo, exec_lo, s10
	s_cbranch_vccnz .LBB194_8
; %bb.7:
	s_load_b128 s[16:19], s[0:1], 0x38
	s_lshl_b64 s[10:11], s[2:3], 3
	s_waitcnt lgkmcnt(0)
	s_add_u32 s10, s16, s10
	s_addc_u32 s11, s17, s11
	s_lshl_b64 s[16:17], s[18:19], 2
	s_load_b64 s[10:11], s[10:11], 0x0
	s_waitcnt lgkmcnt(0)
	s_add_u32 s10, s10, s16
	s_addc_u32 s11, s11, s17
	s_branch .LBB194_9
.LBB194_8:
	s_mov_b64 s[10:11], 0
.LBB194_9:
	s_clause 0x1
	s_load_b128 s[20:23], s[0:1], 0x68
	s_load_b32 s16, s[0:1], 0x78
	s_lshl_b64 s[2:3], s[2:3], 3
	v_and_b32_e32 v1, 0x3ff, v0
	v_bfe_u32 v13, v0, 10, 10
	s_delay_alu instid0(VALU_DEP_1)
	v_lshl_add_u32 v0, v13, 6, v1
	s_waitcnt lgkmcnt(0)
	s_add_u32 s2, s20, s2
	s_addc_u32 s3, s21, s3
	s_lshl_b64 s[20:21], s[22:23], 2
	s_load_b64 s[18:19], s[2:3], 0x0
	v_cmp_gt_u32_e64 s2, 0x100, v0
	s_waitcnt lgkmcnt(0)
	s_add_u32 s13, s18, s20
	s_addc_u32 s15, s19, s21
	s_and_not1_b32 vcc_lo, exec_lo, s12
	s_cbranch_vccnz .LBB194_16
; %bb.10:
	s_mov_b32 s3, 0
	s_mov_b32 s17, 0
                                        ; implicit-def: $vgpr3
                                        ; implicit-def: $vgpr4_vgpr5
	s_and_saveexec_b32 s12, s2
	s_cbranch_execz .LBB194_17
; %bb.11:
	v_lshl_or_b32 v2, s14, 8, v0
	v_mov_b32_e32 v3, 0
	s_ashr_i32 s19, s4, 31
	s_mov_b32 s18, s4
	s_mov_b32 s2, exec_lo
                                        ; implicit-def: $vgpr4_vgpr5
	s_delay_alu instid0(VALU_DEP_1)
	v_cmpx_gt_i64_e64 s[18:19], v[2:3]
	s_cbranch_execz .LBB194_15
; %bb.12:
	v_mad_u64_u32 v[4:5], null, s16, v2, 0
	s_ashr_i32 s17, s16, 31
	s_delay_alu instid0(VALU_DEP_1) | instid1(SALU_CYCLE_1)
	v_mad_u64_u32 v[6:7], null, s17, v2, v[5:6]
	v_cmp_eq_f32_e64 s17, s7, 0
	s_delay_alu instid0(VALU_DEP_1) | instskip(NEXT) | instid1(VALU_DEP_2)
	s_and_b32 vcc_lo, exec_lo, s17
	v_mov_b32_e32 v5, v6
	s_cbranch_vccnz .LBB194_14
; %bb.13:
	s_delay_alu instid0(VALU_DEP_1) | instskip(NEXT) | instid1(VALU_DEP_1)
	v_lshlrev_b64 v[2:3], 2, v[4:5]
	v_add_co_u32 v2, vcc_lo, s13, v2
	s_delay_alu instid0(VALU_DEP_2)
	v_add_co_ci_u32_e32 v3, vcc_lo, s15, v3, vcc_lo
	global_load_b32 v2, v[2:3], off
	s_waitcnt vmcnt(0)
	v_mul_f32_e32 v3, s7, v2
.LBB194_14:
	s_mov_b32 s17, exec_lo
.LBB194_15:
	s_or_b32 exec_lo, exec_lo, s2
	s_delay_alu instid0(SALU_CYCLE_1) | instskip(SKIP_1) | instid1(SALU_CYCLE_1)
	s_and_b32 s17, s17, exec_lo
	s_or_b32 exec_lo, exec_lo, s12
	s_and_b32 vcc_lo, exec_lo, s3
	s_cbranch_vccnz .LBB194_18
	s_branch .LBB194_55
.LBB194_16:
	s_mov_b32 s17, 0
                                        ; implicit-def: $vgpr3
                                        ; implicit-def: $vgpr4_vgpr5
	s_cbranch_execnz .LBB194_18
	s_branch .LBB194_55
.LBB194_17:
	s_or_b32 exec_lo, exec_lo, s12
	s_delay_alu instid0(SALU_CYCLE_1)
	s_and_b32 vcc_lo, exec_lo, s3
	s_cbranch_vccz .LBB194_55
.LBB194_18:
	s_clause 0x1
	s_load_b32 s18, s[0:1], 0x28
	s_load_b32 s12, s[0:1], 0x48
	s_ashr_i32 s0, s5, 31
	s_lshl_b32 s14, s14, 8
	s_lshr_b32 s0, s0, 28
	v_dual_mov_b32 v14, 0 :: v_dual_lshlrev_b32 v19, 2, v13
	v_dual_mov_b32 v15, 0 :: v_dual_add_nc_u32 v18, s14, v1
	v_dual_mov_b32 v16, 0 :: v_dual_mov_b32 v17, 0
	s_add_i32 s0, s5, s0
	s_mov_b32 s20, exec_lo
	s_and_b32 s19, s0, -16
	s_delay_alu instid0(SALU_CYCLE_1)
	v_cmpx_gt_i32_e64 s19, v19
	s_cbranch_execz .LBB194_30
; %bb.19:
	s_waitcnt lgkmcnt(0)
	v_mul_lo_u32 v3, s18, v19
	v_dual_mov_b32 v15, 0 :: v_dual_add_nc_u32 v2, 64, v18
	v_add_nc_u32_e32 v6, 2, v19
	v_dual_mov_b32 v14, 0 :: v_dual_add_nc_u32 v5, 0xc0, v18
	s_delay_alu instid0(VALU_DEP_3)
	v_cmp_gt_i32_e64 s0, s4, v2
	v_dual_mov_b32 v17, 0 :: v_dual_add_nc_u32 v4, 0x80, v18
	v_add3_u32 v20, v3, s18, v1
	v_mad_u64_u32 v[2:3], null, s18, v6, v[1:2]
	v_cmp_gt_i32_e64 s2, s4, v5
	v_mul_lo_u32 v5, v13, s18
	v_dual_mov_b32 v16, 0 :: v_dual_add_nc_u32 v7, 3, v19
	v_mul_lo_u32 v8, v13, s12
	v_cmp_gt_i32_e64 s1, s4, v4
	v_mul_lo_u32 v22, s12, v6
	s_delay_alu instid0(VALU_DEP_4)
	v_mad_u64_u32 v[3:4], null, s18, v7, v[1:2]
	v_lshl_add_u32 v21, v5, 2, v1
	v_mad_u64_u32 v[4:5], null, s12, v19, s[12:13]
	v_mul_lo_u32 v23, s12, v7
	v_cmp_gt_i32_e32 vcc_lo, s4, v18
	v_lshlrev_b32_e32 v24, 2, v8
	s_lshl_b32 s21, s18, 4
	s_lshl_b32 s23, s12, 4
	s_mov_b32 s22, 0
	s_mov_b32 s24, 0
	s_branch .LBB194_24
.LBB194_20:                             ;   in Loop: Header=BB194_24 Depth=1
	s_or_b32 exec_lo, exec_lo, s27
	s_waitcnt vmcnt(3) lgkmcnt(3)
	v_fmac_f32_e32 v16, v28, v40
	s_waitcnt vmcnt(2) lgkmcnt(2)
	s_delay_alu instid0(VALU_DEP_1) | instskip(SKIP_1) | instid1(VALU_DEP_1)
	v_fmac_f32_e32 v16, v27, v39
	s_waitcnt vmcnt(1) lgkmcnt(1)
	v_fmac_f32_e32 v16, v26, v38
	s_waitcnt vmcnt(0) lgkmcnt(0)
	s_delay_alu instid0(VALU_DEP_1)
	v_fmac_f32_e32 v16, v25, v37
.LBB194_21:                             ;   in Loop: Header=BB194_24 Depth=1
	s_or_b32 exec_lo, exec_lo, s26
	s_waitcnt vmcnt(3) lgkmcnt(3)
	v_fmac_f32_e32 v15, v28, v36
	s_waitcnt vmcnt(2) lgkmcnt(2)
	s_delay_alu instid0(VALU_DEP_1) | instskip(SKIP_1) | instid1(VALU_DEP_1)
	v_fmac_f32_e32 v15, v27, v35
	s_waitcnt vmcnt(1) lgkmcnt(1)
	v_fmac_f32_e32 v15, v26, v34
	s_waitcnt vmcnt(0) lgkmcnt(0)
	s_delay_alu instid0(VALU_DEP_1)
	v_fmac_f32_e32 v15, v25, v33
.LBB194_22:                             ;   in Loop: Header=BB194_24 Depth=1
	s_or_b32 exec_lo, exec_lo, s3
	s_waitcnt vmcnt(3) lgkmcnt(3)
	v_fmac_f32_e32 v14, v28, v32
	s_waitcnt vmcnt(2) lgkmcnt(2)
	s_delay_alu instid0(VALU_DEP_1) | instskip(SKIP_1) | instid1(VALU_DEP_1)
	v_fmac_f32_e32 v14, v27, v30
	s_waitcnt vmcnt(1) lgkmcnt(1)
	v_fmac_f32_e32 v14, v26, v29
	s_waitcnt vmcnt(0) lgkmcnt(0)
	s_delay_alu instid0(VALU_DEP_1)
	v_fmac_f32_e32 v14, v25, v31
.LBB194_23:                             ;   in Loop: Header=BB194_24 Depth=1
	s_or_b32 exec_lo, exec_lo, s25
	v_add_nc_u32_e32 v19, 16, v19
	v_add_nc_u32_e32 v20, s21, v20
	;; [unrolled: 1-line block ×5, first 2 shown]
	v_cmp_le_i32_e64 s3, s19, v19
	s_add_i32 s24, s24, s23
	s_delay_alu instid0(VALU_DEP_1) | instskip(NEXT) | instid1(SALU_CYCLE_1)
	s_or_b32 s22, s3, s22
	s_and_not1_b32 exec_lo, exec_lo, s22
	s_cbranch_execz .LBB194_29
.LBB194_24:                             ; =>This Inner Loop Header: Depth=1
	s_and_saveexec_b32 s25, vcc_lo
	s_cbranch_execz .LBB194_23
; %bb.25:                               ;   in Loop: Header=BB194_24 Depth=1
	v_add_nc_u32_e32 v5, s24, v24
	v_add_nc_u32_e32 v7, s24, v4
	;; [unrolled: 1-line block ×5, first 2 shown]
	v_ashrrev_i32_e32 v6, 31, v5
	v_ashrrev_i32_e32 v8, 31, v7
	;; [unrolled: 1-line block ×5, first 2 shown]
	v_lshlrev_b64 v[5:6], 2, v[5:6]
	v_lshlrev_b64 v[7:8], 2, v[7:8]
	;; [unrolled: 1-line block ×3, first 2 shown]
	s_delay_alu instid0(VALU_DEP_3) | instskip(NEXT) | instid1(VALU_DEP_1)
	v_add_co_u32 v27, s3, s10, v5
	v_add_co_ci_u32_e64 v28, s3, s11, v6, s3
	s_delay_alu instid0(VALU_DEP_4)
	v_add_co_u32 v29, s3, s10, v7
	v_add_nc_u32_e32 v7, s14, v20
	v_add_co_ci_u32_e64 v30, s3, s11, v8, s3
	v_lshlrev_b64 v[5:6], 2, v[11:12]
	v_add_co_u32 v31, s3, s10, v9
	v_add_nc_u32_e32 v11, s14, v2
	v_add_co_ci_u32_e64 v32, s3, s11, v10, s3
	v_lshlrev_b64 v[9:10], 2, v[25:26]
	v_ashrrev_i32_e32 v8, 31, v7
	v_add_nc_u32_e32 v25, s14, v3
	v_add_co_u32 v33, s3, s10, v5
	v_ashrrev_i32_e32 v12, 31, v11
	v_add_co_ci_u32_e64 v34, s3, s11, v6, s3
	v_lshlrev_b64 v[7:8], 2, v[7:8]
	v_add_co_u32 v5, s3, s8, v9
	v_ashrrev_i32_e32 v26, 31, v25
	v_add_co_ci_u32_e64 v6, s3, s9, v10, s3
	v_lshlrev_b64 v[9:10], 2, v[11:12]
	v_add_co_u32 v7, s3, s8, v7
	s_delay_alu instid0(VALU_DEP_4) | instskip(SKIP_1) | instid1(VALU_DEP_4)
	v_lshlrev_b64 v[25:26], 2, v[25:26]
	v_add_co_ci_u32_e64 v8, s3, s9, v8, s3
	v_add_co_u32 v11, s3, s8, v9
	s_delay_alu instid0(VALU_DEP_1) | instskip(NEXT) | instid1(VALU_DEP_4)
	v_add_co_ci_u32_e64 v12, s3, s9, v10, s3
	v_add_co_u32 v9, s3, s8, v25
	s_delay_alu instid0(VALU_DEP_1)
	v_add_co_ci_u32_e64 v10, s3, s9, v26, s3
	s_clause 0x3
	flat_load_b32 v28, v[27:28]
	flat_load_b32 v27, v[29:30]
	;; [unrolled: 1-line block ×4, first 2 shown]
	s_clause 0x3
	flat_load_b32 v32, v[5:6]
	flat_load_b32 v30, v[7:8]
	;; [unrolled: 1-line block ×4, first 2 shown]
	s_and_saveexec_b32 s3, s0
	s_cbranch_execz .LBB194_22
; %bb.26:                               ;   in Loop: Header=BB194_24 Depth=1
	s_clause 0x3
	flat_load_b32 v36, v[5:6] offset:256
	flat_load_b32 v35, v[7:8] offset:256
	flat_load_b32 v34, v[11:12] offset:256
	flat_load_b32 v33, v[9:10] offset:256
	s_and_saveexec_b32 s26, s1
	s_cbranch_execz .LBB194_21
; %bb.27:                               ;   in Loop: Header=BB194_24 Depth=1
	s_clause 0x3
	flat_load_b32 v40, v[5:6] offset:512
	flat_load_b32 v39, v[7:8] offset:512
	flat_load_b32 v38, v[11:12] offset:512
	flat_load_b32 v37, v[9:10] offset:512
	s_and_saveexec_b32 s27, s2
	s_cbranch_execz .LBB194_20
; %bb.28:                               ;   in Loop: Header=BB194_24 Depth=1
	s_clause 0x3
	flat_load_b32 v5, v[5:6] offset:768
	flat_load_b32 v6, v[7:8] offset:768
	flat_load_b32 v7, v[11:12] offset:768
	flat_load_b32 v8, v[9:10] offset:768
	s_waitcnt vmcnt(3) lgkmcnt(3)
	v_fmac_f32_e32 v17, v28, v5
	s_waitcnt vmcnt(2) lgkmcnt(2)
	s_delay_alu instid0(VALU_DEP_1) | instskip(SKIP_1) | instid1(VALU_DEP_1)
	v_fmac_f32_e32 v17, v27, v6
	s_waitcnt vmcnt(1) lgkmcnt(1)
	v_fmac_f32_e32 v17, v26, v7
	s_waitcnt vmcnt(0) lgkmcnt(0)
	s_delay_alu instid0(VALU_DEP_1)
	v_fmac_f32_e32 v17, v25, v8
	s_branch .LBB194_20
.LBB194_29:
	s_or_b32 exec_lo, exec_lo, s22
.LBB194_30:
	s_delay_alu instid0(SALU_CYCLE_1) | instskip(SKIP_1) | instid1(SALU_CYCLE_1)
	s_or_b32 exec_lo, exec_lo, s20
	s_sub_i32 s0, s5, s19
	s_cmp_lt_i32 s0, 1
	s_cbranch_scc1 .LBB194_48
; %bb.31:
	v_cmp_gt_i32_e32 vcc_lo, s5, v19
	v_dual_mov_b32 v12, 0 :: v_dual_mov_b32 v11, 0
	v_or_b32_e32 v2, 1, v19
	v_mov_b32_e32 v20, 0
	v_mov_b32_e32 v10, 0
	s_and_saveexec_b32 s1, vcc_lo
	s_cbranch_execz .LBB194_39
; %bb.32:
	s_waitcnt lgkmcnt(0)
	v_mul_lo_u32 v3, v19, s12
	v_dual_mov_b32 v11, 0 :: v_dual_mov_b32 v20, 0
	v_mov_b32_e32 v12, 0
	s_mov_b32 s2, exec_lo
	s_delay_alu instid0(VALU_DEP_3) | instskip(NEXT) | instid1(VALU_DEP_1)
	v_ashrrev_i32_e32 v4, 31, v3
	v_lshlrev_b64 v[3:4], 2, v[3:4]
	s_delay_alu instid0(VALU_DEP_1) | instskip(NEXT) | instid1(VALU_DEP_1)
	v_add_co_u32 v3, s0, s10, v3
	v_add_co_ci_u32_e64 v4, s0, s11, v4, s0
	flat_load_b32 v10, v[3:4]
	v_cmpx_gt_i32_e64 s5, v2
	s_cbranch_execz .LBB194_38
; %bb.33:
	v_mul_lo_u32 v3, v2, s12
	v_mov_b32_e32 v20, 0
	v_mov_b32_e32 v12, 0
	s_mov_b32 s3, exec_lo
	s_delay_alu instid0(VALU_DEP_3) | instskip(NEXT) | instid1(VALU_DEP_1)
	v_ashrrev_i32_e32 v4, 31, v3
	v_lshlrev_b64 v[3:4], 2, v[3:4]
	s_delay_alu instid0(VALU_DEP_1) | instskip(NEXT) | instid1(VALU_DEP_1)
	v_add_co_u32 v3, s0, s10, v3
	v_add_co_ci_u32_e64 v4, s0, s11, v4, s0
	flat_load_b32 v11, v[3:4]
	v_or_b32_e32 v3, 2, v19
	s_delay_alu instid0(VALU_DEP_1)
	v_cmpx_gt_i32_e64 s5, v3
	s_cbranch_execz .LBB194_37
; %bb.34:
	v_mul_lo_u32 v3, v3, s12
	v_mov_b32_e32 v12, 0
	s_mov_b32 s19, exec_lo
	s_delay_alu instid0(VALU_DEP_2) | instskip(NEXT) | instid1(VALU_DEP_1)
	v_ashrrev_i32_e32 v4, 31, v3
	v_lshlrev_b64 v[3:4], 2, v[3:4]
	s_delay_alu instid0(VALU_DEP_1) | instskip(NEXT) | instid1(VALU_DEP_1)
	v_add_co_u32 v3, s0, s10, v3
	v_add_co_ci_u32_e64 v4, s0, s11, v4, s0
	flat_load_b32 v20, v[3:4]
	v_or_b32_e32 v3, 3, v19
	s_delay_alu instid0(VALU_DEP_1)
	v_cmpx_gt_i32_e64 s5, v3
	s_cbranch_execz .LBB194_36
; %bb.35:
	v_mul_lo_u32 v3, v3, s12
	s_delay_alu instid0(VALU_DEP_1) | instskip(NEXT) | instid1(VALU_DEP_1)
	v_ashrrev_i32_e32 v4, 31, v3
	v_lshlrev_b64 v[3:4], 2, v[3:4]
	s_delay_alu instid0(VALU_DEP_1) | instskip(NEXT) | instid1(VALU_DEP_1)
	v_add_co_u32 v3, s0, s10, v3
	v_add_co_ci_u32_e64 v4, s0, s11, v4, s0
	flat_load_b32 v12, v[3:4]
.LBB194_36:
	s_or_b32 exec_lo, exec_lo, s19
.LBB194_37:
	s_delay_alu instid0(SALU_CYCLE_1)
	s_or_b32 exec_lo, exec_lo, s3
.LBB194_38:
	s_delay_alu instid0(SALU_CYCLE_1)
	s_or_b32 exec_lo, exec_lo, s2
.LBB194_39:
	s_delay_alu instid0(SALU_CYCLE_1) | instskip(NEXT) | instid1(SALU_CYCLE_1)
	s_or_b32 exec_lo, exec_lo, s1
	s_mov_b32 s1, exec_lo
	v_cmpx_gt_i32_e64 s4, v18
	s_cbranch_execz .LBB194_47
; %bb.40:
	s_waitcnt lgkmcnt(0)
	v_mul_lo_u32 v3, v19, s18
	v_mul_lo_u32 v5, v2, s18
	v_or_b32_e32 v4, 2, v19
	v_or_b32_e32 v6, 3, v19
	s_mov_b32 s0, exec_lo
	s_delay_alu instid0(VALU_DEP_2)
	v_mul_lo_u32 v7, v4, s18
	v_cndmask_b32_e32 v3, 0, v3, vcc_lo
	v_cmp_gt_i32_e32 vcc_lo, s5, v2
	v_mul_lo_u32 v8, v6, s18
	v_cndmask_b32_e32 v5, 0, v5, vcc_lo
	v_cmp_gt_i32_e32 vcc_lo, s5, v4
	s_delay_alu instid0(VALU_DEP_2) | instskip(SKIP_2) | instid1(VALU_DEP_3)
	v_add_nc_u32_e32 v4, v5, v18
	v_dual_cndmask_b32 v7, 0, v7 :: v_dual_add_nc_u32 v2, v3, v18
	v_cmp_gt_i32_e32 vcc_lo, s5, v6
	v_ashrrev_i32_e32 v5, 31, v4
	s_delay_alu instid0(VALU_DEP_3) | instskip(SKIP_2) | instid1(VALU_DEP_4)
	v_ashrrev_i32_e32 v3, 31, v2
	v_cndmask_b32_e32 v8, 0, v8, vcc_lo
	v_add_nc_u32_e32 v6, v7, v18
	v_lshlrev_b64 v[4:5], 2, v[4:5]
	s_delay_alu instid0(VALU_DEP_4) | instskip(NEXT) | instid1(VALU_DEP_4)
	v_lshlrev_b64 v[2:3], 2, v[2:3]
	v_add_nc_u32_e32 v8, v8, v18
	s_delay_alu instid0(VALU_DEP_4) | instskip(NEXT) | instid1(VALU_DEP_2)
	v_ashrrev_i32_e32 v7, 31, v6
	v_ashrrev_i32_e32 v9, 31, v8
	s_delay_alu instid0(VALU_DEP_2)
	v_lshlrev_b64 v[21:22], 2, v[6:7]
	v_add_co_u32 v6, vcc_lo, s8, v2
	v_add_co_ci_u32_e32 v7, vcc_lo, s9, v3, vcc_lo
	v_add_co_u32 v2, vcc_lo, s8, v4
	v_add_co_ci_u32_e32 v3, vcc_lo, s9, v5, vcc_lo
	flat_load_b32 v23, v[6:7]
	v_add_co_u32 v4, vcc_lo, s8, v21
	v_add_co_ci_u32_e32 v5, vcc_lo, s9, v22, vcc_lo
	v_lshlrev_b64 v[8:9], 2, v[8:9]
	s_clause 0x1
	flat_load_b32 v21, v[2:3]
	flat_load_b32 v22, v[4:5]
	v_add_co_u32 v8, vcc_lo, s8, v8
	v_add_co_ci_u32_e32 v9, vcc_lo, s9, v9, vcc_lo
	flat_load_b32 v19, v[8:9]
	s_waitcnt vmcnt(3) lgkmcnt(3)
	v_fmac_f32_e32 v14, v10, v23
	s_waitcnt vmcnt(2) lgkmcnt(2)
	s_delay_alu instid0(VALU_DEP_1) | instskip(SKIP_1) | instid1(VALU_DEP_1)
	v_dual_fmac_f32 v14, v11, v21 :: v_dual_add_nc_u32 v21, 64, v18
	s_waitcnt vmcnt(1) lgkmcnt(1)
	v_fmac_f32_e32 v14, v20, v22
	s_delay_alu instid0(VALU_DEP_2)
	v_cmpx_gt_i32_e64 s4, v21
	s_cbranch_execz .LBB194_46
; %bb.41:
	s_clause 0x3
	flat_load_b32 v22, v[6:7] offset:256
	flat_load_b32 v23, v[2:3] offset:256
	;; [unrolled: 1-line block ×4, first 2 shown]
	s_mov_b32 s2, exec_lo
	s_waitcnt vmcnt(3) lgkmcnt(3)
	v_fmac_f32_e32 v15, v10, v22
	s_waitcnt vmcnt(2) lgkmcnt(2)
	s_delay_alu instid0(VALU_DEP_1) | instskip(SKIP_1) | instid1(VALU_DEP_1)
	v_dual_fmac_f32 v15, v11, v23 :: v_dual_add_nc_u32 v22, 0x80, v18
	s_waitcnt vmcnt(1) lgkmcnt(1)
	v_fmac_f32_e32 v15, v20, v24
	s_delay_alu instid0(VALU_DEP_2)
	v_cmpx_gt_i32_e64 s4, v22
	s_cbranch_execz .LBB194_45
; %bb.42:
	s_clause 0x3
	flat_load_b32 v23, v[6:7] offset:512
	flat_load_b32 v24, v[2:3] offset:512
	;; [unrolled: 1-line block ×4, first 2 shown]
	v_add_nc_u32_e32 v18, 0xc0, v18
	s_mov_b32 s3, exec_lo
	s_waitcnt vmcnt(3) lgkmcnt(3)
	v_fmac_f32_e32 v16, v10, v23
	s_waitcnt vmcnt(2) lgkmcnt(2)
	s_delay_alu instid0(VALU_DEP_1) | instskip(SKIP_1) | instid1(VALU_DEP_1)
	v_fmac_f32_e32 v16, v11, v24
	s_waitcnt vmcnt(1) lgkmcnt(1)
	v_fmac_f32_e32 v16, v20, v25
	v_cmpx_gt_i32_e64 s4, v18
	s_cbranch_execz .LBB194_44
; %bb.43:
	s_clause 0x3
	flat_load_b32 v6, v[6:7] offset:768
	flat_load_b32 v2, v[2:3] offset:768
	;; [unrolled: 1-line block ×4, first 2 shown]
	s_waitcnt vmcnt(3) lgkmcnt(3)
	v_fmac_f32_e32 v17, v10, v6
	s_waitcnt vmcnt(2) lgkmcnt(2)
	s_delay_alu instid0(VALU_DEP_1) | instskip(SKIP_1) | instid1(VALU_DEP_1)
	v_fmac_f32_e32 v17, v11, v2
	s_waitcnt vmcnt(1) lgkmcnt(1)
	v_fmac_f32_e32 v17, v20, v3
	s_waitcnt vmcnt(0) lgkmcnt(0)
	s_delay_alu instid0(VALU_DEP_1)
	v_fmac_f32_e32 v17, v12, v4
.LBB194_44:
	s_or_b32 exec_lo, exec_lo, s3
	s_waitcnt vmcnt(0) lgkmcnt(0)
	v_fmac_f32_e32 v16, v12, v22
.LBB194_45:
	s_or_b32 exec_lo, exec_lo, s2
	s_waitcnt vmcnt(0) lgkmcnt(0)
	v_fmac_f32_e32 v15, v12, v21
.LBB194_46:
	s_or_b32 exec_lo, exec_lo, s0
	s_waitcnt vmcnt(0) lgkmcnt(0)
	v_fmac_f32_e32 v14, v12, v19
.LBB194_47:
	s_or_b32 exec_lo, exec_lo, s1
.LBB194_48:
	v_lshlrev_b32_e32 v2, 8, v13
	s_mov_b32 s0, exec_lo
                                        ; implicit-def: $vgpr3
                                        ; implicit-def: $vgpr4_vgpr5
	s_delay_alu instid0(VALU_DEP_1)
	v_add_lshl_u32 v1, v2, v1, 2
	ds_store_2addr_stride64_b32 v1, v14, v15 offset1:1
	ds_store_2addr_stride64_b32 v1, v16, v17 offset0:2 offset1:3
	s_waitcnt vmcnt(0) lgkmcnt(0)
	s_barrier
	buffer_gl0_inv
	v_cmpx_gt_u32_e32 0x100, v0
	s_cbranch_execz .LBB194_54
; %bb.49:
	v_lshlrev_b32_e32 v5, 2, v0
	s_mov_b32 s2, s17
	s_mov_b32 s1, exec_lo
	ds_load_2addr_stride64_b32 v[1:2], v5 offset1:4
	ds_load_2addr_stride64_b32 v[3:4], v5 offset0:8 offset1:12
	s_waitcnt lgkmcnt(1)
	v_add_f32_e32 v1, v1, v2
	s_waitcnt lgkmcnt(0)
	s_delay_alu instid0(VALU_DEP_1) | instskip(SKIP_1) | instid1(VALU_DEP_2)
	v_add_f32_e32 v2, v3, v1
	v_or_b32_e32 v1, s14, v0
                                        ; implicit-def: $vgpr3
	v_add_f32_e32 v0, v4, v2
	ds_store_b32 v5, v0
                                        ; implicit-def: $vgpr4_vgpr5
	v_cmpx_gt_i32_e64 s4, v1
	s_cbranch_execz .LBB194_53
; %bb.50:
	v_mul_lo_u32 v4, v1, s16
	v_cmp_eq_f32_e64 s2, s7, 0
	v_mul_f32_e32 v3, s6, v0
	s_delay_alu instid0(VALU_DEP_2) | instskip(NEXT) | instid1(VALU_DEP_3)
	s_and_b32 vcc_lo, exec_lo, s2
	v_ashrrev_i32_e32 v5, 31, v4
	s_cbranch_vccnz .LBB194_52
; %bb.51:
	s_delay_alu instid0(VALU_DEP_1) | instskip(NEXT) | instid1(VALU_DEP_1)
	v_lshlrev_b64 v[0:1], 2, v[4:5]
	v_add_co_u32 v0, vcc_lo, s13, v0
	s_delay_alu instid0(VALU_DEP_2)
	v_add_co_ci_u32_e32 v1, vcc_lo, s15, v1, vcc_lo
	global_load_b32 v0, v[0:1], off
	s_waitcnt vmcnt(0)
	v_fmac_f32_e32 v3, s7, v0
.LBB194_52:
	s_or_b32 s2, s17, exec_lo
.LBB194_53:
	s_or_b32 exec_lo, exec_lo, s1
	s_delay_alu instid0(SALU_CYCLE_1) | instskip(SKIP_1) | instid1(SALU_CYCLE_1)
	s_and_not1_b32 s1, s17, exec_lo
	s_and_b32 s2, s2, exec_lo
	s_or_b32 s17, s1, s2
.LBB194_54:
	s_or_b32 exec_lo, exec_lo, s0
.LBB194_55:
	s_and_saveexec_b32 s0, s17
	s_cbranch_execz .LBB194_57
; %bb.56:
	v_lshlrev_b64 v[0:1], 2, v[4:5]
	s_delay_alu instid0(VALU_DEP_1) | instskip(NEXT) | instid1(VALU_DEP_2)
	v_add_co_u32 v0, vcc_lo, s13, v0
	v_add_co_ci_u32_e32 v1, vcc_lo, s15, v1, vcc_lo
	global_store_b32 v[0:1], v3, off
.LBB194_57:
	s_nop 0
	s_sendmsg sendmsg(MSG_DEALLOC_VGPRS)
	s_endpgm
	.section	.rodata,"a",@progbits
	.p2align	6, 0x0
	.amdhsa_kernel _ZL20rocblas_gemvn_kernelILi64ELi4EiPKffKPfEviiT3_lPKT2_lT1_lS7_lS8_lS4_lPT4_lS8_li
		.amdhsa_group_segment_fixed_size 4096
		.amdhsa_private_segment_fixed_size 0
		.amdhsa_kernarg_size 400
		.amdhsa_user_sgpr_count 14
		.amdhsa_user_sgpr_dispatch_ptr 0
		.amdhsa_user_sgpr_queue_ptr 0
		.amdhsa_user_sgpr_kernarg_segment_ptr 1
		.amdhsa_user_sgpr_dispatch_id 0
		.amdhsa_user_sgpr_private_segment_size 0
		.amdhsa_wavefront_size32 1
		.amdhsa_uses_dynamic_stack 0
		.amdhsa_enable_private_segment 0
		.amdhsa_system_sgpr_workgroup_id_x 1
		.amdhsa_system_sgpr_workgroup_id_y 0
		.amdhsa_system_sgpr_workgroup_id_z 1
		.amdhsa_system_sgpr_workgroup_info 0
		.amdhsa_system_vgpr_workitem_id 1
		.amdhsa_next_free_vgpr 41
		.amdhsa_next_free_sgpr 28
		.amdhsa_reserve_vcc 1
		.amdhsa_float_round_mode_32 0
		.amdhsa_float_round_mode_16_64 0
		.amdhsa_float_denorm_mode_32 3
		.amdhsa_float_denorm_mode_16_64 3
		.amdhsa_dx10_clamp 1
		.amdhsa_ieee_mode 1
		.amdhsa_fp16_overflow 0
		.amdhsa_workgroup_processor_mode 1
		.amdhsa_memory_ordered 1
		.amdhsa_forward_progress 0
		.amdhsa_shared_vgpr_count 0
		.amdhsa_exception_fp_ieee_invalid_op 0
		.amdhsa_exception_fp_denorm_src 0
		.amdhsa_exception_fp_ieee_div_zero 0
		.amdhsa_exception_fp_ieee_overflow 0
		.amdhsa_exception_fp_ieee_underflow 0
		.amdhsa_exception_fp_ieee_inexact 0
		.amdhsa_exception_int_div_zero 0
	.end_amdhsa_kernel
	.section	.text._ZL20rocblas_gemvn_kernelILi64ELi4EiPKffKPfEviiT3_lPKT2_lT1_lS7_lS8_lS4_lPT4_lS8_li,"axG",@progbits,_ZL20rocblas_gemvn_kernelILi64ELi4EiPKffKPfEviiT3_lPKT2_lT1_lS7_lS8_lS4_lPT4_lS8_li,comdat
.Lfunc_end194:
	.size	_ZL20rocblas_gemvn_kernelILi64ELi4EiPKffKPfEviiT3_lPKT2_lT1_lS7_lS8_lS4_lPT4_lS8_li, .Lfunc_end194-_ZL20rocblas_gemvn_kernelILi64ELi4EiPKffKPfEviiT3_lPKT2_lT1_lS7_lS8_lS4_lPT4_lS8_li
                                        ; -- End function
	.section	.AMDGPU.csdata,"",@progbits
; Kernel info:
; codeLenInByte = 2868
; NumSgprs: 30
; NumVgprs: 41
; ScratchSize: 0
; MemoryBound: 0
; FloatMode: 240
; IeeeMode: 1
; LDSByteSize: 4096 bytes/workgroup (compile time only)
; SGPRBlocks: 3
; VGPRBlocks: 5
; NumSGPRsForWavesPerEU: 30
; NumVGPRsForWavesPerEU: 41
; Occupancy: 16
; WaveLimiterHint : 1
; COMPUTE_PGM_RSRC2:SCRATCH_EN: 0
; COMPUTE_PGM_RSRC2:USER_SGPR: 14
; COMPUTE_PGM_RSRC2:TRAP_HANDLER: 0
; COMPUTE_PGM_RSRC2:TGID_X_EN: 1
; COMPUTE_PGM_RSRC2:TGID_Y_EN: 0
; COMPUTE_PGM_RSRC2:TGID_Z_EN: 1
; COMPUTE_PGM_RSRC2:TIDIG_COMP_CNT: 1
	.section	.text._ZL20rocblas_gemvn_kernelILi64ELi4ElPKffKPfEviiT3_lPKT2_lT1_lS7_lS8_lS4_lPT4_lS8_li,"axG",@progbits,_ZL20rocblas_gemvn_kernelILi64ELi4ElPKffKPfEviiT3_lPKT2_lT1_lS7_lS8_lS4_lPT4_lS8_li,comdat
	.globl	_ZL20rocblas_gemvn_kernelILi64ELi4ElPKffKPfEviiT3_lPKT2_lT1_lS7_lS8_lS4_lPT4_lS8_li ; -- Begin function _ZL20rocblas_gemvn_kernelILi64ELi4ElPKffKPfEviiT3_lPKT2_lT1_lS7_lS8_lS4_lPT4_lS8_li
	.p2align	8
	.type	_ZL20rocblas_gemvn_kernelILi64ELi4ElPKffKPfEviiT3_lPKT2_lT1_lS7_lS8_lS4_lPT4_lS8_li,@function
_ZL20rocblas_gemvn_kernelILi64ELi4ElPKffKPfEviiT3_lPKT2_lT1_lS7_lS8_lS4_lPT4_lS8_li: ; @_ZL20rocblas_gemvn_kernelILi64ELi4ElPKffKPfEviiT3_lPKT2_lT1_lS7_lS8_lS4_lPT4_lS8_li
; %bb.0:
	s_load_b64 s[4:5], s[0:1], 0x9c
	s_waitcnt lgkmcnt(0)
	s_lshr_b32 s3, s4, 16
	s_and_b32 s4, s4, 0xffff
	s_and_b32 s5, s5, 0xffff
	s_mul_i32 s3, s3, s4
	s_delay_alu instid0(SALU_CYCLE_1) | instskip(NEXT) | instid1(SALU_CYCLE_1)
	s_mul_i32 s3, s3, s5
	s_cmpk_lg_i32 s3, 0x100
	s_cbranch_scc1 .LBB195_57
; %bb.1:
	s_load_b128 s[8:11], s[0:1], 0x0
	s_waitcnt lgkmcnt(0)
	s_load_b32 s11, s[0:1], 0x58
	s_mov_b32 s2, s15
	v_cmp_eq_f32_e64 s15, s10, 0
	s_waitcnt lgkmcnt(0)
	v_cmp_eq_f32_e64 s3, s11, 1.0
	s_delay_alu instid0(VALU_DEP_1) | instskip(NEXT) | instid1(SALU_CYCLE_1)
	s_and_b32 s3, s15, s3
	s_and_b32 vcc_lo, exec_lo, s3
	s_cbranch_vccnz .LBB195_57
; %bb.2:
	s_clause 0x1
	s_load_b128 s[4:7], s[0:1], 0x18
	s_load_b64 s[12:13], s[0:1], 0x28
	v_cmp_neq_f32_e64 s20, s10, 0
	s_delay_alu instid0(VALU_DEP_1)
	s_and_b32 vcc_lo, exec_lo, s20
	s_cbranch_vccnz .LBB195_4
; %bb.3:
	s_mov_b32 s3, 0
	s_mov_b64 s[16:17], 0
	s_cbranch_execz .LBB195_5
	s_branch .LBB195_6
.LBB195_4:
	s_mov_b32 s3, -1
                                        ; implicit-def: $sgpr16_sgpr17
.LBB195_5:
	s_mov_b32 s3, 0
	s_delay_alu instid0(SALU_CYCLE_1)
	s_lshl_b64 s[16:17], s[2:3], 3
	s_waitcnt lgkmcnt(0)
	s_add_u32 s4, s4, s16
	s_addc_u32 s5, s5, s17
	s_lshl_b64 s[6:7], s[6:7], 2
	s_load_b64 s[4:5], s[4:5], 0x0
	s_waitcnt lgkmcnt(0)
	s_add_u32 s16, s4, s6
	s_addc_u32 s17, s5, s7
.LBB195_6:
	s_waitcnt lgkmcnt(0)
	s_clause 0x1
	s_load_b128 s[4:7], s[0:1], 0x38
	s_load_b64 s[18:19], s[0:1], 0x48
	s_and_not1_b32 vcc_lo, exec_lo, s20
	s_cbranch_vccnz .LBB195_8
; %bb.7:
	s_lshl_b64 s[20:21], s[2:3], 3
	s_waitcnt lgkmcnt(0)
	s_add_u32 s4, s4, s20
	s_addc_u32 s5, s5, s21
	s_lshl_b64 s[6:7], s[6:7], 2
	s_load_b64 s[4:5], s[4:5], 0x0
	s_waitcnt lgkmcnt(0)
	s_add_u32 s20, s4, s6
	s_addc_u32 s21, s5, s7
	s_branch .LBB195_9
.LBB195_8:
	s_mov_b64 s[20:21], 0
.LBB195_9:
	s_load_b128 s[24:27], s[0:1], 0x68
	s_waitcnt lgkmcnt(0)
	s_load_b64 s[6:7], s[0:1], 0x78
	s_lshl_b64 s[2:3], s[2:3], 3
	v_and_b32_e32 v20, 0x3ff, v0
	v_bfe_u32 v21, v0, 10, 10
	s_delay_alu instid0(VALU_DEP_1)
	v_lshl_add_u32 v19, v21, 6, v20
	s_add_u32 s0, s24, s2
	s_addc_u32 s1, s25, s3
	s_lshl_b64 s[22:23], s[26:27], 2
	s_load_b64 s[2:3], s[0:1], 0x0
	v_cmp_gt_u32_e64 s0, 0x100, v19
	s_waitcnt lgkmcnt(0)
	s_add_u32 s5, s2, s22
	s_addc_u32 s26, s3, s23
	s_and_not1_b32 vcc_lo, exec_lo, s15
	s_cbranch_vccnz .LBB195_16
; %bb.10:
	s_mov_b32 s1, 0
	s_mov_b32 s27, 0
                                        ; implicit-def: $vgpr1
                                        ; implicit-def: $vgpr2_vgpr3
	s_and_saveexec_b32 s2, s0
	s_cbranch_execz .LBB195_17
; %bb.11:
	v_lshl_or_b32 v0, s14, 8, v19
	v_mov_b32_e32 v1, 0
	s_ashr_i32 s23, s8, 31
	s_mov_b32 s22, s8
	s_mov_b32 s3, 0
	s_mov_b32 s0, exec_lo
                                        ; implicit-def: $vgpr2_vgpr3
	v_cmpx_gt_i64_e64 s[22:23], v[0:1]
	s_cbranch_execz .LBB195_15
; %bb.12:
	v_mad_u64_u32 v[2:3], null, v0, s6, 0
	v_cmp_eq_f32_e64 s3, s11, 0
	s_delay_alu instid0(VALU_DEP_1) | instskip(NEXT) | instid1(VALU_DEP_2)
	s_and_b32 vcc_lo, exec_lo, s3
	v_mad_u64_u32 v[4:5], null, v0, s7, v[3:4]
	s_delay_alu instid0(VALU_DEP_1)
	v_mov_b32_e32 v3, v4
	s_cbranch_vccnz .LBB195_14
; %bb.13:
	s_delay_alu instid0(VALU_DEP_1) | instskip(NEXT) | instid1(VALU_DEP_1)
	v_lshlrev_b64 v[0:1], 2, v[2:3]
	v_add_co_u32 v0, vcc_lo, s5, v0
	s_delay_alu instid0(VALU_DEP_2)
	v_add_co_ci_u32_e32 v1, vcc_lo, s26, v1, vcc_lo
	global_load_b32 v0, v[0:1], off
	s_waitcnt vmcnt(0)
	v_mul_f32_e32 v1, s11, v0
.LBB195_14:
	s_mov_b32 s3, exec_lo
.LBB195_15:
	s_or_b32 exec_lo, exec_lo, s0
	s_delay_alu instid0(SALU_CYCLE_1) | instskip(SKIP_1) | instid1(SALU_CYCLE_1)
	s_and_b32 s27, s3, exec_lo
	s_or_b32 exec_lo, exec_lo, s2
	s_and_b32 vcc_lo, exec_lo, s1
	s_cbranch_vccnz .LBB195_18
	s_branch .LBB195_55
.LBB195_16:
	s_mov_b32 s27, 0
                                        ; implicit-def: $vgpr1
                                        ; implicit-def: $vgpr2_vgpr3
	s_cbranch_execnz .LBB195_18
	s_branch .LBB195_55
.LBB195_17:
	s_or_b32 exec_lo, exec_lo, s2
	s_delay_alu instid0(SALU_CYCLE_1)
	s_and_b32 vcc_lo, exec_lo, s1
	s_cbranch_vccz .LBB195_55
.LBB195_18:
	s_ashr_i32 s0, s9, 31
	s_lshl_b32 s28, s14, 8
	s_lshr_b32 s0, s0, 28
	v_dual_mov_b32 v23, 0 :: v_dual_lshlrev_b32 v26, 2, v21
	v_dual_mov_b32 v22, 0 :: v_dual_mov_b32 v25, 0
	v_add_nc_u32_e32 v0, s28, v20
	v_mov_b32_e32 v24, 0
	s_add_i32 s0, s9, s0
	s_mov_b32 s30, exec_lo
	s_and_b32 s29, s0, -16
	s_delay_alu instid0(SALU_CYCLE_1)
	v_cmpx_gt_i32_e64 s29, v26
	s_cbranch_execz .LBB195_30
; %bb.19:
	v_lshlrev_b32_e32 v29, 2, v21
	v_mad_u64_u32 v[5:6], null, s18, v21, 0
	v_add_nc_u32_e32 v2, 64, v0
	v_mad_u64_u32 v[7:8], null, s12, v21, 0
	s_delay_alu instid0(VALU_DEP_4) | instskip(SKIP_1) | instid1(VALU_DEP_4)
	v_or_b32_e32 v25, 3, v29
	v_add_nc_u32_e32 v9, 0x80, v0
	v_cmp_gt_i32_e64 s0, s8, v2
	v_ashrrev_i32_e32 v1, 31, v0
	v_cmp_gt_i32_e32 vcc_lo, s8, v0
	v_mad_u64_u32 v[3:4], null, s12, v25, 0
	v_mad_u64_u32 v[16:17], null, s18, v25, 0
	v_add_nc_u32_e32 v10, 0xc0, v0
	s_lshl_b64 s[14:15], s[12:13], 6
	s_lshl_b64 s[22:23], s[18:19], 6
	s_mov_b32 s31, 0
	s_delay_alu instid0(VALU_DEP_3)
	v_mov_b32_e32 v2, v4
	v_mov_b32_e32 v4, v6
	v_cmp_gt_i32_e64 s1, s8, v9
	v_cmp_gt_i32_e64 s2, s8, v10
	v_mov_b32_e32 v6, v8
	v_mad_u64_u32 v[9:10], null, s13, v25, v[2:3]
	v_or_b32_e32 v31, 2, v29
	v_mad_u64_u32 v[10:11], null, s19, v21, v[4:5]
	s_delay_alu instid0(VALU_DEP_4) | instskip(SKIP_1) | instid1(VALU_DEP_4)
	v_mad_u64_u32 v[11:12], null, s13, v21, v[6:7]
	v_mad_u64_u32 v[12:13], null, s18, v29, s[18:19]
	v_mad_u64_u32 v[14:15], null, s12, v31, 0
	v_mov_b32_e32 v4, v9
	v_mov_b32_e32 v6, v10
	v_lshlrev_b64 v[1:2], 2, v[0:1]
	s_mov_b64 s[24:25], s[20:21]
	s_delay_alu instid0(VALU_DEP_3) | instskip(NEXT) | instid1(VALU_DEP_3)
	v_lshlrev_b64 v[9:10], 2, v[3:4]
	v_lshlrev_b64 v[3:4], 4, v[5:6]
	v_dual_mov_b32 v5, v15 :: v_dual_mov_b32 v6, v13
	s_delay_alu instid0(VALU_DEP_3) | instskip(NEXT) | instid1(VALU_DEP_2)
	v_add_co_u32 v27, s3, s16, v9
	v_mad_u64_u32 v[22:23], null, s13, v31, v[5:6]
	v_mov_b32_e32 v5, v17
	v_add_co_ci_u32_e64 v28, s3, s17, v10, s3
	v_mad_u64_u32 v[9:10], null, s12, v29, s[12:13]
	s_delay_alu instid0(VALU_DEP_3) | instskip(SKIP_2) | instid1(VALU_DEP_4)
	v_mad_u64_u32 v[23:24], null, s19, v25, v[5:6]
	v_mad_u64_u32 v[24:25], null, s18, v31, 0
	v_dual_mov_b32 v8, v11 :: v_dual_mov_b32 v15, v22
	v_mov_b32_e32 v5, v10
	s_delay_alu instid0(VALU_DEP_2) | instskip(NEXT) | instid1(VALU_DEP_2)
	v_lshlrev_b64 v[14:15], 2, v[14:15]
	v_mad_u64_u32 v[10:11], null, s13, v29, v[5:6]
	v_mov_b32_e32 v5, v25
	v_lshlrev_b64 v[7:8], 4, v[7:8]
	s_delay_alu instid0(VALU_DEP_3) | instskip(NEXT) | instid1(VALU_DEP_2)
	v_lshlrev_b64 v[9:10], 2, v[9:10]
	v_mad_u64_u32 v[17:18], null, s19, v29, v[6:7]
	v_add_co_u32 v29, s3, s16, v7
	s_delay_alu instid0(VALU_DEP_1) | instskip(NEXT) | instid1(VALU_DEP_3)
	v_add_co_ci_u32_e64 v30, s3, s17, v8, s3
	v_mov_b32_e32 v13, v17
	v_mov_b32_e32 v17, v23
	v_mad_u64_u32 v[22:23], null, s19, v31, v[5:6]
	v_add_co_u32 v31, s3, s16, v14
	s_delay_alu instid0(VALU_DEP_1) | instskip(SKIP_1) | instid1(VALU_DEP_4)
	v_add_co_ci_u32_e64 v32, s3, s17, v15, s3
	v_add_co_u32 v33, s3, s16, v9
	v_dual_mov_b32 v25, v22 :: v_dual_mov_b32 v22, 0
	v_lshlrev_b64 v[5:6], 2, v[12:13]
	v_lshlrev_b64 v[7:8], 2, v[16:17]
	v_add_co_ci_u32_e64 v34, s3, s17, v10, s3
	s_delay_alu instid0(VALU_DEP_4)
	v_lshlrev_b64 v[9:10], 2, v[24:25]
	v_dual_mov_b32 v23, 0 :: v_dual_mov_b32 v24, 0
	v_mov_b32_e32 v25, 0
	s_branch .LBB195_24
.LBB195_20:                             ;   in Loop: Header=BB195_24 Depth=1
	s_or_b32 exec_lo, exec_lo, s34
	s_waitcnt vmcnt(3) lgkmcnt(3)
	v_fmac_f32_e32 v24, v38, v50
	s_waitcnt vmcnt(2) lgkmcnt(2)
	s_delay_alu instid0(VALU_DEP_1) | instskip(SKIP_1) | instid1(VALU_DEP_1)
	v_fmac_f32_e32 v24, v37, v49
	s_waitcnt vmcnt(1) lgkmcnt(1)
	v_fmac_f32_e32 v24, v36, v48
	s_waitcnt vmcnt(0) lgkmcnt(0)
	s_delay_alu instid0(VALU_DEP_1)
	v_fmac_f32_e32 v24, v35, v47
.LBB195_21:                             ;   in Loop: Header=BB195_24 Depth=1
	s_or_b32 exec_lo, exec_lo, s33
	s_waitcnt vmcnt(3) lgkmcnt(3)
	v_fmac_f32_e32 v23, v38, v46
	s_waitcnt vmcnt(2) lgkmcnt(2)
	s_delay_alu instid0(VALU_DEP_1) | instskip(SKIP_1) | instid1(VALU_DEP_1)
	v_fmac_f32_e32 v23, v37, v45
	s_waitcnt vmcnt(1) lgkmcnt(1)
	v_fmac_f32_e32 v23, v36, v44
	s_waitcnt vmcnt(0) lgkmcnt(0)
	s_delay_alu instid0(VALU_DEP_1)
	v_fmac_f32_e32 v23, v35, v43
.LBB195_22:                             ;   in Loop: Header=BB195_24 Depth=1
	s_or_b32 exec_lo, exec_lo, s3
	s_waitcnt vmcnt(3) lgkmcnt(3)
	v_fmac_f32_e32 v22, v38, v42
	s_waitcnt vmcnt(2) lgkmcnt(2)
	s_delay_alu instid0(VALU_DEP_1) | instskip(SKIP_1) | instid1(VALU_DEP_1)
	v_fmac_f32_e32 v22, v37, v40
	s_waitcnt vmcnt(1) lgkmcnt(1)
	v_fmac_f32_e32 v22, v36, v39
	s_waitcnt vmcnt(0) lgkmcnt(0)
	s_delay_alu instid0(VALU_DEP_1)
	v_fmac_f32_e32 v22, v35, v41
.LBB195_23:                             ;   in Loop: Header=BB195_24 Depth=1
	s_or_b32 exec_lo, exec_lo, s4
	v_add_co_u32 v27, s3, v27, s14
	s_delay_alu instid0(VALU_DEP_1) | instskip(SKIP_4) | instid1(VALU_DEP_1)
	v_add_co_ci_u32_e64 v28, s3, s15, v28, s3
	v_add_co_u32 v29, s3, v29, s14
	v_add_nc_u32_e32 v26, 16, v26
	v_add_co_ci_u32_e64 v30, s3, s15, v30, s3
	v_add_co_u32 v31, s3, v31, s14
	v_add_co_ci_u32_e64 v32, s3, s15, v32, s3
	s_delay_alu instid0(VALU_DEP_4) | instskip(SKIP_1) | instid1(VALU_DEP_1)
	v_cmp_le_i32_e64 s3, s29, v26
	v_add_co_u32 v33, s4, v33, s14
	v_add_co_ci_u32_e64 v34, s4, s15, v34, s4
	s_add_u32 s24, s24, s22
	s_addc_u32 s25, s25, s23
	s_or_b32 s31, s3, s31
	s_delay_alu instid0(SALU_CYCLE_1)
	s_and_not1_b32 exec_lo, exec_lo, s31
	s_cbranch_execz .LBB195_29
.LBB195_24:                             ; =>This Inner Loop Header: Depth=1
	s_and_saveexec_b32 s4, vcc_lo
	s_cbranch_execz .LBB195_23
; %bb.25:                               ;   in Loop: Header=BB195_24 Depth=1
	v_add_co_u32 v35, s3, s24, v3
	s_delay_alu instid0(VALU_DEP_1) | instskip(SKIP_1) | instid1(VALU_DEP_1)
	v_add_co_ci_u32_e64 v36, s3, s25, v4, s3
	v_add_co_u32 v39, s3, s24, v5
	v_add_co_ci_u32_e64 v40, s3, s25, v6, s3
	v_add_co_u32 v41, s3, s24, v9
	s_delay_alu instid0(VALU_DEP_1) | instskip(SKIP_1) | instid1(VALU_DEP_1)
	v_add_co_ci_u32_e64 v42, s3, s25, v10, s3
	v_add_co_u32 v43, s3, s24, v7
	v_add_co_ci_u32_e64 v44, s3, s25, v8, s3
	;; [unrolled: 5-line block ×4, first 2 shown]
	s_clause 0x3
	flat_load_b32 v38, v[35:36]
	flat_load_b32 v37, v[39:40]
	;; [unrolled: 1-line block ×8, first 2 shown]
	s_and_saveexec_b32 s3, s0
	s_cbranch_execz .LBB195_22
; %bb.26:                               ;   in Loop: Header=BB195_24 Depth=1
	flat_load_b32 v46, v[11:12] offset:256
	flat_load_b32 v45, v[13:14] offset:256
	flat_load_b32 v44, v[15:16] offset:256
	flat_load_b32 v43, v[17:18] offset:256
	s_and_saveexec_b32 s33, s1
	s_cbranch_execz .LBB195_21
; %bb.27:                               ;   in Loop: Header=BB195_24 Depth=1
	flat_load_b32 v50, v[11:12] offset:512
	flat_load_b32 v49, v[13:14] offset:512
	flat_load_b32 v48, v[15:16] offset:512
	flat_load_b32 v47, v[17:18] offset:512
	;; [unrolled: 7-line block ×3, first 2 shown]
	s_waitcnt vmcnt(3) lgkmcnt(3)
	v_fmac_f32_e32 v25, v38, v11
	s_waitcnt vmcnt(2) lgkmcnt(2)
	s_delay_alu instid0(VALU_DEP_1) | instskip(SKIP_1) | instid1(VALU_DEP_1)
	v_fmac_f32_e32 v25, v37, v12
	s_waitcnt vmcnt(1) lgkmcnt(1)
	v_fmac_f32_e32 v25, v36, v13
	s_waitcnt vmcnt(0) lgkmcnt(0)
	s_delay_alu instid0(VALU_DEP_1)
	v_fmac_f32_e32 v25, v35, v14
	s_branch .LBB195_20
.LBB195_29:
	s_or_b32 exec_lo, exec_lo, s31
.LBB195_30:
	s_delay_alu instid0(SALU_CYCLE_1) | instskip(SKIP_1) | instid1(SALU_CYCLE_1)
	s_or_b32 exec_lo, exec_lo, s30
	s_sub_i32 s0, s9, s29
	s_cmp_lt_i32 s0, 1
	s_cbranch_scc1 .LBB195_48
; %bb.31:
	v_cmp_gt_i32_e32 vcc_lo, s9, v26
	v_dual_mov_b32 v11, 0 :: v_dual_mov_b32 v12, 0
	v_or_b32_e32 v2, 1, v26
	v_dual_mov_b32 v10, 0 :: v_dual_mov_b32 v9, 0
	s_and_saveexec_b32 s1, vcc_lo
	s_cbranch_execz .LBB195_39
; %bb.32:
	v_mad_u64_u32 v[3:4], null, v26, s18, 0
	v_dual_mov_b32 v12, 0 :: v_dual_mov_b32 v11, 0
	s_mov_b32 s2, exec_lo
	s_delay_alu instid0(VALU_DEP_2) | instskip(NEXT) | instid1(VALU_DEP_1)
	v_dual_mov_b32 v10, 0 :: v_dual_mov_b32 v1, v4
	v_mad_u64_u32 v[4:5], null, v26, s19, v[1:2]
	s_delay_alu instid0(VALU_DEP_1) | instskip(NEXT) | instid1(VALU_DEP_1)
	v_lshlrev_b64 v[3:4], 2, v[3:4]
	v_add_co_u32 v3, s0, s20, v3
	s_delay_alu instid0(VALU_DEP_1)
	v_add_co_ci_u32_e64 v4, s0, s21, v4, s0
	flat_load_b32 v9, v[3:4]
	v_cmpx_gt_i32_e64 s9, v2
	s_cbranch_execz .LBB195_38
; %bb.33:
	v_mad_u64_u32 v[3:4], null, v2, s18, 0
	v_mov_b32_e32 v11, 0
	s_mov_b32 s3, exec_lo
	s_delay_alu instid0(VALU_DEP_2) | instskip(NEXT) | instid1(VALU_DEP_1)
	v_dual_mov_b32 v12, 0 :: v_dual_mov_b32 v1, v4
	v_mad_u64_u32 v[4:5], null, v2, s19, v[1:2]
	v_or_b32_e32 v1, 2, v26
	s_delay_alu instid0(VALU_DEP_2) | instskip(NEXT) | instid1(VALU_DEP_1)
	v_lshlrev_b64 v[3:4], 2, v[3:4]
	v_add_co_u32 v3, s0, s20, v3
	s_delay_alu instid0(VALU_DEP_1)
	v_add_co_ci_u32_e64 v4, s0, s21, v4, s0
	flat_load_b32 v10, v[3:4]
	v_cmpx_gt_i32_e64 s9, v1
	s_cbranch_execz .LBB195_37
; %bb.34:
	v_mad_u64_u32 v[3:4], null, v1, s18, 0
	s_mov_b32 s4, exec_lo
	v_mov_b32_e32 v11, 0
	s_delay_alu instid0(VALU_DEP_2) | instskip(SKIP_1) | instid1(VALU_DEP_2)
	v_mad_u64_u32 v[5:6], null, v1, s19, v[4:5]
	v_or_b32_e32 v1, 3, v26
	v_mov_b32_e32 v4, v5
	s_delay_alu instid0(VALU_DEP_1) | instskip(NEXT) | instid1(VALU_DEP_1)
	v_lshlrev_b64 v[3:4], 2, v[3:4]
	v_add_co_u32 v3, s0, s20, v3
	s_delay_alu instid0(VALU_DEP_1)
	v_add_co_ci_u32_e64 v4, s0, s21, v4, s0
	flat_load_b32 v12, v[3:4]
	v_cmpx_gt_i32_e64 s9, v1
	s_cbranch_execz .LBB195_36
; %bb.35:
	v_mad_u64_u32 v[3:4], null, v1, s18, 0
	s_delay_alu instid0(VALU_DEP_1) | instskip(NEXT) | instid1(VALU_DEP_1)
	v_mad_u64_u32 v[5:6], null, v1, s19, v[4:5]
	v_mov_b32_e32 v4, v5
	s_delay_alu instid0(VALU_DEP_1) | instskip(NEXT) | instid1(VALU_DEP_1)
	v_lshlrev_b64 v[3:4], 2, v[3:4]
	v_add_co_u32 v3, s0, s20, v3
	s_delay_alu instid0(VALU_DEP_1)
	v_add_co_ci_u32_e64 v4, s0, s21, v4, s0
	flat_load_b32 v11, v[3:4]
.LBB195_36:
	s_or_b32 exec_lo, exec_lo, s4
.LBB195_37:
	s_delay_alu instid0(SALU_CYCLE_1)
	s_or_b32 exec_lo, exec_lo, s3
.LBB195_38:
	s_delay_alu instid0(SALU_CYCLE_1)
	s_or_b32 exec_lo, exec_lo, s2
.LBB195_39:
	s_delay_alu instid0(SALU_CYCLE_1) | instskip(NEXT) | instid1(SALU_CYCLE_1)
	s_or_b32 exec_lo, exec_lo, s1
	s_mov_b32 s1, exec_lo
	v_cmpx_gt_i32_e64 s8, v0
	s_cbranch_execz .LBB195_47
; %bb.40:
	v_mad_u64_u32 v[3:4], null, v26, s12, 0
	v_mad_u64_u32 v[5:6], null, v2, s12, 0
	v_or_b32_e32 v28, 2, v26
	v_ashrrev_i32_e32 v1, 31, v0
	v_or_b32_e32 v29, 3, v26
	v_cndmask_b32_e32 v3, 0, v3, vcc_lo
	s_delay_alu instid0(VALU_DEP_4)
	v_cmp_gt_i32_e64 s0, s9, v28
	v_mad_u64_u32 v[13:14], null, v26, s13, v[4:5]
	v_mad_u64_u32 v[14:15], null, v28, s12, 0
	v_lshlrev_b64 v[7:8], 2, v[0:1]
	v_mov_b32_e32 v1, v6
	v_mad_u64_u32 v[16:17], null, v29, s12, 0
	v_cndmask_b32_e32 v4, 0, v13, vcc_lo
	v_cmp_gt_i32_e32 vcc_lo, s9, v2
	s_delay_alu instid0(VALU_DEP_4)
	v_mad_u64_u32 v[26:27], null, v2, s13, v[1:2]
	v_mov_b32_e32 v1, v15
	v_cndmask_b32_e64 v13, 0, v14, s0
	v_mov_b32_e32 v6, v17
	v_cndmask_b32_e32 v2, 0, v5, vcc_lo
	v_lshlrev_b64 v[4:5], 2, v[3:4]
	s_delay_alu instid0(VALU_DEP_2) | instskip(NEXT) | instid1(VALU_DEP_1)
	v_mad_u64_u32 v[17:18], null, v28, s13, v[1:2]
	v_cndmask_b32_e64 v14, 0, v17, s0
	v_mad_u64_u32 v[17:18], null, v29, s13, v[6:7]
	v_cndmask_b32_e32 v3, 0, v26, vcc_lo
	v_add_co_u32 v1, vcc_lo, s16, v4
	v_add_co_ci_u32_e32 v5, vcc_lo, s17, v5, vcc_lo
	s_delay_alu instid0(VALU_DEP_3) | instskip(NEXT) | instid1(VALU_DEP_3)
	v_lshlrev_b64 v[3:4], 2, v[2:3]
	v_add_co_u32 v1, vcc_lo, v1, v7
	s_delay_alu instid0(VALU_DEP_3) | instskip(SKIP_1) | instid1(VALU_DEP_4)
	v_add_co_ci_u32_e32 v2, vcc_lo, v5, v8, vcc_lo
	v_lshlrev_b64 v[5:6], 2, v[13:14]
	v_add_co_u32 v3, vcc_lo, s16, v3
	v_add_co_ci_u32_e32 v4, vcc_lo, s17, v4, vcc_lo
	s_mov_b32 s0, exec_lo
	s_delay_alu instid0(VALU_DEP_2) | instskip(NEXT) | instid1(VALU_DEP_2)
	v_add_co_u32 v3, vcc_lo, v3, v7
	v_add_co_ci_u32_e32 v4, vcc_lo, v4, v8, vcc_lo
	s_clause 0x1
	flat_load_b32 v15, v[1:2]
	flat_load_b32 v18, v[3:4]
	v_cmp_gt_i32_e32 vcc_lo, s9, v29
	v_dual_cndmask_b32 v14, 0, v17 :: v_dual_cndmask_b32 v13, 0, v16
	v_add_co_u32 v5, vcc_lo, s16, v5
	v_add_co_ci_u32_e32 v6, vcc_lo, s17, v6, vcc_lo
	s_delay_alu instid0(VALU_DEP_2) | instskip(NEXT) | instid1(VALU_DEP_2)
	v_add_co_u32 v5, vcc_lo, v5, v7
	v_add_co_ci_u32_e32 v6, vcc_lo, v6, v8, vcc_lo
	flat_load_b32 v16, v[5:6]
	s_waitcnt vmcnt(2) lgkmcnt(2)
	v_fmac_f32_e32 v22, v9, v15
	v_lshlrev_b64 v[13:14], 2, v[13:14]
	s_waitcnt vmcnt(1) lgkmcnt(1)
	s_delay_alu instid0(VALU_DEP_2) | instskip(NEXT) | instid1(VALU_DEP_2)
	v_fmac_f32_e32 v22, v10, v18
	v_add_co_u32 v13, vcc_lo, s16, v13
	s_delay_alu instid0(VALU_DEP_3) | instskip(NEXT) | instid1(VALU_DEP_2)
	v_add_co_ci_u32_e32 v14, vcc_lo, s17, v14, vcc_lo
	v_add_co_u32 v7, vcc_lo, v13, v7
	s_delay_alu instid0(VALU_DEP_2)
	v_add_co_ci_u32_e32 v8, vcc_lo, v14, v8, vcc_lo
	v_add_nc_u32_e32 v14, 64, v0
	flat_load_b32 v13, v[7:8]
	s_waitcnt vmcnt(1) lgkmcnt(1)
	v_fmac_f32_e32 v22, v12, v16
	v_cmpx_gt_i32_e64 s8, v14
	s_cbranch_execz .LBB195_46
; %bb.41:
	s_clause 0x3
	flat_load_b32 v15, v[1:2] offset:256
	flat_load_b32 v16, v[3:4] offset:256
	;; [unrolled: 1-line block ×4, first 2 shown]
	s_mov_b32 s2, exec_lo
	s_waitcnt vmcnt(3) lgkmcnt(3)
	v_fmac_f32_e32 v23, v9, v15
	v_add_nc_u32_e32 v15, 0x80, v0
	s_waitcnt vmcnt(2) lgkmcnt(2)
	s_delay_alu instid0(VALU_DEP_2) | instskip(SKIP_1) | instid1(VALU_DEP_1)
	v_fmac_f32_e32 v23, v10, v16
	s_waitcnt vmcnt(1) lgkmcnt(1)
	v_fmac_f32_e32 v23, v12, v17
	v_cmpx_gt_i32_e64 s8, v15
	s_cbranch_execz .LBB195_45
; %bb.42:
	s_clause 0x3
	flat_load_b32 v16, v[1:2] offset:512
	flat_load_b32 v17, v[3:4] offset:512
	flat_load_b32 v18, v[5:6] offset:512
	flat_load_b32 v15, v[7:8] offset:512
	v_add_nc_u32_e32 v0, 0xc0, v0
	s_mov_b32 s3, exec_lo
	s_waitcnt vmcnt(3) lgkmcnt(3)
	v_fmac_f32_e32 v24, v9, v16
	s_waitcnt vmcnt(2) lgkmcnt(2)
	s_delay_alu instid0(VALU_DEP_1) | instskip(SKIP_1) | instid1(VALU_DEP_1)
	v_fmac_f32_e32 v24, v10, v17
	s_waitcnt vmcnt(1) lgkmcnt(1)
	v_fmac_f32_e32 v24, v12, v18
	v_cmpx_gt_i32_e64 s8, v0
	s_cbranch_execz .LBB195_44
; %bb.43:
	s_clause 0x3
	flat_load_b32 v0, v[1:2] offset:768
	flat_load_b32 v1, v[3:4] offset:768
	;; [unrolled: 1-line block ×4, first 2 shown]
	s_waitcnt vmcnt(3) lgkmcnt(3)
	v_fmac_f32_e32 v25, v9, v0
	s_waitcnt vmcnt(2) lgkmcnt(2)
	s_delay_alu instid0(VALU_DEP_1) | instskip(SKIP_1) | instid1(VALU_DEP_1)
	v_fmac_f32_e32 v25, v10, v1
	s_waitcnt vmcnt(1) lgkmcnt(1)
	v_fmac_f32_e32 v25, v12, v2
	s_waitcnt vmcnt(0) lgkmcnt(0)
	s_delay_alu instid0(VALU_DEP_1)
	v_fmac_f32_e32 v25, v11, v3
.LBB195_44:
	s_or_b32 exec_lo, exec_lo, s3
	s_waitcnt vmcnt(0) lgkmcnt(0)
	v_fmac_f32_e32 v24, v11, v15
.LBB195_45:
	s_or_b32 exec_lo, exec_lo, s2
	s_waitcnt vmcnt(0) lgkmcnt(0)
	v_fmac_f32_e32 v23, v11, v14
.LBB195_46:
	s_or_b32 exec_lo, exec_lo, s0
	s_waitcnt vmcnt(0) lgkmcnt(0)
	v_fmac_f32_e32 v22, v11, v13
.LBB195_47:
	s_or_b32 exec_lo, exec_lo, s1
.LBB195_48:
	v_lshlrev_b32_e32 v0, 8, v21
	s_mov_b32 s0, exec_lo
                                        ; implicit-def: $vgpr1
                                        ; implicit-def: $vgpr2_vgpr3
	s_delay_alu instid0(VALU_DEP_1)
	v_add_lshl_u32 v0, v0, v20, 2
	ds_store_2addr_stride64_b32 v0, v22, v23 offset1:1
	ds_store_2addr_stride64_b32 v0, v24, v25 offset0:2 offset1:3
	s_waitcnt vmcnt(0) lgkmcnt(0)
	s_barrier
	buffer_gl0_inv
	v_cmpx_gt_u32_e32 0x100, v19
	s_cbranch_execz .LBB195_54
; %bb.49:
	v_lshlrev_b32_e32 v5, 2, v19
	v_or_b32_e32 v4, s28, v19
	s_mov_b32 s2, s27
	s_mov_b32 s1, exec_lo
	ds_load_2addr_stride64_b32 v[0:1], v5 offset1:4
	ds_load_2addr_stride64_b32 v[2:3], v5 offset0:8 offset1:12
	s_waitcnt lgkmcnt(1)
	v_add_f32_e32 v0, v0, v1
                                        ; implicit-def: $vgpr1
	s_waitcnt lgkmcnt(0)
	s_delay_alu instid0(VALU_DEP_1) | instskip(NEXT) | instid1(VALU_DEP_1)
	v_add_f32_e32 v0, v2, v0
	v_add_f32_e32 v0, v3, v0
                                        ; implicit-def: $vgpr2_vgpr3
	ds_store_b32 v5, v0
	v_cmpx_gt_i32_e64 s8, v4
	s_cbranch_execz .LBB195_53
; %bb.50:
	v_ashrrev_i32_e32 v1, 31, v4
	v_mul_lo_u32 v5, v4, s7
	v_mad_u64_u32 v[2:3], null, v4, s6, 0
	v_cmp_eq_f32_e64 s2, s11, 0
	s_delay_alu instid0(VALU_DEP_4) | instskip(SKIP_1) | instid1(VALU_DEP_3)
	v_mul_lo_u32 v4, v1, s6
	v_mul_f32_e32 v1, s10, v0
	s_and_b32 vcc_lo, exec_lo, s2
	s_delay_alu instid0(VALU_DEP_2)
	v_add3_u32 v3, v3, v5, v4
	s_cbranch_vccnz .LBB195_52
; %bb.51:
	s_delay_alu instid0(VALU_DEP_1) | instskip(NEXT) | instid1(VALU_DEP_1)
	v_lshlrev_b64 v[4:5], 2, v[2:3]
	v_add_co_u32 v4, vcc_lo, s5, v4
	s_delay_alu instid0(VALU_DEP_2)
	v_add_co_ci_u32_e32 v5, vcc_lo, s26, v5, vcc_lo
	global_load_b32 v0, v[4:5], off
	s_waitcnt vmcnt(0)
	v_fmac_f32_e32 v1, s11, v0
.LBB195_52:
	s_or_b32 s2, s27, exec_lo
.LBB195_53:
	s_or_b32 exec_lo, exec_lo, s1
	s_delay_alu instid0(SALU_CYCLE_1) | instskip(SKIP_1) | instid1(SALU_CYCLE_1)
	s_and_not1_b32 s1, s27, exec_lo
	s_and_b32 s2, s2, exec_lo
	s_or_b32 s27, s1, s2
.LBB195_54:
	s_or_b32 exec_lo, exec_lo, s0
.LBB195_55:
	s_and_saveexec_b32 s0, s27
	s_cbranch_execz .LBB195_57
; %bb.56:
	v_lshlrev_b64 v[2:3], 2, v[2:3]
	s_delay_alu instid0(VALU_DEP_1) | instskip(NEXT) | instid1(VALU_DEP_2)
	v_add_co_u32 v2, vcc_lo, s5, v2
	v_add_co_ci_u32_e32 v3, vcc_lo, s26, v3, vcc_lo
	global_store_b32 v[2:3], v1, off
.LBB195_57:
	s_nop 0
	s_sendmsg sendmsg(MSG_DEALLOC_VGPRS)
	s_endpgm
	.section	.rodata,"a",@progbits
	.p2align	6, 0x0
	.amdhsa_kernel _ZL20rocblas_gemvn_kernelILi64ELi4ElPKffKPfEviiT3_lPKT2_lT1_lS7_lS8_lS4_lPT4_lS8_li
		.amdhsa_group_segment_fixed_size 4096
		.amdhsa_private_segment_fixed_size 0
		.amdhsa_kernarg_size 400
		.amdhsa_user_sgpr_count 14
		.amdhsa_user_sgpr_dispatch_ptr 0
		.amdhsa_user_sgpr_queue_ptr 0
		.amdhsa_user_sgpr_kernarg_segment_ptr 1
		.amdhsa_user_sgpr_dispatch_id 0
		.amdhsa_user_sgpr_private_segment_size 0
		.amdhsa_wavefront_size32 1
		.amdhsa_uses_dynamic_stack 0
		.amdhsa_enable_private_segment 0
		.amdhsa_system_sgpr_workgroup_id_x 1
		.amdhsa_system_sgpr_workgroup_id_y 0
		.amdhsa_system_sgpr_workgroup_id_z 1
		.amdhsa_system_sgpr_workgroup_info 0
		.amdhsa_system_vgpr_workitem_id 1
		.amdhsa_next_free_vgpr 51
		.amdhsa_next_free_sgpr 35
		.amdhsa_reserve_vcc 1
		.amdhsa_float_round_mode_32 0
		.amdhsa_float_round_mode_16_64 0
		.amdhsa_float_denorm_mode_32 3
		.amdhsa_float_denorm_mode_16_64 3
		.amdhsa_dx10_clamp 1
		.amdhsa_ieee_mode 1
		.amdhsa_fp16_overflow 0
		.amdhsa_workgroup_processor_mode 1
		.amdhsa_memory_ordered 1
		.amdhsa_forward_progress 0
		.amdhsa_shared_vgpr_count 0
		.amdhsa_exception_fp_ieee_invalid_op 0
		.amdhsa_exception_fp_denorm_src 0
		.amdhsa_exception_fp_ieee_div_zero 0
		.amdhsa_exception_fp_ieee_overflow 0
		.amdhsa_exception_fp_ieee_underflow 0
		.amdhsa_exception_fp_ieee_inexact 0
		.amdhsa_exception_int_div_zero 0
	.end_amdhsa_kernel
	.section	.text._ZL20rocblas_gemvn_kernelILi64ELi4ElPKffKPfEviiT3_lPKT2_lT1_lS7_lS8_lS4_lPT4_lS8_li,"axG",@progbits,_ZL20rocblas_gemvn_kernelILi64ELi4ElPKffKPfEviiT3_lPKT2_lT1_lS7_lS8_lS4_lPT4_lS8_li,comdat
.Lfunc_end195:
	.size	_ZL20rocblas_gemvn_kernelILi64ELi4ElPKffKPfEviiT3_lPKT2_lT1_lS7_lS8_lS4_lPT4_lS8_li, .Lfunc_end195-_ZL20rocblas_gemvn_kernelILi64ELi4ElPKffKPfEviiT3_lPKT2_lT1_lS7_lS8_lS4_lPT4_lS8_li
                                        ; -- End function
	.section	.AMDGPU.csdata,"",@progbits
; Kernel info:
; codeLenInByte = 3224
; NumSgprs: 37
; NumVgprs: 51
; ScratchSize: 0
; MemoryBound: 0
; FloatMode: 240
; IeeeMode: 1
; LDSByteSize: 4096 bytes/workgroup (compile time only)
; SGPRBlocks: 4
; VGPRBlocks: 6
; NumSGPRsForWavesPerEU: 37
; NumVGPRsForWavesPerEU: 51
; Occupancy: 16
; WaveLimiterHint : 1
; COMPUTE_PGM_RSRC2:SCRATCH_EN: 0
; COMPUTE_PGM_RSRC2:USER_SGPR: 14
; COMPUTE_PGM_RSRC2:TRAP_HANDLER: 0
; COMPUTE_PGM_RSRC2:TGID_X_EN: 1
; COMPUTE_PGM_RSRC2:TGID_Y_EN: 0
; COMPUTE_PGM_RSRC2:TGID_Z_EN: 1
; COMPUTE_PGM_RSRC2:TIDIG_COMP_CNT: 1
	.section	.text._ZL24rocblas_gemv_scal_kernelILi256EPKfPKPfEviT0_lT1_lili,"axG",@progbits,_ZL24rocblas_gemv_scal_kernelILi256EPKfPKPfEviT0_lT1_lili,comdat
	.globl	_ZL24rocblas_gemv_scal_kernelILi256EPKfPKPfEviT0_lT1_lili ; -- Begin function _ZL24rocblas_gemv_scal_kernelILi256EPKfPKPfEviT0_lT1_lili
	.p2align	8
	.type	_ZL24rocblas_gemv_scal_kernelILi256EPKfPKPfEviT0_lT1_lili,@function
_ZL24rocblas_gemv_scal_kernelILi256EPKfPKPfEviT0_lT1_lili: ; @_ZL24rocblas_gemv_scal_kernelILi256EPKfPKPfEviT0_lT1_lili
; %bb.0:
	s_load_b256 s[4:11], s[0:1], 0x8
	s_waitcnt lgkmcnt(0)
	s_mul_i32 s3, s15, s7
	s_mul_hi_u32 s7, s15, s6
	s_mul_i32 s6, s15, s6
	s_add_i32 s7, s7, s3
	s_delay_alu instid0(SALU_CYCLE_1) | instskip(NEXT) | instid1(SALU_CYCLE_1)
	s_lshl_b64 s[6:7], s[6:7], 2
	s_add_u32 s4, s4, s6
	s_addc_u32 s5, s5, s7
	s_load_b32 s4, s[4:5], 0x0
	s_waitcnt lgkmcnt(0)
	v_cmp_eq_f32_e64 s3, s4, 1.0
	s_delay_alu instid0(VALU_DEP_1)
	s_and_b32 vcc_lo, exec_lo, s3
	s_cbranch_vccnz .LBB196_5
; %bb.1:
	s_clause 0x1
	s_load_b32 s3, s[0:1], 0x4c
	s_load_b32 s6, s[0:1], 0x0
	s_waitcnt lgkmcnt(0)
	s_and_b32 s3, s3, 0xffff
	s_ashr_i32 s7, s6, 31
	v_mad_u64_u32 v[1:2], null, s14, s3, v[0:1]
	v_mov_b32_e32 v2, 0
	s_mov_b32 s3, exec_lo
	s_delay_alu instid0(VALU_DEP_1)
	v_cmpx_gt_i64_e64 s[6:7], v[1:2]
	s_cbranch_execz .LBB196_5
; %bb.2:
	s_load_b32 s5, s[0:1], 0x28
	s_mov_b32 s2, s15
	s_mov_b32 s3, 0
	s_delay_alu instid0(SALU_CYCLE_1) | instskip(NEXT) | instid1(SALU_CYCLE_1)
	s_lshl_b64 s[0:1], s[2:3], 3
	s_add_u32 s0, s8, s0
	s_addc_u32 s1, s9, s1
	s_load_b64 s[0:1], s[0:1], 0x0
	s_waitcnt lgkmcnt(0)
	v_mad_u64_u32 v[3:4], null, v1, s5, 0
	s_ashr_i32 s2, s5, 31
	v_cmp_eq_f32_e64 s5, s4, 0
	s_delay_alu instid0(VALU_DEP_2) | instskip(NEXT) | instid1(VALU_DEP_1)
	v_mov_b32_e32 v0, v4
	v_mad_u64_u32 v[4:5], null, v1, s2, v[0:1]
	s_lshl_b64 s[2:3], s[10:11], 2
	s_delay_alu instid0(SALU_CYCLE_1) | instskip(SKIP_1) | instid1(VALU_DEP_1)
	s_add_u32 s0, s0, s2
	s_addc_u32 s1, s1, s3
	v_lshlrev_b64 v[0:1], 2, v[3:4]
	s_delay_alu instid0(VALU_DEP_1) | instskip(NEXT) | instid1(VALU_DEP_2)
	v_add_co_u32 v0, vcc_lo, s0, v0
	v_add_co_ci_u32_e32 v1, vcc_lo, s1, v1, vcc_lo
	s_and_b32 vcc_lo, exec_lo, s5
	s_cbranch_vccnz .LBB196_4
; %bb.3:
	global_load_b32 v2, v[0:1], off
	s_waitcnt vmcnt(0)
	v_mul_f32_e32 v2, s4, v2
.LBB196_4:
	global_store_b32 v[0:1], v2, off
.LBB196_5:
	s_nop 0
	s_sendmsg sendmsg(MSG_DEALLOC_VGPRS)
	s_endpgm
	.section	.rodata,"a",@progbits
	.p2align	6, 0x0
	.amdhsa_kernel _ZL24rocblas_gemv_scal_kernelILi256EPKfPKPfEviT0_lT1_lili
		.amdhsa_group_segment_fixed_size 0
		.amdhsa_private_segment_fixed_size 0
		.amdhsa_kernarg_size 320
		.amdhsa_user_sgpr_count 14
		.amdhsa_user_sgpr_dispatch_ptr 0
		.amdhsa_user_sgpr_queue_ptr 0
		.amdhsa_user_sgpr_kernarg_segment_ptr 1
		.amdhsa_user_sgpr_dispatch_id 0
		.amdhsa_user_sgpr_private_segment_size 0
		.amdhsa_wavefront_size32 1
		.amdhsa_uses_dynamic_stack 0
		.amdhsa_enable_private_segment 0
		.amdhsa_system_sgpr_workgroup_id_x 1
		.amdhsa_system_sgpr_workgroup_id_y 0
		.amdhsa_system_sgpr_workgroup_id_z 1
		.amdhsa_system_sgpr_workgroup_info 0
		.amdhsa_system_vgpr_workitem_id 0
		.amdhsa_next_free_vgpr 6
		.amdhsa_next_free_sgpr 16
		.amdhsa_reserve_vcc 1
		.amdhsa_float_round_mode_32 0
		.amdhsa_float_round_mode_16_64 0
		.amdhsa_float_denorm_mode_32 3
		.amdhsa_float_denorm_mode_16_64 3
		.amdhsa_dx10_clamp 1
		.amdhsa_ieee_mode 1
		.amdhsa_fp16_overflow 0
		.amdhsa_workgroup_processor_mode 1
		.amdhsa_memory_ordered 1
		.amdhsa_forward_progress 0
		.amdhsa_shared_vgpr_count 0
		.amdhsa_exception_fp_ieee_invalid_op 0
		.amdhsa_exception_fp_denorm_src 0
		.amdhsa_exception_fp_ieee_div_zero 0
		.amdhsa_exception_fp_ieee_overflow 0
		.amdhsa_exception_fp_ieee_underflow 0
		.amdhsa_exception_fp_ieee_inexact 0
		.amdhsa_exception_int_div_zero 0
	.end_amdhsa_kernel
	.section	.text._ZL24rocblas_gemv_scal_kernelILi256EPKfPKPfEviT0_lT1_lili,"axG",@progbits,_ZL24rocblas_gemv_scal_kernelILi256EPKfPKPfEviT0_lT1_lili,comdat
.Lfunc_end196:
	.size	_ZL24rocblas_gemv_scal_kernelILi256EPKfPKPfEviT0_lT1_lili, .Lfunc_end196-_ZL24rocblas_gemv_scal_kernelILi256EPKfPKPfEviT0_lT1_lili
                                        ; -- End function
	.section	.AMDGPU.csdata,"",@progbits
; Kernel info:
; codeLenInByte = 308
; NumSgprs: 18
; NumVgprs: 6
; ScratchSize: 0
; MemoryBound: 0
; FloatMode: 240
; IeeeMode: 1
; LDSByteSize: 0 bytes/workgroup (compile time only)
; SGPRBlocks: 2
; VGPRBlocks: 0
; NumSGPRsForWavesPerEU: 18
; NumVGPRsForWavesPerEU: 6
; Occupancy: 16
; WaveLimiterHint : 1
; COMPUTE_PGM_RSRC2:SCRATCH_EN: 0
; COMPUTE_PGM_RSRC2:USER_SGPR: 14
; COMPUTE_PGM_RSRC2:TRAP_HANDLER: 0
; COMPUTE_PGM_RSRC2:TGID_X_EN: 1
; COMPUTE_PGM_RSRC2:TGID_Y_EN: 0
; COMPUTE_PGM_RSRC2:TGID_Z_EN: 1
; COMPUTE_PGM_RSRC2:TIDIG_COMP_CNT: 0
	.section	.text._ZL24rocblas_gemv_scal_kernelILi256EfPKPfEviT0_lT1_lili,"axG",@progbits,_ZL24rocblas_gemv_scal_kernelILi256EfPKPfEviT0_lT1_lili,comdat
	.globl	_ZL24rocblas_gemv_scal_kernelILi256EfPKPfEviT0_lT1_lili ; -- Begin function _ZL24rocblas_gemv_scal_kernelILi256EfPKPfEviT0_lT1_lili
	.p2align	8
	.type	_ZL24rocblas_gemv_scal_kernelILi256EfPKPfEviT0_lT1_lili,@function
_ZL24rocblas_gemv_scal_kernelILi256EfPKPfEviT0_lT1_lili: ; @_ZL24rocblas_gemv_scal_kernelILi256EfPKPfEviT0_lT1_lili
; %bb.0:
	s_load_b64 s[2:3], s[0:1], 0x0
	s_waitcnt lgkmcnt(0)
	v_cmp_eq_f32_e64 s5, s3, 1.0
	s_delay_alu instid0(VALU_DEP_1)
	s_and_b32 vcc_lo, exec_lo, s5
	s_cbranch_vccnz .LBB197_5
; %bb.1:
	s_load_b32 s5, s[0:1], 0x44
	s_ashr_i32 s7, s2, 31
	s_mov_b32 s6, s2
	s_mov_b32 s2, exec_lo
	s_waitcnt lgkmcnt(0)
	s_and_b32 s5, s5, 0xffff
	s_delay_alu instid0(SALU_CYCLE_1) | instskip(SKIP_1) | instid1(VALU_DEP_1)
	v_mad_u64_u32 v[1:2], null, s14, s5, v[0:1]
	v_mov_b32_e32 v2, 0
	v_cmpx_gt_i64_e64 s[6:7], v[1:2]
	s_cbranch_execz .LBB197_5
; %bb.2:
	s_clause 0x1
	s_load_b32 s2, s[0:1], 0x20
	s_load_b128 s[8:11], s[0:1], 0x10
	s_mov_b32 s4, s15
	s_mov_b32 s5, 0
	s_delay_alu instid0(SALU_CYCLE_1)
	s_lshl_b64 s[0:1], s[4:5], 3
	s_waitcnt lgkmcnt(0)
	v_mad_u64_u32 v[3:4], null, v1, s2, 0
	s_add_u32 s0, s8, s0
	s_addc_u32 s1, s9, s1
	s_ashr_i32 s2, s2, 31
	s_load_b64 s[0:1], s[0:1], 0x0
	s_lshl_b64 s[4:5], s[10:11], 2
	s_delay_alu instid0(VALU_DEP_1) | instskip(NEXT) | instid1(VALU_DEP_1)
	v_mov_b32_e32 v0, v4
	v_mad_u64_u32 v[4:5], null, v1, s2, v[0:1]
	v_cmp_eq_f32_e64 s2, s3, 0
	s_delay_alu instid0(VALU_DEP_2) | instskip(SKIP_3) | instid1(VALU_DEP_1)
	v_lshlrev_b64 v[0:1], 2, v[3:4]
	s_waitcnt lgkmcnt(0)
	s_add_u32 s0, s0, s4
	s_addc_u32 s1, s1, s5
	v_add_co_u32 v0, vcc_lo, s0, v0
	s_delay_alu instid0(VALU_DEP_2)
	v_add_co_ci_u32_e32 v1, vcc_lo, s1, v1, vcc_lo
	s_and_b32 vcc_lo, exec_lo, s2
	s_cbranch_vccnz .LBB197_4
; %bb.3:
	global_load_b32 v2, v[0:1], off
	s_waitcnt vmcnt(0)
	v_mul_f32_e32 v2, s3, v2
.LBB197_4:
	global_store_b32 v[0:1], v2, off
.LBB197_5:
	s_nop 0
	s_sendmsg sendmsg(MSG_DEALLOC_VGPRS)
	s_endpgm
	.section	.rodata,"a",@progbits
	.p2align	6, 0x0
	.amdhsa_kernel _ZL24rocblas_gemv_scal_kernelILi256EfPKPfEviT0_lT1_lili
		.amdhsa_group_segment_fixed_size 0
		.amdhsa_private_segment_fixed_size 0
		.amdhsa_kernarg_size 312
		.amdhsa_user_sgpr_count 14
		.amdhsa_user_sgpr_dispatch_ptr 0
		.amdhsa_user_sgpr_queue_ptr 0
		.amdhsa_user_sgpr_kernarg_segment_ptr 1
		.amdhsa_user_sgpr_dispatch_id 0
		.amdhsa_user_sgpr_private_segment_size 0
		.amdhsa_wavefront_size32 1
		.amdhsa_uses_dynamic_stack 0
		.amdhsa_enable_private_segment 0
		.amdhsa_system_sgpr_workgroup_id_x 1
		.amdhsa_system_sgpr_workgroup_id_y 0
		.amdhsa_system_sgpr_workgroup_id_z 1
		.amdhsa_system_sgpr_workgroup_info 0
		.amdhsa_system_vgpr_workitem_id 0
		.amdhsa_next_free_vgpr 6
		.amdhsa_next_free_sgpr 16
		.amdhsa_reserve_vcc 1
		.amdhsa_float_round_mode_32 0
		.amdhsa_float_round_mode_16_64 0
		.amdhsa_float_denorm_mode_32 3
		.amdhsa_float_denorm_mode_16_64 3
		.amdhsa_dx10_clamp 1
		.amdhsa_ieee_mode 1
		.amdhsa_fp16_overflow 0
		.amdhsa_workgroup_processor_mode 1
		.amdhsa_memory_ordered 1
		.amdhsa_forward_progress 0
		.amdhsa_shared_vgpr_count 0
		.amdhsa_exception_fp_ieee_invalid_op 0
		.amdhsa_exception_fp_denorm_src 0
		.amdhsa_exception_fp_ieee_div_zero 0
		.amdhsa_exception_fp_ieee_overflow 0
		.amdhsa_exception_fp_ieee_underflow 0
		.amdhsa_exception_fp_ieee_inexact 0
		.amdhsa_exception_int_div_zero 0
	.end_amdhsa_kernel
	.section	.text._ZL24rocblas_gemv_scal_kernelILi256EfPKPfEviT0_lT1_lili,"axG",@progbits,_ZL24rocblas_gemv_scal_kernelILi256EfPKPfEviT0_lT1_lili,comdat
.Lfunc_end197:
	.size	_ZL24rocblas_gemv_scal_kernelILi256EfPKPfEviT0_lT1_lili, .Lfunc_end197-_ZL24rocblas_gemv_scal_kernelILi256EfPKPfEviT0_lT1_lili
                                        ; -- End function
	.section	.AMDGPU.csdata,"",@progbits
; Kernel info:
; codeLenInByte = 272
; NumSgprs: 18
; NumVgprs: 6
; ScratchSize: 0
; MemoryBound: 0
; FloatMode: 240
; IeeeMode: 1
; LDSByteSize: 0 bytes/workgroup (compile time only)
; SGPRBlocks: 2
; VGPRBlocks: 0
; NumSGPRsForWavesPerEU: 18
; NumVGPRsForWavesPerEU: 6
; Occupancy: 16
; WaveLimiterHint : 1
; COMPUTE_PGM_RSRC2:SCRATCH_EN: 0
; COMPUTE_PGM_RSRC2:USER_SGPR: 14
; COMPUTE_PGM_RSRC2:TRAP_HANDLER: 0
; COMPUTE_PGM_RSRC2:TGID_X_EN: 1
; COMPUTE_PGM_RSRC2:TGID_Y_EN: 0
; COMPUTE_PGM_RSRC2:TGID_Z_EN: 1
; COMPUTE_PGM_RSRC2:TIDIG_COMP_CNT: 0
	.section	.text._ZL36rocblas_gemvn_double_buffered_kernelILi128ELi8ELi8EPKfS1_KPfEviiT3_lPKT2_lilS7_lilPT4_lili,"axG",@progbits,_ZL36rocblas_gemvn_double_buffered_kernelILi128ELi8ELi8EPKfS1_KPfEviiT3_lPKT2_lilS7_lilPT4_lili,comdat
	.globl	_ZL36rocblas_gemvn_double_buffered_kernelILi128ELi8ELi8EPKfS1_KPfEviiT3_lPKT2_lilS7_lilPT4_lili ; -- Begin function _ZL36rocblas_gemvn_double_buffered_kernelILi128ELi8ELi8EPKfS1_KPfEviiT3_lPKT2_lilS7_lilPT4_lili
	.p2align	8
	.type	_ZL36rocblas_gemvn_double_buffered_kernelILi128ELi8ELi8EPKfS1_KPfEviiT3_lPKT2_lilS7_lilPT4_lili,@function
_ZL36rocblas_gemvn_double_buffered_kernelILi128ELi8ELi8EPKfS1_KPfEviiT3_lPKT2_lilS7_lilPT4_lili: ; @_ZL36rocblas_gemvn_double_buffered_kernelILi128ELi8ELi8EPKfS1_KPfEviiT3_lPKT2_lilS7_lilPT4_lili
; %bb.0:
	s_load_b256 s[4:11], s[0:1], 0x8
	s_waitcnt lgkmcnt(0)
	s_mul_i32 s3, s15, s7
	s_mul_hi_u32 s7, s15, s6
	s_mul_i32 s6, s15, s6
	s_add_i32 s7, s7, s3
	s_delay_alu instid0(SALU_CYCLE_1) | instskip(NEXT) | instid1(SALU_CYCLE_1)
	s_lshl_b64 s[6:7], s[6:7], 2
	s_add_u32 s4, s4, s6
	s_addc_u32 s5, s5, s7
	s_load_b32 s22, s[4:5], 0x0
	s_waitcnt lgkmcnt(0)
	v_cmp_eq_f32_e64 s3, s22, 0
	s_delay_alu instid0(VALU_DEP_1)
	s_and_b32 vcc_lo, exec_lo, s3
	s_mov_b32 s3, 0
	s_cbranch_vccnz .LBB198_11
; %bb.1:
	s_clause 0x1
	s_load_b32 s4, s[0:1], 0x84
	s_load_b32 s5, s[0:1], 0x4
	s_mov_b32 s2, s15
	s_waitcnt lgkmcnt(0)
	v_cvt_f32_u32_e32 v1, s4
	s_ashr_i32 s7, s5, 31
	s_sub_i32 s12, 0, s4
	s_lshr_b32 s7, s7, 25
	s_delay_alu instid0(SALU_CYCLE_1) | instskip(SKIP_4) | instid1(VALU_DEP_1)
	s_add_i32 s5, s5, s7
	v_rcp_iflag_f32_e32 v1, v1
	s_ashr_i32 s5, s5, 7
	s_waitcnt_depctr 0xfff
	v_mul_f32_e32 v1, 0x4f7ffffe, v1
	v_cvt_u32_f32_e32 v1, v1
	s_delay_alu instid0(VALU_DEP_1) | instskip(NEXT) | instid1(VALU_DEP_1)
	v_readfirstlane_b32 s6, v1
	s_mul_i32 s12, s12, s6
	s_delay_alu instid0(SALU_CYCLE_1) | instskip(NEXT) | instid1(SALU_CYCLE_1)
	s_mul_hi_u32 s7, s6, s12
	s_add_i32 s6, s6, s7
	s_delay_alu instid0(SALU_CYCLE_1) | instskip(NEXT) | instid1(SALU_CYCLE_1)
	s_mul_hi_u32 s6, s5, s6
	s_mul_i32 s7, s6, s4
	s_add_i32 s12, s6, 1
	s_sub_i32 s7, s5, s7
	s_delay_alu instid0(SALU_CYCLE_1)
	s_sub_i32 s15, s7, s4
	s_cmp_ge_u32 s7, s4
	s_cselect_b32 s6, s12, s6
	s_cselect_b32 s7, s15, s7
	s_add_i32 s12, s6, 1
	s_cmp_ge_u32 s7, s4
	s_cselect_b32 s12, s12, s6
	s_delay_alu instid0(SALU_CYCLE_1) | instskip(NEXT) | instid1(SALU_CYCLE_1)
	s_mul_i32 s4, s12, s4
	s_sub_i32 s15, s5, s4
	s_delay_alu instid0(SALU_CYCLE_1) | instskip(SKIP_1) | instid1(SALU_CYCLE_1)
	s_cmp_lt_u32 s14, s15
	s_cselect_b32 s4, -1, 0
	s_cmp_lg_u32 s4, 0
	s_addc_u32 s23, s12, 0
	s_delay_alu instid0(SALU_CYCLE_1)
	s_cmp_eq_u32 s23, 0
	s_cbranch_scc1 .LBB198_11
; %bb.2:
	s_load_b128 s[4:7], s[0:1], 0x58
	s_lshl_b64 s[20:21], s[2:3], 3
	v_dual_mov_b32 v1, 0 :: v_dual_and_b32 v20, 0x3ff, v0
	v_bfe_u32 v21, v0, 10, 10
	s_delay_alu instid0(VALU_DEP_2) | instskip(NEXT) | instid1(VALU_DEP_2)
	v_dual_mov_b32 v33, 0 :: v_dual_and_b32 v0, 63, v20
	v_lshl_add_u32 v2, v21, 7, v20
	s_delay_alu instid0(VALU_DEP_2) | instskip(NEXT) | instid1(VALU_DEP_2)
	v_lshlrev_b32_e32 v23, 2, v0
	v_lshrrev_b32_e32 v22, 6, v2
	s_waitcnt lgkmcnt(0)
	s_add_u32 s2, s4, s20
	s_addc_u32 s3, s5, s21
	s_lshl_b32 s4, s13, 7
	s_load_b64 s[2:3], s[2:3], 0x0
	s_ashr_i32 s5, s4, 31
	s_cmp_lt_i32 s23, 1
	s_cbranch_scc1 .LBB198_8
; %bb.3:
	v_cvt_f64_i32_e32 v[3:4], s14
	v_cvt_f64_u32_e32 v[5:6], s15
	s_mul_i32 s12, s12, s14
	s_load_b32 s18, s[0:1], 0x28
	v_cvt_f64_u32_e32 v[7:8], s12
	s_clause 0x1
	s_load_b128 s[12:15], s[0:1], 0x38
	s_load_b32 s16, s[0:1], 0x48
	v_mov_b32_e32 v1, 0
	s_waitcnt lgkmcnt(0)
	s_ashr_i32 s19, s18, 31
	s_add_u32 s8, s8, s20
	s_addc_u32 s9, s9, s21
	s_add_u32 s20, s12, s20
	s_load_b64 s[24:25], s[8:9], 0x0
	s_addc_u32 s21, s13, s21
	s_lshl_b64 s[26:27], s[10:11], 2
	s_ashr_i32 s17, s16, 31
	s_delay_alu instid0(VALU_DEP_3)
	v_min_f64 v[3:4], v[3:4], v[5:6]
	v_lshlrev_b32_e32 v6, 3, v22
	s_waitcnt lgkmcnt(0)
	s_add_u32 s8, s24, s26
	s_addc_u32 s9, s25, s27
	s_lshl_b64 s[28:29], s[4:5], 2
	s_delay_alu instid0(SALU_CYCLE_1) | instskip(SKIP_1) | instid1(VALU_DEP_2)
	s_add_u32 s5, s8, s28
	s_addc_u32 s11, s9, s29
	v_add_f64 v[3:4], v[3:4], v[7:8]
	s_delay_alu instid0(VALU_DEP_1) | instskip(SKIP_2) | instid1(VALU_DEP_1)
	v_cvt_i32_f64_e32 v5, v[3:4]
	v_mad_i64_i32 v[3:4], null, s18, v6, v[0:1]
	v_lshrrev_b32_e32 v0, 1, v2
	v_and_b32_e32 v0, 0x1ffe0, v0
	s_delay_alu instid0(VALU_DEP_3) | instskip(SKIP_1) | instid1(VALU_DEP_1)
	v_lshlrev_b64 v[3:4], 2, v[3:4]
	v_readfirstlane_b32 s10, v5
	s_lshl_b32 s12, s10, 7
	s_delay_alu instid0(SALU_CYCLE_1) | instskip(SKIP_3) | instid1(SALU_CYCLE_1)
	s_mul_hi_i32 s9, s12, s18
	s_mul_i32 s8, s12, s18
	s_ashr_i32 s13, s12, 31
	s_lshl_b64 s[8:9], s[8:9], 2
	s_add_u32 s5, s5, s8
	s_addc_u32 s8, s11, s9
	v_add_co_u32 v3, vcc_lo, s5, v3
	v_add_co_ci_u32_e32 v4, vcc_lo, s8, v4, vcc_lo
	s_lshl_b64 s[8:9], s[18:19], 2
	s_lshl_b64 s[12:13], s[12:13], 2
	s_delay_alu instid0(VALU_DEP_2) | instskip(NEXT) | instid1(VALU_DEP_2)
	v_add_co_u32 v5, vcc_lo, v3, s8
	v_add_co_ci_u32_e32 v6, vcc_lo, s9, v4, vcc_lo
	s_clause 0x1
	global_load_b32 v32, v[3:4], off
	global_load_b32 v30, v[5:6], off
	v_add_co_u32 v7, vcc_lo, v5, s8
	v_add_co_ci_u32_e32 v8, vcc_lo, s9, v6, vcc_lo
	v_add_co_u32 v33, s5, v0, s12
	s_delay_alu instid0(VALU_DEP_3) | instskip(NEXT) | instid1(VALU_DEP_3)
	v_add_co_u32 v9, vcc_lo, v7, s8
	v_add_co_ci_u32_e32 v10, vcc_lo, s9, v8, vcc_lo
	global_load_b32 v31, v[7:8], off
	v_add_co_u32 v11, vcc_lo, v9, s8
	v_add_co_ci_u32_e32 v12, vcc_lo, s9, v10, vcc_lo
	s_lshl_b32 s12, s16, 7
	s_delay_alu instid0(VALU_DEP_2) | instskip(NEXT) | instid1(VALU_DEP_2)
	v_add_co_u32 v13, vcc_lo, v11, s8
	v_add_co_ci_u32_e32 v14, vcc_lo, s9, v12, vcc_lo
	s_lshl_b64 s[10:11], s[18:19], 9
	s_delay_alu instid0(VALU_DEP_2) | instskip(NEXT) | instid1(VALU_DEP_2)
	v_add_co_u32 v3, vcc_lo, v13, s8
	v_add_co_ci_u32_e32 v4, vcc_lo, s9, v14, vcc_lo
	v_add_co_ci_u32_e64 v18, null, 0, s13, s5
	s_delay_alu instid0(VALU_DEP_3) | instskip(NEXT) | instid1(VALU_DEP_3)
	v_add_co_u32 v5, vcc_lo, v3, s8
	v_add_co_ci_u32_e32 v6, vcc_lo, s9, v4, vcc_lo
	global_load_b32 v29, v[9:10], off
	global_load_b32 v28, v[11:12], off
	;; [unrolled: 1-line block ×5, first 2 shown]
	s_add_i32 s5, s23, -1
	s_ashr_i32 s13, s12, 31
	s_add_u32 s24, s24, s28
	s_addc_u32 s25, s25, s29
	s_add_u32 s24, s24, s26
	s_addc_u32 s25, s25, s27
	v_mul_lo_u32 v0, v33, s19
	v_mul_lo_u32 v2, v18, s18
	v_mad_u64_u32 v[4:5], null, v33, s18, s[24:25]
	v_add_co_u32 v6, vcc_lo, 0x200, v33
	v_add_co_ci_u32_e32 v3, vcc_lo, 0, v18, vcc_lo
	s_load_b64 s[20:21], s[20:21], 0x0
	s_delay_alu instid0(VALU_DEP_2) | instskip(NEXT) | instid1(VALU_DEP_4)
	v_mul_lo_u32 v7, v6, s19
	v_add3_u32 v5, v2, v5, v0
	s_delay_alu instid0(VALU_DEP_3)
	v_mul_lo_u32 v8, v3, s18
	v_mad_u64_u32 v[2:3], null, v6, s18, s[24:25]
	v_add_co_u32 v6, vcc_lo, 0x208, v33
	v_add_co_ci_u32_e32 v9, vcc_lo, 0, v18, vcc_lo
	v_add_co_u32 v0, vcc_lo, 0x100, v4
	v_add_co_ci_u32_e32 v24, vcc_lo, 0, v5, vcc_lo
	v_add3_u32 v3, v8, v3, v7
	v_add_co_u32 v8, vcc_lo, 0x20c, v33
	v_mul_lo_u32 v34, v6, s19
	v_mad_u64_u32 v[4:5], null, v6, s18, s[24:25]
	v_add_co_ci_u32_e32 v6, vcc_lo, 0, v18, vcc_lo
	v_add_co_u32 v10, vcc_lo, 0x210, v33
	v_mul_lo_u32 v35, v9, s18
	v_add_co_ci_u32_e32 v9, vcc_lo, 0, v18, vcc_lo
	v_add_co_u32 v12, vcc_lo, 0x214, v33
	v_mul_lo_u32 v36, v8, s19
	v_mul_lo_u32 v37, v6, s18
	v_mad_u64_u32 v[6:7], null, v8, s18, s[24:25]
	v_mul_lo_u32 v38, v10, s19
	v_mul_lo_u32 v39, v9, s18
	v_mad_u64_u32 v[8:9], null, v10, s18, s[24:25]
	v_add_co_ci_u32_e32 v10, vcc_lo, 0, v18, vcc_lo
	v_add_co_u32 v14, vcc_lo, 0x218, v33
	v_add_co_ci_u32_e32 v13, vcc_lo, 0, v18, vcc_lo
	v_add_co_u32 v16, vcc_lo, 0x21c, v33
	v_mul_lo_u32 v40, v12, s19
	v_mul_lo_u32 v41, v10, s18
	v_mad_u64_u32 v[10:11], null, v12, s18, s[24:25]
	v_mul_lo_u32 v42, v14, s19
	v_mul_lo_u32 v43, v13, s18
	v_mad_u64_u32 v[12:13], null, v14, s18, s[24:25]
	v_add_co_ci_u32_e32 v14, vcc_lo, 0, v18, vcc_lo
	v_add_co_u32 v19, vcc_lo, 0x204, v33
	v_add_co_ci_u32_e32 v17, vcc_lo, 0, v18, vcc_lo
	s_lshl_b64 s[14:15], s[14:15], 2
	v_mul_lo_u32 v44, v16, s19
	s_waitcnt lgkmcnt(0)
	s_add_u32 s14, s20, s14
	s_addc_u32 s15, s21, s15
	v_mul_lo_u32 v45, v14, s18
	v_mad_u64_u32 v[14:15], null, v16, s18, s[24:25]
	v_mul_lo_u32 v46, v19, s19
	v_mul_lo_u32 v47, v17, s18
	v_mad_u64_u32 v[16:17], null, v19, s18, s[24:25]
	v_mul_lo_u32 v48, v33, s17
	v_mul_lo_u32 v49, v18, s16
	v_mad_u64_u32 v[18:19], null, v33, s16, s[14:15]
	v_mov_b32_e32 v33, v1
	v_add3_u32 v5, v35, v5, v34
	v_add3_u32 v7, v37, v7, v36
	;; [unrolled: 1-line block ×8, first 2 shown]
	s_lshl_b64 s[12:13], s[12:13], 2
	s_lshl_b64 s[14:15], s[16:17], 2
	s_mov_b32 s16, 0
	s_waitcnt vmcnt(6)
	v_dual_mov_b32 v34, v32 :: v_dual_mov_b32 v35, v30
	s_waitcnt vmcnt(4)
	v_dual_mov_b32 v36, v31 :: v_dual_mov_b32 v37, v29
	;; [unrolled: 2-line block ×4, first 2 shown]
.LBB198_4:                              ; =>This Inner Loop Header: Depth=1
	v_add_co_u32 v42, vcc_lo, v0, v23
	v_add_co_ci_u32_e32 v43, vcc_lo, 0, v24, vcc_lo
	s_cmp_eq_u32 s5, s16
	s_delay_alu instid0(VALU_DEP_2) | instskip(NEXT) | instid1(VALU_DEP_2)
	v_add_co_u32 v44, vcc_lo, v42, s8
	v_add_co_ci_u32_e32 v45, vcc_lo, s9, v43, vcc_lo
	s_delay_alu instid0(VALU_DEP_2) | instskip(NEXT) | instid1(VALU_DEP_2)
	v_add_co_u32 v46, vcc_lo, v44, s8
	v_add_co_ci_u32_e32 v47, vcc_lo, s9, v45, vcc_lo
	;; [unrolled: 3-line block ×5, first 2 shown]
	v_add_co_u32 v56, vcc_lo, v18, s14
	v_add_co_ci_u32_e32 v57, vcc_lo, s15, v19, vcc_lo
	s_clause 0x5
	global_load_b32 v49, v[42:43], off
	global_load_b32 v48, v[44:45], off
	;; [unrolled: 1-line block ×6, first 2 shown]
	v_add_co_u32 v50, vcc_lo, v56, s14
	v_add_co_ci_u32_e32 v51, vcc_lo, s15, v57, vcc_lo
	v_add_co_u32 v52, vcc_lo, v54, s8
	v_add_co_ci_u32_e32 v53, vcc_lo, s9, v55, vcc_lo
	s_delay_alu instid0(VALU_DEP_4) | instskip(NEXT) | instid1(VALU_DEP_4)
	v_add_co_u32 v58, vcc_lo, v50, s14
	v_add_co_ci_u32_e32 v59, vcc_lo, s15, v51, vcc_lo
	global_load_b32 v44, v[52:53], off
	v_add_co_u32 v60, vcc_lo, v58, s14
	v_add_co_ci_u32_e32 v61, vcc_lo, s15, v59, vcc_lo
	v_add_co_u32 v52, vcc_lo, v52, s8
	v_add_co_ci_u32_e32 v53, vcc_lo, s9, v53, vcc_lo
	s_delay_alu instid0(VALU_DEP_4) | instskip(NEXT) | instid1(VALU_DEP_4)
	v_add_co_u32 v62, vcc_lo, v60, s14
	v_add_co_ci_u32_e32 v63, vcc_lo, s15, v61, vcc_lo
	global_load_b32 v46, v[52:53], off
	v_add_co_u32 v64, vcc_lo, v62, s14
	v_add_co_ci_u32_e32 v65, vcc_lo, s15, v63, vcc_lo
	global_load_b32 v55, v[18:19], off
	v_add_co_u32 v66, vcc_lo, v64, s14
	v_add_co_ci_u32_e32 v67, vcc_lo, s15, v65, vcc_lo
	s_clause 0x5
	global_load_b32 v57, v[56:57], off
	global_load_b32 v56, v[50:51], off
	;; [unrolled: 1-line block ×7, first 2 shown]
	s_cbranch_scc1 .LBB198_6
; %bb.5:                                ;   in Loop: Header=BB198_4 Depth=1
	v_add_co_u32 v34, vcc_lo, v2, v23
	v_add_co_ci_u32_e32 v35, vcc_lo, 0, v3, vcc_lo
	v_add_co_u32 v36, vcc_lo, v16, v23
	v_add_co_ci_u32_e32 v37, vcc_lo, 0, v17, vcc_lo
	;; [unrolled: 2-line block ×3, first 2 shown]
	global_load_b32 v34, v[34:35], off
	global_load_b32 v35, v[36:37], off
	;; [unrolled: 1-line block ×3, first 2 shown]
	v_add_co_u32 v37, vcc_lo, v6, v23
	v_add_co_ci_u32_e32 v38, vcc_lo, 0, v7, vcc_lo
	v_add_co_u32 v39, vcc_lo, v8, v23
	v_add_co_ci_u32_e32 v40, vcc_lo, 0, v9, vcc_lo
	;; [unrolled: 2-line block ×5, first 2 shown]
	global_load_b32 v37, v[37:38], off
	global_load_b32 v38, v[39:40], off
	;; [unrolled: 1-line block ×5, first 2 shown]
.LBB198_6:                              ;   in Loop: Header=BB198_4 Depth=1
	s_waitcnt vmcnt(7)
	v_fmac_f32_e32 v33, v32, v55
	v_fmac_f32_e32 v1, v49, v55
	v_add_co_u32 v0, vcc_lo, v0, s10
	v_add_co_ci_u32_e32 v24, vcc_lo, s11, v24, vcc_lo
	s_waitcnt vmcnt(6)
	v_fmac_f32_e32 v33, v30, v57
	v_fmac_f32_e32 v1, v48, v57
	v_add_co_u32 v2, vcc_lo, v2, s10
	v_add_co_ci_u32_e32 v3, vcc_lo, s11, v3, vcc_lo
	;; [unrolled: 5-line block ×4, first 2 shown]
	v_add_co_u32 v8, vcc_lo, v8, s10
	s_waitcnt vmcnt(3)
	v_fmac_f32_e32 v33, v28, v53
	v_fmac_f32_e32 v1, v43, v53
	v_add_co_ci_u32_e32 v9, vcc_lo, s11, v9, vcc_lo
	v_add_co_u32 v10, vcc_lo, v10, s10
	v_add_co_ci_u32_e32 v11, vcc_lo, s11, v11, vcc_lo
	v_add_co_u32 v12, vcc_lo, v12, s10
	s_waitcnt vmcnt(2)
	v_fmac_f32_e32 v33, v27, v52
	v_fmac_f32_e32 v1, v42, v52
	v_add_co_ci_u32_e32 v13, vcc_lo, s11, v13, vcc_lo
	v_add_co_u32 v14, vcc_lo, v14, s10
	v_add_co_ci_u32_e32 v15, vcc_lo, s11, v15, vcc_lo
	s_waitcnt vmcnt(1)
	v_fmac_f32_e32 v33, v26, v51
	v_fmac_f32_e32 v1, v44, v51
	v_add_co_u32 v16, vcc_lo, v16, s10
	v_add_co_ci_u32_e32 v17, vcc_lo, s11, v17, vcc_lo
	v_add_co_u32 v18, vcc_lo, v18, s12
	s_waitcnt vmcnt(0)
	v_fmac_f32_e32 v33, v25, v50
	v_fmac_f32_e32 v1, v46, v50
	v_add_co_ci_u32_e32 v19, vcc_lo, s13, v19, vcc_lo
	s_add_i32 s16, s16, 1
	s_delay_alu instid0(SALU_CYCLE_1)
	s_cmp_lt_i32 s16, s23
	s_cbranch_scc0 .LBB198_8
; %bb.7:                                ;   in Loop: Header=BB198_4 Depth=1
	v_dual_mov_b32 v32, v34 :: v_dual_mov_b32 v31, v36
	v_dual_mov_b32 v30, v35 :: v_dual_mov_b32 v29, v37
	;; [unrolled: 1-line block ×4, first 2 shown]
	s_branch .LBB198_4
.LBB198_8:
	v_lshl_or_b32 v0, v22, 9, v23
	s_mov_b32 s5, 0
	s_mov_b32 s8, exec_lo
	ds_store_2addr_stride64_b32 v0, v33, v1 offset1:1
	s_waitcnt lgkmcnt(0)
	s_barrier
	buffer_gl0_inv
	v_cmpx_eq_u32_e32 0, v21
	s_cbranch_execz .LBB198_11
; %bb.9:
	s_load_b32 s8, s[0:1], 0x68
	s_lshl_b64 s[0:1], s[6:7], 2
	v_lshlrev_b32_e32 v2, 2, v20
	s_add_u32 s2, s2, s0
	s_addc_u32 s3, s3, s1
	s_waitcnt lgkmcnt(0)
	v_mad_i64_i32 v[0:1], null, s8, v20, 0
	s_mul_hi_i32 s1, s8, s4
	s_mul_i32 s0, s8, s4
	s_delay_alu instid0(SALU_CYCLE_1) | instskip(NEXT) | instid1(SALU_CYCLE_1)
	s_lshl_b64 s[0:1], s[0:1], 2
	s_add_u32 s0, s2, s0
	s_delay_alu instid0(VALU_DEP_1) | instskip(SKIP_1) | instid1(VALU_DEP_1)
	v_lshlrev_b64 v[0:1], 2, v[0:1]
	s_addc_u32 s1, s3, s1
	v_add_co_u32 v0, vcc_lo, s0, v0
	s_delay_alu instid0(VALU_DEP_2)
	v_add_co_ci_u32_e32 v1, vcc_lo, s1, v1, vcc_lo
	global_load_b32 v3, v[0:1], off
	ds_load_2addr_stride64_b32 v[4:5], v2 offset1:2
	ds_load_2addr_stride64_b32 v[6:7], v2 offset0:4 offset1:6
	ds_load_2addr_stride64_b32 v[8:9], v2 offset0:8 offset1:10
	s_waitcnt lgkmcnt(2)
	v_add_f32_e32 v4, 0, v4
	s_delay_alu instid0(VALU_DEP_1) | instskip(SKIP_1) | instid1(VALU_DEP_1)
	v_add_f32_e32 v4, v4, v5
	s_waitcnt lgkmcnt(1)
	v_add_f32_e32 v6, v4, v6
	ds_load_2addr_stride64_b32 v[4:5], v2 offset0:12 offset1:14
	v_add_f32_e32 v6, v6, v7
	s_waitcnt lgkmcnt(1)
	s_delay_alu instid0(VALU_DEP_1) | instskip(SKIP_3) | instid1(VALU_DEP_1)
	v_add_f32_e32 v8, v6, v8
	ds_load_2addr_stride64_b32 v[6:7], v2 offset0:16 offset1:18
	v_add_f32_e32 v8, v8, v9
	s_waitcnt lgkmcnt(1)
	v_add_f32_e32 v4, v8, v4
	ds_load_2addr_stride64_b32 v[8:9], v2 offset0:20 offset1:22
	v_add_f32_e32 v4, v4, v5
	s_waitcnt lgkmcnt(1)
	s_delay_alu instid0(VALU_DEP_1) | instskip(SKIP_3) | instid1(VALU_DEP_1)
	v_add_f32_e32 v6, v4, v6
	ds_load_2addr_stride64_b32 v[4:5], v2 offset0:24 offset1:26
	v_add_f32_e32 v6, v6, v7
	s_waitcnt lgkmcnt(1)
	v_add_f32_e32 v8, v6, v8
	ds_load_2addr_stride64_b32 v[6:7], v2 offset0:28 offset1:30
	v_add_f32_e32 v2, v8, v9
	s_waitcnt lgkmcnt(1)
	s_delay_alu instid0(VALU_DEP_1) | instskip(NEXT) | instid1(VALU_DEP_1)
	v_add_f32_e32 v2, v2, v4
	v_add_f32_e32 v2, v2, v5
	s_waitcnt lgkmcnt(0)
	s_delay_alu instid0(VALU_DEP_1) | instskip(NEXT) | instid1(VALU_DEP_1)
	v_add_f32_e32 v2, v2, v6
	v_add_f32_e32 v2, v2, v7
	s_delay_alu instid0(VALU_DEP_1)
	v_mul_f32_e32 v4, s22, v2
.LBB198_10:                             ; =>This Inner Loop Header: Depth=1
	s_waitcnt vmcnt(0)
	s_delay_alu instid0(VALU_DEP_1)
	v_add_f32_e32 v2, v3, v4
	global_atomic_cmpswap_b32 v2, v[0:1], v[2:3], off glc
	s_waitcnt vmcnt(0)
	v_cmp_eq_u32_e32 vcc_lo, v2, v3
	v_mov_b32_e32 v3, v2
	s_or_b32 s5, vcc_lo, s5
	s_delay_alu instid0(SALU_CYCLE_1)
	s_and_not1_b32 exec_lo, exec_lo, s5
	s_cbranch_execnz .LBB198_10
.LBB198_11:
	s_endpgm
	.section	.rodata,"a",@progbits
	.p2align	6, 0x0
	.amdhsa_kernel _ZL36rocblas_gemvn_double_buffered_kernelILi128ELi8ELi8EPKfS1_KPfEviiT3_lPKT2_lilS7_lilPT4_lili
		.amdhsa_group_segment_fixed_size 8192
		.amdhsa_private_segment_fixed_size 0
		.amdhsa_kernarg_size 384
		.amdhsa_user_sgpr_count 13
		.amdhsa_user_sgpr_dispatch_ptr 0
		.amdhsa_user_sgpr_queue_ptr 0
		.amdhsa_user_sgpr_kernarg_segment_ptr 1
		.amdhsa_user_sgpr_dispatch_id 0
		.amdhsa_user_sgpr_private_segment_size 0
		.amdhsa_wavefront_size32 1
		.amdhsa_uses_dynamic_stack 0
		.amdhsa_enable_private_segment 0
		.amdhsa_system_sgpr_workgroup_id_x 1
		.amdhsa_system_sgpr_workgroup_id_y 1
		.amdhsa_system_sgpr_workgroup_id_z 1
		.amdhsa_system_sgpr_workgroup_info 0
		.amdhsa_system_vgpr_workitem_id 1
		.amdhsa_next_free_vgpr 68
		.amdhsa_next_free_sgpr 30
		.amdhsa_reserve_vcc 1
		.amdhsa_float_round_mode_32 0
		.amdhsa_float_round_mode_16_64 0
		.amdhsa_float_denorm_mode_32 3
		.amdhsa_float_denorm_mode_16_64 3
		.amdhsa_dx10_clamp 1
		.amdhsa_ieee_mode 1
		.amdhsa_fp16_overflow 0
		.amdhsa_workgroup_processor_mode 1
		.amdhsa_memory_ordered 1
		.amdhsa_forward_progress 0
		.amdhsa_shared_vgpr_count 0
		.amdhsa_exception_fp_ieee_invalid_op 0
		.amdhsa_exception_fp_denorm_src 0
		.amdhsa_exception_fp_ieee_div_zero 0
		.amdhsa_exception_fp_ieee_overflow 0
		.amdhsa_exception_fp_ieee_underflow 0
		.amdhsa_exception_fp_ieee_inexact 0
		.amdhsa_exception_int_div_zero 0
	.end_amdhsa_kernel
	.section	.text._ZL36rocblas_gemvn_double_buffered_kernelILi128ELi8ELi8EPKfS1_KPfEviiT3_lPKT2_lilS7_lilPT4_lili,"axG",@progbits,_ZL36rocblas_gemvn_double_buffered_kernelILi128ELi8ELi8EPKfS1_KPfEviiT3_lPKT2_lilS7_lilPT4_lili,comdat
.Lfunc_end198:
	.size	_ZL36rocblas_gemvn_double_buffered_kernelILi128ELi8ELi8EPKfS1_KPfEviiT3_lPKT2_lilS7_lilPT4_lili, .Lfunc_end198-_ZL36rocblas_gemvn_double_buffered_kernelILi128ELi8ELi8EPKfS1_KPfEviiT3_lPKT2_lilS7_lilPT4_lili
                                        ; -- End function
	.section	.AMDGPU.csdata,"",@progbits
; Kernel info:
; codeLenInByte = 2556
; NumSgprs: 32
; NumVgprs: 68
; ScratchSize: 0
; MemoryBound: 0
; FloatMode: 240
; IeeeMode: 1
; LDSByteSize: 8192 bytes/workgroup (compile time only)
; SGPRBlocks: 3
; VGPRBlocks: 8
; NumSGPRsForWavesPerEU: 32
; NumVGPRsForWavesPerEU: 68
; Occupancy: 16
; WaveLimiterHint : 1
; COMPUTE_PGM_RSRC2:SCRATCH_EN: 0
; COMPUTE_PGM_RSRC2:USER_SGPR: 13
; COMPUTE_PGM_RSRC2:TRAP_HANDLER: 0
; COMPUTE_PGM_RSRC2:TGID_X_EN: 1
; COMPUTE_PGM_RSRC2:TGID_Y_EN: 1
; COMPUTE_PGM_RSRC2:TGID_Z_EN: 1
; COMPUTE_PGM_RSRC2:TIDIG_COMP_CNT: 1
	.section	.text._ZL36rocblas_gemvn_double_buffered_kernelILi128ELi8ELi8EPKffKPfEviiT3_lPKT2_lilS7_lilPT4_lili,"axG",@progbits,_ZL36rocblas_gemvn_double_buffered_kernelILi128ELi8ELi8EPKffKPfEviiT3_lPKT2_lilS7_lilPT4_lili,comdat
	.globl	_ZL36rocblas_gemvn_double_buffered_kernelILi128ELi8ELi8EPKffKPfEviiT3_lPKT2_lilS7_lilPT4_lili ; -- Begin function _ZL36rocblas_gemvn_double_buffered_kernelILi128ELi8ELi8EPKffKPfEviiT3_lPKT2_lilS7_lilPT4_lili
	.p2align	8
	.type	_ZL36rocblas_gemvn_double_buffered_kernelILi128ELi8ELi8EPKffKPfEviiT3_lPKT2_lilS7_lilPT4_lili,@function
_ZL36rocblas_gemvn_double_buffered_kernelILi128ELi8ELi8EPKffKPfEviiT3_lPKT2_lilS7_lilPT4_lili: ; @_ZL36rocblas_gemvn_double_buffered_kernelILi128ELi8ELi8EPKffKPfEviiT3_lPKT2_lilS7_lilPT4_lili
; %bb.0:
	s_load_b64 s[2:3], s[0:1], 0x4
	s_waitcnt lgkmcnt(0)
	v_cmp_eq_f32_e64 s4, s3, 0
	s_delay_alu instid0(VALU_DEP_1)
	s_and_b32 vcc_lo, exec_lo, s4
	s_cbranch_vccnz .LBB199_11
; %bb.1:
	s_load_b32 s4, s[0:1], 0x84
	s_ashr_i32 s6, s2, 31
	s_delay_alu instid0(SALU_CYCLE_1) | instskip(NEXT) | instid1(SALU_CYCLE_1)
	s_lshr_b32 s6, s6, 25
	s_add_i32 s2, s2, s6
	s_delay_alu instid0(SALU_CYCLE_1) | instskip(SKIP_3) | instid1(VALU_DEP_1)
	s_ashr_i32 s2, s2, 7
	s_waitcnt lgkmcnt(0)
	v_cvt_f32_u32_e32 v1, s4
	s_sub_i32 s7, 0, s4
	v_rcp_iflag_f32_e32 v1, v1
	s_waitcnt_depctr 0xfff
	v_mul_f32_e32 v1, 0x4f7ffffe, v1
	s_delay_alu instid0(VALU_DEP_1) | instskip(NEXT) | instid1(VALU_DEP_1)
	v_cvt_u32_f32_e32 v1, v1
	v_readfirstlane_b32 s5, v1
	s_delay_alu instid0(VALU_DEP_1) | instskip(NEXT) | instid1(SALU_CYCLE_1)
	s_mul_i32 s7, s7, s5
	s_mul_hi_u32 s6, s5, s7
	s_delay_alu instid0(SALU_CYCLE_1) | instskip(NEXT) | instid1(SALU_CYCLE_1)
	s_add_i32 s5, s5, s6
	s_mul_hi_u32 s5, s2, s5
	s_delay_alu instid0(SALU_CYCLE_1) | instskip(SKIP_2) | instid1(SALU_CYCLE_1)
	s_mul_i32 s6, s5, s4
	s_add_i32 s7, s5, 1
	s_sub_i32 s6, s2, s6
	s_sub_i32 s8, s6, s4
	s_cmp_ge_u32 s6, s4
	s_cselect_b32 s5, s7, s5
	s_cselect_b32 s6, s8, s6
	s_add_i32 s7, s5, 1
	s_cmp_ge_u32 s6, s4
	s_cselect_b32 s8, s7, s5
	s_delay_alu instid0(SALU_CYCLE_1) | instskip(NEXT) | instid1(SALU_CYCLE_1)
	s_mul_i32 s4, s8, s4
	s_sub_i32 s9, s2, s4
	s_delay_alu instid0(SALU_CYCLE_1) | instskip(SKIP_1) | instid1(SALU_CYCLE_1)
	s_cmp_lt_u32 s14, s9
	s_cselect_b32 s2, -1, 0
	s_cmp_lg_u32 s2, 0
	s_addc_u32 s2, s8, 0
	s_delay_alu instid0(SALU_CYCLE_1)
	s_cmp_eq_u32 s2, 0
	s_cbranch_scc1 .LBB199_11
; %bb.2:
	s_load_b128 s[4:7], s[0:1], 0x58
	s_mov_b32 s16, s15
	s_mov_b32 s17, 0
	v_dual_mov_b32 v1, 0 :: v_dual_and_b32 v20, 0x3ff, v0
	s_lshl_b64 s[22:23], s[16:17], 3
	v_bfe_u32 v21, v0, 10, 10
	s_delay_alu instid0(VALU_DEP_2) | instskip(NEXT) | instid1(VALU_DEP_2)
	v_dual_mov_b32 v33, 0 :: v_dual_and_b32 v0, 63, v20
	v_lshl_add_u32 v2, v21, 7, v20
	s_delay_alu instid0(VALU_DEP_2) | instskip(NEXT) | instid1(VALU_DEP_2)
	v_lshlrev_b32_e32 v23, 2, v0
	v_lshrrev_b32_e32 v22, 6, v2
	s_waitcnt lgkmcnt(0)
	s_add_u32 s4, s4, s22
	s_addc_u32 s5, s5, s23
	s_lshl_b32 s12, s13, 7
	s_load_b64 s[4:5], s[4:5], 0x0
	s_ashr_i32 s13, s12, 31
	s_cmp_lt_i32 s2, 1
	s_cbranch_scc1 .LBB199_8
; %bb.3:
	v_cvt_f64_i32_e32 v[3:4], s14
	v_cvt_f64_u32_e32 v[5:6], s9
	s_mul_i32 s8, s8, s14
	s_clause 0x1
	s_load_b32 s20, s[0:1], 0x28
	s_load_b128 s[24:27], s[0:1], 0x18
	v_cvt_f64_u32_e32 v[7:8], s8
	s_load_b128 s[8:11], s[0:1], 0x38
	v_mov_b32_e32 v1, 0
	s_waitcnt lgkmcnt(0)
	s_ashr_i32 s21, s20, 31
	s_add_u32 s14, s24, s22
	s_addc_u32 s15, s25, s23
	s_load_b32 s18, s[0:1], 0x48
	s_load_b64 s[28:29], s[14:15], 0x0
	s_add_u32 s24, s8, s22
	s_addc_u32 s25, s9, s23
	s_lshl_b64 s[26:27], s[26:27], 2
	s_delay_alu instid0(VALU_DEP_3)
	v_min_f64 v[3:4], v[3:4], v[5:6]
	v_lshlrev_b32_e32 v6, 3, v22
	s_waitcnt lgkmcnt(0)
	s_ashr_i32 s19, s18, 31
	s_add_u32 s8, s28, s26
	s_addc_u32 s9, s29, s27
	s_lshl_b64 s[30:31], s[12:13], 2
	s_delay_alu instid0(SALU_CYCLE_1) | instskip(SKIP_1) | instid1(VALU_DEP_2)
	s_add_u32 s13, s8, s30
	s_addc_u32 s15, s9, s31
	v_add_f64 v[3:4], v[3:4], v[7:8]
	s_delay_alu instid0(VALU_DEP_1) | instskip(SKIP_2) | instid1(VALU_DEP_1)
	v_cvt_i32_f64_e32 v5, v[3:4]
	v_mad_i64_i32 v[3:4], null, s20, v6, v[0:1]
	v_lshrrev_b32_e32 v0, 1, v2
	v_and_b32_e32 v0, 0x1ffe0, v0
	s_delay_alu instid0(VALU_DEP_3) | instskip(SKIP_1) | instid1(VALU_DEP_1)
	v_lshlrev_b64 v[3:4], 2, v[3:4]
	v_readfirstlane_b32 s14, v5
	s_lshl_b32 s22, s14, 7
	s_delay_alu instid0(SALU_CYCLE_1) | instskip(SKIP_3) | instid1(SALU_CYCLE_1)
	s_mul_hi_i32 s9, s22, s20
	s_mul_i32 s8, s22, s20
	s_ashr_i32 s23, s22, 31
	s_lshl_b64 s[8:9], s[8:9], 2
	s_add_u32 s8, s13, s8
	s_addc_u32 s9, s15, s9
	v_add_co_u32 v3, vcc_lo, s8, v3
	v_add_co_ci_u32_e32 v4, vcc_lo, s9, v4, vcc_lo
	s_lshl_b64 s[8:9], s[20:21], 2
	s_lshl_b64 s[22:23], s[22:23], 2
	s_delay_alu instid0(VALU_DEP_2) | instskip(NEXT) | instid1(VALU_DEP_2)
	v_add_co_u32 v5, vcc_lo, v3, s8
	v_add_co_ci_u32_e32 v6, vcc_lo, s9, v4, vcc_lo
	s_clause 0x1
	global_load_b32 v32, v[3:4], off
	global_load_b32 v30, v[5:6], off
	v_add_co_u32 v7, vcc_lo, v5, s8
	v_add_co_ci_u32_e32 v8, vcc_lo, s9, v6, vcc_lo
	v_add_co_u32 v33, s13, v0, s22
	s_delay_alu instid0(VALU_DEP_3) | instskip(NEXT) | instid1(VALU_DEP_3)
	v_add_co_u32 v9, vcc_lo, v7, s8
	v_add_co_ci_u32_e32 v10, vcc_lo, s9, v8, vcc_lo
	global_load_b32 v31, v[7:8], off
	v_add_co_u32 v11, vcc_lo, v9, s8
	v_add_co_ci_u32_e32 v12, vcc_lo, s9, v10, vcc_lo
	s_lshl_b32 s22, s18, 7
	s_delay_alu instid0(VALU_DEP_2) | instskip(NEXT) | instid1(VALU_DEP_2)
	v_add_co_u32 v13, vcc_lo, v11, s8
	v_add_co_ci_u32_e32 v14, vcc_lo, s9, v12, vcc_lo
	s_lshl_b64 s[14:15], s[20:21], 9
	s_delay_alu instid0(VALU_DEP_2) | instskip(NEXT) | instid1(VALU_DEP_2)
	v_add_co_u32 v3, vcc_lo, v13, s8
	v_add_co_ci_u32_e32 v4, vcc_lo, s9, v14, vcc_lo
	v_add_co_ci_u32_e64 v18, null, 0, s23, s13
	s_delay_alu instid0(VALU_DEP_3) | instskip(NEXT) | instid1(VALU_DEP_3)
	v_add_co_u32 v5, vcc_lo, v3, s8
	v_add_co_ci_u32_e32 v6, vcc_lo, s9, v4, vcc_lo
	global_load_b32 v29, v[9:10], off
	global_load_b32 v28, v[11:12], off
	;; [unrolled: 1-line block ×5, first 2 shown]
	s_add_i32 s13, s2, -1
	s_ashr_i32 s23, s22, 31
	s_add_u32 s16, s28, s30
	s_addc_u32 s28, s29, s31
	s_add_u32 s26, s16, s26
	s_addc_u32 s27, s28, s27
	v_mul_lo_u32 v0, v33, s21
	v_mul_lo_u32 v2, v18, s20
	v_mad_u64_u32 v[4:5], null, v33, s20, s[26:27]
	v_add_co_u32 v6, vcc_lo, 0x200, v33
	v_add_co_ci_u32_e32 v3, vcc_lo, 0, v18, vcc_lo
	s_load_b64 s[24:25], s[24:25], 0x0
	s_delay_alu instid0(VALU_DEP_2) | instskip(NEXT) | instid1(VALU_DEP_4)
	v_mul_lo_u32 v7, v6, s21
	v_add3_u32 v5, v2, v5, v0
	s_delay_alu instid0(VALU_DEP_3)
	v_mul_lo_u32 v8, v3, s20
	v_mad_u64_u32 v[2:3], null, v6, s20, s[26:27]
	v_add_co_u32 v6, vcc_lo, 0x208, v33
	v_add_co_ci_u32_e32 v9, vcc_lo, 0, v18, vcc_lo
	v_add_co_u32 v0, vcc_lo, 0x100, v4
	v_add_co_ci_u32_e32 v24, vcc_lo, 0, v5, vcc_lo
	v_add3_u32 v3, v8, v3, v7
	v_add_co_u32 v8, vcc_lo, 0x20c, v33
	v_mul_lo_u32 v34, v6, s21
	v_mad_u64_u32 v[4:5], null, v6, s20, s[26:27]
	v_add_co_ci_u32_e32 v6, vcc_lo, 0, v18, vcc_lo
	v_add_co_u32 v10, vcc_lo, 0x210, v33
	v_mul_lo_u32 v35, v9, s20
	v_add_co_ci_u32_e32 v9, vcc_lo, 0, v18, vcc_lo
	v_add_co_u32 v12, vcc_lo, 0x214, v33
	v_mul_lo_u32 v36, v8, s21
	v_mul_lo_u32 v37, v6, s20
	v_mad_u64_u32 v[6:7], null, v8, s20, s[26:27]
	v_mul_lo_u32 v38, v10, s21
	v_mul_lo_u32 v39, v9, s20
	v_mad_u64_u32 v[8:9], null, v10, s20, s[26:27]
	v_add_co_ci_u32_e32 v10, vcc_lo, 0, v18, vcc_lo
	v_add_co_u32 v14, vcc_lo, 0x218, v33
	v_add_co_ci_u32_e32 v13, vcc_lo, 0, v18, vcc_lo
	v_add_co_u32 v16, vcc_lo, 0x21c, v33
	v_mul_lo_u32 v40, v12, s21
	v_mul_lo_u32 v41, v10, s20
	v_mad_u64_u32 v[10:11], null, v12, s20, s[26:27]
	v_mul_lo_u32 v42, v14, s21
	v_mul_lo_u32 v43, v13, s20
	v_mad_u64_u32 v[12:13], null, v14, s20, s[26:27]
	v_add_co_ci_u32_e32 v14, vcc_lo, 0, v18, vcc_lo
	v_add_co_u32 v19, vcc_lo, 0x204, v33
	v_add_co_ci_u32_e32 v17, vcc_lo, 0, v18, vcc_lo
	s_lshl_b64 s[10:11], s[10:11], 2
	v_mul_lo_u32 v44, v16, s21
	s_waitcnt lgkmcnt(0)
	s_add_u32 s10, s24, s10
	s_addc_u32 s11, s25, s11
	v_mul_lo_u32 v45, v14, s20
	v_mad_u64_u32 v[14:15], null, v16, s20, s[26:27]
	v_mul_lo_u32 v46, v19, s21
	v_mul_lo_u32 v47, v17, s20
	v_mad_u64_u32 v[16:17], null, v19, s20, s[26:27]
	v_mul_lo_u32 v48, v33, s19
	v_mul_lo_u32 v49, v18, s18
	v_mad_u64_u32 v[18:19], null, v33, s18, s[10:11]
	v_mov_b32_e32 v33, v1
	v_add3_u32 v5, v35, v5, v34
	v_add3_u32 v7, v37, v7, v36
	;; [unrolled: 1-line block ×8, first 2 shown]
	s_lshl_b64 s[10:11], s[22:23], 2
	s_lshl_b64 s[18:19], s[18:19], 2
	s_waitcnt vmcnt(6)
	v_dual_mov_b32 v34, v32 :: v_dual_mov_b32 v35, v30
	s_waitcnt vmcnt(4)
	v_dual_mov_b32 v36, v31 :: v_dual_mov_b32 v37, v29
	;; [unrolled: 2-line block ×4, first 2 shown]
.LBB199_4:                              ; =>This Inner Loop Header: Depth=1
	v_add_co_u32 v42, vcc_lo, v0, v23
	v_add_co_ci_u32_e32 v43, vcc_lo, 0, v24, vcc_lo
	s_cmp_eq_u32 s13, s17
	s_delay_alu instid0(VALU_DEP_2) | instskip(NEXT) | instid1(VALU_DEP_2)
	v_add_co_u32 v44, vcc_lo, v42, s8
	v_add_co_ci_u32_e32 v45, vcc_lo, s9, v43, vcc_lo
	s_delay_alu instid0(VALU_DEP_2) | instskip(NEXT) | instid1(VALU_DEP_2)
	v_add_co_u32 v46, vcc_lo, v44, s8
	v_add_co_ci_u32_e32 v47, vcc_lo, s9, v45, vcc_lo
	;; [unrolled: 3-line block ×5, first 2 shown]
	v_add_co_u32 v56, vcc_lo, v18, s18
	v_add_co_ci_u32_e32 v57, vcc_lo, s19, v19, vcc_lo
	s_clause 0x5
	global_load_b32 v49, v[42:43], off
	global_load_b32 v48, v[44:45], off
	;; [unrolled: 1-line block ×6, first 2 shown]
	v_add_co_u32 v50, vcc_lo, v56, s18
	v_add_co_ci_u32_e32 v51, vcc_lo, s19, v57, vcc_lo
	v_add_co_u32 v52, vcc_lo, v54, s8
	v_add_co_ci_u32_e32 v53, vcc_lo, s9, v55, vcc_lo
	s_delay_alu instid0(VALU_DEP_4) | instskip(NEXT) | instid1(VALU_DEP_4)
	v_add_co_u32 v58, vcc_lo, v50, s18
	v_add_co_ci_u32_e32 v59, vcc_lo, s19, v51, vcc_lo
	global_load_b32 v44, v[52:53], off
	v_add_co_u32 v60, vcc_lo, v58, s18
	v_add_co_ci_u32_e32 v61, vcc_lo, s19, v59, vcc_lo
	v_add_co_u32 v52, vcc_lo, v52, s8
	v_add_co_ci_u32_e32 v53, vcc_lo, s9, v53, vcc_lo
	s_delay_alu instid0(VALU_DEP_4) | instskip(NEXT) | instid1(VALU_DEP_4)
	v_add_co_u32 v62, vcc_lo, v60, s18
	v_add_co_ci_u32_e32 v63, vcc_lo, s19, v61, vcc_lo
	global_load_b32 v46, v[52:53], off
	v_add_co_u32 v64, vcc_lo, v62, s18
	v_add_co_ci_u32_e32 v65, vcc_lo, s19, v63, vcc_lo
	global_load_b32 v55, v[18:19], off
	v_add_co_u32 v66, vcc_lo, v64, s18
	v_add_co_ci_u32_e32 v67, vcc_lo, s19, v65, vcc_lo
	s_clause 0x5
	global_load_b32 v57, v[56:57], off
	global_load_b32 v56, v[50:51], off
	;; [unrolled: 1-line block ×7, first 2 shown]
	s_cbranch_scc1 .LBB199_6
; %bb.5:                                ;   in Loop: Header=BB199_4 Depth=1
	v_add_co_u32 v34, vcc_lo, v2, v23
	v_add_co_ci_u32_e32 v35, vcc_lo, 0, v3, vcc_lo
	v_add_co_u32 v36, vcc_lo, v16, v23
	v_add_co_ci_u32_e32 v37, vcc_lo, 0, v17, vcc_lo
	;; [unrolled: 2-line block ×3, first 2 shown]
	global_load_b32 v34, v[34:35], off
	global_load_b32 v35, v[36:37], off
	;; [unrolled: 1-line block ×3, first 2 shown]
	v_add_co_u32 v37, vcc_lo, v6, v23
	v_add_co_ci_u32_e32 v38, vcc_lo, 0, v7, vcc_lo
	v_add_co_u32 v39, vcc_lo, v8, v23
	v_add_co_ci_u32_e32 v40, vcc_lo, 0, v9, vcc_lo
	v_add_co_u32 v58, vcc_lo, v10, v23
	v_add_co_ci_u32_e32 v59, vcc_lo, 0, v11, vcc_lo
	v_add_co_u32 v60, vcc_lo, v12, v23
	v_add_co_ci_u32_e32 v61, vcc_lo, 0, v13, vcc_lo
	v_add_co_u32 v62, vcc_lo, v14, v23
	v_add_co_ci_u32_e32 v63, vcc_lo, 0, v15, vcc_lo
	global_load_b32 v37, v[37:38], off
	global_load_b32 v38, v[39:40], off
	;; [unrolled: 1-line block ×5, first 2 shown]
.LBB199_6:                              ;   in Loop: Header=BB199_4 Depth=1
	s_waitcnt vmcnt(7)
	v_fmac_f32_e32 v33, v32, v55
	v_fmac_f32_e32 v1, v49, v55
	v_add_co_u32 v0, vcc_lo, v0, s14
	v_add_co_ci_u32_e32 v24, vcc_lo, s15, v24, vcc_lo
	s_waitcnt vmcnt(6)
	v_fmac_f32_e32 v33, v30, v57
	v_fmac_f32_e32 v1, v48, v57
	v_add_co_u32 v2, vcc_lo, v2, s14
	v_add_co_ci_u32_e32 v3, vcc_lo, s15, v3, vcc_lo
	;; [unrolled: 5-line block ×4, first 2 shown]
	v_add_co_u32 v8, vcc_lo, v8, s14
	s_waitcnt vmcnt(3)
	v_fmac_f32_e32 v33, v28, v53
	v_fmac_f32_e32 v1, v43, v53
	v_add_co_ci_u32_e32 v9, vcc_lo, s15, v9, vcc_lo
	v_add_co_u32 v10, vcc_lo, v10, s14
	v_add_co_ci_u32_e32 v11, vcc_lo, s15, v11, vcc_lo
	v_add_co_u32 v12, vcc_lo, v12, s14
	s_waitcnt vmcnt(2)
	v_fmac_f32_e32 v33, v27, v52
	v_fmac_f32_e32 v1, v42, v52
	v_add_co_ci_u32_e32 v13, vcc_lo, s15, v13, vcc_lo
	v_add_co_u32 v14, vcc_lo, v14, s14
	v_add_co_ci_u32_e32 v15, vcc_lo, s15, v15, vcc_lo
	s_waitcnt vmcnt(1)
	v_fmac_f32_e32 v33, v26, v51
	v_fmac_f32_e32 v1, v44, v51
	v_add_co_u32 v16, vcc_lo, v16, s14
	v_add_co_ci_u32_e32 v17, vcc_lo, s15, v17, vcc_lo
	v_add_co_u32 v18, vcc_lo, v18, s10
	s_waitcnt vmcnt(0)
	v_fmac_f32_e32 v33, v25, v50
	v_fmac_f32_e32 v1, v46, v50
	v_add_co_ci_u32_e32 v19, vcc_lo, s11, v19, vcc_lo
	s_add_i32 s17, s17, 1
	s_delay_alu instid0(SALU_CYCLE_1)
	s_cmp_lt_i32 s17, s2
	s_cbranch_scc0 .LBB199_8
; %bb.7:                                ;   in Loop: Header=BB199_4 Depth=1
	v_dual_mov_b32 v32, v34 :: v_dual_mov_b32 v31, v36
	v_dual_mov_b32 v30, v35 :: v_dual_mov_b32 v29, v37
	;; [unrolled: 1-line block ×4, first 2 shown]
	s_branch .LBB199_4
.LBB199_8:
	v_lshl_or_b32 v0, v22, 9, v23
	s_mov_b32 s2, 0
	s_mov_b32 s8, exec_lo
	ds_store_2addr_stride64_b32 v0, v33, v1 offset1:1
	s_waitcnt lgkmcnt(0)
	s_barrier
	buffer_gl0_inv
	v_cmpx_eq_u32_e32 0, v21
	s_cbranch_execz .LBB199_11
; %bb.9:
	s_load_b32 s8, s[0:1], 0x68
	s_lshl_b64 s[0:1], s[6:7], 2
	v_lshlrev_b32_e32 v2, 2, v20
	s_add_u32 s4, s4, s0
	s_addc_u32 s5, s5, s1
	s_waitcnt lgkmcnt(0)
	v_mad_i64_i32 v[0:1], null, s8, v20, 0
	s_mul_hi_i32 s1, s8, s12
	s_mul_i32 s0, s8, s12
	s_delay_alu instid0(SALU_CYCLE_1) | instskip(NEXT) | instid1(SALU_CYCLE_1)
	s_lshl_b64 s[0:1], s[0:1], 2
	s_add_u32 s0, s4, s0
	s_delay_alu instid0(VALU_DEP_1) | instskip(SKIP_1) | instid1(VALU_DEP_1)
	v_lshlrev_b64 v[0:1], 2, v[0:1]
	s_addc_u32 s1, s5, s1
	v_add_co_u32 v0, vcc_lo, s0, v0
	s_delay_alu instid0(VALU_DEP_2)
	v_add_co_ci_u32_e32 v1, vcc_lo, s1, v1, vcc_lo
	global_load_b32 v3, v[0:1], off
	ds_load_2addr_stride64_b32 v[4:5], v2 offset1:2
	ds_load_2addr_stride64_b32 v[6:7], v2 offset0:4 offset1:6
	ds_load_2addr_stride64_b32 v[8:9], v2 offset0:8 offset1:10
	s_waitcnt lgkmcnt(2)
	v_add_f32_e32 v4, 0, v4
	s_delay_alu instid0(VALU_DEP_1) | instskip(SKIP_1) | instid1(VALU_DEP_1)
	v_add_f32_e32 v4, v4, v5
	s_waitcnt lgkmcnt(1)
	v_add_f32_e32 v6, v4, v6
	ds_load_2addr_stride64_b32 v[4:5], v2 offset0:12 offset1:14
	v_add_f32_e32 v6, v6, v7
	s_waitcnt lgkmcnt(1)
	s_delay_alu instid0(VALU_DEP_1) | instskip(SKIP_3) | instid1(VALU_DEP_1)
	v_add_f32_e32 v8, v6, v8
	ds_load_2addr_stride64_b32 v[6:7], v2 offset0:16 offset1:18
	v_add_f32_e32 v8, v8, v9
	s_waitcnt lgkmcnt(1)
	v_add_f32_e32 v4, v8, v4
	ds_load_2addr_stride64_b32 v[8:9], v2 offset0:20 offset1:22
	v_add_f32_e32 v4, v4, v5
	s_waitcnt lgkmcnt(1)
	s_delay_alu instid0(VALU_DEP_1) | instskip(SKIP_3) | instid1(VALU_DEP_1)
	v_add_f32_e32 v6, v4, v6
	ds_load_2addr_stride64_b32 v[4:5], v2 offset0:24 offset1:26
	v_add_f32_e32 v6, v6, v7
	s_waitcnt lgkmcnt(1)
	v_add_f32_e32 v8, v6, v8
	ds_load_2addr_stride64_b32 v[6:7], v2 offset0:28 offset1:30
	v_add_f32_e32 v2, v8, v9
	s_waitcnt lgkmcnt(1)
	s_delay_alu instid0(VALU_DEP_1) | instskip(NEXT) | instid1(VALU_DEP_1)
	v_add_f32_e32 v2, v2, v4
	v_add_f32_e32 v2, v2, v5
	s_waitcnt lgkmcnt(0)
	s_delay_alu instid0(VALU_DEP_1) | instskip(NEXT) | instid1(VALU_DEP_1)
	v_add_f32_e32 v2, v2, v6
	v_add_f32_e32 v2, v2, v7
	s_delay_alu instid0(VALU_DEP_1)
	v_mul_f32_e32 v4, s3, v2
.LBB199_10:                             ; =>This Inner Loop Header: Depth=1
	s_waitcnt vmcnt(0)
	s_delay_alu instid0(VALU_DEP_1)
	v_add_f32_e32 v2, v3, v4
	global_atomic_cmpswap_b32 v2, v[0:1], v[2:3], off glc
	s_waitcnt vmcnt(0)
	v_cmp_eq_u32_e32 vcc_lo, v2, v3
	v_mov_b32_e32 v3, v2
	s_or_b32 s2, vcc_lo, s2
	s_delay_alu instid0(SALU_CYCLE_1)
	s_and_not1_b32 exec_lo, exec_lo, s2
	s_cbranch_execnz .LBB199_10
.LBB199_11:
	s_endpgm
	.section	.rodata,"a",@progbits
	.p2align	6, 0x0
	.amdhsa_kernel _ZL36rocblas_gemvn_double_buffered_kernelILi128ELi8ELi8EPKffKPfEviiT3_lPKT2_lilS7_lilPT4_lili
		.amdhsa_group_segment_fixed_size 8192
		.amdhsa_private_segment_fixed_size 0
		.amdhsa_kernarg_size 384
		.amdhsa_user_sgpr_count 13
		.amdhsa_user_sgpr_dispatch_ptr 0
		.amdhsa_user_sgpr_queue_ptr 0
		.amdhsa_user_sgpr_kernarg_segment_ptr 1
		.amdhsa_user_sgpr_dispatch_id 0
		.amdhsa_user_sgpr_private_segment_size 0
		.amdhsa_wavefront_size32 1
		.amdhsa_uses_dynamic_stack 0
		.amdhsa_enable_private_segment 0
		.amdhsa_system_sgpr_workgroup_id_x 1
		.amdhsa_system_sgpr_workgroup_id_y 1
		.amdhsa_system_sgpr_workgroup_id_z 1
		.amdhsa_system_sgpr_workgroup_info 0
		.amdhsa_system_vgpr_workitem_id 1
		.amdhsa_next_free_vgpr 68
		.amdhsa_next_free_sgpr 32
		.amdhsa_reserve_vcc 1
		.amdhsa_float_round_mode_32 0
		.amdhsa_float_round_mode_16_64 0
		.amdhsa_float_denorm_mode_32 3
		.amdhsa_float_denorm_mode_16_64 3
		.amdhsa_dx10_clamp 1
		.amdhsa_ieee_mode 1
		.amdhsa_fp16_overflow 0
		.amdhsa_workgroup_processor_mode 1
		.amdhsa_memory_ordered 1
		.amdhsa_forward_progress 0
		.amdhsa_shared_vgpr_count 0
		.amdhsa_exception_fp_ieee_invalid_op 0
		.amdhsa_exception_fp_denorm_src 0
		.amdhsa_exception_fp_ieee_div_zero 0
		.amdhsa_exception_fp_ieee_overflow 0
		.amdhsa_exception_fp_ieee_underflow 0
		.amdhsa_exception_fp_ieee_inexact 0
		.amdhsa_exception_int_div_zero 0
	.end_amdhsa_kernel
	.section	.text._ZL36rocblas_gemvn_double_buffered_kernelILi128ELi8ELi8EPKffKPfEviiT3_lPKT2_lilS7_lilPT4_lili,"axG",@progbits,_ZL36rocblas_gemvn_double_buffered_kernelILi128ELi8ELi8EPKffKPfEviiT3_lPKT2_lilS7_lilPT4_lili,comdat
.Lfunc_end199:
	.size	_ZL36rocblas_gemvn_double_buffered_kernelILi128ELi8ELi8EPKffKPfEviiT3_lPKT2_lilS7_lilPT4_lili, .Lfunc_end199-_ZL36rocblas_gemvn_double_buffered_kernelILi128ELi8ELi8EPKffKPfEviiT3_lPKT2_lilS7_lilPT4_lili
                                        ; -- End function
	.section	.AMDGPU.csdata,"",@progbits
; Kernel info:
; codeLenInByte = 2508
; NumSgprs: 34
; NumVgprs: 68
; ScratchSize: 0
; MemoryBound: 0
; FloatMode: 240
; IeeeMode: 1
; LDSByteSize: 8192 bytes/workgroup (compile time only)
; SGPRBlocks: 4
; VGPRBlocks: 8
; NumSGPRsForWavesPerEU: 34
; NumVGPRsForWavesPerEU: 68
; Occupancy: 16
; WaveLimiterHint : 1
; COMPUTE_PGM_RSRC2:SCRATCH_EN: 0
; COMPUTE_PGM_RSRC2:USER_SGPR: 13
; COMPUTE_PGM_RSRC2:TRAP_HANDLER: 0
; COMPUTE_PGM_RSRC2:TGID_X_EN: 1
; COMPUTE_PGM_RSRC2:TGID_Y_EN: 1
; COMPUTE_PGM_RSRC2:TGID_Z_EN: 1
; COMPUTE_PGM_RSRC2:TIDIG_COMP_CNT: 1
	.section	.text._ZL20rocblas_gemvn_kernelILi32ELi16EiPKfS1_KPfEviiT3_lPKT2_lT1_lS7_lS8_lS4_lPT4_lS8_li,"axG",@progbits,_ZL20rocblas_gemvn_kernelILi32ELi16EiPKfS1_KPfEviiT3_lPKT2_lT1_lS7_lS8_lS4_lPT4_lS8_li,comdat
	.globl	_ZL20rocblas_gemvn_kernelILi32ELi16EiPKfS1_KPfEviiT3_lPKT2_lT1_lS7_lS8_lS4_lPT4_lS8_li ; -- Begin function _ZL20rocblas_gemvn_kernelILi32ELi16EiPKfS1_KPfEviiT3_lPKT2_lT1_lS7_lS8_lS4_lPT4_lS8_li
	.p2align	8
	.type	_ZL20rocblas_gemvn_kernelILi32ELi16EiPKfS1_KPfEviiT3_lPKT2_lT1_lS7_lS8_lS4_lPT4_lS8_li,@function
_ZL20rocblas_gemvn_kernelILi32ELi16EiPKfS1_KPfEviiT3_lPKT2_lT1_lS7_lS8_lS4_lPT4_lS8_li: ; @_ZL20rocblas_gemvn_kernelILi32ELi16EiPKfS1_KPfEviiT3_lPKT2_lT1_lS7_lS8_lS4_lPT4_lS8_li
; %bb.0:
	s_load_b64 s[4:5], s[0:1], 0x9c
	s_waitcnt lgkmcnt(0)
	s_lshr_b32 s3, s4, 16
	s_and_b32 s4, s4, 0xffff
	s_and_b32 s5, s5, 0xffff
	s_mul_i32 s3, s3, s4
	s_delay_alu instid0(SALU_CYCLE_1) | instskip(NEXT) | instid1(SALU_CYCLE_1)
	s_mul_i32 s3, s3, s5
	s_cmpk_lg_i32 s3, 0x200
	s_cbranch_scc1 .LBB200_54
; %bb.1:
	s_clause 0x1
	s_load_b256 s[16:23], s[0:1], 0x8
	s_load_b256 s[4:11], s[0:1], 0x58
	s_mov_b32 s2, s15
	s_waitcnt lgkmcnt(0)
	s_mul_i32 s3, s15, s19
	s_mul_hi_u32 s13, s15, s18
	s_mul_i32 s12, s15, s18
	s_add_i32 s13, s13, s3
	s_mul_i32 s3, s15, s7
	s_lshl_b64 s[12:13], s[12:13], 2
	s_mul_hi_u32 s7, s15, s6
	s_add_u32 s12, s16, s12
	s_addc_u32 s13, s17, s13
	s_add_i32 s7, s7, s3
	s_mul_i32 s6, s15, s6
	s_delay_alu instid0(SALU_CYCLE_1) | instskip(NEXT) | instid1(SALU_CYCLE_1)
	s_lshl_b64 s[6:7], s[6:7], 2
	s_add_u32 s4, s4, s6
	s_addc_u32 s5, s5, s7
	s_load_b32 s16, s[12:13], 0x0
	s_load_b32 s15, s[4:5], 0x0
	s_waitcnt lgkmcnt(0)
	v_cmp_eq_f32_e64 s18, s16, 0
	v_cmp_eq_f32_e64 s3, s15, 1.0
	s_delay_alu instid0(VALU_DEP_1) | instskip(NEXT) | instid1(SALU_CYCLE_1)
	s_and_b32 s3, s18, s3
	s_and_b32 vcc_lo, exec_lo, s3
	s_mov_b32 s3, 0
	s_cbranch_vccnz .LBB200_54
; %bb.2:
	v_cmp_neq_f32_e64 s4, s16, 0
	s_mov_b64 s[12:13], 0
	s_and_b32 vcc_lo, exec_lo, s18
	s_mov_b64 s[6:7], 0
	s_cbranch_vccnz .LBB200_4
; %bb.3:
	s_lshl_b64 s[6:7], s[2:3], 3
	s_delay_alu instid0(SALU_CYCLE_1)
	s_add_u32 s6, s20, s6
	s_addc_u32 s7, s21, s7
	s_lshl_b64 s[20:21], s[22:23], 2
	s_load_b64 s[6:7], s[6:7], 0x0
	s_waitcnt lgkmcnt(0)
	s_add_u32 s6, s6, s20
	s_addc_u32 s7, s7, s21
.LBB200_4:
	s_and_not1_b32 vcc_lo, exec_lo, s4
	s_cbranch_vccnz .LBB200_6
; %bb.5:
	s_load_b128 s[20:23], s[0:1], 0x38
	s_lshl_b64 s[4:5], s[2:3], 3
	s_waitcnt lgkmcnt(0)
	s_add_u32 s4, s20, s4
	s_addc_u32 s5, s21, s5
	s_lshl_b64 s[12:13], s[22:23], 2
	s_load_b64 s[4:5], s[4:5], 0x0
	s_waitcnt lgkmcnt(0)
	s_add_u32 s12, s4, s12
	s_addc_u32 s13, s5, s13
.LBB200_6:
	s_lshl_b64 s[2:3], s[2:3], 3
	v_and_b32_e32 v1, 0x3ff, v0
	s_add_u32 s2, s8, s2
	s_addc_u32 s3, s9, s3
	v_bfe_u32 v13, v0, 10, 10
	s_load_b64 s[20:21], s[2:3], 0x0
	s_clause 0x1
	s_load_b64 s[4:5], s[0:1], 0x0
	s_load_b32 s17, s[0:1], 0x78
	s_lshl_b64 s[10:11], s[10:11], 2
	v_lshl_add_u32 v0, v13, 5, v1
	s_delay_alu instid0(VALU_DEP_1)
	v_cmp_gt_u32_e64 s2, 0x80, v0
	s_waitcnt lgkmcnt(0)
	s_add_u32 s9, s20, s10
	s_addc_u32 s10, s21, s11
	s_and_not1_b32 vcc_lo, exec_lo, s18
	s_cbranch_vccnz .LBB200_13
; %bb.7:
	s_mov_b32 s3, 0
	s_mov_b32 s11, 0
                                        ; implicit-def: $vgpr3
                                        ; implicit-def: $vgpr4_vgpr5
	s_and_saveexec_b32 s8, s2
	s_cbranch_execz .LBB200_14
; %bb.8:
	v_lshl_or_b32 v2, s14, 7, v0
	v_mov_b32_e32 v3, 0
	s_ashr_i32 s19, s4, 31
	s_mov_b32 s18, s4
	s_mov_b32 s2, exec_lo
                                        ; implicit-def: $vgpr4_vgpr5
	s_delay_alu instid0(VALU_DEP_1)
	v_cmpx_gt_i64_e64 s[18:19], v[2:3]
	s_cbranch_execz .LBB200_12
; %bb.9:
	v_mad_u64_u32 v[4:5], null, s17, v2, 0
	s_ashr_i32 s11, s17, 31
	s_delay_alu instid0(VALU_DEP_1) | instid1(SALU_CYCLE_1)
	v_mad_u64_u32 v[6:7], null, s11, v2, v[5:6]
	v_cmp_eq_f32_e64 s11, s15, 0
	s_delay_alu instid0(VALU_DEP_1) | instskip(NEXT) | instid1(VALU_DEP_2)
	s_and_b32 vcc_lo, exec_lo, s11
	v_mov_b32_e32 v5, v6
	s_cbranch_vccnz .LBB200_11
; %bb.10:
	s_delay_alu instid0(VALU_DEP_1) | instskip(NEXT) | instid1(VALU_DEP_1)
	v_lshlrev_b64 v[2:3], 2, v[4:5]
	v_add_co_u32 v2, vcc_lo, s9, v2
	s_delay_alu instid0(VALU_DEP_2)
	v_add_co_ci_u32_e32 v3, vcc_lo, s10, v3, vcc_lo
	global_load_b32 v2, v[2:3], off
	s_waitcnt vmcnt(0)
	v_mul_f32_e32 v3, s15, v2
.LBB200_11:
	s_mov_b32 s11, exec_lo
.LBB200_12:
	s_or_b32 exec_lo, exec_lo, s2
	s_delay_alu instid0(SALU_CYCLE_1) | instskip(SKIP_1) | instid1(SALU_CYCLE_1)
	s_and_b32 s11, s11, exec_lo
	s_or_b32 exec_lo, exec_lo, s8
	s_and_b32 vcc_lo, exec_lo, s3
	s_cbranch_vccnz .LBB200_15
	s_branch .LBB200_52
.LBB200_13:
	s_mov_b32 s11, 0
                                        ; implicit-def: $vgpr3
                                        ; implicit-def: $vgpr4_vgpr5
	s_cbranch_execnz .LBB200_15
	s_branch .LBB200_52
.LBB200_14:
	s_or_b32 exec_lo, exec_lo, s8
	s_delay_alu instid0(SALU_CYCLE_1)
	s_and_b32 vcc_lo, exec_lo, s3
	s_cbranch_vccz .LBB200_52
.LBB200_15:
	s_clause 0x1
	s_load_b32 s18, s[0:1], 0x28
	s_load_b32 s8, s[0:1], 0x48
	s_ashr_i32 s0, s5, 31
	s_lshl_b32 s14, s14, 7
	s_lshr_b32 s0, s0, 26
	v_dual_mov_b32 v14, 0 :: v_dual_lshlrev_b32 v19, 2, v13
	v_dual_mov_b32 v15, 0 :: v_dual_add_nc_u32 v18, s14, v1
	v_dual_mov_b32 v16, 0 :: v_dual_mov_b32 v17, 0
	s_add_i32 s19, s5, s0
	s_mov_b32 s20, exec_lo
	s_and_not1_b32 s19, s19, 63
	s_delay_alu instid0(SALU_CYCLE_1)
	v_cmpx_gt_i32_e64 s19, v19
	s_cbranch_execz .LBB200_27
; %bb.16:
	s_waitcnt lgkmcnt(0)
	v_mul_lo_u32 v3, s18, v19
	v_dual_mov_b32 v15, 0 :: v_dual_add_nc_u32 v2, 32, v18
	v_add_nc_u32_e32 v6, 2, v19
	v_dual_mov_b32 v14, 0 :: v_dual_add_nc_u32 v5, 0x60, v18
	s_delay_alu instid0(VALU_DEP_3)
	v_cmp_gt_i32_e64 s0, s4, v2
	v_dual_mov_b32 v17, 0 :: v_dual_add_nc_u32 v4, 64, v18
	v_add3_u32 v20, v3, s18, v1
	v_mad_u64_u32 v[2:3], null, s18, v6, v[1:2]
	v_cmp_gt_i32_e64 s2, s4, v5
	v_mul_lo_u32 v5, v13, s18
	v_dual_mov_b32 v16, 0 :: v_dual_add_nc_u32 v7, 3, v19
	v_mul_lo_u32 v8, v13, s8
	v_cmp_gt_i32_e64 s1, s4, v4
	v_mul_lo_u32 v22, s8, v6
	s_delay_alu instid0(VALU_DEP_4)
	v_mad_u64_u32 v[3:4], null, s18, v7, v[1:2]
	v_lshl_add_u32 v21, v5, 2, v1
	v_mad_u64_u32 v[4:5], null, s8, v19, s[8:9]
	v_mul_lo_u32 v23, s8, v7
	v_cmp_gt_i32_e32 vcc_lo, s4, v18
	v_lshlrev_b32_e32 v24, 2, v8
	s_lshl_b32 s21, s18, 6
	s_lshl_b32 s23, s8, 6
	s_mov_b32 s22, 0
	s_mov_b32 s24, 0
	s_branch .LBB200_21
.LBB200_17:                             ;   in Loop: Header=BB200_21 Depth=1
	s_or_b32 exec_lo, exec_lo, s27
	s_waitcnt vmcnt(3) lgkmcnt(3)
	v_fmac_f32_e32 v16, v28, v40
	s_waitcnt vmcnt(2) lgkmcnt(2)
	s_delay_alu instid0(VALU_DEP_1) | instskip(SKIP_1) | instid1(VALU_DEP_1)
	v_fmac_f32_e32 v16, v27, v39
	s_waitcnt vmcnt(1) lgkmcnt(1)
	v_fmac_f32_e32 v16, v26, v38
	s_waitcnt vmcnt(0) lgkmcnt(0)
	s_delay_alu instid0(VALU_DEP_1)
	v_fmac_f32_e32 v16, v25, v37
.LBB200_18:                             ;   in Loop: Header=BB200_21 Depth=1
	s_or_b32 exec_lo, exec_lo, s26
	s_waitcnt vmcnt(3) lgkmcnt(3)
	v_fmac_f32_e32 v15, v28, v36
	s_waitcnt vmcnt(2) lgkmcnt(2)
	s_delay_alu instid0(VALU_DEP_1) | instskip(SKIP_1) | instid1(VALU_DEP_1)
	v_fmac_f32_e32 v15, v27, v35
	s_waitcnt vmcnt(1) lgkmcnt(1)
	v_fmac_f32_e32 v15, v26, v34
	s_waitcnt vmcnt(0) lgkmcnt(0)
	s_delay_alu instid0(VALU_DEP_1)
	v_fmac_f32_e32 v15, v25, v33
.LBB200_19:                             ;   in Loop: Header=BB200_21 Depth=1
	s_or_b32 exec_lo, exec_lo, s3
	s_waitcnt vmcnt(3) lgkmcnt(3)
	v_fmac_f32_e32 v14, v28, v32
	s_waitcnt vmcnt(2) lgkmcnt(2)
	s_delay_alu instid0(VALU_DEP_1) | instskip(SKIP_1) | instid1(VALU_DEP_1)
	v_fmac_f32_e32 v14, v27, v30
	s_waitcnt vmcnt(1) lgkmcnt(1)
	v_fmac_f32_e32 v14, v26, v29
	s_waitcnt vmcnt(0) lgkmcnt(0)
	s_delay_alu instid0(VALU_DEP_1)
	v_fmac_f32_e32 v14, v25, v31
.LBB200_20:                             ;   in Loop: Header=BB200_21 Depth=1
	s_or_b32 exec_lo, exec_lo, s25
	v_add_nc_u32_e32 v19, 64, v19
	v_add_nc_u32_e32 v20, s21, v20
	;; [unrolled: 1-line block ×5, first 2 shown]
	v_cmp_le_i32_e64 s3, s19, v19
	s_add_i32 s24, s24, s23
	s_delay_alu instid0(VALU_DEP_1) | instskip(NEXT) | instid1(SALU_CYCLE_1)
	s_or_b32 s22, s3, s22
	s_and_not1_b32 exec_lo, exec_lo, s22
	s_cbranch_execz .LBB200_26
.LBB200_21:                             ; =>This Inner Loop Header: Depth=1
	s_and_saveexec_b32 s25, vcc_lo
	s_cbranch_execz .LBB200_20
; %bb.22:                               ;   in Loop: Header=BB200_21 Depth=1
	v_add_nc_u32_e32 v5, s24, v24
	v_add_nc_u32_e32 v7, s24, v4
	;; [unrolled: 1-line block ×5, first 2 shown]
	v_ashrrev_i32_e32 v6, 31, v5
	v_ashrrev_i32_e32 v8, 31, v7
	;; [unrolled: 1-line block ×5, first 2 shown]
	v_lshlrev_b64 v[5:6], 2, v[5:6]
	v_lshlrev_b64 v[7:8], 2, v[7:8]
	;; [unrolled: 1-line block ×3, first 2 shown]
	s_delay_alu instid0(VALU_DEP_3) | instskip(NEXT) | instid1(VALU_DEP_1)
	v_add_co_u32 v27, s3, s12, v5
	v_add_co_ci_u32_e64 v28, s3, s13, v6, s3
	s_delay_alu instid0(VALU_DEP_4)
	v_add_co_u32 v29, s3, s12, v7
	v_add_nc_u32_e32 v7, s14, v20
	v_add_co_ci_u32_e64 v30, s3, s13, v8, s3
	v_lshlrev_b64 v[5:6], 2, v[11:12]
	v_add_co_u32 v31, s3, s12, v9
	v_add_nc_u32_e32 v11, s14, v2
	v_add_co_ci_u32_e64 v32, s3, s13, v10, s3
	v_lshlrev_b64 v[9:10], 2, v[25:26]
	v_ashrrev_i32_e32 v8, 31, v7
	v_add_nc_u32_e32 v25, s14, v3
	v_add_co_u32 v33, s3, s12, v5
	v_ashrrev_i32_e32 v12, 31, v11
	v_add_co_ci_u32_e64 v34, s3, s13, v6, s3
	v_lshlrev_b64 v[7:8], 2, v[7:8]
	v_add_co_u32 v5, s3, s6, v9
	v_ashrrev_i32_e32 v26, 31, v25
	v_add_co_ci_u32_e64 v6, s3, s7, v10, s3
	v_lshlrev_b64 v[9:10], 2, v[11:12]
	v_add_co_u32 v7, s3, s6, v7
	s_delay_alu instid0(VALU_DEP_4) | instskip(SKIP_1) | instid1(VALU_DEP_4)
	v_lshlrev_b64 v[25:26], 2, v[25:26]
	v_add_co_ci_u32_e64 v8, s3, s7, v8, s3
	v_add_co_u32 v11, s3, s6, v9
	s_delay_alu instid0(VALU_DEP_1) | instskip(NEXT) | instid1(VALU_DEP_4)
	v_add_co_ci_u32_e64 v12, s3, s7, v10, s3
	v_add_co_u32 v9, s3, s6, v25
	s_delay_alu instid0(VALU_DEP_1)
	v_add_co_ci_u32_e64 v10, s3, s7, v26, s3
	s_clause 0x3
	flat_load_b32 v28, v[27:28]
	flat_load_b32 v27, v[29:30]
	;; [unrolled: 1-line block ×4, first 2 shown]
	s_clause 0x3
	flat_load_b32 v32, v[5:6]
	flat_load_b32 v30, v[7:8]
	;; [unrolled: 1-line block ×4, first 2 shown]
	s_and_saveexec_b32 s3, s0
	s_cbranch_execz .LBB200_19
; %bb.23:                               ;   in Loop: Header=BB200_21 Depth=1
	s_clause 0x3
	flat_load_b32 v36, v[5:6] offset:128
	flat_load_b32 v35, v[7:8] offset:128
	flat_load_b32 v34, v[11:12] offset:128
	flat_load_b32 v33, v[9:10] offset:128
	s_and_saveexec_b32 s26, s1
	s_cbranch_execz .LBB200_18
; %bb.24:                               ;   in Loop: Header=BB200_21 Depth=1
	s_clause 0x3
	flat_load_b32 v40, v[5:6] offset:256
	flat_load_b32 v39, v[7:8] offset:256
	flat_load_b32 v38, v[11:12] offset:256
	flat_load_b32 v37, v[9:10] offset:256
	s_and_saveexec_b32 s27, s2
	s_cbranch_execz .LBB200_17
; %bb.25:                               ;   in Loop: Header=BB200_21 Depth=1
	s_clause 0x3
	flat_load_b32 v5, v[5:6] offset:384
	flat_load_b32 v6, v[7:8] offset:384
	flat_load_b32 v7, v[11:12] offset:384
	flat_load_b32 v8, v[9:10] offset:384
	s_waitcnt vmcnt(3) lgkmcnt(3)
	v_fmac_f32_e32 v17, v28, v5
	s_waitcnt vmcnt(2) lgkmcnt(2)
	s_delay_alu instid0(VALU_DEP_1) | instskip(SKIP_1) | instid1(VALU_DEP_1)
	v_fmac_f32_e32 v17, v27, v6
	s_waitcnt vmcnt(1) lgkmcnt(1)
	v_fmac_f32_e32 v17, v26, v7
	s_waitcnt vmcnt(0) lgkmcnt(0)
	s_delay_alu instid0(VALU_DEP_1)
	v_fmac_f32_e32 v17, v25, v8
	s_branch .LBB200_17
.LBB200_26:
	s_or_b32 exec_lo, exec_lo, s22
.LBB200_27:
	s_delay_alu instid0(SALU_CYCLE_1) | instskip(SKIP_1) | instid1(SALU_CYCLE_1)
	s_or_b32 exec_lo, exec_lo, s20
	s_sub_i32 s0, s5, s19
	s_cmp_lt_i32 s0, 1
	s_cbranch_scc1 .LBB200_45
; %bb.28:
	v_cmp_gt_i32_e32 vcc_lo, s5, v19
	v_dual_mov_b32 v12, 0 :: v_dual_mov_b32 v11, 0
	v_or_b32_e32 v2, 1, v19
	v_mov_b32_e32 v20, 0
	v_mov_b32_e32 v10, 0
	s_and_saveexec_b32 s1, vcc_lo
	s_cbranch_execz .LBB200_36
; %bb.29:
	s_waitcnt lgkmcnt(0)
	v_mul_lo_u32 v3, v19, s8
	v_dual_mov_b32 v11, 0 :: v_dual_mov_b32 v20, 0
	v_mov_b32_e32 v12, 0
	s_mov_b32 s2, exec_lo
	s_delay_alu instid0(VALU_DEP_3) | instskip(NEXT) | instid1(VALU_DEP_1)
	v_ashrrev_i32_e32 v4, 31, v3
	v_lshlrev_b64 v[3:4], 2, v[3:4]
	s_delay_alu instid0(VALU_DEP_1) | instskip(NEXT) | instid1(VALU_DEP_1)
	v_add_co_u32 v3, s0, s12, v3
	v_add_co_ci_u32_e64 v4, s0, s13, v4, s0
	flat_load_b32 v10, v[3:4]
	v_cmpx_gt_i32_e64 s5, v2
	s_cbranch_execz .LBB200_35
; %bb.30:
	v_mul_lo_u32 v3, v2, s8
	v_mov_b32_e32 v20, 0
	v_mov_b32_e32 v12, 0
	s_mov_b32 s3, exec_lo
	s_delay_alu instid0(VALU_DEP_3) | instskip(NEXT) | instid1(VALU_DEP_1)
	v_ashrrev_i32_e32 v4, 31, v3
	v_lshlrev_b64 v[3:4], 2, v[3:4]
	s_delay_alu instid0(VALU_DEP_1) | instskip(NEXT) | instid1(VALU_DEP_1)
	v_add_co_u32 v3, s0, s12, v3
	v_add_co_ci_u32_e64 v4, s0, s13, v4, s0
	flat_load_b32 v11, v[3:4]
	v_or_b32_e32 v3, 2, v19
	s_delay_alu instid0(VALU_DEP_1)
	v_cmpx_gt_i32_e64 s5, v3
	s_cbranch_execz .LBB200_34
; %bb.31:
	v_mul_lo_u32 v3, v3, s8
	v_mov_b32_e32 v12, 0
	s_mov_b32 s19, exec_lo
	s_delay_alu instid0(VALU_DEP_2) | instskip(NEXT) | instid1(VALU_DEP_1)
	v_ashrrev_i32_e32 v4, 31, v3
	v_lshlrev_b64 v[3:4], 2, v[3:4]
	s_delay_alu instid0(VALU_DEP_1) | instskip(NEXT) | instid1(VALU_DEP_1)
	v_add_co_u32 v3, s0, s12, v3
	v_add_co_ci_u32_e64 v4, s0, s13, v4, s0
	flat_load_b32 v20, v[3:4]
	v_or_b32_e32 v3, 3, v19
	s_delay_alu instid0(VALU_DEP_1)
	v_cmpx_gt_i32_e64 s5, v3
	s_cbranch_execz .LBB200_33
; %bb.32:
	v_mul_lo_u32 v3, v3, s8
	s_delay_alu instid0(VALU_DEP_1) | instskip(NEXT) | instid1(VALU_DEP_1)
	v_ashrrev_i32_e32 v4, 31, v3
	v_lshlrev_b64 v[3:4], 2, v[3:4]
	s_delay_alu instid0(VALU_DEP_1) | instskip(NEXT) | instid1(VALU_DEP_1)
	v_add_co_u32 v3, s0, s12, v3
	v_add_co_ci_u32_e64 v4, s0, s13, v4, s0
	flat_load_b32 v12, v[3:4]
.LBB200_33:
	s_or_b32 exec_lo, exec_lo, s19
.LBB200_34:
	s_delay_alu instid0(SALU_CYCLE_1)
	s_or_b32 exec_lo, exec_lo, s3
.LBB200_35:
	s_delay_alu instid0(SALU_CYCLE_1)
	s_or_b32 exec_lo, exec_lo, s2
.LBB200_36:
	s_delay_alu instid0(SALU_CYCLE_1) | instskip(NEXT) | instid1(SALU_CYCLE_1)
	s_or_b32 exec_lo, exec_lo, s1
	s_mov_b32 s1, exec_lo
	v_cmpx_gt_i32_e64 s4, v18
	s_cbranch_execz .LBB200_44
; %bb.37:
	s_waitcnt lgkmcnt(0)
	v_mul_lo_u32 v3, v19, s18
	v_mul_lo_u32 v5, v2, s18
	v_or_b32_e32 v4, 2, v19
	v_or_b32_e32 v6, 3, v19
	s_mov_b32 s0, exec_lo
	s_delay_alu instid0(VALU_DEP_2)
	v_mul_lo_u32 v7, v4, s18
	v_cndmask_b32_e32 v3, 0, v3, vcc_lo
	v_cmp_gt_i32_e32 vcc_lo, s5, v2
	v_mul_lo_u32 v8, v6, s18
	v_cndmask_b32_e32 v5, 0, v5, vcc_lo
	v_cmp_gt_i32_e32 vcc_lo, s5, v4
	s_delay_alu instid0(VALU_DEP_2) | instskip(SKIP_2) | instid1(VALU_DEP_3)
	v_add_nc_u32_e32 v4, v5, v18
	v_dual_cndmask_b32 v7, 0, v7 :: v_dual_add_nc_u32 v2, v3, v18
	v_cmp_gt_i32_e32 vcc_lo, s5, v6
	v_ashrrev_i32_e32 v5, 31, v4
	s_delay_alu instid0(VALU_DEP_3) | instskip(SKIP_2) | instid1(VALU_DEP_4)
	v_ashrrev_i32_e32 v3, 31, v2
	v_cndmask_b32_e32 v8, 0, v8, vcc_lo
	v_add_nc_u32_e32 v6, v7, v18
	v_lshlrev_b64 v[4:5], 2, v[4:5]
	s_delay_alu instid0(VALU_DEP_4) | instskip(NEXT) | instid1(VALU_DEP_4)
	v_lshlrev_b64 v[2:3], 2, v[2:3]
	v_add_nc_u32_e32 v8, v8, v18
	s_delay_alu instid0(VALU_DEP_4) | instskip(NEXT) | instid1(VALU_DEP_2)
	v_ashrrev_i32_e32 v7, 31, v6
	v_ashrrev_i32_e32 v9, 31, v8
	s_delay_alu instid0(VALU_DEP_2)
	v_lshlrev_b64 v[21:22], 2, v[6:7]
	v_add_co_u32 v6, vcc_lo, s6, v2
	v_add_co_ci_u32_e32 v7, vcc_lo, s7, v3, vcc_lo
	v_add_co_u32 v2, vcc_lo, s6, v4
	v_add_co_ci_u32_e32 v3, vcc_lo, s7, v5, vcc_lo
	flat_load_b32 v23, v[6:7]
	v_add_co_u32 v4, vcc_lo, s6, v21
	v_add_co_ci_u32_e32 v5, vcc_lo, s7, v22, vcc_lo
	v_lshlrev_b64 v[8:9], 2, v[8:9]
	s_clause 0x1
	flat_load_b32 v21, v[2:3]
	flat_load_b32 v22, v[4:5]
	v_add_co_u32 v8, vcc_lo, s6, v8
	v_add_co_ci_u32_e32 v9, vcc_lo, s7, v9, vcc_lo
	flat_load_b32 v19, v[8:9]
	s_waitcnt vmcnt(3) lgkmcnt(3)
	v_fmac_f32_e32 v14, v10, v23
	s_waitcnt vmcnt(2) lgkmcnt(2)
	s_delay_alu instid0(VALU_DEP_1) | instskip(SKIP_1) | instid1(VALU_DEP_1)
	v_dual_fmac_f32 v14, v11, v21 :: v_dual_add_nc_u32 v21, 32, v18
	s_waitcnt vmcnt(1) lgkmcnt(1)
	v_fmac_f32_e32 v14, v20, v22
	s_delay_alu instid0(VALU_DEP_2)
	v_cmpx_gt_i32_e64 s4, v21
	s_cbranch_execz .LBB200_43
; %bb.38:
	s_clause 0x3
	flat_load_b32 v22, v[6:7] offset:128
	flat_load_b32 v23, v[2:3] offset:128
	;; [unrolled: 1-line block ×4, first 2 shown]
	s_mov_b32 s2, exec_lo
	s_waitcnt vmcnt(3) lgkmcnt(3)
	v_fmac_f32_e32 v15, v10, v22
	s_waitcnt vmcnt(2) lgkmcnt(2)
	s_delay_alu instid0(VALU_DEP_1) | instskip(SKIP_1) | instid1(VALU_DEP_1)
	v_dual_fmac_f32 v15, v11, v23 :: v_dual_add_nc_u32 v22, 64, v18
	s_waitcnt vmcnt(1) lgkmcnt(1)
	v_fmac_f32_e32 v15, v20, v24
	s_delay_alu instid0(VALU_DEP_2)
	v_cmpx_gt_i32_e64 s4, v22
	s_cbranch_execz .LBB200_42
; %bb.39:
	s_clause 0x3
	flat_load_b32 v23, v[6:7] offset:256
	flat_load_b32 v24, v[2:3] offset:256
	;; [unrolled: 1-line block ×4, first 2 shown]
	v_add_nc_u32_e32 v18, 0x60, v18
	s_mov_b32 s3, exec_lo
	s_waitcnt vmcnt(3) lgkmcnt(3)
	v_fmac_f32_e32 v16, v10, v23
	s_waitcnt vmcnt(2) lgkmcnt(2)
	s_delay_alu instid0(VALU_DEP_1) | instskip(SKIP_1) | instid1(VALU_DEP_1)
	v_fmac_f32_e32 v16, v11, v24
	s_waitcnt vmcnt(1) lgkmcnt(1)
	v_fmac_f32_e32 v16, v20, v25
	v_cmpx_gt_i32_e64 s4, v18
	s_cbranch_execz .LBB200_41
; %bb.40:
	s_clause 0x3
	flat_load_b32 v6, v[6:7] offset:384
	flat_load_b32 v2, v[2:3] offset:384
	;; [unrolled: 1-line block ×4, first 2 shown]
	s_waitcnt vmcnt(3) lgkmcnt(3)
	v_fmac_f32_e32 v17, v10, v6
	s_waitcnt vmcnt(2) lgkmcnt(2)
	s_delay_alu instid0(VALU_DEP_1) | instskip(SKIP_1) | instid1(VALU_DEP_1)
	v_fmac_f32_e32 v17, v11, v2
	s_waitcnt vmcnt(1) lgkmcnt(1)
	v_fmac_f32_e32 v17, v20, v3
	s_waitcnt vmcnt(0) lgkmcnt(0)
	s_delay_alu instid0(VALU_DEP_1)
	v_fmac_f32_e32 v17, v12, v4
.LBB200_41:
	s_or_b32 exec_lo, exec_lo, s3
	s_waitcnt vmcnt(0) lgkmcnt(0)
	v_fmac_f32_e32 v16, v12, v22
.LBB200_42:
	s_or_b32 exec_lo, exec_lo, s2
	s_waitcnt vmcnt(0) lgkmcnt(0)
	v_fmac_f32_e32 v15, v12, v21
.LBB200_43:
	s_or_b32 exec_lo, exec_lo, s0
	s_waitcnt vmcnt(0) lgkmcnt(0)
	v_fmac_f32_e32 v14, v12, v19
.LBB200_44:
	s_or_b32 exec_lo, exec_lo, s1
.LBB200_45:
	v_lshlrev_b32_e32 v2, 7, v13
	s_mov_b32 s0, exec_lo
                                        ; implicit-def: $vgpr3
                                        ; implicit-def: $vgpr4_vgpr5
	s_delay_alu instid0(VALU_DEP_1)
	v_add_lshl_u32 v1, v2, v1, 2
	ds_store_2addr_b32 v1, v14, v15 offset1:32
	ds_store_2addr_b32 v1, v16, v17 offset0:64 offset1:96
	s_waitcnt vmcnt(0) lgkmcnt(0)
	s_barrier
	buffer_gl0_inv
	v_cmpx_gt_u32_e32 0x80, v0
	s_cbranch_execz .LBB200_51
; %bb.46:
	v_lshlrev_b32_e32 v7, 2, v0
	s_mov_b32 s2, s11
	s_mov_b32 s1, exec_lo
	ds_load_2addr_stride64_b32 v[1:2], v7 offset1:2
	ds_load_2addr_stride64_b32 v[3:4], v7 offset0:4 offset1:6
	ds_load_2addr_stride64_b32 v[5:6], v7 offset0:8 offset1:10
	s_waitcnt lgkmcnt(2)
	v_add_f32_e32 v8, v1, v2
	ds_load_2addr_stride64_b32 v[1:2], v7 offset0:12 offset1:14
	s_waitcnt lgkmcnt(2)
	v_add_f32_e32 v3, v3, v8
	s_delay_alu instid0(VALU_DEP_1) | instskip(SKIP_3) | instid1(VALU_DEP_1)
	v_add_f32_e32 v8, v4, v3
	ds_load_2addr_stride64_b32 v[3:4], v7 offset0:16 offset1:18
	s_waitcnt lgkmcnt(2)
	v_add_f32_e32 v5, v5, v8
	v_add_f32_e32 v8, v6, v5
	ds_load_2addr_stride64_b32 v[5:6], v7 offset0:20 offset1:22
	s_waitcnt lgkmcnt(2)
	v_add_f32_e32 v1, v1, v8
	s_delay_alu instid0(VALU_DEP_1) | instskip(SKIP_1) | instid1(VALU_DEP_1)
	v_add_f32_e32 v1, v2, v1
	s_waitcnt lgkmcnt(1)
	v_add_f32_e32 v3, v3, v1
	ds_load_2addr_stride64_b32 v[1:2], v7 offset0:24 offset1:26
	v_add_f32_e32 v3, v4, v3
	s_waitcnt lgkmcnt(1)
	s_delay_alu instid0(VALU_DEP_1) | instskip(SKIP_3) | instid1(VALU_DEP_1)
	v_add_f32_e32 v5, v5, v3
	ds_load_2addr_stride64_b32 v[3:4], v7 offset0:28 offset1:30
	v_add_f32_e32 v5, v6, v5
	s_waitcnt lgkmcnt(1)
	v_add_f32_e32 v1, v1, v5
	s_delay_alu instid0(VALU_DEP_1) | instskip(SKIP_1) | instid1(VALU_DEP_1)
	v_add_f32_e32 v1, v2, v1
	s_waitcnt lgkmcnt(0)
	v_add_f32_e32 v2, v3, v1
	v_or_b32_e32 v1, s14, v0
                                        ; implicit-def: $vgpr3
	s_delay_alu instid0(VALU_DEP_2)
	v_add_f32_e32 v0, v4, v2
                                        ; implicit-def: $vgpr4_vgpr5
	ds_store_b32 v7, v0
	v_cmpx_gt_i32_e64 s4, v1
	s_cbranch_execz .LBB200_50
; %bb.47:
	v_mul_lo_u32 v4, v1, s17
	v_cmp_eq_f32_e64 s2, s15, 0
	v_mul_f32_e32 v3, s16, v0
	s_delay_alu instid0(VALU_DEP_2) | instskip(NEXT) | instid1(VALU_DEP_3)
	s_and_b32 vcc_lo, exec_lo, s2
	v_ashrrev_i32_e32 v5, 31, v4
	s_cbranch_vccnz .LBB200_49
; %bb.48:
	s_delay_alu instid0(VALU_DEP_1) | instskip(NEXT) | instid1(VALU_DEP_1)
	v_lshlrev_b64 v[0:1], 2, v[4:5]
	v_add_co_u32 v0, vcc_lo, s9, v0
	s_delay_alu instid0(VALU_DEP_2)
	v_add_co_ci_u32_e32 v1, vcc_lo, s10, v1, vcc_lo
	global_load_b32 v0, v[0:1], off
	s_waitcnt vmcnt(0)
	v_fmac_f32_e32 v3, s15, v0
.LBB200_49:
	s_or_b32 s2, s11, exec_lo
.LBB200_50:
	s_or_b32 exec_lo, exec_lo, s1
	s_delay_alu instid0(SALU_CYCLE_1) | instskip(SKIP_1) | instid1(SALU_CYCLE_1)
	s_and_not1_b32 s1, s11, exec_lo
	s_and_b32 s2, s2, exec_lo
	s_or_b32 s11, s1, s2
.LBB200_51:
	s_or_b32 exec_lo, exec_lo, s0
.LBB200_52:
	s_and_saveexec_b32 s0, s11
	s_cbranch_execz .LBB200_54
; %bb.53:
	v_lshlrev_b64 v[0:1], 2, v[4:5]
	s_delay_alu instid0(VALU_DEP_1) | instskip(NEXT) | instid1(VALU_DEP_2)
	v_add_co_u32 v0, vcc_lo, s9, v0
	v_add_co_ci_u32_e32 v1, vcc_lo, s10, v1, vcc_lo
	global_store_b32 v[0:1], v3, off
.LBB200_54:
	s_nop 0
	s_sendmsg sendmsg(MSG_DEALLOC_VGPRS)
	s_endpgm
	.section	.rodata,"a",@progbits
	.p2align	6, 0x0
	.amdhsa_kernel _ZL20rocblas_gemvn_kernelILi32ELi16EiPKfS1_KPfEviiT3_lPKT2_lT1_lS7_lS8_lS4_lPT4_lS8_li
		.amdhsa_group_segment_fixed_size 8192
		.amdhsa_private_segment_fixed_size 0
		.amdhsa_kernarg_size 400
		.amdhsa_user_sgpr_count 14
		.amdhsa_user_sgpr_dispatch_ptr 0
		.amdhsa_user_sgpr_queue_ptr 0
		.amdhsa_user_sgpr_kernarg_segment_ptr 1
		.amdhsa_user_sgpr_dispatch_id 0
		.amdhsa_user_sgpr_private_segment_size 0
		.amdhsa_wavefront_size32 1
		.amdhsa_uses_dynamic_stack 0
		.amdhsa_enable_private_segment 0
		.amdhsa_system_sgpr_workgroup_id_x 1
		.amdhsa_system_sgpr_workgroup_id_y 0
		.amdhsa_system_sgpr_workgroup_id_z 1
		.amdhsa_system_sgpr_workgroup_info 0
		.amdhsa_system_vgpr_workitem_id 1
		.amdhsa_next_free_vgpr 41
		.amdhsa_next_free_sgpr 28
		.amdhsa_reserve_vcc 1
		.amdhsa_float_round_mode_32 0
		.amdhsa_float_round_mode_16_64 0
		.amdhsa_float_denorm_mode_32 3
		.amdhsa_float_denorm_mode_16_64 3
		.amdhsa_dx10_clamp 1
		.amdhsa_ieee_mode 1
		.amdhsa_fp16_overflow 0
		.amdhsa_workgroup_processor_mode 1
		.amdhsa_memory_ordered 1
		.amdhsa_forward_progress 0
		.amdhsa_shared_vgpr_count 0
		.amdhsa_exception_fp_ieee_invalid_op 0
		.amdhsa_exception_fp_denorm_src 0
		.amdhsa_exception_fp_ieee_div_zero 0
		.amdhsa_exception_fp_ieee_overflow 0
		.amdhsa_exception_fp_ieee_underflow 0
		.amdhsa_exception_fp_ieee_inexact 0
		.amdhsa_exception_int_div_zero 0
	.end_amdhsa_kernel
	.section	.text._ZL20rocblas_gemvn_kernelILi32ELi16EiPKfS1_KPfEviiT3_lPKT2_lT1_lS7_lS8_lS4_lPT4_lS8_li,"axG",@progbits,_ZL20rocblas_gemvn_kernelILi32ELi16EiPKfS1_KPfEviiT3_lPKT2_lT1_lS7_lS8_lS4_lPT4_lS8_li,comdat
.Lfunc_end200:
	.size	_ZL20rocblas_gemvn_kernelILi32ELi16EiPKfS1_KPfEviiT3_lPKT2_lT1_lS7_lS8_lS4_lPT4_lS8_li, .Lfunc_end200-_ZL20rocblas_gemvn_kernelILi32ELi16EiPKfS1_KPfEviiT3_lPKT2_lT1_lS7_lS8_lS4_lPT4_lS8_li
                                        ; -- End function
	.section	.AMDGPU.csdata,"",@progbits
; Kernel info:
; codeLenInByte = 3036
; NumSgprs: 30
; NumVgprs: 41
; ScratchSize: 0
; MemoryBound: 0
; FloatMode: 240
; IeeeMode: 1
; LDSByteSize: 8192 bytes/workgroup (compile time only)
; SGPRBlocks: 3
; VGPRBlocks: 5
; NumSGPRsForWavesPerEU: 30
; NumVGPRsForWavesPerEU: 41
; Occupancy: 16
; WaveLimiterHint : 1
; COMPUTE_PGM_RSRC2:SCRATCH_EN: 0
; COMPUTE_PGM_RSRC2:USER_SGPR: 14
; COMPUTE_PGM_RSRC2:TRAP_HANDLER: 0
; COMPUTE_PGM_RSRC2:TGID_X_EN: 1
; COMPUTE_PGM_RSRC2:TGID_Y_EN: 0
; COMPUTE_PGM_RSRC2:TGID_Z_EN: 1
; COMPUTE_PGM_RSRC2:TIDIG_COMP_CNT: 1
	.section	.text._ZL20rocblas_gemvn_kernelILi32ELi16ElPKfS1_KPfEviiT3_lPKT2_lT1_lS7_lS8_lS4_lPT4_lS8_li,"axG",@progbits,_ZL20rocblas_gemvn_kernelILi32ELi16ElPKfS1_KPfEviiT3_lPKT2_lT1_lS7_lS8_lS4_lPT4_lS8_li,comdat
	.globl	_ZL20rocblas_gemvn_kernelILi32ELi16ElPKfS1_KPfEviiT3_lPKT2_lT1_lS7_lS8_lS4_lPT4_lS8_li ; -- Begin function _ZL20rocblas_gemvn_kernelILi32ELi16ElPKfS1_KPfEviiT3_lPKT2_lT1_lS7_lS8_lS4_lPT4_lS8_li
	.p2align	8
	.type	_ZL20rocblas_gemvn_kernelILi32ELi16ElPKfS1_KPfEviiT3_lPKT2_lT1_lS7_lS8_lS4_lPT4_lS8_li,@function
_ZL20rocblas_gemvn_kernelILi32ELi16ElPKfS1_KPfEviiT3_lPKT2_lT1_lS7_lS8_lS4_lPT4_lS8_li: ; @_ZL20rocblas_gemvn_kernelILi32ELi16ElPKfS1_KPfEviiT3_lPKT2_lT1_lS7_lS8_lS4_lPT4_lS8_li
; %bb.0:
	s_load_b64 s[4:5], s[0:1], 0x9c
	s_waitcnt lgkmcnt(0)
	s_lshr_b32 s3, s4, 16
	s_and_b32 s4, s4, 0xffff
	s_and_b32 s5, s5, 0xffff
	s_mul_i32 s3, s3, s4
	s_delay_alu instid0(SALU_CYCLE_1) | instskip(NEXT) | instid1(SALU_CYCLE_1)
	s_mul_i32 s3, s3, s5
	s_cmpk_lg_i32 s3, 0x200
	s_cbranch_scc1 .LBB201_54
; %bb.1:
	s_clause 0x1
	s_load_b256 s[16:23], s[0:1], 0x8
	s_load_b256 s[4:11], s[0:1], 0x58
	s_mov_b32 s2, s15
	s_waitcnt lgkmcnt(0)
	s_mul_i32 s3, s15, s19
	s_mul_hi_u32 s13, s15, s18
	s_mul_i32 s12, s15, s18
	s_add_i32 s13, s13, s3
	s_mul_i32 s3, s15, s7
	s_lshl_b64 s[12:13], s[12:13], 2
	s_mul_hi_u32 s7, s15, s6
	s_add_u32 s12, s16, s12
	s_addc_u32 s13, s17, s13
	s_add_i32 s7, s7, s3
	s_mul_i32 s6, s15, s6
	s_delay_alu instid0(SALU_CYCLE_1) | instskip(NEXT) | instid1(SALU_CYCLE_1)
	s_lshl_b64 s[6:7], s[6:7], 2
	s_add_u32 s4, s4, s6
	s_addc_u32 s5, s5, s7
	s_load_b32 s27, s[12:13], 0x0
	s_load_b32 s26, s[4:5], 0x0
	s_waitcnt lgkmcnt(0)
	v_cmp_eq_f32_e64 s15, s27, 0
	v_cmp_eq_f32_e64 s3, s26, 1.0
	s_delay_alu instid0(VALU_DEP_1) | instskip(NEXT) | instid1(SALU_CYCLE_1)
	s_and_b32 s3, s15, s3
	s_and_b32 vcc_lo, exec_lo, s3
	s_mov_b32 s3, 0
	s_cbranch_vccnz .LBB201_54
; %bb.2:
	s_clause 0x1
	s_load_b64 s[16:17], s[0:1], 0x28
	s_load_b64 s[12:13], s[0:1], 0x78
	v_cmp_neq_f32_e64 s28, s27, 0
	s_mov_b64 s[24:25], 0
	s_and_b32 vcc_lo, exec_lo, s15
	s_mov_b64 s[18:19], 0
	s_cbranch_vccnz .LBB201_4
; %bb.3:
	s_lshl_b64 s[4:5], s[2:3], 3
	s_delay_alu instid0(SALU_CYCLE_1)
	s_add_u32 s4, s20, s4
	s_addc_u32 s5, s21, s5
	s_lshl_b64 s[6:7], s[22:23], 2
	s_load_b64 s[4:5], s[4:5], 0x0
	s_waitcnt lgkmcnt(0)
	s_add_u32 s18, s4, s6
	s_addc_u32 s19, s5, s7
.LBB201_4:
	s_clause 0x1
	s_load_b128 s[4:7], s[0:1], 0x38
	s_load_b64 s[20:21], s[0:1], 0x48
	s_and_not1_b32 vcc_lo, exec_lo, s28
	s_cbranch_vccnz .LBB201_6
; %bb.5:
	s_lshl_b64 s[22:23], s[2:3], 3
	s_waitcnt lgkmcnt(0)
	s_add_u32 s4, s4, s22
	s_addc_u32 s5, s5, s23
	s_lshl_b64 s[6:7], s[6:7], 2
	s_load_b64 s[4:5], s[4:5], 0x0
	s_waitcnt lgkmcnt(0)
	s_add_u32 s24, s4, s6
	s_addc_u32 s25, s5, s7
.LBB201_6:
	s_lshl_b64 s[2:3], s[2:3], 3
	v_and_b32_e32 v20, 0x3ff, v0
	s_add_u32 s2, s8, s2
	s_addc_u32 s3, s9, s3
	v_bfe_u32 v21, v0, 10, 10
	s_load_b64 s[2:3], s[2:3], 0x0
	s_waitcnt lgkmcnt(0)
	s_load_b64 s[6:7], s[0:1], 0x0
	s_lshl_b64 s[8:9], s[10:11], 2
	v_lshl_add_u32 v19, v21, 5, v20
	s_delay_alu instid0(VALU_DEP_1)
	v_cmp_gt_u32_e64 s0, 0x80, v19
	s_add_u32 s5, s2, s8
	s_addc_u32 s22, s3, s9
	s_and_not1_b32 vcc_lo, exec_lo, s15
	s_cbranch_vccnz .LBB201_13
; %bb.7:
	s_mov_b32 s1, 0
	s_mov_b32 s23, 0
                                        ; implicit-def: $vgpr1
                                        ; implicit-def: $vgpr2_vgpr3
	s_and_saveexec_b32 s2, s0
	s_cbranch_execz .LBB201_14
; %bb.8:
	v_lshl_or_b32 v0, s14, 7, v19
	v_mov_b32_e32 v1, 0
	s_waitcnt lgkmcnt(0)
	s_ashr_i32 s9, s6, 31
	s_mov_b32 s8, s6
	s_mov_b32 s3, 0
	s_mov_b32 s0, exec_lo
                                        ; implicit-def: $vgpr2_vgpr3
	v_cmpx_gt_i64_e64 s[8:9], v[0:1]
	s_cbranch_execz .LBB201_12
; %bb.9:
	v_mad_u64_u32 v[2:3], null, v0, s12, 0
	v_cmp_eq_f32_e64 s3, s26, 0
	s_delay_alu instid0(VALU_DEP_1) | instskip(NEXT) | instid1(VALU_DEP_2)
	s_and_b32 vcc_lo, exec_lo, s3
	v_mad_u64_u32 v[4:5], null, v0, s13, v[3:4]
	s_delay_alu instid0(VALU_DEP_1)
	v_mov_b32_e32 v3, v4
	s_cbranch_vccnz .LBB201_11
; %bb.10:
	s_delay_alu instid0(VALU_DEP_1) | instskip(NEXT) | instid1(VALU_DEP_1)
	v_lshlrev_b64 v[0:1], 2, v[2:3]
	v_add_co_u32 v0, vcc_lo, s5, v0
	s_delay_alu instid0(VALU_DEP_2)
	v_add_co_ci_u32_e32 v1, vcc_lo, s22, v1, vcc_lo
	global_load_b32 v0, v[0:1], off
	s_waitcnt vmcnt(0)
	v_mul_f32_e32 v1, s26, v0
.LBB201_11:
	s_mov_b32 s3, exec_lo
.LBB201_12:
	s_or_b32 exec_lo, exec_lo, s0
	s_delay_alu instid0(SALU_CYCLE_1) | instskip(SKIP_1) | instid1(SALU_CYCLE_1)
	s_and_b32 s23, s3, exec_lo
	s_or_b32 exec_lo, exec_lo, s2
	s_and_b32 vcc_lo, exec_lo, s1
	s_cbranch_vccnz .LBB201_15
	s_branch .LBB201_52
.LBB201_13:
	s_mov_b32 s23, 0
                                        ; implicit-def: $vgpr1
                                        ; implicit-def: $vgpr2_vgpr3
	s_cbranch_execnz .LBB201_15
	s_branch .LBB201_52
.LBB201_14:
	s_or_b32 exec_lo, exec_lo, s2
	s_delay_alu instid0(SALU_CYCLE_1)
	s_and_b32 vcc_lo, exec_lo, s1
	s_cbranch_vccz .LBB201_52
.LBB201_15:
	s_waitcnt lgkmcnt(0)
	s_ashr_i32 s0, s7, 31
	s_lshl_b32 s28, s14, 7
	s_lshr_b32 s0, s0, 26
	v_dual_mov_b32 v23, 0 :: v_dual_lshlrev_b32 v26, 2, v21
	v_dual_mov_b32 v22, 0 :: v_dual_mov_b32 v25, 0
	v_add_nc_u32_e32 v0, s28, v20
	v_mov_b32_e32 v24, 0
	s_add_i32 s29, s7, s0
	s_mov_b32 s30, exec_lo
	s_and_not1_b32 s29, s29, 63
	s_delay_alu instid0(SALU_CYCLE_1)
	v_cmpx_gt_i32_e64 s29, v26
	s_cbranch_execz .LBB201_27
; %bb.16:
	v_lshlrev_b32_e32 v29, 2, v21
	v_mad_u64_u32 v[5:6], null, s20, v21, 0
	v_add_nc_u32_e32 v2, 32, v0
	v_mad_u64_u32 v[7:8], null, s16, v21, 0
	s_delay_alu instid0(VALU_DEP_4) | instskip(SKIP_1) | instid1(VALU_DEP_4)
	v_or_b32_e32 v25, 3, v29
	v_add_nc_u32_e32 v9, 64, v0
	v_cmp_gt_i32_e64 s0, s6, v2
	v_ashrrev_i32_e32 v1, 31, v0
	v_cmp_gt_i32_e32 vcc_lo, s6, v0
	v_mad_u64_u32 v[3:4], null, s16, v25, 0
	v_mad_u64_u32 v[16:17], null, s20, v25, 0
	v_add_nc_u32_e32 v10, 0x60, v0
	s_lshl_b64 s[8:9], s[16:17], 8
	s_lshl_b64 s[10:11], s[20:21], 8
	s_mov_b32 s31, 0
	s_delay_alu instid0(VALU_DEP_3)
	v_mov_b32_e32 v2, v4
	v_mov_b32_e32 v4, v6
	v_cmp_gt_i32_e64 s1, s6, v9
	v_cmp_gt_i32_e64 s2, s6, v10
	v_mov_b32_e32 v6, v8
	v_mad_u64_u32 v[9:10], null, s17, v25, v[2:3]
	v_or_b32_e32 v31, 2, v29
	v_mad_u64_u32 v[10:11], null, s21, v21, v[4:5]
	s_delay_alu instid0(VALU_DEP_4) | instskip(SKIP_1) | instid1(VALU_DEP_4)
	v_mad_u64_u32 v[11:12], null, s17, v21, v[6:7]
	v_mad_u64_u32 v[12:13], null, s20, v29, s[20:21]
	;; [unrolled: 1-line block ×3, first 2 shown]
	v_mov_b32_e32 v4, v9
	v_mov_b32_e32 v6, v10
	v_lshlrev_b64 v[1:2], 2, v[0:1]
	s_mov_b64 s[14:15], s[24:25]
	s_delay_alu instid0(VALU_DEP_3) | instskip(NEXT) | instid1(VALU_DEP_3)
	v_lshlrev_b64 v[9:10], 2, v[3:4]
	v_lshlrev_b64 v[3:4], 4, v[5:6]
	v_dual_mov_b32 v5, v15 :: v_dual_mov_b32 v6, v13
	s_delay_alu instid0(VALU_DEP_3) | instskip(NEXT) | instid1(VALU_DEP_2)
	v_add_co_u32 v27, s3, s18, v9
	v_mad_u64_u32 v[22:23], null, s17, v31, v[5:6]
	v_mov_b32_e32 v5, v17
	v_add_co_ci_u32_e64 v28, s3, s19, v10, s3
	v_mad_u64_u32 v[9:10], null, s16, v29, s[16:17]
	s_delay_alu instid0(VALU_DEP_3) | instskip(SKIP_2) | instid1(VALU_DEP_4)
	v_mad_u64_u32 v[23:24], null, s21, v25, v[5:6]
	v_mad_u64_u32 v[24:25], null, s20, v31, 0
	v_dual_mov_b32 v8, v11 :: v_dual_mov_b32 v15, v22
	v_mov_b32_e32 v5, v10
	s_delay_alu instid0(VALU_DEP_2) | instskip(NEXT) | instid1(VALU_DEP_2)
	v_lshlrev_b64 v[14:15], 2, v[14:15]
	v_mad_u64_u32 v[10:11], null, s17, v29, v[5:6]
	v_mov_b32_e32 v5, v25
	v_lshlrev_b64 v[7:8], 4, v[7:8]
	s_delay_alu instid0(VALU_DEP_3) | instskip(NEXT) | instid1(VALU_DEP_2)
	v_lshlrev_b64 v[9:10], 2, v[9:10]
	v_mad_u64_u32 v[17:18], null, s21, v29, v[6:7]
	v_add_co_u32 v29, s3, s18, v7
	s_delay_alu instid0(VALU_DEP_1) | instskip(NEXT) | instid1(VALU_DEP_3)
	v_add_co_ci_u32_e64 v30, s3, s19, v8, s3
	v_mov_b32_e32 v13, v17
	v_mov_b32_e32 v17, v23
	v_mad_u64_u32 v[22:23], null, s21, v31, v[5:6]
	v_add_co_u32 v31, s3, s18, v14
	s_delay_alu instid0(VALU_DEP_1) | instskip(SKIP_1) | instid1(VALU_DEP_4)
	v_add_co_ci_u32_e64 v32, s3, s19, v15, s3
	v_add_co_u32 v33, s3, s18, v9
	v_dual_mov_b32 v25, v22 :: v_dual_mov_b32 v22, 0
	v_lshlrev_b64 v[5:6], 2, v[12:13]
	v_lshlrev_b64 v[7:8], 2, v[16:17]
	v_add_co_ci_u32_e64 v34, s3, s19, v10, s3
	s_delay_alu instid0(VALU_DEP_4)
	v_lshlrev_b64 v[9:10], 2, v[24:25]
	v_dual_mov_b32 v23, 0 :: v_dual_mov_b32 v24, 0
	v_mov_b32_e32 v25, 0
	s_branch .LBB201_21
.LBB201_17:                             ;   in Loop: Header=BB201_21 Depth=1
	s_or_b32 exec_lo, exec_lo, s34
	s_waitcnt vmcnt(3) lgkmcnt(3)
	v_fmac_f32_e32 v24, v38, v50
	s_waitcnt vmcnt(2) lgkmcnt(2)
	s_delay_alu instid0(VALU_DEP_1) | instskip(SKIP_1) | instid1(VALU_DEP_1)
	v_fmac_f32_e32 v24, v37, v49
	s_waitcnt vmcnt(1) lgkmcnt(1)
	v_fmac_f32_e32 v24, v36, v48
	s_waitcnt vmcnt(0) lgkmcnt(0)
	s_delay_alu instid0(VALU_DEP_1)
	v_fmac_f32_e32 v24, v35, v47
.LBB201_18:                             ;   in Loop: Header=BB201_21 Depth=1
	s_or_b32 exec_lo, exec_lo, s33
	s_waitcnt vmcnt(3) lgkmcnt(3)
	v_fmac_f32_e32 v23, v38, v46
	s_waitcnt vmcnt(2) lgkmcnt(2)
	s_delay_alu instid0(VALU_DEP_1) | instskip(SKIP_1) | instid1(VALU_DEP_1)
	v_fmac_f32_e32 v23, v37, v45
	s_waitcnt vmcnt(1) lgkmcnt(1)
	v_fmac_f32_e32 v23, v36, v44
	s_waitcnt vmcnt(0) lgkmcnt(0)
	s_delay_alu instid0(VALU_DEP_1)
	v_fmac_f32_e32 v23, v35, v43
.LBB201_19:                             ;   in Loop: Header=BB201_21 Depth=1
	s_or_b32 exec_lo, exec_lo, s3
	s_waitcnt vmcnt(3) lgkmcnt(3)
	v_fmac_f32_e32 v22, v38, v42
	s_waitcnt vmcnt(2) lgkmcnt(2)
	s_delay_alu instid0(VALU_DEP_1) | instskip(SKIP_1) | instid1(VALU_DEP_1)
	v_fmac_f32_e32 v22, v37, v40
	s_waitcnt vmcnt(1) lgkmcnt(1)
	v_fmac_f32_e32 v22, v36, v39
	s_waitcnt vmcnt(0) lgkmcnt(0)
	s_delay_alu instid0(VALU_DEP_1)
	v_fmac_f32_e32 v22, v35, v41
.LBB201_20:                             ;   in Loop: Header=BB201_21 Depth=1
	s_or_b32 exec_lo, exec_lo, s4
	v_add_co_u32 v27, s3, v27, s8
	s_delay_alu instid0(VALU_DEP_1) | instskip(SKIP_4) | instid1(VALU_DEP_1)
	v_add_co_ci_u32_e64 v28, s3, s9, v28, s3
	v_add_co_u32 v29, s3, v29, s8
	v_add_nc_u32_e32 v26, 64, v26
	v_add_co_ci_u32_e64 v30, s3, s9, v30, s3
	v_add_co_u32 v31, s3, v31, s8
	v_add_co_ci_u32_e64 v32, s3, s9, v32, s3
	s_delay_alu instid0(VALU_DEP_4) | instskip(SKIP_1) | instid1(VALU_DEP_1)
	v_cmp_le_i32_e64 s3, s29, v26
	v_add_co_u32 v33, s4, v33, s8
	v_add_co_ci_u32_e64 v34, s4, s9, v34, s4
	s_add_u32 s14, s14, s10
	s_addc_u32 s15, s15, s11
	s_or_b32 s31, s3, s31
	s_delay_alu instid0(SALU_CYCLE_1)
	s_and_not1_b32 exec_lo, exec_lo, s31
	s_cbranch_execz .LBB201_26
.LBB201_21:                             ; =>This Inner Loop Header: Depth=1
	s_and_saveexec_b32 s4, vcc_lo
	s_cbranch_execz .LBB201_20
; %bb.22:                               ;   in Loop: Header=BB201_21 Depth=1
	v_add_co_u32 v35, s3, s14, v3
	s_delay_alu instid0(VALU_DEP_1) | instskip(SKIP_1) | instid1(VALU_DEP_1)
	v_add_co_ci_u32_e64 v36, s3, s15, v4, s3
	v_add_co_u32 v39, s3, s14, v5
	v_add_co_ci_u32_e64 v40, s3, s15, v6, s3
	v_add_co_u32 v41, s3, s14, v9
	s_delay_alu instid0(VALU_DEP_1) | instskip(SKIP_1) | instid1(VALU_DEP_1)
	v_add_co_ci_u32_e64 v42, s3, s15, v10, s3
	v_add_co_u32 v43, s3, s14, v7
	v_add_co_ci_u32_e64 v44, s3, s15, v8, s3
	;; [unrolled: 5-line block ×4, first 2 shown]
	s_clause 0x3
	flat_load_b32 v38, v[35:36]
	flat_load_b32 v37, v[39:40]
	;; [unrolled: 1-line block ×8, first 2 shown]
	s_and_saveexec_b32 s3, s0
	s_cbranch_execz .LBB201_19
; %bb.23:                               ;   in Loop: Header=BB201_21 Depth=1
	flat_load_b32 v46, v[11:12] offset:128
	flat_load_b32 v45, v[13:14] offset:128
	flat_load_b32 v44, v[15:16] offset:128
	flat_load_b32 v43, v[17:18] offset:128
	s_and_saveexec_b32 s33, s1
	s_cbranch_execz .LBB201_18
; %bb.24:                               ;   in Loop: Header=BB201_21 Depth=1
	flat_load_b32 v50, v[11:12] offset:256
	flat_load_b32 v49, v[13:14] offset:256
	flat_load_b32 v48, v[15:16] offset:256
	flat_load_b32 v47, v[17:18] offset:256
	s_and_saveexec_b32 s34, s2
	s_cbranch_execz .LBB201_17
; %bb.25:                               ;   in Loop: Header=BB201_21 Depth=1
	flat_load_b32 v11, v[11:12] offset:384
	flat_load_b32 v12, v[13:14] offset:384
	flat_load_b32 v13, v[15:16] offset:384
	flat_load_b32 v14, v[17:18] offset:384
	s_waitcnt vmcnt(3) lgkmcnt(3)
	v_fmac_f32_e32 v25, v38, v11
	s_waitcnt vmcnt(2) lgkmcnt(2)
	s_delay_alu instid0(VALU_DEP_1) | instskip(SKIP_1) | instid1(VALU_DEP_1)
	v_fmac_f32_e32 v25, v37, v12
	s_waitcnt vmcnt(1) lgkmcnt(1)
	v_fmac_f32_e32 v25, v36, v13
	s_waitcnt vmcnt(0) lgkmcnt(0)
	s_delay_alu instid0(VALU_DEP_1)
	v_fmac_f32_e32 v25, v35, v14
	s_branch .LBB201_17
.LBB201_26:
	s_or_b32 exec_lo, exec_lo, s31
.LBB201_27:
	s_delay_alu instid0(SALU_CYCLE_1) | instskip(SKIP_1) | instid1(SALU_CYCLE_1)
	s_or_b32 exec_lo, exec_lo, s30
	s_sub_i32 s0, s7, s29
	s_cmp_lt_i32 s0, 1
	s_cbranch_scc1 .LBB201_45
; %bb.28:
	v_cmp_gt_i32_e32 vcc_lo, s7, v26
	v_dual_mov_b32 v11, 0 :: v_dual_mov_b32 v12, 0
	v_or_b32_e32 v2, 1, v26
	v_dual_mov_b32 v10, 0 :: v_dual_mov_b32 v9, 0
	s_and_saveexec_b32 s1, vcc_lo
	s_cbranch_execz .LBB201_36
; %bb.29:
	v_mad_u64_u32 v[3:4], null, v26, s20, 0
	v_dual_mov_b32 v12, 0 :: v_dual_mov_b32 v11, 0
	s_mov_b32 s2, exec_lo
	s_delay_alu instid0(VALU_DEP_2) | instskip(NEXT) | instid1(VALU_DEP_1)
	v_dual_mov_b32 v10, 0 :: v_dual_mov_b32 v1, v4
	v_mad_u64_u32 v[4:5], null, v26, s21, v[1:2]
	s_delay_alu instid0(VALU_DEP_1) | instskip(NEXT) | instid1(VALU_DEP_1)
	v_lshlrev_b64 v[3:4], 2, v[3:4]
	v_add_co_u32 v3, s0, s24, v3
	s_delay_alu instid0(VALU_DEP_1)
	v_add_co_ci_u32_e64 v4, s0, s25, v4, s0
	flat_load_b32 v9, v[3:4]
	v_cmpx_gt_i32_e64 s7, v2
	s_cbranch_execz .LBB201_35
; %bb.30:
	v_mad_u64_u32 v[3:4], null, v2, s20, 0
	v_mov_b32_e32 v11, 0
	s_mov_b32 s3, exec_lo
	s_delay_alu instid0(VALU_DEP_2) | instskip(NEXT) | instid1(VALU_DEP_1)
	v_dual_mov_b32 v12, 0 :: v_dual_mov_b32 v1, v4
	v_mad_u64_u32 v[4:5], null, v2, s21, v[1:2]
	v_or_b32_e32 v1, 2, v26
	s_delay_alu instid0(VALU_DEP_2) | instskip(NEXT) | instid1(VALU_DEP_1)
	v_lshlrev_b64 v[3:4], 2, v[3:4]
	v_add_co_u32 v3, s0, s24, v3
	s_delay_alu instid0(VALU_DEP_1)
	v_add_co_ci_u32_e64 v4, s0, s25, v4, s0
	flat_load_b32 v10, v[3:4]
	v_cmpx_gt_i32_e64 s7, v1
	s_cbranch_execz .LBB201_34
; %bb.31:
	v_mad_u64_u32 v[3:4], null, v1, s20, 0
	s_mov_b32 s4, exec_lo
	v_mov_b32_e32 v11, 0
	s_delay_alu instid0(VALU_DEP_2) | instskip(SKIP_1) | instid1(VALU_DEP_2)
	v_mad_u64_u32 v[5:6], null, v1, s21, v[4:5]
	v_or_b32_e32 v1, 3, v26
	v_mov_b32_e32 v4, v5
	s_delay_alu instid0(VALU_DEP_1) | instskip(NEXT) | instid1(VALU_DEP_1)
	v_lshlrev_b64 v[3:4], 2, v[3:4]
	v_add_co_u32 v3, s0, s24, v3
	s_delay_alu instid0(VALU_DEP_1)
	v_add_co_ci_u32_e64 v4, s0, s25, v4, s0
	flat_load_b32 v12, v[3:4]
	v_cmpx_gt_i32_e64 s7, v1
	s_cbranch_execz .LBB201_33
; %bb.32:
	v_mad_u64_u32 v[3:4], null, v1, s20, 0
	s_delay_alu instid0(VALU_DEP_1) | instskip(NEXT) | instid1(VALU_DEP_1)
	v_mad_u64_u32 v[5:6], null, v1, s21, v[4:5]
	v_mov_b32_e32 v4, v5
	s_delay_alu instid0(VALU_DEP_1) | instskip(NEXT) | instid1(VALU_DEP_1)
	v_lshlrev_b64 v[3:4], 2, v[3:4]
	v_add_co_u32 v3, s0, s24, v3
	s_delay_alu instid0(VALU_DEP_1)
	v_add_co_ci_u32_e64 v4, s0, s25, v4, s0
	flat_load_b32 v11, v[3:4]
.LBB201_33:
	s_or_b32 exec_lo, exec_lo, s4
.LBB201_34:
	s_delay_alu instid0(SALU_CYCLE_1)
	s_or_b32 exec_lo, exec_lo, s3
.LBB201_35:
	s_delay_alu instid0(SALU_CYCLE_1)
	s_or_b32 exec_lo, exec_lo, s2
.LBB201_36:
	s_delay_alu instid0(SALU_CYCLE_1) | instskip(NEXT) | instid1(SALU_CYCLE_1)
	s_or_b32 exec_lo, exec_lo, s1
	s_mov_b32 s1, exec_lo
	v_cmpx_gt_i32_e64 s6, v0
	s_cbranch_execz .LBB201_44
; %bb.37:
	v_mad_u64_u32 v[3:4], null, v26, s16, 0
	v_mad_u64_u32 v[5:6], null, v2, s16, 0
	v_or_b32_e32 v28, 2, v26
	v_ashrrev_i32_e32 v1, 31, v0
	v_or_b32_e32 v29, 3, v26
	v_cndmask_b32_e32 v3, 0, v3, vcc_lo
	s_delay_alu instid0(VALU_DEP_4)
	v_cmp_gt_i32_e64 s0, s7, v28
	v_mad_u64_u32 v[13:14], null, v26, s17, v[4:5]
	v_mad_u64_u32 v[14:15], null, v28, s16, 0
	v_lshlrev_b64 v[7:8], 2, v[0:1]
	v_mov_b32_e32 v1, v6
	v_mad_u64_u32 v[16:17], null, v29, s16, 0
	v_cndmask_b32_e32 v4, 0, v13, vcc_lo
	v_cmp_gt_i32_e32 vcc_lo, s7, v2
	s_delay_alu instid0(VALU_DEP_4)
	v_mad_u64_u32 v[26:27], null, v2, s17, v[1:2]
	v_mov_b32_e32 v1, v15
	v_cndmask_b32_e64 v13, 0, v14, s0
	v_mov_b32_e32 v6, v17
	v_cndmask_b32_e32 v2, 0, v5, vcc_lo
	v_lshlrev_b64 v[4:5], 2, v[3:4]
	s_delay_alu instid0(VALU_DEP_2) | instskip(NEXT) | instid1(VALU_DEP_1)
	v_mad_u64_u32 v[17:18], null, v28, s17, v[1:2]
	v_cndmask_b32_e64 v14, 0, v17, s0
	v_mad_u64_u32 v[17:18], null, v29, s17, v[6:7]
	v_cndmask_b32_e32 v3, 0, v26, vcc_lo
	v_add_co_u32 v1, vcc_lo, s18, v4
	v_add_co_ci_u32_e32 v5, vcc_lo, s19, v5, vcc_lo
	s_delay_alu instid0(VALU_DEP_3) | instskip(NEXT) | instid1(VALU_DEP_3)
	v_lshlrev_b64 v[3:4], 2, v[2:3]
	v_add_co_u32 v1, vcc_lo, v1, v7
	s_delay_alu instid0(VALU_DEP_3) | instskip(SKIP_1) | instid1(VALU_DEP_4)
	v_add_co_ci_u32_e32 v2, vcc_lo, v5, v8, vcc_lo
	v_lshlrev_b64 v[5:6], 2, v[13:14]
	v_add_co_u32 v3, vcc_lo, s18, v3
	v_add_co_ci_u32_e32 v4, vcc_lo, s19, v4, vcc_lo
	s_mov_b32 s0, exec_lo
	s_delay_alu instid0(VALU_DEP_2) | instskip(NEXT) | instid1(VALU_DEP_2)
	v_add_co_u32 v3, vcc_lo, v3, v7
	v_add_co_ci_u32_e32 v4, vcc_lo, v4, v8, vcc_lo
	s_clause 0x1
	flat_load_b32 v15, v[1:2]
	flat_load_b32 v18, v[3:4]
	v_cmp_gt_i32_e32 vcc_lo, s7, v29
	v_dual_cndmask_b32 v14, 0, v17 :: v_dual_cndmask_b32 v13, 0, v16
	v_add_co_u32 v5, vcc_lo, s18, v5
	v_add_co_ci_u32_e32 v6, vcc_lo, s19, v6, vcc_lo
	s_delay_alu instid0(VALU_DEP_2) | instskip(NEXT) | instid1(VALU_DEP_2)
	v_add_co_u32 v5, vcc_lo, v5, v7
	v_add_co_ci_u32_e32 v6, vcc_lo, v6, v8, vcc_lo
	flat_load_b32 v16, v[5:6]
	s_waitcnt vmcnt(2) lgkmcnt(2)
	v_fmac_f32_e32 v22, v9, v15
	v_lshlrev_b64 v[13:14], 2, v[13:14]
	s_waitcnt vmcnt(1) lgkmcnt(1)
	s_delay_alu instid0(VALU_DEP_2) | instskip(NEXT) | instid1(VALU_DEP_2)
	v_fmac_f32_e32 v22, v10, v18
	v_add_co_u32 v13, vcc_lo, s18, v13
	s_delay_alu instid0(VALU_DEP_3) | instskip(NEXT) | instid1(VALU_DEP_2)
	v_add_co_ci_u32_e32 v14, vcc_lo, s19, v14, vcc_lo
	v_add_co_u32 v7, vcc_lo, v13, v7
	s_delay_alu instid0(VALU_DEP_2)
	v_add_co_ci_u32_e32 v8, vcc_lo, v14, v8, vcc_lo
	v_add_nc_u32_e32 v14, 32, v0
	flat_load_b32 v13, v[7:8]
	s_waitcnt vmcnt(1) lgkmcnt(1)
	v_fmac_f32_e32 v22, v12, v16
	v_cmpx_gt_i32_e64 s6, v14
	s_cbranch_execz .LBB201_43
; %bb.38:
	s_clause 0x3
	flat_load_b32 v15, v[1:2] offset:128
	flat_load_b32 v16, v[3:4] offset:128
	;; [unrolled: 1-line block ×4, first 2 shown]
	s_mov_b32 s2, exec_lo
	s_waitcnt vmcnt(3) lgkmcnt(3)
	v_fmac_f32_e32 v23, v9, v15
	v_add_nc_u32_e32 v15, 64, v0
	s_waitcnt vmcnt(2) lgkmcnt(2)
	s_delay_alu instid0(VALU_DEP_2) | instskip(SKIP_1) | instid1(VALU_DEP_1)
	v_fmac_f32_e32 v23, v10, v16
	s_waitcnt vmcnt(1) lgkmcnt(1)
	v_fmac_f32_e32 v23, v12, v17
	v_cmpx_gt_i32_e64 s6, v15
	s_cbranch_execz .LBB201_42
; %bb.39:
	s_clause 0x3
	flat_load_b32 v16, v[1:2] offset:256
	flat_load_b32 v17, v[3:4] offset:256
	;; [unrolled: 1-line block ×4, first 2 shown]
	v_add_nc_u32_e32 v0, 0x60, v0
	s_mov_b32 s3, exec_lo
	s_waitcnt vmcnt(3) lgkmcnt(3)
	v_fmac_f32_e32 v24, v9, v16
	s_waitcnt vmcnt(2) lgkmcnt(2)
	s_delay_alu instid0(VALU_DEP_1) | instskip(SKIP_1) | instid1(VALU_DEP_1)
	v_fmac_f32_e32 v24, v10, v17
	s_waitcnt vmcnt(1) lgkmcnt(1)
	v_fmac_f32_e32 v24, v12, v18
	v_cmpx_gt_i32_e64 s6, v0
	s_cbranch_execz .LBB201_41
; %bb.40:
	s_clause 0x3
	flat_load_b32 v0, v[1:2] offset:384
	flat_load_b32 v1, v[3:4] offset:384
	;; [unrolled: 1-line block ×4, first 2 shown]
	s_waitcnt vmcnt(3) lgkmcnt(3)
	v_fmac_f32_e32 v25, v9, v0
	s_waitcnt vmcnt(2) lgkmcnt(2)
	s_delay_alu instid0(VALU_DEP_1) | instskip(SKIP_1) | instid1(VALU_DEP_1)
	v_fmac_f32_e32 v25, v10, v1
	s_waitcnt vmcnt(1) lgkmcnt(1)
	v_fmac_f32_e32 v25, v12, v2
	s_waitcnt vmcnt(0) lgkmcnt(0)
	s_delay_alu instid0(VALU_DEP_1)
	v_fmac_f32_e32 v25, v11, v3
.LBB201_41:
	s_or_b32 exec_lo, exec_lo, s3
	s_waitcnt vmcnt(0) lgkmcnt(0)
	v_fmac_f32_e32 v24, v11, v15
.LBB201_42:
	s_or_b32 exec_lo, exec_lo, s2
	s_waitcnt vmcnt(0) lgkmcnt(0)
	v_fmac_f32_e32 v23, v11, v14
.LBB201_43:
	s_or_b32 exec_lo, exec_lo, s0
	s_waitcnt vmcnt(0) lgkmcnt(0)
	v_fmac_f32_e32 v22, v11, v13
.LBB201_44:
	s_or_b32 exec_lo, exec_lo, s1
.LBB201_45:
	v_lshlrev_b32_e32 v0, 7, v21
	s_mov_b32 s0, exec_lo
                                        ; implicit-def: $vgpr1
                                        ; implicit-def: $vgpr2_vgpr3
	s_delay_alu instid0(VALU_DEP_1)
	v_add_lshl_u32 v0, v0, v20, 2
	ds_store_2addr_b32 v0, v22, v23 offset1:32
	ds_store_2addr_b32 v0, v24, v25 offset0:64 offset1:96
	s_waitcnt vmcnt(0) lgkmcnt(0)
	s_barrier
	buffer_gl0_inv
	v_cmpx_gt_u32_e32 0x80, v19
	s_cbranch_execz .LBB201_51
; %bb.46:
	v_lshlrev_b32_e32 v6, 2, v19
	s_mov_b32 s2, s23
	s_mov_b32 s1, exec_lo
	ds_load_2addr_stride64_b32 v[0:1], v6 offset1:2
	ds_load_2addr_stride64_b32 v[2:3], v6 offset0:4 offset1:6
	ds_load_2addr_stride64_b32 v[4:5], v6 offset0:8 offset1:10
	s_waitcnt lgkmcnt(2)
	v_add_f32_e32 v7, v0, v1
	ds_load_2addr_stride64_b32 v[0:1], v6 offset0:12 offset1:14
	s_waitcnt lgkmcnt(2)
	v_add_f32_e32 v2, v2, v7
	s_delay_alu instid0(VALU_DEP_1) | instskip(SKIP_3) | instid1(VALU_DEP_1)
	v_add_f32_e32 v7, v3, v2
	ds_load_2addr_stride64_b32 v[2:3], v6 offset0:16 offset1:18
	s_waitcnt lgkmcnt(2)
	v_add_f32_e32 v4, v4, v7
	v_add_f32_e32 v7, v5, v4
	ds_load_2addr_stride64_b32 v[4:5], v6 offset0:20 offset1:22
	s_waitcnt lgkmcnt(2)
	v_add_f32_e32 v0, v0, v7
	s_delay_alu instid0(VALU_DEP_1) | instskip(SKIP_1) | instid1(VALU_DEP_1)
	v_add_f32_e32 v0, v1, v0
	s_waitcnt lgkmcnt(1)
	v_add_f32_e32 v2, v2, v0
	ds_load_2addr_stride64_b32 v[0:1], v6 offset0:24 offset1:26
	v_add_f32_e32 v2, v3, v2
	s_waitcnt lgkmcnt(1)
	s_delay_alu instid0(VALU_DEP_1) | instskip(SKIP_3) | instid1(VALU_DEP_1)
	v_add_f32_e32 v4, v4, v2
	ds_load_2addr_stride64_b32 v[2:3], v6 offset0:28 offset1:30
	v_add_f32_e32 v4, v5, v4
	s_waitcnt lgkmcnt(1)
	v_add_f32_e32 v0, v0, v4
	v_or_b32_e32 v4, s28, v19
	s_delay_alu instid0(VALU_DEP_2) | instskip(SKIP_1) | instid1(VALU_DEP_1)
	v_add_f32_e32 v0, v1, v0
                                        ; implicit-def: $vgpr1
	s_waitcnt lgkmcnt(0)
	v_add_f32_e32 v0, v2, v0
	s_delay_alu instid0(VALU_DEP_1)
	v_add_f32_e32 v0, v3, v0
                                        ; implicit-def: $vgpr2_vgpr3
	ds_store_b32 v6, v0
	v_cmpx_gt_i32_e64 s6, v4
	s_cbranch_execz .LBB201_50
; %bb.47:
	v_ashrrev_i32_e32 v1, 31, v4
	v_mul_lo_u32 v5, v4, s13
	v_mad_u64_u32 v[2:3], null, v4, s12, 0
	v_cmp_eq_f32_e64 s2, s26, 0
	s_delay_alu instid0(VALU_DEP_4) | instskip(SKIP_1) | instid1(VALU_DEP_3)
	v_mul_lo_u32 v4, v1, s12
	v_mul_f32_e32 v1, s27, v0
	s_and_b32 vcc_lo, exec_lo, s2
	s_delay_alu instid0(VALU_DEP_2)
	v_add3_u32 v3, v3, v5, v4
	s_cbranch_vccnz .LBB201_49
; %bb.48:
	s_delay_alu instid0(VALU_DEP_1) | instskip(NEXT) | instid1(VALU_DEP_1)
	v_lshlrev_b64 v[4:5], 2, v[2:3]
	v_add_co_u32 v4, vcc_lo, s5, v4
	s_delay_alu instid0(VALU_DEP_2)
	v_add_co_ci_u32_e32 v5, vcc_lo, s22, v5, vcc_lo
	global_load_b32 v0, v[4:5], off
	s_waitcnt vmcnt(0)
	v_fmac_f32_e32 v1, s26, v0
.LBB201_49:
	s_or_b32 s2, s23, exec_lo
.LBB201_50:
	s_or_b32 exec_lo, exec_lo, s1
	s_delay_alu instid0(SALU_CYCLE_1) | instskip(SKIP_1) | instid1(SALU_CYCLE_1)
	s_and_not1_b32 s1, s23, exec_lo
	s_and_b32 s2, s2, exec_lo
	s_or_b32 s23, s1, s2
.LBB201_51:
	s_or_b32 exec_lo, exec_lo, s0
.LBB201_52:
	s_and_saveexec_b32 s0, s23
	s_cbranch_execz .LBB201_54
; %bb.53:
	v_lshlrev_b64 v[2:3], 2, v[2:3]
	s_delay_alu instid0(VALU_DEP_1) | instskip(NEXT) | instid1(VALU_DEP_2)
	v_add_co_u32 v2, vcc_lo, s5, v2
	v_add_co_ci_u32_e32 v3, vcc_lo, s22, v3, vcc_lo
	global_store_b32 v[2:3], v1, off
.LBB201_54:
	s_nop 0
	s_sendmsg sendmsg(MSG_DEALLOC_VGPRS)
	s_endpgm
	.section	.rodata,"a",@progbits
	.p2align	6, 0x0
	.amdhsa_kernel _ZL20rocblas_gemvn_kernelILi32ELi16ElPKfS1_KPfEviiT3_lPKT2_lT1_lS7_lS8_lS4_lPT4_lS8_li
		.amdhsa_group_segment_fixed_size 8192
		.amdhsa_private_segment_fixed_size 0
		.amdhsa_kernarg_size 400
		.amdhsa_user_sgpr_count 14
		.amdhsa_user_sgpr_dispatch_ptr 0
		.amdhsa_user_sgpr_queue_ptr 0
		.amdhsa_user_sgpr_kernarg_segment_ptr 1
		.amdhsa_user_sgpr_dispatch_id 0
		.amdhsa_user_sgpr_private_segment_size 0
		.amdhsa_wavefront_size32 1
		.amdhsa_uses_dynamic_stack 0
		.amdhsa_enable_private_segment 0
		.amdhsa_system_sgpr_workgroup_id_x 1
		.amdhsa_system_sgpr_workgroup_id_y 0
		.amdhsa_system_sgpr_workgroup_id_z 1
		.amdhsa_system_sgpr_workgroup_info 0
		.amdhsa_system_vgpr_workitem_id 1
		.amdhsa_next_free_vgpr 51
		.amdhsa_next_free_sgpr 35
		.amdhsa_reserve_vcc 1
		.amdhsa_float_round_mode_32 0
		.amdhsa_float_round_mode_16_64 0
		.amdhsa_float_denorm_mode_32 3
		.amdhsa_float_denorm_mode_16_64 3
		.amdhsa_dx10_clamp 1
		.amdhsa_ieee_mode 1
		.amdhsa_fp16_overflow 0
		.amdhsa_workgroup_processor_mode 1
		.amdhsa_memory_ordered 1
		.amdhsa_forward_progress 0
		.amdhsa_shared_vgpr_count 0
		.amdhsa_exception_fp_ieee_invalid_op 0
		.amdhsa_exception_fp_denorm_src 0
		.amdhsa_exception_fp_ieee_div_zero 0
		.amdhsa_exception_fp_ieee_overflow 0
		.amdhsa_exception_fp_ieee_underflow 0
		.amdhsa_exception_fp_ieee_inexact 0
		.amdhsa_exception_int_div_zero 0
	.end_amdhsa_kernel
	.section	.text._ZL20rocblas_gemvn_kernelILi32ELi16ElPKfS1_KPfEviiT3_lPKT2_lT1_lS7_lS8_lS4_lPT4_lS8_li,"axG",@progbits,_ZL20rocblas_gemvn_kernelILi32ELi16ElPKfS1_KPfEviiT3_lPKT2_lT1_lS7_lS8_lS4_lPT4_lS8_li,comdat
.Lfunc_end201:
	.size	_ZL20rocblas_gemvn_kernelILi32ELi16ElPKfS1_KPfEviiT3_lPKT2_lT1_lS7_lS8_lS4_lPT4_lS8_li, .Lfunc_end201-_ZL20rocblas_gemvn_kernelILi32ELi16ElPKfS1_KPfEviiT3_lPKT2_lT1_lS7_lS8_lS4_lPT4_lS8_li
                                        ; -- End function
	.section	.AMDGPU.csdata,"",@progbits
; Kernel info:
; codeLenInByte = 3396
; NumSgprs: 37
; NumVgprs: 51
; ScratchSize: 0
; MemoryBound: 0
; FloatMode: 240
; IeeeMode: 1
; LDSByteSize: 8192 bytes/workgroup (compile time only)
; SGPRBlocks: 4
; VGPRBlocks: 6
; NumSGPRsForWavesPerEU: 37
; NumVGPRsForWavesPerEU: 51
; Occupancy: 16
; WaveLimiterHint : 1
; COMPUTE_PGM_RSRC2:SCRATCH_EN: 0
; COMPUTE_PGM_RSRC2:USER_SGPR: 14
; COMPUTE_PGM_RSRC2:TRAP_HANDLER: 0
; COMPUTE_PGM_RSRC2:TGID_X_EN: 1
; COMPUTE_PGM_RSRC2:TGID_Y_EN: 0
; COMPUTE_PGM_RSRC2:TGID_Z_EN: 1
; COMPUTE_PGM_RSRC2:TIDIG_COMP_CNT: 1
	.section	.text._ZL20rocblas_gemvn_kernelILi32ELi16EiPKffKPfEviiT3_lPKT2_lT1_lS7_lS8_lS4_lPT4_lS8_li,"axG",@progbits,_ZL20rocblas_gemvn_kernelILi32ELi16EiPKffKPfEviiT3_lPKT2_lT1_lS7_lS8_lS4_lPT4_lS8_li,comdat
	.globl	_ZL20rocblas_gemvn_kernelILi32ELi16EiPKffKPfEviiT3_lPKT2_lT1_lS7_lS8_lS4_lPT4_lS8_li ; -- Begin function _ZL20rocblas_gemvn_kernelILi32ELi16EiPKffKPfEviiT3_lPKT2_lT1_lS7_lS8_lS4_lPT4_lS8_li
	.p2align	8
	.type	_ZL20rocblas_gemvn_kernelILi32ELi16EiPKffKPfEviiT3_lPKT2_lT1_lS7_lS8_lS4_lPT4_lS8_li,@function
_ZL20rocblas_gemvn_kernelILi32ELi16EiPKffKPfEviiT3_lPKT2_lT1_lS7_lS8_lS4_lPT4_lS8_li: ; @_ZL20rocblas_gemvn_kernelILi32ELi16EiPKffKPfEviiT3_lPKT2_lT1_lS7_lS8_lS4_lPT4_lS8_li
; %bb.0:
	s_load_b64 s[4:5], s[0:1], 0x9c
	s_waitcnt lgkmcnt(0)
	s_lshr_b32 s3, s4, 16
	s_and_b32 s4, s4, 0xffff
	s_and_b32 s5, s5, 0xffff
	s_mul_i32 s3, s3, s4
	s_delay_alu instid0(SALU_CYCLE_1) | instskip(NEXT) | instid1(SALU_CYCLE_1)
	s_mul_i32 s3, s3, s5
	s_cmpk_lg_i32 s3, 0x200
	s_cbranch_scc1 .LBB202_57
; %bb.1:
	s_load_b128 s[4:7], s[0:1], 0x0
	s_waitcnt lgkmcnt(0)
	s_load_b32 s7, s[0:1], 0x58
	v_cmp_eq_f32_e64 s12, s6, 0
	s_waitcnt lgkmcnt(0)
	v_cmp_eq_f32_e64 s3, s7, 1.0
	s_delay_alu instid0(VALU_DEP_1) | instskip(NEXT) | instid1(SALU_CYCLE_1)
	s_and_b32 s3, s12, s3
	s_and_b32 vcc_lo, exec_lo, s3
	s_cbranch_vccnz .LBB202_57
; %bb.2:
	v_cmp_neq_f32_e64 s10, s6, 0
	s_mov_b32 s2, s15
	s_delay_alu instid0(VALU_DEP_1)
	s_and_b32 vcc_lo, exec_lo, s10
	s_cbranch_vccnz .LBB202_4
; %bb.3:
	s_mov_b32 s3, 0
	s_mov_b64 s[8:9], 0
	s_cbranch_execz .LBB202_5
	s_branch .LBB202_6
.LBB202_4:
	s_mov_b32 s3, -1
                                        ; implicit-def: $sgpr8_sgpr9
.LBB202_5:
	s_load_b128 s[16:19], s[0:1], 0x18
	s_mov_b32 s3, 0
	s_delay_alu instid0(SALU_CYCLE_1)
	s_lshl_b64 s[8:9], s[2:3], 3
	s_waitcnt lgkmcnt(0)
	s_add_u32 s8, s16, s8
	s_addc_u32 s9, s17, s9
	s_lshl_b64 s[16:17], s[18:19], 2
	s_load_b64 s[8:9], s[8:9], 0x0
	s_waitcnt lgkmcnt(0)
	s_add_u32 s8, s8, s16
	s_addc_u32 s9, s9, s17
.LBB202_6:
	s_and_not1_b32 vcc_lo, exec_lo, s10
	s_cbranch_vccnz .LBB202_8
; %bb.7:
	s_load_b128 s[16:19], s[0:1], 0x38
	s_lshl_b64 s[10:11], s[2:3], 3
	s_waitcnt lgkmcnt(0)
	s_add_u32 s10, s16, s10
	s_addc_u32 s11, s17, s11
	s_lshl_b64 s[16:17], s[18:19], 2
	s_load_b64 s[10:11], s[10:11], 0x0
	s_waitcnt lgkmcnt(0)
	s_add_u32 s10, s10, s16
	s_addc_u32 s11, s11, s17
	s_branch .LBB202_9
.LBB202_8:
	s_mov_b64 s[10:11], 0
.LBB202_9:
	s_clause 0x1
	s_load_b128 s[20:23], s[0:1], 0x68
	s_load_b32 s16, s[0:1], 0x78
	s_lshl_b64 s[2:3], s[2:3], 3
	v_and_b32_e32 v1, 0x3ff, v0
	v_bfe_u32 v13, v0, 10, 10
	s_delay_alu instid0(VALU_DEP_1)
	v_lshl_add_u32 v0, v13, 5, v1
	s_waitcnt lgkmcnt(0)
	s_add_u32 s2, s20, s2
	s_addc_u32 s3, s21, s3
	s_lshl_b64 s[20:21], s[22:23], 2
	s_load_b64 s[18:19], s[2:3], 0x0
	v_cmp_gt_u32_e64 s2, 0x80, v0
	s_waitcnt lgkmcnt(0)
	s_add_u32 s13, s18, s20
	s_addc_u32 s15, s19, s21
	s_and_not1_b32 vcc_lo, exec_lo, s12
	s_cbranch_vccnz .LBB202_16
; %bb.10:
	s_mov_b32 s3, 0
	s_mov_b32 s17, 0
                                        ; implicit-def: $vgpr3
                                        ; implicit-def: $vgpr4_vgpr5
	s_and_saveexec_b32 s12, s2
	s_cbranch_execz .LBB202_17
; %bb.11:
	v_lshl_or_b32 v2, s14, 7, v0
	v_mov_b32_e32 v3, 0
	s_ashr_i32 s19, s4, 31
	s_mov_b32 s18, s4
	s_mov_b32 s2, exec_lo
                                        ; implicit-def: $vgpr4_vgpr5
	s_delay_alu instid0(VALU_DEP_1)
	v_cmpx_gt_i64_e64 s[18:19], v[2:3]
	s_cbranch_execz .LBB202_15
; %bb.12:
	v_mad_u64_u32 v[4:5], null, s16, v2, 0
	s_ashr_i32 s17, s16, 31
	s_delay_alu instid0(VALU_DEP_1) | instid1(SALU_CYCLE_1)
	v_mad_u64_u32 v[6:7], null, s17, v2, v[5:6]
	v_cmp_eq_f32_e64 s17, s7, 0
	s_delay_alu instid0(VALU_DEP_1) | instskip(NEXT) | instid1(VALU_DEP_2)
	s_and_b32 vcc_lo, exec_lo, s17
	v_mov_b32_e32 v5, v6
	s_cbranch_vccnz .LBB202_14
; %bb.13:
	s_delay_alu instid0(VALU_DEP_1) | instskip(NEXT) | instid1(VALU_DEP_1)
	v_lshlrev_b64 v[2:3], 2, v[4:5]
	v_add_co_u32 v2, vcc_lo, s13, v2
	s_delay_alu instid0(VALU_DEP_2)
	v_add_co_ci_u32_e32 v3, vcc_lo, s15, v3, vcc_lo
	global_load_b32 v2, v[2:3], off
	s_waitcnt vmcnt(0)
	v_mul_f32_e32 v3, s7, v2
.LBB202_14:
	s_mov_b32 s17, exec_lo
.LBB202_15:
	s_or_b32 exec_lo, exec_lo, s2
	s_delay_alu instid0(SALU_CYCLE_1) | instskip(SKIP_1) | instid1(SALU_CYCLE_1)
	s_and_b32 s17, s17, exec_lo
	s_or_b32 exec_lo, exec_lo, s12
	s_and_b32 vcc_lo, exec_lo, s3
	s_cbranch_vccnz .LBB202_18
	s_branch .LBB202_55
.LBB202_16:
	s_mov_b32 s17, 0
                                        ; implicit-def: $vgpr3
                                        ; implicit-def: $vgpr4_vgpr5
	s_cbranch_execnz .LBB202_18
	s_branch .LBB202_55
.LBB202_17:
	s_or_b32 exec_lo, exec_lo, s12
	s_delay_alu instid0(SALU_CYCLE_1)
	s_and_b32 vcc_lo, exec_lo, s3
	s_cbranch_vccz .LBB202_55
.LBB202_18:
	s_clause 0x1
	s_load_b32 s18, s[0:1], 0x28
	s_load_b32 s12, s[0:1], 0x48
	s_ashr_i32 s0, s5, 31
	s_lshl_b32 s14, s14, 7
	s_lshr_b32 s0, s0, 26
	v_dual_mov_b32 v14, 0 :: v_dual_lshlrev_b32 v19, 2, v13
	v_dual_mov_b32 v15, 0 :: v_dual_add_nc_u32 v18, s14, v1
	v_dual_mov_b32 v16, 0 :: v_dual_mov_b32 v17, 0
	s_add_i32 s19, s5, s0
	s_mov_b32 s20, exec_lo
	s_and_not1_b32 s19, s19, 63
	s_delay_alu instid0(SALU_CYCLE_1)
	v_cmpx_gt_i32_e64 s19, v19
	s_cbranch_execz .LBB202_30
; %bb.19:
	s_waitcnt lgkmcnt(0)
	v_mul_lo_u32 v3, s18, v19
	v_dual_mov_b32 v15, 0 :: v_dual_add_nc_u32 v2, 32, v18
	v_add_nc_u32_e32 v6, 2, v19
	v_dual_mov_b32 v14, 0 :: v_dual_add_nc_u32 v5, 0x60, v18
	s_delay_alu instid0(VALU_DEP_3)
	v_cmp_gt_i32_e64 s0, s4, v2
	v_dual_mov_b32 v17, 0 :: v_dual_add_nc_u32 v4, 64, v18
	v_add3_u32 v20, v3, s18, v1
	v_mad_u64_u32 v[2:3], null, s18, v6, v[1:2]
	v_cmp_gt_i32_e64 s2, s4, v5
	v_mul_lo_u32 v5, v13, s18
	v_dual_mov_b32 v16, 0 :: v_dual_add_nc_u32 v7, 3, v19
	v_mul_lo_u32 v8, v13, s12
	v_cmp_gt_i32_e64 s1, s4, v4
	v_mul_lo_u32 v22, s12, v6
	s_delay_alu instid0(VALU_DEP_4)
	v_mad_u64_u32 v[3:4], null, s18, v7, v[1:2]
	v_lshl_add_u32 v21, v5, 2, v1
	v_mad_u64_u32 v[4:5], null, s12, v19, s[12:13]
	v_mul_lo_u32 v23, s12, v7
	v_cmp_gt_i32_e32 vcc_lo, s4, v18
	v_lshlrev_b32_e32 v24, 2, v8
	s_lshl_b32 s21, s18, 6
	s_lshl_b32 s23, s12, 6
	s_mov_b32 s22, 0
	s_mov_b32 s24, 0
	s_branch .LBB202_24
.LBB202_20:                             ;   in Loop: Header=BB202_24 Depth=1
	s_or_b32 exec_lo, exec_lo, s27
	s_waitcnt vmcnt(3) lgkmcnt(3)
	v_fmac_f32_e32 v16, v28, v40
	s_waitcnt vmcnt(2) lgkmcnt(2)
	s_delay_alu instid0(VALU_DEP_1) | instskip(SKIP_1) | instid1(VALU_DEP_1)
	v_fmac_f32_e32 v16, v27, v39
	s_waitcnt vmcnt(1) lgkmcnt(1)
	v_fmac_f32_e32 v16, v26, v38
	s_waitcnt vmcnt(0) lgkmcnt(0)
	s_delay_alu instid0(VALU_DEP_1)
	v_fmac_f32_e32 v16, v25, v37
.LBB202_21:                             ;   in Loop: Header=BB202_24 Depth=1
	s_or_b32 exec_lo, exec_lo, s26
	s_waitcnt vmcnt(3) lgkmcnt(3)
	v_fmac_f32_e32 v15, v28, v36
	s_waitcnt vmcnt(2) lgkmcnt(2)
	s_delay_alu instid0(VALU_DEP_1) | instskip(SKIP_1) | instid1(VALU_DEP_1)
	v_fmac_f32_e32 v15, v27, v35
	s_waitcnt vmcnt(1) lgkmcnt(1)
	v_fmac_f32_e32 v15, v26, v34
	s_waitcnt vmcnt(0) lgkmcnt(0)
	s_delay_alu instid0(VALU_DEP_1)
	v_fmac_f32_e32 v15, v25, v33
.LBB202_22:                             ;   in Loop: Header=BB202_24 Depth=1
	s_or_b32 exec_lo, exec_lo, s3
	s_waitcnt vmcnt(3) lgkmcnt(3)
	v_fmac_f32_e32 v14, v28, v32
	s_waitcnt vmcnt(2) lgkmcnt(2)
	s_delay_alu instid0(VALU_DEP_1) | instskip(SKIP_1) | instid1(VALU_DEP_1)
	v_fmac_f32_e32 v14, v27, v30
	s_waitcnt vmcnt(1) lgkmcnt(1)
	v_fmac_f32_e32 v14, v26, v29
	s_waitcnt vmcnt(0) lgkmcnt(0)
	s_delay_alu instid0(VALU_DEP_1)
	v_fmac_f32_e32 v14, v25, v31
.LBB202_23:                             ;   in Loop: Header=BB202_24 Depth=1
	s_or_b32 exec_lo, exec_lo, s25
	v_add_nc_u32_e32 v19, 64, v19
	v_add_nc_u32_e32 v20, s21, v20
	;; [unrolled: 1-line block ×5, first 2 shown]
	v_cmp_le_i32_e64 s3, s19, v19
	s_add_i32 s24, s24, s23
	s_delay_alu instid0(VALU_DEP_1) | instskip(NEXT) | instid1(SALU_CYCLE_1)
	s_or_b32 s22, s3, s22
	s_and_not1_b32 exec_lo, exec_lo, s22
	s_cbranch_execz .LBB202_29
.LBB202_24:                             ; =>This Inner Loop Header: Depth=1
	s_and_saveexec_b32 s25, vcc_lo
	s_cbranch_execz .LBB202_23
; %bb.25:                               ;   in Loop: Header=BB202_24 Depth=1
	v_add_nc_u32_e32 v5, s24, v24
	v_add_nc_u32_e32 v7, s24, v4
	;; [unrolled: 1-line block ×5, first 2 shown]
	v_ashrrev_i32_e32 v6, 31, v5
	v_ashrrev_i32_e32 v8, 31, v7
	;; [unrolled: 1-line block ×5, first 2 shown]
	v_lshlrev_b64 v[5:6], 2, v[5:6]
	v_lshlrev_b64 v[7:8], 2, v[7:8]
	;; [unrolled: 1-line block ×3, first 2 shown]
	s_delay_alu instid0(VALU_DEP_3) | instskip(NEXT) | instid1(VALU_DEP_1)
	v_add_co_u32 v27, s3, s10, v5
	v_add_co_ci_u32_e64 v28, s3, s11, v6, s3
	s_delay_alu instid0(VALU_DEP_4)
	v_add_co_u32 v29, s3, s10, v7
	v_add_nc_u32_e32 v7, s14, v20
	v_add_co_ci_u32_e64 v30, s3, s11, v8, s3
	v_lshlrev_b64 v[5:6], 2, v[11:12]
	v_add_co_u32 v31, s3, s10, v9
	v_add_nc_u32_e32 v11, s14, v2
	v_add_co_ci_u32_e64 v32, s3, s11, v10, s3
	v_lshlrev_b64 v[9:10], 2, v[25:26]
	v_ashrrev_i32_e32 v8, 31, v7
	v_add_nc_u32_e32 v25, s14, v3
	v_add_co_u32 v33, s3, s10, v5
	v_ashrrev_i32_e32 v12, 31, v11
	v_add_co_ci_u32_e64 v34, s3, s11, v6, s3
	v_lshlrev_b64 v[7:8], 2, v[7:8]
	v_add_co_u32 v5, s3, s8, v9
	v_ashrrev_i32_e32 v26, 31, v25
	v_add_co_ci_u32_e64 v6, s3, s9, v10, s3
	v_lshlrev_b64 v[9:10], 2, v[11:12]
	v_add_co_u32 v7, s3, s8, v7
	s_delay_alu instid0(VALU_DEP_4) | instskip(SKIP_1) | instid1(VALU_DEP_4)
	v_lshlrev_b64 v[25:26], 2, v[25:26]
	v_add_co_ci_u32_e64 v8, s3, s9, v8, s3
	v_add_co_u32 v11, s3, s8, v9
	s_delay_alu instid0(VALU_DEP_1) | instskip(NEXT) | instid1(VALU_DEP_4)
	v_add_co_ci_u32_e64 v12, s3, s9, v10, s3
	v_add_co_u32 v9, s3, s8, v25
	s_delay_alu instid0(VALU_DEP_1)
	v_add_co_ci_u32_e64 v10, s3, s9, v26, s3
	s_clause 0x3
	flat_load_b32 v28, v[27:28]
	flat_load_b32 v27, v[29:30]
	;; [unrolled: 1-line block ×4, first 2 shown]
	s_clause 0x3
	flat_load_b32 v32, v[5:6]
	flat_load_b32 v30, v[7:8]
	;; [unrolled: 1-line block ×4, first 2 shown]
	s_and_saveexec_b32 s3, s0
	s_cbranch_execz .LBB202_22
; %bb.26:                               ;   in Loop: Header=BB202_24 Depth=1
	s_clause 0x3
	flat_load_b32 v36, v[5:6] offset:128
	flat_load_b32 v35, v[7:8] offset:128
	flat_load_b32 v34, v[11:12] offset:128
	flat_load_b32 v33, v[9:10] offset:128
	s_and_saveexec_b32 s26, s1
	s_cbranch_execz .LBB202_21
; %bb.27:                               ;   in Loop: Header=BB202_24 Depth=1
	s_clause 0x3
	flat_load_b32 v40, v[5:6] offset:256
	flat_load_b32 v39, v[7:8] offset:256
	flat_load_b32 v38, v[11:12] offset:256
	flat_load_b32 v37, v[9:10] offset:256
	;; [unrolled: 8-line block ×3, first 2 shown]
	s_waitcnt vmcnt(3) lgkmcnt(3)
	v_fmac_f32_e32 v17, v28, v5
	s_waitcnt vmcnt(2) lgkmcnt(2)
	s_delay_alu instid0(VALU_DEP_1) | instskip(SKIP_1) | instid1(VALU_DEP_1)
	v_fmac_f32_e32 v17, v27, v6
	s_waitcnt vmcnt(1) lgkmcnt(1)
	v_fmac_f32_e32 v17, v26, v7
	s_waitcnt vmcnt(0) lgkmcnt(0)
	s_delay_alu instid0(VALU_DEP_1)
	v_fmac_f32_e32 v17, v25, v8
	s_branch .LBB202_20
.LBB202_29:
	s_or_b32 exec_lo, exec_lo, s22
.LBB202_30:
	s_delay_alu instid0(SALU_CYCLE_1) | instskip(SKIP_1) | instid1(SALU_CYCLE_1)
	s_or_b32 exec_lo, exec_lo, s20
	s_sub_i32 s0, s5, s19
	s_cmp_lt_i32 s0, 1
	s_cbranch_scc1 .LBB202_48
; %bb.31:
	v_cmp_gt_i32_e32 vcc_lo, s5, v19
	v_dual_mov_b32 v12, 0 :: v_dual_mov_b32 v11, 0
	v_or_b32_e32 v2, 1, v19
	v_mov_b32_e32 v20, 0
	v_mov_b32_e32 v10, 0
	s_and_saveexec_b32 s1, vcc_lo
	s_cbranch_execz .LBB202_39
; %bb.32:
	s_waitcnt lgkmcnt(0)
	v_mul_lo_u32 v3, v19, s12
	v_dual_mov_b32 v11, 0 :: v_dual_mov_b32 v20, 0
	v_mov_b32_e32 v12, 0
	s_mov_b32 s2, exec_lo
	s_delay_alu instid0(VALU_DEP_3) | instskip(NEXT) | instid1(VALU_DEP_1)
	v_ashrrev_i32_e32 v4, 31, v3
	v_lshlrev_b64 v[3:4], 2, v[3:4]
	s_delay_alu instid0(VALU_DEP_1) | instskip(NEXT) | instid1(VALU_DEP_1)
	v_add_co_u32 v3, s0, s10, v3
	v_add_co_ci_u32_e64 v4, s0, s11, v4, s0
	flat_load_b32 v10, v[3:4]
	v_cmpx_gt_i32_e64 s5, v2
	s_cbranch_execz .LBB202_38
; %bb.33:
	v_mul_lo_u32 v3, v2, s12
	v_mov_b32_e32 v20, 0
	v_mov_b32_e32 v12, 0
	s_mov_b32 s3, exec_lo
	s_delay_alu instid0(VALU_DEP_3) | instskip(NEXT) | instid1(VALU_DEP_1)
	v_ashrrev_i32_e32 v4, 31, v3
	v_lshlrev_b64 v[3:4], 2, v[3:4]
	s_delay_alu instid0(VALU_DEP_1) | instskip(NEXT) | instid1(VALU_DEP_1)
	v_add_co_u32 v3, s0, s10, v3
	v_add_co_ci_u32_e64 v4, s0, s11, v4, s0
	flat_load_b32 v11, v[3:4]
	v_or_b32_e32 v3, 2, v19
	s_delay_alu instid0(VALU_DEP_1)
	v_cmpx_gt_i32_e64 s5, v3
	s_cbranch_execz .LBB202_37
; %bb.34:
	v_mul_lo_u32 v3, v3, s12
	v_mov_b32_e32 v12, 0
	s_mov_b32 s19, exec_lo
	s_delay_alu instid0(VALU_DEP_2) | instskip(NEXT) | instid1(VALU_DEP_1)
	v_ashrrev_i32_e32 v4, 31, v3
	v_lshlrev_b64 v[3:4], 2, v[3:4]
	s_delay_alu instid0(VALU_DEP_1) | instskip(NEXT) | instid1(VALU_DEP_1)
	v_add_co_u32 v3, s0, s10, v3
	v_add_co_ci_u32_e64 v4, s0, s11, v4, s0
	flat_load_b32 v20, v[3:4]
	v_or_b32_e32 v3, 3, v19
	s_delay_alu instid0(VALU_DEP_1)
	v_cmpx_gt_i32_e64 s5, v3
	s_cbranch_execz .LBB202_36
; %bb.35:
	v_mul_lo_u32 v3, v3, s12
	s_delay_alu instid0(VALU_DEP_1) | instskip(NEXT) | instid1(VALU_DEP_1)
	v_ashrrev_i32_e32 v4, 31, v3
	v_lshlrev_b64 v[3:4], 2, v[3:4]
	s_delay_alu instid0(VALU_DEP_1) | instskip(NEXT) | instid1(VALU_DEP_1)
	v_add_co_u32 v3, s0, s10, v3
	v_add_co_ci_u32_e64 v4, s0, s11, v4, s0
	flat_load_b32 v12, v[3:4]
.LBB202_36:
	s_or_b32 exec_lo, exec_lo, s19
.LBB202_37:
	s_delay_alu instid0(SALU_CYCLE_1)
	s_or_b32 exec_lo, exec_lo, s3
.LBB202_38:
	s_delay_alu instid0(SALU_CYCLE_1)
	s_or_b32 exec_lo, exec_lo, s2
.LBB202_39:
	s_delay_alu instid0(SALU_CYCLE_1) | instskip(NEXT) | instid1(SALU_CYCLE_1)
	s_or_b32 exec_lo, exec_lo, s1
	s_mov_b32 s1, exec_lo
	v_cmpx_gt_i32_e64 s4, v18
	s_cbranch_execz .LBB202_47
; %bb.40:
	s_waitcnt lgkmcnt(0)
	v_mul_lo_u32 v3, v19, s18
	v_mul_lo_u32 v5, v2, s18
	v_or_b32_e32 v4, 2, v19
	v_or_b32_e32 v6, 3, v19
	s_mov_b32 s0, exec_lo
	s_delay_alu instid0(VALU_DEP_2)
	v_mul_lo_u32 v7, v4, s18
	v_cndmask_b32_e32 v3, 0, v3, vcc_lo
	v_cmp_gt_i32_e32 vcc_lo, s5, v2
	v_mul_lo_u32 v8, v6, s18
	v_cndmask_b32_e32 v5, 0, v5, vcc_lo
	v_cmp_gt_i32_e32 vcc_lo, s5, v4
	s_delay_alu instid0(VALU_DEP_2) | instskip(SKIP_2) | instid1(VALU_DEP_3)
	v_add_nc_u32_e32 v4, v5, v18
	v_dual_cndmask_b32 v7, 0, v7 :: v_dual_add_nc_u32 v2, v3, v18
	v_cmp_gt_i32_e32 vcc_lo, s5, v6
	v_ashrrev_i32_e32 v5, 31, v4
	s_delay_alu instid0(VALU_DEP_3) | instskip(SKIP_2) | instid1(VALU_DEP_4)
	v_ashrrev_i32_e32 v3, 31, v2
	v_cndmask_b32_e32 v8, 0, v8, vcc_lo
	v_add_nc_u32_e32 v6, v7, v18
	v_lshlrev_b64 v[4:5], 2, v[4:5]
	s_delay_alu instid0(VALU_DEP_4) | instskip(NEXT) | instid1(VALU_DEP_4)
	v_lshlrev_b64 v[2:3], 2, v[2:3]
	v_add_nc_u32_e32 v8, v8, v18
	s_delay_alu instid0(VALU_DEP_4) | instskip(NEXT) | instid1(VALU_DEP_2)
	v_ashrrev_i32_e32 v7, 31, v6
	v_ashrrev_i32_e32 v9, 31, v8
	s_delay_alu instid0(VALU_DEP_2)
	v_lshlrev_b64 v[21:22], 2, v[6:7]
	v_add_co_u32 v6, vcc_lo, s8, v2
	v_add_co_ci_u32_e32 v7, vcc_lo, s9, v3, vcc_lo
	v_add_co_u32 v2, vcc_lo, s8, v4
	v_add_co_ci_u32_e32 v3, vcc_lo, s9, v5, vcc_lo
	flat_load_b32 v23, v[6:7]
	v_add_co_u32 v4, vcc_lo, s8, v21
	v_add_co_ci_u32_e32 v5, vcc_lo, s9, v22, vcc_lo
	v_lshlrev_b64 v[8:9], 2, v[8:9]
	s_clause 0x1
	flat_load_b32 v21, v[2:3]
	flat_load_b32 v22, v[4:5]
	v_add_co_u32 v8, vcc_lo, s8, v8
	v_add_co_ci_u32_e32 v9, vcc_lo, s9, v9, vcc_lo
	flat_load_b32 v19, v[8:9]
	s_waitcnt vmcnt(3) lgkmcnt(3)
	v_fmac_f32_e32 v14, v10, v23
	s_waitcnt vmcnt(2) lgkmcnt(2)
	s_delay_alu instid0(VALU_DEP_1) | instskip(SKIP_1) | instid1(VALU_DEP_1)
	v_dual_fmac_f32 v14, v11, v21 :: v_dual_add_nc_u32 v21, 32, v18
	s_waitcnt vmcnt(1) lgkmcnt(1)
	v_fmac_f32_e32 v14, v20, v22
	s_delay_alu instid0(VALU_DEP_2)
	v_cmpx_gt_i32_e64 s4, v21
	s_cbranch_execz .LBB202_46
; %bb.41:
	s_clause 0x3
	flat_load_b32 v22, v[6:7] offset:128
	flat_load_b32 v23, v[2:3] offset:128
	;; [unrolled: 1-line block ×4, first 2 shown]
	s_mov_b32 s2, exec_lo
	s_waitcnt vmcnt(3) lgkmcnt(3)
	v_fmac_f32_e32 v15, v10, v22
	s_waitcnt vmcnt(2) lgkmcnt(2)
	s_delay_alu instid0(VALU_DEP_1) | instskip(SKIP_1) | instid1(VALU_DEP_1)
	v_dual_fmac_f32 v15, v11, v23 :: v_dual_add_nc_u32 v22, 64, v18
	s_waitcnt vmcnt(1) lgkmcnt(1)
	v_fmac_f32_e32 v15, v20, v24
	s_delay_alu instid0(VALU_DEP_2)
	v_cmpx_gt_i32_e64 s4, v22
	s_cbranch_execz .LBB202_45
; %bb.42:
	s_clause 0x3
	flat_load_b32 v23, v[6:7] offset:256
	flat_load_b32 v24, v[2:3] offset:256
	;; [unrolled: 1-line block ×4, first 2 shown]
	v_add_nc_u32_e32 v18, 0x60, v18
	s_mov_b32 s3, exec_lo
	s_waitcnt vmcnt(3) lgkmcnt(3)
	v_fmac_f32_e32 v16, v10, v23
	s_waitcnt vmcnt(2) lgkmcnt(2)
	s_delay_alu instid0(VALU_DEP_1) | instskip(SKIP_1) | instid1(VALU_DEP_1)
	v_fmac_f32_e32 v16, v11, v24
	s_waitcnt vmcnt(1) lgkmcnt(1)
	v_fmac_f32_e32 v16, v20, v25
	v_cmpx_gt_i32_e64 s4, v18
	s_cbranch_execz .LBB202_44
; %bb.43:
	s_clause 0x3
	flat_load_b32 v6, v[6:7] offset:384
	flat_load_b32 v2, v[2:3] offset:384
	flat_load_b32 v3, v[4:5] offset:384
	flat_load_b32 v4, v[8:9] offset:384
	s_waitcnt vmcnt(3) lgkmcnt(3)
	v_fmac_f32_e32 v17, v10, v6
	s_waitcnt vmcnt(2) lgkmcnt(2)
	s_delay_alu instid0(VALU_DEP_1) | instskip(SKIP_1) | instid1(VALU_DEP_1)
	v_fmac_f32_e32 v17, v11, v2
	s_waitcnt vmcnt(1) lgkmcnt(1)
	v_fmac_f32_e32 v17, v20, v3
	s_waitcnt vmcnt(0) lgkmcnt(0)
	s_delay_alu instid0(VALU_DEP_1)
	v_fmac_f32_e32 v17, v12, v4
.LBB202_44:
	s_or_b32 exec_lo, exec_lo, s3
	s_waitcnt vmcnt(0) lgkmcnt(0)
	v_fmac_f32_e32 v16, v12, v22
.LBB202_45:
	s_or_b32 exec_lo, exec_lo, s2
	s_waitcnt vmcnt(0) lgkmcnt(0)
	v_fmac_f32_e32 v15, v12, v21
.LBB202_46:
	s_or_b32 exec_lo, exec_lo, s0
	s_waitcnt vmcnt(0) lgkmcnt(0)
	v_fmac_f32_e32 v14, v12, v19
.LBB202_47:
	s_or_b32 exec_lo, exec_lo, s1
.LBB202_48:
	v_lshlrev_b32_e32 v2, 7, v13
	s_mov_b32 s0, exec_lo
                                        ; implicit-def: $vgpr3
                                        ; implicit-def: $vgpr4_vgpr5
	s_delay_alu instid0(VALU_DEP_1)
	v_add_lshl_u32 v1, v2, v1, 2
	ds_store_2addr_b32 v1, v14, v15 offset1:32
	ds_store_2addr_b32 v1, v16, v17 offset0:64 offset1:96
	s_waitcnt vmcnt(0) lgkmcnt(0)
	s_barrier
	buffer_gl0_inv
	v_cmpx_gt_u32_e32 0x80, v0
	s_cbranch_execz .LBB202_54
; %bb.49:
	v_lshlrev_b32_e32 v7, 2, v0
	s_mov_b32 s2, s17
	s_mov_b32 s1, exec_lo
	ds_load_2addr_stride64_b32 v[1:2], v7 offset1:2
	ds_load_2addr_stride64_b32 v[3:4], v7 offset0:4 offset1:6
	ds_load_2addr_stride64_b32 v[5:6], v7 offset0:8 offset1:10
	s_waitcnt lgkmcnt(2)
	v_add_f32_e32 v8, v1, v2
	ds_load_2addr_stride64_b32 v[1:2], v7 offset0:12 offset1:14
	s_waitcnt lgkmcnt(2)
	v_add_f32_e32 v3, v3, v8
	s_delay_alu instid0(VALU_DEP_1) | instskip(SKIP_3) | instid1(VALU_DEP_1)
	v_add_f32_e32 v8, v4, v3
	ds_load_2addr_stride64_b32 v[3:4], v7 offset0:16 offset1:18
	s_waitcnt lgkmcnt(2)
	v_add_f32_e32 v5, v5, v8
	v_add_f32_e32 v8, v6, v5
	ds_load_2addr_stride64_b32 v[5:6], v7 offset0:20 offset1:22
	s_waitcnt lgkmcnt(2)
	v_add_f32_e32 v1, v1, v8
	s_delay_alu instid0(VALU_DEP_1) | instskip(SKIP_1) | instid1(VALU_DEP_1)
	v_add_f32_e32 v1, v2, v1
	s_waitcnt lgkmcnt(1)
	v_add_f32_e32 v3, v3, v1
	ds_load_2addr_stride64_b32 v[1:2], v7 offset0:24 offset1:26
	v_add_f32_e32 v3, v4, v3
	s_waitcnt lgkmcnt(1)
	s_delay_alu instid0(VALU_DEP_1) | instskip(SKIP_3) | instid1(VALU_DEP_1)
	v_add_f32_e32 v5, v5, v3
	ds_load_2addr_stride64_b32 v[3:4], v7 offset0:28 offset1:30
	v_add_f32_e32 v5, v6, v5
	s_waitcnt lgkmcnt(1)
	v_add_f32_e32 v1, v1, v5
	s_delay_alu instid0(VALU_DEP_1) | instskip(SKIP_1) | instid1(VALU_DEP_1)
	v_add_f32_e32 v1, v2, v1
	s_waitcnt lgkmcnt(0)
	v_add_f32_e32 v2, v3, v1
	v_or_b32_e32 v1, s14, v0
                                        ; implicit-def: $vgpr3
	s_delay_alu instid0(VALU_DEP_2)
	v_add_f32_e32 v0, v4, v2
                                        ; implicit-def: $vgpr4_vgpr5
	ds_store_b32 v7, v0
	v_cmpx_gt_i32_e64 s4, v1
	s_cbranch_execz .LBB202_53
; %bb.50:
	v_mul_lo_u32 v4, v1, s16
	v_cmp_eq_f32_e64 s2, s7, 0
	v_mul_f32_e32 v3, s6, v0
	s_delay_alu instid0(VALU_DEP_2) | instskip(NEXT) | instid1(VALU_DEP_3)
	s_and_b32 vcc_lo, exec_lo, s2
	v_ashrrev_i32_e32 v5, 31, v4
	s_cbranch_vccnz .LBB202_52
; %bb.51:
	s_delay_alu instid0(VALU_DEP_1) | instskip(NEXT) | instid1(VALU_DEP_1)
	v_lshlrev_b64 v[0:1], 2, v[4:5]
	v_add_co_u32 v0, vcc_lo, s13, v0
	s_delay_alu instid0(VALU_DEP_2)
	v_add_co_ci_u32_e32 v1, vcc_lo, s15, v1, vcc_lo
	global_load_b32 v0, v[0:1], off
	s_waitcnt vmcnt(0)
	v_fmac_f32_e32 v3, s7, v0
.LBB202_52:
	s_or_b32 s2, s17, exec_lo
.LBB202_53:
	s_or_b32 exec_lo, exec_lo, s1
	s_delay_alu instid0(SALU_CYCLE_1) | instskip(SKIP_1) | instid1(SALU_CYCLE_1)
	s_and_not1_b32 s1, s17, exec_lo
	s_and_b32 s2, s2, exec_lo
	s_or_b32 s17, s1, s2
.LBB202_54:
	s_or_b32 exec_lo, exec_lo, s0
.LBB202_55:
	s_and_saveexec_b32 s0, s17
	s_cbranch_execz .LBB202_57
; %bb.56:
	v_lshlrev_b64 v[0:1], 2, v[4:5]
	s_delay_alu instid0(VALU_DEP_1) | instskip(NEXT) | instid1(VALU_DEP_2)
	v_add_co_u32 v0, vcc_lo, s13, v0
	v_add_co_ci_u32_e32 v1, vcc_lo, s15, v1, vcc_lo
	global_store_b32 v[0:1], v3, off
.LBB202_57:
	s_nop 0
	s_sendmsg sendmsg(MSG_DEALLOC_VGPRS)
	s_endpgm
	.section	.rodata,"a",@progbits
	.p2align	6, 0x0
	.amdhsa_kernel _ZL20rocblas_gemvn_kernelILi32ELi16EiPKffKPfEviiT3_lPKT2_lT1_lS7_lS8_lS4_lPT4_lS8_li
		.amdhsa_group_segment_fixed_size 8192
		.amdhsa_private_segment_fixed_size 0
		.amdhsa_kernarg_size 400
		.amdhsa_user_sgpr_count 14
		.amdhsa_user_sgpr_dispatch_ptr 0
		.amdhsa_user_sgpr_queue_ptr 0
		.amdhsa_user_sgpr_kernarg_segment_ptr 1
		.amdhsa_user_sgpr_dispatch_id 0
		.amdhsa_user_sgpr_private_segment_size 0
		.amdhsa_wavefront_size32 1
		.amdhsa_uses_dynamic_stack 0
		.amdhsa_enable_private_segment 0
		.amdhsa_system_sgpr_workgroup_id_x 1
		.amdhsa_system_sgpr_workgroup_id_y 0
		.amdhsa_system_sgpr_workgroup_id_z 1
		.amdhsa_system_sgpr_workgroup_info 0
		.amdhsa_system_vgpr_workitem_id 1
		.amdhsa_next_free_vgpr 41
		.amdhsa_next_free_sgpr 28
		.amdhsa_reserve_vcc 1
		.amdhsa_float_round_mode_32 0
		.amdhsa_float_round_mode_16_64 0
		.amdhsa_float_denorm_mode_32 3
		.amdhsa_float_denorm_mode_16_64 3
		.amdhsa_dx10_clamp 1
		.amdhsa_ieee_mode 1
		.amdhsa_fp16_overflow 0
		.amdhsa_workgroup_processor_mode 1
		.amdhsa_memory_ordered 1
		.amdhsa_forward_progress 0
		.amdhsa_shared_vgpr_count 0
		.amdhsa_exception_fp_ieee_invalid_op 0
		.amdhsa_exception_fp_denorm_src 0
		.amdhsa_exception_fp_ieee_div_zero 0
		.amdhsa_exception_fp_ieee_overflow 0
		.amdhsa_exception_fp_ieee_underflow 0
		.amdhsa_exception_fp_ieee_inexact 0
		.amdhsa_exception_int_div_zero 0
	.end_amdhsa_kernel
	.section	.text._ZL20rocblas_gemvn_kernelILi32ELi16EiPKffKPfEviiT3_lPKT2_lT1_lS7_lS8_lS4_lPT4_lS8_li,"axG",@progbits,_ZL20rocblas_gemvn_kernelILi32ELi16EiPKffKPfEviiT3_lPKT2_lT1_lS7_lS8_lS4_lPT4_lS8_li,comdat
.Lfunc_end202:
	.size	_ZL20rocblas_gemvn_kernelILi32ELi16EiPKffKPfEviiT3_lPKT2_lT1_lS7_lS8_lS4_lPT4_lS8_li, .Lfunc_end202-_ZL20rocblas_gemvn_kernelILi32ELi16EiPKffKPfEviiT3_lPKT2_lT1_lS7_lS8_lS4_lPT4_lS8_li
                                        ; -- End function
	.section	.AMDGPU.csdata,"",@progbits
; Kernel info:
; codeLenInByte = 2996
; NumSgprs: 30
; NumVgprs: 41
; ScratchSize: 0
; MemoryBound: 0
; FloatMode: 240
; IeeeMode: 1
; LDSByteSize: 8192 bytes/workgroup (compile time only)
; SGPRBlocks: 3
; VGPRBlocks: 5
; NumSGPRsForWavesPerEU: 30
; NumVGPRsForWavesPerEU: 41
; Occupancy: 16
; WaveLimiterHint : 1
; COMPUTE_PGM_RSRC2:SCRATCH_EN: 0
; COMPUTE_PGM_RSRC2:USER_SGPR: 14
; COMPUTE_PGM_RSRC2:TRAP_HANDLER: 0
; COMPUTE_PGM_RSRC2:TGID_X_EN: 1
; COMPUTE_PGM_RSRC2:TGID_Y_EN: 0
; COMPUTE_PGM_RSRC2:TGID_Z_EN: 1
; COMPUTE_PGM_RSRC2:TIDIG_COMP_CNT: 1
	.section	.text._ZL20rocblas_gemvn_kernelILi32ELi16ElPKffKPfEviiT3_lPKT2_lT1_lS7_lS8_lS4_lPT4_lS8_li,"axG",@progbits,_ZL20rocblas_gemvn_kernelILi32ELi16ElPKffKPfEviiT3_lPKT2_lT1_lS7_lS8_lS4_lPT4_lS8_li,comdat
	.globl	_ZL20rocblas_gemvn_kernelILi32ELi16ElPKffKPfEviiT3_lPKT2_lT1_lS7_lS8_lS4_lPT4_lS8_li ; -- Begin function _ZL20rocblas_gemvn_kernelILi32ELi16ElPKffKPfEviiT3_lPKT2_lT1_lS7_lS8_lS4_lPT4_lS8_li
	.p2align	8
	.type	_ZL20rocblas_gemvn_kernelILi32ELi16ElPKffKPfEviiT3_lPKT2_lT1_lS7_lS8_lS4_lPT4_lS8_li,@function
_ZL20rocblas_gemvn_kernelILi32ELi16ElPKffKPfEviiT3_lPKT2_lT1_lS7_lS8_lS4_lPT4_lS8_li: ; @_ZL20rocblas_gemvn_kernelILi32ELi16ElPKffKPfEviiT3_lPKT2_lT1_lS7_lS8_lS4_lPT4_lS8_li
; %bb.0:
	s_load_b64 s[4:5], s[0:1], 0x9c
	s_waitcnt lgkmcnt(0)
	s_lshr_b32 s3, s4, 16
	s_and_b32 s4, s4, 0xffff
	s_and_b32 s5, s5, 0xffff
	s_mul_i32 s3, s3, s4
	s_delay_alu instid0(SALU_CYCLE_1) | instskip(NEXT) | instid1(SALU_CYCLE_1)
	s_mul_i32 s3, s3, s5
	s_cmpk_lg_i32 s3, 0x200
	s_cbranch_scc1 .LBB203_57
; %bb.1:
	s_load_b128 s[8:11], s[0:1], 0x0
	s_waitcnt lgkmcnt(0)
	s_load_b32 s11, s[0:1], 0x58
	s_mov_b32 s2, s15
	v_cmp_eq_f32_e64 s15, s10, 0
	s_waitcnt lgkmcnt(0)
	v_cmp_eq_f32_e64 s3, s11, 1.0
	s_delay_alu instid0(VALU_DEP_1) | instskip(NEXT) | instid1(SALU_CYCLE_1)
	s_and_b32 s3, s15, s3
	s_and_b32 vcc_lo, exec_lo, s3
	s_cbranch_vccnz .LBB203_57
; %bb.2:
	s_clause 0x1
	s_load_b128 s[4:7], s[0:1], 0x18
	s_load_b64 s[12:13], s[0:1], 0x28
	v_cmp_neq_f32_e64 s20, s10, 0
	s_delay_alu instid0(VALU_DEP_1)
	s_and_b32 vcc_lo, exec_lo, s20
	s_cbranch_vccnz .LBB203_4
; %bb.3:
	s_mov_b32 s3, 0
	s_mov_b64 s[16:17], 0
	s_cbranch_execz .LBB203_5
	s_branch .LBB203_6
.LBB203_4:
	s_mov_b32 s3, -1
                                        ; implicit-def: $sgpr16_sgpr17
.LBB203_5:
	s_mov_b32 s3, 0
	s_delay_alu instid0(SALU_CYCLE_1)
	s_lshl_b64 s[16:17], s[2:3], 3
	s_waitcnt lgkmcnt(0)
	s_add_u32 s4, s4, s16
	s_addc_u32 s5, s5, s17
	s_lshl_b64 s[6:7], s[6:7], 2
	s_load_b64 s[4:5], s[4:5], 0x0
	s_waitcnt lgkmcnt(0)
	s_add_u32 s16, s4, s6
	s_addc_u32 s17, s5, s7
.LBB203_6:
	s_waitcnt lgkmcnt(0)
	s_clause 0x1
	s_load_b128 s[4:7], s[0:1], 0x38
	s_load_b64 s[18:19], s[0:1], 0x48
	s_and_not1_b32 vcc_lo, exec_lo, s20
	s_cbranch_vccnz .LBB203_8
; %bb.7:
	s_lshl_b64 s[20:21], s[2:3], 3
	s_waitcnt lgkmcnt(0)
	s_add_u32 s4, s4, s20
	s_addc_u32 s5, s5, s21
	s_lshl_b64 s[6:7], s[6:7], 2
	s_load_b64 s[4:5], s[4:5], 0x0
	s_waitcnt lgkmcnt(0)
	s_add_u32 s20, s4, s6
	s_addc_u32 s21, s5, s7
	s_branch .LBB203_9
.LBB203_8:
	s_mov_b64 s[20:21], 0
.LBB203_9:
	s_load_b128 s[24:27], s[0:1], 0x68
	s_waitcnt lgkmcnt(0)
	s_load_b64 s[6:7], s[0:1], 0x78
	s_lshl_b64 s[2:3], s[2:3], 3
	v_and_b32_e32 v20, 0x3ff, v0
	v_bfe_u32 v21, v0, 10, 10
	s_delay_alu instid0(VALU_DEP_1)
	v_lshl_add_u32 v19, v21, 5, v20
	s_add_u32 s0, s24, s2
	s_addc_u32 s1, s25, s3
	s_lshl_b64 s[22:23], s[26:27], 2
	s_load_b64 s[2:3], s[0:1], 0x0
	v_cmp_gt_u32_e64 s0, 0x80, v19
	s_waitcnt lgkmcnt(0)
	s_add_u32 s5, s2, s22
	s_addc_u32 s26, s3, s23
	s_and_not1_b32 vcc_lo, exec_lo, s15
	s_cbranch_vccnz .LBB203_16
; %bb.10:
	s_mov_b32 s1, 0
	s_mov_b32 s27, 0
                                        ; implicit-def: $vgpr1
                                        ; implicit-def: $vgpr2_vgpr3
	s_and_saveexec_b32 s2, s0
	s_cbranch_execz .LBB203_17
; %bb.11:
	v_lshl_or_b32 v0, s14, 7, v19
	v_mov_b32_e32 v1, 0
	s_ashr_i32 s23, s8, 31
	s_mov_b32 s22, s8
	s_mov_b32 s3, 0
	s_mov_b32 s0, exec_lo
                                        ; implicit-def: $vgpr2_vgpr3
	v_cmpx_gt_i64_e64 s[22:23], v[0:1]
	s_cbranch_execz .LBB203_15
; %bb.12:
	v_mad_u64_u32 v[2:3], null, v0, s6, 0
	v_cmp_eq_f32_e64 s3, s11, 0
	s_delay_alu instid0(VALU_DEP_1) | instskip(NEXT) | instid1(VALU_DEP_2)
	s_and_b32 vcc_lo, exec_lo, s3
	v_mad_u64_u32 v[4:5], null, v0, s7, v[3:4]
	s_delay_alu instid0(VALU_DEP_1)
	v_mov_b32_e32 v3, v4
	s_cbranch_vccnz .LBB203_14
; %bb.13:
	s_delay_alu instid0(VALU_DEP_1) | instskip(NEXT) | instid1(VALU_DEP_1)
	v_lshlrev_b64 v[0:1], 2, v[2:3]
	v_add_co_u32 v0, vcc_lo, s5, v0
	s_delay_alu instid0(VALU_DEP_2)
	v_add_co_ci_u32_e32 v1, vcc_lo, s26, v1, vcc_lo
	global_load_b32 v0, v[0:1], off
	s_waitcnt vmcnt(0)
	v_mul_f32_e32 v1, s11, v0
.LBB203_14:
	s_mov_b32 s3, exec_lo
.LBB203_15:
	s_or_b32 exec_lo, exec_lo, s0
	s_delay_alu instid0(SALU_CYCLE_1) | instskip(SKIP_1) | instid1(SALU_CYCLE_1)
	s_and_b32 s27, s3, exec_lo
	s_or_b32 exec_lo, exec_lo, s2
	s_and_b32 vcc_lo, exec_lo, s1
	s_cbranch_vccnz .LBB203_18
	s_branch .LBB203_55
.LBB203_16:
	s_mov_b32 s27, 0
                                        ; implicit-def: $vgpr1
                                        ; implicit-def: $vgpr2_vgpr3
	s_cbranch_execnz .LBB203_18
	s_branch .LBB203_55
.LBB203_17:
	s_or_b32 exec_lo, exec_lo, s2
	s_delay_alu instid0(SALU_CYCLE_1)
	s_and_b32 vcc_lo, exec_lo, s1
	s_cbranch_vccz .LBB203_55
.LBB203_18:
	s_ashr_i32 s0, s9, 31
	s_lshl_b32 s28, s14, 7
	s_lshr_b32 s0, s0, 26
	v_dual_mov_b32 v23, 0 :: v_dual_lshlrev_b32 v26, 2, v21
	v_dual_mov_b32 v22, 0 :: v_dual_mov_b32 v25, 0
	v_add_nc_u32_e32 v0, s28, v20
	v_mov_b32_e32 v24, 0
	s_add_i32 s29, s9, s0
	s_mov_b32 s30, exec_lo
	s_and_not1_b32 s29, s29, 63
	s_delay_alu instid0(SALU_CYCLE_1)
	v_cmpx_gt_i32_e64 s29, v26
	s_cbranch_execz .LBB203_30
; %bb.19:
	v_lshlrev_b32_e32 v29, 2, v21
	v_mad_u64_u32 v[5:6], null, s18, v21, 0
	v_add_nc_u32_e32 v2, 32, v0
	v_mad_u64_u32 v[7:8], null, s12, v21, 0
	s_delay_alu instid0(VALU_DEP_4) | instskip(SKIP_1) | instid1(VALU_DEP_4)
	v_or_b32_e32 v25, 3, v29
	v_add_nc_u32_e32 v9, 64, v0
	v_cmp_gt_i32_e64 s0, s8, v2
	v_ashrrev_i32_e32 v1, 31, v0
	v_cmp_gt_i32_e32 vcc_lo, s8, v0
	v_mad_u64_u32 v[3:4], null, s12, v25, 0
	v_mad_u64_u32 v[16:17], null, s18, v25, 0
	v_add_nc_u32_e32 v10, 0x60, v0
	s_lshl_b64 s[14:15], s[12:13], 8
	s_lshl_b64 s[22:23], s[18:19], 8
	s_mov_b32 s31, 0
	s_delay_alu instid0(VALU_DEP_3)
	v_mov_b32_e32 v2, v4
	v_mov_b32_e32 v4, v6
	v_cmp_gt_i32_e64 s1, s8, v9
	v_cmp_gt_i32_e64 s2, s8, v10
	v_mov_b32_e32 v6, v8
	v_mad_u64_u32 v[9:10], null, s13, v25, v[2:3]
	v_or_b32_e32 v31, 2, v29
	v_mad_u64_u32 v[10:11], null, s19, v21, v[4:5]
	s_delay_alu instid0(VALU_DEP_4) | instskip(SKIP_1) | instid1(VALU_DEP_4)
	v_mad_u64_u32 v[11:12], null, s13, v21, v[6:7]
	v_mad_u64_u32 v[12:13], null, s18, v29, s[18:19]
	;; [unrolled: 1-line block ×3, first 2 shown]
	v_mov_b32_e32 v4, v9
	v_mov_b32_e32 v6, v10
	v_lshlrev_b64 v[1:2], 2, v[0:1]
	s_mov_b64 s[24:25], s[20:21]
	s_delay_alu instid0(VALU_DEP_3) | instskip(NEXT) | instid1(VALU_DEP_3)
	v_lshlrev_b64 v[9:10], 2, v[3:4]
	v_lshlrev_b64 v[3:4], 4, v[5:6]
	v_dual_mov_b32 v5, v15 :: v_dual_mov_b32 v6, v13
	s_delay_alu instid0(VALU_DEP_3) | instskip(NEXT) | instid1(VALU_DEP_2)
	v_add_co_u32 v27, s3, s16, v9
	v_mad_u64_u32 v[22:23], null, s13, v31, v[5:6]
	v_mov_b32_e32 v5, v17
	v_add_co_ci_u32_e64 v28, s3, s17, v10, s3
	v_mad_u64_u32 v[9:10], null, s12, v29, s[12:13]
	s_delay_alu instid0(VALU_DEP_3) | instskip(SKIP_2) | instid1(VALU_DEP_4)
	v_mad_u64_u32 v[23:24], null, s19, v25, v[5:6]
	v_mad_u64_u32 v[24:25], null, s18, v31, 0
	v_dual_mov_b32 v8, v11 :: v_dual_mov_b32 v15, v22
	v_mov_b32_e32 v5, v10
	s_delay_alu instid0(VALU_DEP_2) | instskip(NEXT) | instid1(VALU_DEP_2)
	v_lshlrev_b64 v[14:15], 2, v[14:15]
	v_mad_u64_u32 v[10:11], null, s13, v29, v[5:6]
	v_mov_b32_e32 v5, v25
	v_lshlrev_b64 v[7:8], 4, v[7:8]
	s_delay_alu instid0(VALU_DEP_3) | instskip(NEXT) | instid1(VALU_DEP_2)
	v_lshlrev_b64 v[9:10], 2, v[9:10]
	v_mad_u64_u32 v[17:18], null, s19, v29, v[6:7]
	v_add_co_u32 v29, s3, s16, v7
	s_delay_alu instid0(VALU_DEP_1) | instskip(NEXT) | instid1(VALU_DEP_3)
	v_add_co_ci_u32_e64 v30, s3, s17, v8, s3
	v_mov_b32_e32 v13, v17
	v_mov_b32_e32 v17, v23
	v_mad_u64_u32 v[22:23], null, s19, v31, v[5:6]
	v_add_co_u32 v31, s3, s16, v14
	s_delay_alu instid0(VALU_DEP_1) | instskip(SKIP_1) | instid1(VALU_DEP_4)
	v_add_co_ci_u32_e64 v32, s3, s17, v15, s3
	v_add_co_u32 v33, s3, s16, v9
	v_dual_mov_b32 v25, v22 :: v_dual_mov_b32 v22, 0
	v_lshlrev_b64 v[5:6], 2, v[12:13]
	v_lshlrev_b64 v[7:8], 2, v[16:17]
	v_add_co_ci_u32_e64 v34, s3, s17, v10, s3
	s_delay_alu instid0(VALU_DEP_4)
	v_lshlrev_b64 v[9:10], 2, v[24:25]
	v_dual_mov_b32 v23, 0 :: v_dual_mov_b32 v24, 0
	v_mov_b32_e32 v25, 0
	s_branch .LBB203_24
.LBB203_20:                             ;   in Loop: Header=BB203_24 Depth=1
	s_or_b32 exec_lo, exec_lo, s34
	s_waitcnt vmcnt(3) lgkmcnt(3)
	v_fmac_f32_e32 v24, v38, v50
	s_waitcnt vmcnt(2) lgkmcnt(2)
	s_delay_alu instid0(VALU_DEP_1) | instskip(SKIP_1) | instid1(VALU_DEP_1)
	v_fmac_f32_e32 v24, v37, v49
	s_waitcnt vmcnt(1) lgkmcnt(1)
	v_fmac_f32_e32 v24, v36, v48
	s_waitcnt vmcnt(0) lgkmcnt(0)
	s_delay_alu instid0(VALU_DEP_1)
	v_fmac_f32_e32 v24, v35, v47
.LBB203_21:                             ;   in Loop: Header=BB203_24 Depth=1
	s_or_b32 exec_lo, exec_lo, s33
	s_waitcnt vmcnt(3) lgkmcnt(3)
	v_fmac_f32_e32 v23, v38, v46
	s_waitcnt vmcnt(2) lgkmcnt(2)
	s_delay_alu instid0(VALU_DEP_1) | instskip(SKIP_1) | instid1(VALU_DEP_1)
	v_fmac_f32_e32 v23, v37, v45
	s_waitcnt vmcnt(1) lgkmcnt(1)
	v_fmac_f32_e32 v23, v36, v44
	s_waitcnt vmcnt(0) lgkmcnt(0)
	s_delay_alu instid0(VALU_DEP_1)
	v_fmac_f32_e32 v23, v35, v43
.LBB203_22:                             ;   in Loop: Header=BB203_24 Depth=1
	s_or_b32 exec_lo, exec_lo, s3
	s_waitcnt vmcnt(3) lgkmcnt(3)
	v_fmac_f32_e32 v22, v38, v42
	s_waitcnt vmcnt(2) lgkmcnt(2)
	s_delay_alu instid0(VALU_DEP_1) | instskip(SKIP_1) | instid1(VALU_DEP_1)
	v_fmac_f32_e32 v22, v37, v40
	s_waitcnt vmcnt(1) lgkmcnt(1)
	v_fmac_f32_e32 v22, v36, v39
	s_waitcnt vmcnt(0) lgkmcnt(0)
	s_delay_alu instid0(VALU_DEP_1)
	v_fmac_f32_e32 v22, v35, v41
.LBB203_23:                             ;   in Loop: Header=BB203_24 Depth=1
	s_or_b32 exec_lo, exec_lo, s4
	v_add_co_u32 v27, s3, v27, s14
	s_delay_alu instid0(VALU_DEP_1) | instskip(SKIP_4) | instid1(VALU_DEP_1)
	v_add_co_ci_u32_e64 v28, s3, s15, v28, s3
	v_add_co_u32 v29, s3, v29, s14
	v_add_nc_u32_e32 v26, 64, v26
	v_add_co_ci_u32_e64 v30, s3, s15, v30, s3
	v_add_co_u32 v31, s3, v31, s14
	v_add_co_ci_u32_e64 v32, s3, s15, v32, s3
	s_delay_alu instid0(VALU_DEP_4) | instskip(SKIP_1) | instid1(VALU_DEP_1)
	v_cmp_le_i32_e64 s3, s29, v26
	v_add_co_u32 v33, s4, v33, s14
	v_add_co_ci_u32_e64 v34, s4, s15, v34, s4
	s_add_u32 s24, s24, s22
	s_addc_u32 s25, s25, s23
	s_or_b32 s31, s3, s31
	s_delay_alu instid0(SALU_CYCLE_1)
	s_and_not1_b32 exec_lo, exec_lo, s31
	s_cbranch_execz .LBB203_29
.LBB203_24:                             ; =>This Inner Loop Header: Depth=1
	s_and_saveexec_b32 s4, vcc_lo
	s_cbranch_execz .LBB203_23
; %bb.25:                               ;   in Loop: Header=BB203_24 Depth=1
	v_add_co_u32 v35, s3, s24, v3
	s_delay_alu instid0(VALU_DEP_1) | instskip(SKIP_1) | instid1(VALU_DEP_1)
	v_add_co_ci_u32_e64 v36, s3, s25, v4, s3
	v_add_co_u32 v39, s3, s24, v5
	v_add_co_ci_u32_e64 v40, s3, s25, v6, s3
	v_add_co_u32 v41, s3, s24, v9
	s_delay_alu instid0(VALU_DEP_1) | instskip(SKIP_1) | instid1(VALU_DEP_1)
	v_add_co_ci_u32_e64 v42, s3, s25, v10, s3
	v_add_co_u32 v43, s3, s24, v7
	v_add_co_ci_u32_e64 v44, s3, s25, v8, s3
	;; [unrolled: 5-line block ×4, first 2 shown]
	s_clause 0x3
	flat_load_b32 v38, v[35:36]
	flat_load_b32 v37, v[39:40]
	;; [unrolled: 1-line block ×8, first 2 shown]
	s_and_saveexec_b32 s3, s0
	s_cbranch_execz .LBB203_22
; %bb.26:                               ;   in Loop: Header=BB203_24 Depth=1
	flat_load_b32 v46, v[11:12] offset:128
	flat_load_b32 v45, v[13:14] offset:128
	flat_load_b32 v44, v[15:16] offset:128
	flat_load_b32 v43, v[17:18] offset:128
	s_and_saveexec_b32 s33, s1
	s_cbranch_execz .LBB203_21
; %bb.27:                               ;   in Loop: Header=BB203_24 Depth=1
	flat_load_b32 v50, v[11:12] offset:256
	flat_load_b32 v49, v[13:14] offset:256
	flat_load_b32 v48, v[15:16] offset:256
	flat_load_b32 v47, v[17:18] offset:256
	s_and_saveexec_b32 s34, s2
	s_cbranch_execz .LBB203_20
; %bb.28:                               ;   in Loop: Header=BB203_24 Depth=1
	flat_load_b32 v11, v[11:12] offset:384
	flat_load_b32 v12, v[13:14] offset:384
	flat_load_b32 v13, v[15:16] offset:384
	flat_load_b32 v14, v[17:18] offset:384
	s_waitcnt vmcnt(3) lgkmcnt(3)
	v_fmac_f32_e32 v25, v38, v11
	s_waitcnt vmcnt(2) lgkmcnt(2)
	s_delay_alu instid0(VALU_DEP_1) | instskip(SKIP_1) | instid1(VALU_DEP_1)
	v_fmac_f32_e32 v25, v37, v12
	s_waitcnt vmcnt(1) lgkmcnt(1)
	v_fmac_f32_e32 v25, v36, v13
	s_waitcnt vmcnt(0) lgkmcnt(0)
	s_delay_alu instid0(VALU_DEP_1)
	v_fmac_f32_e32 v25, v35, v14
	s_branch .LBB203_20
.LBB203_29:
	s_or_b32 exec_lo, exec_lo, s31
.LBB203_30:
	s_delay_alu instid0(SALU_CYCLE_1) | instskip(SKIP_1) | instid1(SALU_CYCLE_1)
	s_or_b32 exec_lo, exec_lo, s30
	s_sub_i32 s0, s9, s29
	s_cmp_lt_i32 s0, 1
	s_cbranch_scc1 .LBB203_48
; %bb.31:
	v_cmp_gt_i32_e32 vcc_lo, s9, v26
	v_dual_mov_b32 v11, 0 :: v_dual_mov_b32 v12, 0
	v_or_b32_e32 v2, 1, v26
	v_dual_mov_b32 v10, 0 :: v_dual_mov_b32 v9, 0
	s_and_saveexec_b32 s1, vcc_lo
	s_cbranch_execz .LBB203_39
; %bb.32:
	v_mad_u64_u32 v[3:4], null, v26, s18, 0
	v_dual_mov_b32 v12, 0 :: v_dual_mov_b32 v11, 0
	s_mov_b32 s2, exec_lo
	s_delay_alu instid0(VALU_DEP_2) | instskip(NEXT) | instid1(VALU_DEP_1)
	v_dual_mov_b32 v10, 0 :: v_dual_mov_b32 v1, v4
	v_mad_u64_u32 v[4:5], null, v26, s19, v[1:2]
	s_delay_alu instid0(VALU_DEP_1) | instskip(NEXT) | instid1(VALU_DEP_1)
	v_lshlrev_b64 v[3:4], 2, v[3:4]
	v_add_co_u32 v3, s0, s20, v3
	s_delay_alu instid0(VALU_DEP_1)
	v_add_co_ci_u32_e64 v4, s0, s21, v4, s0
	flat_load_b32 v9, v[3:4]
	v_cmpx_gt_i32_e64 s9, v2
	s_cbranch_execz .LBB203_38
; %bb.33:
	v_mad_u64_u32 v[3:4], null, v2, s18, 0
	v_mov_b32_e32 v11, 0
	s_mov_b32 s3, exec_lo
	s_delay_alu instid0(VALU_DEP_2) | instskip(NEXT) | instid1(VALU_DEP_1)
	v_dual_mov_b32 v12, 0 :: v_dual_mov_b32 v1, v4
	v_mad_u64_u32 v[4:5], null, v2, s19, v[1:2]
	v_or_b32_e32 v1, 2, v26
	s_delay_alu instid0(VALU_DEP_2) | instskip(NEXT) | instid1(VALU_DEP_1)
	v_lshlrev_b64 v[3:4], 2, v[3:4]
	v_add_co_u32 v3, s0, s20, v3
	s_delay_alu instid0(VALU_DEP_1)
	v_add_co_ci_u32_e64 v4, s0, s21, v4, s0
	flat_load_b32 v10, v[3:4]
	v_cmpx_gt_i32_e64 s9, v1
	s_cbranch_execz .LBB203_37
; %bb.34:
	v_mad_u64_u32 v[3:4], null, v1, s18, 0
	s_mov_b32 s4, exec_lo
	v_mov_b32_e32 v11, 0
	s_delay_alu instid0(VALU_DEP_2) | instskip(SKIP_1) | instid1(VALU_DEP_2)
	v_mad_u64_u32 v[5:6], null, v1, s19, v[4:5]
	v_or_b32_e32 v1, 3, v26
	v_mov_b32_e32 v4, v5
	s_delay_alu instid0(VALU_DEP_1) | instskip(NEXT) | instid1(VALU_DEP_1)
	v_lshlrev_b64 v[3:4], 2, v[3:4]
	v_add_co_u32 v3, s0, s20, v3
	s_delay_alu instid0(VALU_DEP_1)
	v_add_co_ci_u32_e64 v4, s0, s21, v4, s0
	flat_load_b32 v12, v[3:4]
	v_cmpx_gt_i32_e64 s9, v1
	s_cbranch_execz .LBB203_36
; %bb.35:
	v_mad_u64_u32 v[3:4], null, v1, s18, 0
	s_delay_alu instid0(VALU_DEP_1) | instskip(NEXT) | instid1(VALU_DEP_1)
	v_mad_u64_u32 v[5:6], null, v1, s19, v[4:5]
	v_mov_b32_e32 v4, v5
	s_delay_alu instid0(VALU_DEP_1) | instskip(NEXT) | instid1(VALU_DEP_1)
	v_lshlrev_b64 v[3:4], 2, v[3:4]
	v_add_co_u32 v3, s0, s20, v3
	s_delay_alu instid0(VALU_DEP_1)
	v_add_co_ci_u32_e64 v4, s0, s21, v4, s0
	flat_load_b32 v11, v[3:4]
.LBB203_36:
	s_or_b32 exec_lo, exec_lo, s4
.LBB203_37:
	s_delay_alu instid0(SALU_CYCLE_1)
	s_or_b32 exec_lo, exec_lo, s3
.LBB203_38:
	s_delay_alu instid0(SALU_CYCLE_1)
	s_or_b32 exec_lo, exec_lo, s2
.LBB203_39:
	s_delay_alu instid0(SALU_CYCLE_1) | instskip(NEXT) | instid1(SALU_CYCLE_1)
	s_or_b32 exec_lo, exec_lo, s1
	s_mov_b32 s1, exec_lo
	v_cmpx_gt_i32_e64 s8, v0
	s_cbranch_execz .LBB203_47
; %bb.40:
	v_mad_u64_u32 v[3:4], null, v26, s12, 0
	v_mad_u64_u32 v[5:6], null, v2, s12, 0
	v_or_b32_e32 v28, 2, v26
	v_ashrrev_i32_e32 v1, 31, v0
	v_or_b32_e32 v29, 3, v26
	v_cndmask_b32_e32 v3, 0, v3, vcc_lo
	s_delay_alu instid0(VALU_DEP_4)
	v_cmp_gt_i32_e64 s0, s9, v28
	v_mad_u64_u32 v[13:14], null, v26, s13, v[4:5]
	v_mad_u64_u32 v[14:15], null, v28, s12, 0
	v_lshlrev_b64 v[7:8], 2, v[0:1]
	v_mov_b32_e32 v1, v6
	v_mad_u64_u32 v[16:17], null, v29, s12, 0
	v_cndmask_b32_e32 v4, 0, v13, vcc_lo
	v_cmp_gt_i32_e32 vcc_lo, s9, v2
	s_delay_alu instid0(VALU_DEP_4)
	v_mad_u64_u32 v[26:27], null, v2, s13, v[1:2]
	v_mov_b32_e32 v1, v15
	v_cndmask_b32_e64 v13, 0, v14, s0
	v_mov_b32_e32 v6, v17
	v_cndmask_b32_e32 v2, 0, v5, vcc_lo
	v_lshlrev_b64 v[4:5], 2, v[3:4]
	s_delay_alu instid0(VALU_DEP_2) | instskip(NEXT) | instid1(VALU_DEP_1)
	v_mad_u64_u32 v[17:18], null, v28, s13, v[1:2]
	v_cndmask_b32_e64 v14, 0, v17, s0
	v_mad_u64_u32 v[17:18], null, v29, s13, v[6:7]
	v_cndmask_b32_e32 v3, 0, v26, vcc_lo
	v_add_co_u32 v1, vcc_lo, s16, v4
	v_add_co_ci_u32_e32 v5, vcc_lo, s17, v5, vcc_lo
	s_delay_alu instid0(VALU_DEP_3) | instskip(NEXT) | instid1(VALU_DEP_3)
	v_lshlrev_b64 v[3:4], 2, v[2:3]
	v_add_co_u32 v1, vcc_lo, v1, v7
	s_delay_alu instid0(VALU_DEP_3) | instskip(SKIP_1) | instid1(VALU_DEP_4)
	v_add_co_ci_u32_e32 v2, vcc_lo, v5, v8, vcc_lo
	v_lshlrev_b64 v[5:6], 2, v[13:14]
	v_add_co_u32 v3, vcc_lo, s16, v3
	v_add_co_ci_u32_e32 v4, vcc_lo, s17, v4, vcc_lo
	s_mov_b32 s0, exec_lo
	s_delay_alu instid0(VALU_DEP_2) | instskip(NEXT) | instid1(VALU_DEP_2)
	v_add_co_u32 v3, vcc_lo, v3, v7
	v_add_co_ci_u32_e32 v4, vcc_lo, v4, v8, vcc_lo
	s_clause 0x1
	flat_load_b32 v15, v[1:2]
	flat_load_b32 v18, v[3:4]
	v_cmp_gt_i32_e32 vcc_lo, s9, v29
	v_dual_cndmask_b32 v14, 0, v17 :: v_dual_cndmask_b32 v13, 0, v16
	v_add_co_u32 v5, vcc_lo, s16, v5
	v_add_co_ci_u32_e32 v6, vcc_lo, s17, v6, vcc_lo
	s_delay_alu instid0(VALU_DEP_2) | instskip(NEXT) | instid1(VALU_DEP_2)
	v_add_co_u32 v5, vcc_lo, v5, v7
	v_add_co_ci_u32_e32 v6, vcc_lo, v6, v8, vcc_lo
	flat_load_b32 v16, v[5:6]
	s_waitcnt vmcnt(2) lgkmcnt(2)
	v_fmac_f32_e32 v22, v9, v15
	v_lshlrev_b64 v[13:14], 2, v[13:14]
	s_waitcnt vmcnt(1) lgkmcnt(1)
	s_delay_alu instid0(VALU_DEP_2) | instskip(NEXT) | instid1(VALU_DEP_2)
	v_fmac_f32_e32 v22, v10, v18
	v_add_co_u32 v13, vcc_lo, s16, v13
	s_delay_alu instid0(VALU_DEP_3) | instskip(NEXT) | instid1(VALU_DEP_2)
	v_add_co_ci_u32_e32 v14, vcc_lo, s17, v14, vcc_lo
	v_add_co_u32 v7, vcc_lo, v13, v7
	s_delay_alu instid0(VALU_DEP_2)
	v_add_co_ci_u32_e32 v8, vcc_lo, v14, v8, vcc_lo
	v_add_nc_u32_e32 v14, 32, v0
	flat_load_b32 v13, v[7:8]
	s_waitcnt vmcnt(1) lgkmcnt(1)
	v_fmac_f32_e32 v22, v12, v16
	v_cmpx_gt_i32_e64 s8, v14
	s_cbranch_execz .LBB203_46
; %bb.41:
	s_clause 0x3
	flat_load_b32 v15, v[1:2] offset:128
	flat_load_b32 v16, v[3:4] offset:128
	;; [unrolled: 1-line block ×4, first 2 shown]
	s_mov_b32 s2, exec_lo
	s_waitcnt vmcnt(3) lgkmcnt(3)
	v_fmac_f32_e32 v23, v9, v15
	v_add_nc_u32_e32 v15, 64, v0
	s_waitcnt vmcnt(2) lgkmcnt(2)
	s_delay_alu instid0(VALU_DEP_2) | instskip(SKIP_1) | instid1(VALU_DEP_1)
	v_fmac_f32_e32 v23, v10, v16
	s_waitcnt vmcnt(1) lgkmcnt(1)
	v_fmac_f32_e32 v23, v12, v17
	v_cmpx_gt_i32_e64 s8, v15
	s_cbranch_execz .LBB203_45
; %bb.42:
	s_clause 0x3
	flat_load_b32 v16, v[1:2] offset:256
	flat_load_b32 v17, v[3:4] offset:256
	;; [unrolled: 1-line block ×4, first 2 shown]
	v_add_nc_u32_e32 v0, 0x60, v0
	s_mov_b32 s3, exec_lo
	s_waitcnt vmcnt(3) lgkmcnt(3)
	v_fmac_f32_e32 v24, v9, v16
	s_waitcnt vmcnt(2) lgkmcnt(2)
	s_delay_alu instid0(VALU_DEP_1) | instskip(SKIP_1) | instid1(VALU_DEP_1)
	v_fmac_f32_e32 v24, v10, v17
	s_waitcnt vmcnt(1) lgkmcnt(1)
	v_fmac_f32_e32 v24, v12, v18
	v_cmpx_gt_i32_e64 s8, v0
	s_cbranch_execz .LBB203_44
; %bb.43:
	s_clause 0x3
	flat_load_b32 v0, v[1:2] offset:384
	flat_load_b32 v1, v[3:4] offset:384
	;; [unrolled: 1-line block ×4, first 2 shown]
	s_waitcnt vmcnt(3) lgkmcnt(3)
	v_fmac_f32_e32 v25, v9, v0
	s_waitcnt vmcnt(2) lgkmcnt(2)
	s_delay_alu instid0(VALU_DEP_1) | instskip(SKIP_1) | instid1(VALU_DEP_1)
	v_fmac_f32_e32 v25, v10, v1
	s_waitcnt vmcnt(1) lgkmcnt(1)
	v_fmac_f32_e32 v25, v12, v2
	s_waitcnt vmcnt(0) lgkmcnt(0)
	s_delay_alu instid0(VALU_DEP_1)
	v_fmac_f32_e32 v25, v11, v3
.LBB203_44:
	s_or_b32 exec_lo, exec_lo, s3
	s_waitcnt vmcnt(0) lgkmcnt(0)
	v_fmac_f32_e32 v24, v11, v15
.LBB203_45:
	s_or_b32 exec_lo, exec_lo, s2
	s_waitcnt vmcnt(0) lgkmcnt(0)
	v_fmac_f32_e32 v23, v11, v14
.LBB203_46:
	s_or_b32 exec_lo, exec_lo, s0
	s_waitcnt vmcnt(0) lgkmcnt(0)
	v_fmac_f32_e32 v22, v11, v13
.LBB203_47:
	s_or_b32 exec_lo, exec_lo, s1
.LBB203_48:
	v_lshlrev_b32_e32 v0, 7, v21
	s_mov_b32 s0, exec_lo
                                        ; implicit-def: $vgpr1
                                        ; implicit-def: $vgpr2_vgpr3
	s_delay_alu instid0(VALU_DEP_1)
	v_add_lshl_u32 v0, v0, v20, 2
	ds_store_2addr_b32 v0, v22, v23 offset1:32
	ds_store_2addr_b32 v0, v24, v25 offset0:64 offset1:96
	s_waitcnt vmcnt(0) lgkmcnt(0)
	s_barrier
	buffer_gl0_inv
	v_cmpx_gt_u32_e32 0x80, v19
	s_cbranch_execz .LBB203_54
; %bb.49:
	v_lshlrev_b32_e32 v6, 2, v19
	s_mov_b32 s2, s27
	s_mov_b32 s1, exec_lo
	ds_load_2addr_stride64_b32 v[0:1], v6 offset1:2
	ds_load_2addr_stride64_b32 v[2:3], v6 offset0:4 offset1:6
	ds_load_2addr_stride64_b32 v[4:5], v6 offset0:8 offset1:10
	s_waitcnt lgkmcnt(2)
	v_add_f32_e32 v7, v0, v1
	ds_load_2addr_stride64_b32 v[0:1], v6 offset0:12 offset1:14
	s_waitcnt lgkmcnt(2)
	v_add_f32_e32 v2, v2, v7
	s_delay_alu instid0(VALU_DEP_1) | instskip(SKIP_3) | instid1(VALU_DEP_1)
	v_add_f32_e32 v7, v3, v2
	ds_load_2addr_stride64_b32 v[2:3], v6 offset0:16 offset1:18
	s_waitcnt lgkmcnt(2)
	v_add_f32_e32 v4, v4, v7
	v_add_f32_e32 v7, v5, v4
	ds_load_2addr_stride64_b32 v[4:5], v6 offset0:20 offset1:22
	s_waitcnt lgkmcnt(2)
	v_add_f32_e32 v0, v0, v7
	s_delay_alu instid0(VALU_DEP_1) | instskip(SKIP_1) | instid1(VALU_DEP_1)
	v_add_f32_e32 v0, v1, v0
	s_waitcnt lgkmcnt(1)
	v_add_f32_e32 v2, v2, v0
	ds_load_2addr_stride64_b32 v[0:1], v6 offset0:24 offset1:26
	v_add_f32_e32 v2, v3, v2
	s_waitcnt lgkmcnt(1)
	s_delay_alu instid0(VALU_DEP_1) | instskip(SKIP_3) | instid1(VALU_DEP_1)
	v_add_f32_e32 v4, v4, v2
	ds_load_2addr_stride64_b32 v[2:3], v6 offset0:28 offset1:30
	v_add_f32_e32 v4, v5, v4
	s_waitcnt lgkmcnt(1)
	v_add_f32_e32 v0, v0, v4
	v_or_b32_e32 v4, s28, v19
	s_delay_alu instid0(VALU_DEP_2) | instskip(SKIP_1) | instid1(VALU_DEP_1)
	v_add_f32_e32 v0, v1, v0
                                        ; implicit-def: $vgpr1
	s_waitcnt lgkmcnt(0)
	v_add_f32_e32 v0, v2, v0
	s_delay_alu instid0(VALU_DEP_1)
	v_add_f32_e32 v0, v3, v0
                                        ; implicit-def: $vgpr2_vgpr3
	ds_store_b32 v6, v0
	v_cmpx_gt_i32_e64 s8, v4
	s_cbranch_execz .LBB203_53
; %bb.50:
	v_ashrrev_i32_e32 v1, 31, v4
	v_mul_lo_u32 v5, v4, s7
	v_mad_u64_u32 v[2:3], null, v4, s6, 0
	v_cmp_eq_f32_e64 s2, s11, 0
	s_delay_alu instid0(VALU_DEP_4) | instskip(SKIP_1) | instid1(VALU_DEP_3)
	v_mul_lo_u32 v4, v1, s6
	v_mul_f32_e32 v1, s10, v0
	s_and_b32 vcc_lo, exec_lo, s2
	s_delay_alu instid0(VALU_DEP_2)
	v_add3_u32 v3, v3, v5, v4
	s_cbranch_vccnz .LBB203_52
; %bb.51:
	s_delay_alu instid0(VALU_DEP_1) | instskip(NEXT) | instid1(VALU_DEP_1)
	v_lshlrev_b64 v[4:5], 2, v[2:3]
	v_add_co_u32 v4, vcc_lo, s5, v4
	s_delay_alu instid0(VALU_DEP_2)
	v_add_co_ci_u32_e32 v5, vcc_lo, s26, v5, vcc_lo
	global_load_b32 v0, v[4:5], off
	s_waitcnt vmcnt(0)
	v_fmac_f32_e32 v1, s11, v0
.LBB203_52:
	s_or_b32 s2, s27, exec_lo
.LBB203_53:
	s_or_b32 exec_lo, exec_lo, s1
	s_delay_alu instid0(SALU_CYCLE_1) | instskip(SKIP_1) | instid1(SALU_CYCLE_1)
	s_and_not1_b32 s1, s27, exec_lo
	s_and_b32 s2, s2, exec_lo
	s_or_b32 s27, s1, s2
.LBB203_54:
	s_or_b32 exec_lo, exec_lo, s0
.LBB203_55:
	s_and_saveexec_b32 s0, s27
	s_cbranch_execz .LBB203_57
; %bb.56:
	v_lshlrev_b64 v[2:3], 2, v[2:3]
	s_delay_alu instid0(VALU_DEP_1) | instskip(NEXT) | instid1(VALU_DEP_2)
	v_add_co_u32 v2, vcc_lo, s5, v2
	v_add_co_ci_u32_e32 v3, vcc_lo, s26, v3, vcc_lo
	global_store_b32 v[2:3], v1, off
.LBB203_57:
	s_nop 0
	s_sendmsg sendmsg(MSG_DEALLOC_VGPRS)
	s_endpgm
	.section	.rodata,"a",@progbits
	.p2align	6, 0x0
	.amdhsa_kernel _ZL20rocblas_gemvn_kernelILi32ELi16ElPKffKPfEviiT3_lPKT2_lT1_lS7_lS8_lS4_lPT4_lS8_li
		.amdhsa_group_segment_fixed_size 8192
		.amdhsa_private_segment_fixed_size 0
		.amdhsa_kernarg_size 400
		.amdhsa_user_sgpr_count 14
		.amdhsa_user_sgpr_dispatch_ptr 0
		.amdhsa_user_sgpr_queue_ptr 0
		.amdhsa_user_sgpr_kernarg_segment_ptr 1
		.amdhsa_user_sgpr_dispatch_id 0
		.amdhsa_user_sgpr_private_segment_size 0
		.amdhsa_wavefront_size32 1
		.amdhsa_uses_dynamic_stack 0
		.amdhsa_enable_private_segment 0
		.amdhsa_system_sgpr_workgroup_id_x 1
		.amdhsa_system_sgpr_workgroup_id_y 0
		.amdhsa_system_sgpr_workgroup_id_z 1
		.amdhsa_system_sgpr_workgroup_info 0
		.amdhsa_system_vgpr_workitem_id 1
		.amdhsa_next_free_vgpr 51
		.amdhsa_next_free_sgpr 35
		.amdhsa_reserve_vcc 1
		.amdhsa_float_round_mode_32 0
		.amdhsa_float_round_mode_16_64 0
		.amdhsa_float_denorm_mode_32 3
		.amdhsa_float_denorm_mode_16_64 3
		.amdhsa_dx10_clamp 1
		.amdhsa_ieee_mode 1
		.amdhsa_fp16_overflow 0
		.amdhsa_workgroup_processor_mode 1
		.amdhsa_memory_ordered 1
		.amdhsa_forward_progress 0
		.amdhsa_shared_vgpr_count 0
		.amdhsa_exception_fp_ieee_invalid_op 0
		.amdhsa_exception_fp_denorm_src 0
		.amdhsa_exception_fp_ieee_div_zero 0
		.amdhsa_exception_fp_ieee_overflow 0
		.amdhsa_exception_fp_ieee_underflow 0
		.amdhsa_exception_fp_ieee_inexact 0
		.amdhsa_exception_int_div_zero 0
	.end_amdhsa_kernel
	.section	.text._ZL20rocblas_gemvn_kernelILi32ELi16ElPKffKPfEviiT3_lPKT2_lT1_lS7_lS8_lS4_lPT4_lS8_li,"axG",@progbits,_ZL20rocblas_gemvn_kernelILi32ELi16ElPKffKPfEviiT3_lPKT2_lT1_lS7_lS8_lS4_lPT4_lS8_li,comdat
.Lfunc_end203:
	.size	_ZL20rocblas_gemvn_kernelILi32ELi16ElPKffKPfEviiT3_lPKT2_lT1_lS7_lS8_lS4_lPT4_lS8_li, .Lfunc_end203-_ZL20rocblas_gemvn_kernelILi32ELi16ElPKffKPfEviiT3_lPKT2_lT1_lS7_lS8_lS4_lPT4_lS8_li
                                        ; -- End function
	.section	.AMDGPU.csdata,"",@progbits
; Kernel info:
; codeLenInByte = 3352
; NumSgprs: 37
; NumVgprs: 51
; ScratchSize: 0
; MemoryBound: 0
; FloatMode: 240
; IeeeMode: 1
; LDSByteSize: 8192 bytes/workgroup (compile time only)
; SGPRBlocks: 4
; VGPRBlocks: 6
; NumSGPRsForWavesPerEU: 37
; NumVGPRsForWavesPerEU: 51
; Occupancy: 16
; WaveLimiterHint : 1
; COMPUTE_PGM_RSRC2:SCRATCH_EN: 0
; COMPUTE_PGM_RSRC2:USER_SGPR: 14
; COMPUTE_PGM_RSRC2:TRAP_HANDLER: 0
; COMPUTE_PGM_RSRC2:TGID_X_EN: 1
; COMPUTE_PGM_RSRC2:TGID_Y_EN: 0
; COMPUTE_PGM_RSRC2:TGID_Z_EN: 1
; COMPUTE_PGM_RSRC2:TIDIG_COMP_CNT: 1
	.section	.text._ZL20rocblas_gemvn_kernelILi64ELi16EiPKfS1_KPfEviiT3_lPKT2_lT1_lS7_lS8_lS4_lPT4_lS8_li,"axG",@progbits,_ZL20rocblas_gemvn_kernelILi64ELi16EiPKfS1_KPfEviiT3_lPKT2_lT1_lS7_lS8_lS4_lPT4_lS8_li,comdat
	.globl	_ZL20rocblas_gemvn_kernelILi64ELi16EiPKfS1_KPfEviiT3_lPKT2_lT1_lS7_lS8_lS4_lPT4_lS8_li ; -- Begin function _ZL20rocblas_gemvn_kernelILi64ELi16EiPKfS1_KPfEviiT3_lPKT2_lT1_lS7_lS8_lS4_lPT4_lS8_li
	.p2align	8
	.type	_ZL20rocblas_gemvn_kernelILi64ELi16EiPKfS1_KPfEviiT3_lPKT2_lT1_lS7_lS8_lS4_lPT4_lS8_li,@function
_ZL20rocblas_gemvn_kernelILi64ELi16EiPKfS1_KPfEviiT3_lPKT2_lT1_lS7_lS8_lS4_lPT4_lS8_li: ; @_ZL20rocblas_gemvn_kernelILi64ELi16EiPKfS1_KPfEviiT3_lPKT2_lT1_lS7_lS8_lS4_lPT4_lS8_li
; %bb.0:
	s_load_b64 s[4:5], s[0:1], 0x9c
	s_waitcnt lgkmcnt(0)
	s_lshr_b32 s3, s4, 16
	s_and_b32 s4, s4, 0xffff
	s_and_b32 s5, s5, 0xffff
	s_mul_i32 s3, s3, s4
	s_delay_alu instid0(SALU_CYCLE_1) | instskip(NEXT) | instid1(SALU_CYCLE_1)
	s_mul_i32 s3, s3, s5
	s_cmpk_lg_i32 s3, 0x400
	s_cbranch_scc1 .LBB204_54
; %bb.1:
	s_clause 0x1
	s_load_b256 s[16:23], s[0:1], 0x8
	s_load_b256 s[4:11], s[0:1], 0x58
	s_mov_b32 s2, s15
	s_waitcnt lgkmcnt(0)
	s_mul_i32 s3, s15, s19
	s_mul_hi_u32 s13, s15, s18
	s_mul_i32 s12, s15, s18
	s_add_i32 s13, s13, s3
	s_mul_i32 s3, s15, s7
	s_lshl_b64 s[12:13], s[12:13], 2
	s_mul_hi_u32 s7, s15, s6
	s_add_u32 s12, s16, s12
	s_addc_u32 s13, s17, s13
	s_add_i32 s7, s7, s3
	s_mul_i32 s6, s15, s6
	s_delay_alu instid0(SALU_CYCLE_1) | instskip(NEXT) | instid1(SALU_CYCLE_1)
	s_lshl_b64 s[6:7], s[6:7], 2
	s_add_u32 s4, s4, s6
	s_addc_u32 s5, s5, s7
	s_load_b32 s16, s[12:13], 0x0
	s_load_b32 s15, s[4:5], 0x0
	s_waitcnt lgkmcnt(0)
	v_cmp_eq_f32_e64 s18, s16, 0
	v_cmp_eq_f32_e64 s3, s15, 1.0
	s_delay_alu instid0(VALU_DEP_1) | instskip(NEXT) | instid1(SALU_CYCLE_1)
	s_and_b32 s3, s18, s3
	s_and_b32 vcc_lo, exec_lo, s3
	s_mov_b32 s3, 0
	s_cbranch_vccnz .LBB204_54
; %bb.2:
	v_cmp_neq_f32_e64 s4, s16, 0
	s_mov_b64 s[12:13], 0
	s_and_b32 vcc_lo, exec_lo, s18
	s_mov_b64 s[6:7], 0
	s_cbranch_vccnz .LBB204_4
; %bb.3:
	s_lshl_b64 s[6:7], s[2:3], 3
	s_delay_alu instid0(SALU_CYCLE_1)
	s_add_u32 s6, s20, s6
	s_addc_u32 s7, s21, s7
	s_lshl_b64 s[20:21], s[22:23], 2
	s_load_b64 s[6:7], s[6:7], 0x0
	s_waitcnt lgkmcnt(0)
	s_add_u32 s6, s6, s20
	s_addc_u32 s7, s7, s21
.LBB204_4:
	s_and_not1_b32 vcc_lo, exec_lo, s4
	s_cbranch_vccnz .LBB204_6
; %bb.5:
	s_load_b128 s[20:23], s[0:1], 0x38
	s_lshl_b64 s[4:5], s[2:3], 3
	s_waitcnt lgkmcnt(0)
	s_add_u32 s4, s20, s4
	s_addc_u32 s5, s21, s5
	s_lshl_b64 s[12:13], s[22:23], 2
	s_load_b64 s[4:5], s[4:5], 0x0
	s_waitcnt lgkmcnt(0)
	s_add_u32 s12, s4, s12
	s_addc_u32 s13, s5, s13
.LBB204_6:
	s_lshl_b64 s[2:3], s[2:3], 3
	v_and_b32_e32 v1, 0x3ff, v0
	s_add_u32 s2, s8, s2
	s_addc_u32 s3, s9, s3
	v_bfe_u32 v13, v0, 10, 10
	s_load_b64 s[20:21], s[2:3], 0x0
	s_clause 0x1
	s_load_b64 s[4:5], s[0:1], 0x0
	s_load_b32 s17, s[0:1], 0x78
	s_lshl_b64 s[10:11], s[10:11], 2
	v_lshl_add_u32 v0, v13, 6, v1
	s_delay_alu instid0(VALU_DEP_1)
	v_cmp_gt_u32_e64 s2, 0x100, v0
	s_waitcnt lgkmcnt(0)
	s_add_u32 s9, s20, s10
	s_addc_u32 s10, s21, s11
	s_and_not1_b32 vcc_lo, exec_lo, s18
	s_cbranch_vccnz .LBB204_13
; %bb.7:
	s_mov_b32 s3, 0
	s_mov_b32 s11, 0
                                        ; implicit-def: $vgpr3
                                        ; implicit-def: $vgpr4_vgpr5
	s_and_saveexec_b32 s8, s2
	s_cbranch_execz .LBB204_14
; %bb.8:
	v_lshl_or_b32 v2, s14, 8, v0
	v_mov_b32_e32 v3, 0
	s_ashr_i32 s19, s4, 31
	s_mov_b32 s18, s4
	s_mov_b32 s2, exec_lo
                                        ; implicit-def: $vgpr4_vgpr5
	s_delay_alu instid0(VALU_DEP_1)
	v_cmpx_gt_i64_e64 s[18:19], v[2:3]
	s_cbranch_execz .LBB204_12
; %bb.9:
	v_mad_u64_u32 v[4:5], null, s17, v2, 0
	s_ashr_i32 s11, s17, 31
	s_delay_alu instid0(VALU_DEP_1) | instid1(SALU_CYCLE_1)
	v_mad_u64_u32 v[6:7], null, s11, v2, v[5:6]
	v_cmp_eq_f32_e64 s11, s15, 0
	s_delay_alu instid0(VALU_DEP_1) | instskip(NEXT) | instid1(VALU_DEP_2)
	s_and_b32 vcc_lo, exec_lo, s11
	v_mov_b32_e32 v5, v6
	s_cbranch_vccnz .LBB204_11
; %bb.10:
	s_delay_alu instid0(VALU_DEP_1) | instskip(NEXT) | instid1(VALU_DEP_1)
	v_lshlrev_b64 v[2:3], 2, v[4:5]
	v_add_co_u32 v2, vcc_lo, s9, v2
	s_delay_alu instid0(VALU_DEP_2)
	v_add_co_ci_u32_e32 v3, vcc_lo, s10, v3, vcc_lo
	global_load_b32 v2, v[2:3], off
	s_waitcnt vmcnt(0)
	v_mul_f32_e32 v3, s15, v2
.LBB204_11:
	s_mov_b32 s11, exec_lo
.LBB204_12:
	s_or_b32 exec_lo, exec_lo, s2
	s_delay_alu instid0(SALU_CYCLE_1) | instskip(SKIP_1) | instid1(SALU_CYCLE_1)
	s_and_b32 s11, s11, exec_lo
	s_or_b32 exec_lo, exec_lo, s8
	s_and_b32 vcc_lo, exec_lo, s3
	s_cbranch_vccnz .LBB204_15
	s_branch .LBB204_52
.LBB204_13:
	s_mov_b32 s11, 0
                                        ; implicit-def: $vgpr3
                                        ; implicit-def: $vgpr4_vgpr5
	s_cbranch_execnz .LBB204_15
	s_branch .LBB204_52
.LBB204_14:
	s_or_b32 exec_lo, exec_lo, s8
	s_delay_alu instid0(SALU_CYCLE_1)
	s_and_b32 vcc_lo, exec_lo, s3
	s_cbranch_vccz .LBB204_52
.LBB204_15:
	s_clause 0x1
	s_load_b32 s18, s[0:1], 0x28
	s_load_b32 s8, s[0:1], 0x48
	s_ashr_i32 s0, s5, 31
	s_lshl_b32 s14, s14, 8
	s_lshr_b32 s0, s0, 26
	v_dual_mov_b32 v14, 0 :: v_dual_lshlrev_b32 v19, 2, v13
	v_dual_mov_b32 v15, 0 :: v_dual_add_nc_u32 v18, s14, v1
	v_dual_mov_b32 v16, 0 :: v_dual_mov_b32 v17, 0
	s_add_i32 s19, s5, s0
	s_mov_b32 s20, exec_lo
	s_and_not1_b32 s19, s19, 63
	s_delay_alu instid0(SALU_CYCLE_1)
	v_cmpx_gt_i32_e64 s19, v19
	s_cbranch_execz .LBB204_27
; %bb.16:
	s_waitcnt lgkmcnt(0)
	v_mul_lo_u32 v3, s18, v19
	v_dual_mov_b32 v15, 0 :: v_dual_add_nc_u32 v2, 64, v18
	v_add_nc_u32_e32 v6, 2, v19
	v_dual_mov_b32 v14, 0 :: v_dual_add_nc_u32 v5, 0xc0, v18
	s_delay_alu instid0(VALU_DEP_3)
	v_cmp_gt_i32_e64 s0, s4, v2
	v_dual_mov_b32 v17, 0 :: v_dual_add_nc_u32 v4, 0x80, v18
	v_add3_u32 v20, v3, s18, v1
	v_mad_u64_u32 v[2:3], null, s18, v6, v[1:2]
	v_cmp_gt_i32_e64 s2, s4, v5
	v_mul_lo_u32 v5, v13, s18
	v_dual_mov_b32 v16, 0 :: v_dual_add_nc_u32 v7, 3, v19
	v_mul_lo_u32 v8, v13, s8
	v_cmp_gt_i32_e64 s1, s4, v4
	v_mul_lo_u32 v22, s8, v6
	s_delay_alu instid0(VALU_DEP_4)
	v_mad_u64_u32 v[3:4], null, s18, v7, v[1:2]
	v_lshl_add_u32 v21, v5, 2, v1
	v_mad_u64_u32 v[4:5], null, s8, v19, s[8:9]
	v_mul_lo_u32 v23, s8, v7
	v_cmp_gt_i32_e32 vcc_lo, s4, v18
	v_lshlrev_b32_e32 v24, 2, v8
	s_lshl_b32 s21, s18, 6
	s_lshl_b32 s23, s8, 6
	s_mov_b32 s22, 0
	s_mov_b32 s24, 0
	s_branch .LBB204_21
.LBB204_17:                             ;   in Loop: Header=BB204_21 Depth=1
	s_or_b32 exec_lo, exec_lo, s27
	s_waitcnt vmcnt(3) lgkmcnt(3)
	v_fmac_f32_e32 v16, v28, v40
	s_waitcnt vmcnt(2) lgkmcnt(2)
	s_delay_alu instid0(VALU_DEP_1) | instskip(SKIP_1) | instid1(VALU_DEP_1)
	v_fmac_f32_e32 v16, v27, v39
	s_waitcnt vmcnt(1) lgkmcnt(1)
	v_fmac_f32_e32 v16, v26, v38
	s_waitcnt vmcnt(0) lgkmcnt(0)
	s_delay_alu instid0(VALU_DEP_1)
	v_fmac_f32_e32 v16, v25, v37
.LBB204_18:                             ;   in Loop: Header=BB204_21 Depth=1
	s_or_b32 exec_lo, exec_lo, s26
	s_waitcnt vmcnt(3) lgkmcnt(3)
	v_fmac_f32_e32 v15, v28, v36
	s_waitcnt vmcnt(2) lgkmcnt(2)
	s_delay_alu instid0(VALU_DEP_1) | instskip(SKIP_1) | instid1(VALU_DEP_1)
	v_fmac_f32_e32 v15, v27, v35
	s_waitcnt vmcnt(1) lgkmcnt(1)
	v_fmac_f32_e32 v15, v26, v34
	s_waitcnt vmcnt(0) lgkmcnt(0)
	s_delay_alu instid0(VALU_DEP_1)
	v_fmac_f32_e32 v15, v25, v33
.LBB204_19:                             ;   in Loop: Header=BB204_21 Depth=1
	s_or_b32 exec_lo, exec_lo, s3
	s_waitcnt vmcnt(3) lgkmcnt(3)
	v_fmac_f32_e32 v14, v28, v32
	s_waitcnt vmcnt(2) lgkmcnt(2)
	s_delay_alu instid0(VALU_DEP_1) | instskip(SKIP_1) | instid1(VALU_DEP_1)
	v_fmac_f32_e32 v14, v27, v30
	s_waitcnt vmcnt(1) lgkmcnt(1)
	v_fmac_f32_e32 v14, v26, v29
	s_waitcnt vmcnt(0) lgkmcnt(0)
	s_delay_alu instid0(VALU_DEP_1)
	v_fmac_f32_e32 v14, v25, v31
.LBB204_20:                             ;   in Loop: Header=BB204_21 Depth=1
	s_or_b32 exec_lo, exec_lo, s25
	v_add_nc_u32_e32 v19, 64, v19
	v_add_nc_u32_e32 v20, s21, v20
	;; [unrolled: 1-line block ×5, first 2 shown]
	v_cmp_le_i32_e64 s3, s19, v19
	s_add_i32 s24, s24, s23
	s_delay_alu instid0(VALU_DEP_1) | instskip(NEXT) | instid1(SALU_CYCLE_1)
	s_or_b32 s22, s3, s22
	s_and_not1_b32 exec_lo, exec_lo, s22
	s_cbranch_execz .LBB204_26
.LBB204_21:                             ; =>This Inner Loop Header: Depth=1
	s_and_saveexec_b32 s25, vcc_lo
	s_cbranch_execz .LBB204_20
; %bb.22:                               ;   in Loop: Header=BB204_21 Depth=1
	v_add_nc_u32_e32 v5, s24, v24
	v_add_nc_u32_e32 v7, s24, v4
	v_add_nc_u32_e32 v9, s24, v22
	v_add_nc_u32_e32 v11, s24, v23
	v_add_nc_u32_e32 v25, s14, v21
	v_ashrrev_i32_e32 v6, 31, v5
	v_ashrrev_i32_e32 v8, 31, v7
	;; [unrolled: 1-line block ×5, first 2 shown]
	v_lshlrev_b64 v[5:6], 2, v[5:6]
	v_lshlrev_b64 v[7:8], 2, v[7:8]
	;; [unrolled: 1-line block ×3, first 2 shown]
	s_delay_alu instid0(VALU_DEP_3) | instskip(NEXT) | instid1(VALU_DEP_1)
	v_add_co_u32 v27, s3, s12, v5
	v_add_co_ci_u32_e64 v28, s3, s13, v6, s3
	s_delay_alu instid0(VALU_DEP_4)
	v_add_co_u32 v29, s3, s12, v7
	v_add_nc_u32_e32 v7, s14, v20
	v_add_co_ci_u32_e64 v30, s3, s13, v8, s3
	v_lshlrev_b64 v[5:6], 2, v[11:12]
	v_add_co_u32 v31, s3, s12, v9
	v_add_nc_u32_e32 v11, s14, v2
	v_add_co_ci_u32_e64 v32, s3, s13, v10, s3
	v_lshlrev_b64 v[9:10], 2, v[25:26]
	v_ashrrev_i32_e32 v8, 31, v7
	v_add_nc_u32_e32 v25, s14, v3
	v_add_co_u32 v33, s3, s12, v5
	v_ashrrev_i32_e32 v12, 31, v11
	v_add_co_ci_u32_e64 v34, s3, s13, v6, s3
	v_lshlrev_b64 v[7:8], 2, v[7:8]
	v_add_co_u32 v5, s3, s6, v9
	v_ashrrev_i32_e32 v26, 31, v25
	v_add_co_ci_u32_e64 v6, s3, s7, v10, s3
	v_lshlrev_b64 v[9:10], 2, v[11:12]
	v_add_co_u32 v7, s3, s6, v7
	s_delay_alu instid0(VALU_DEP_4) | instskip(SKIP_1) | instid1(VALU_DEP_4)
	v_lshlrev_b64 v[25:26], 2, v[25:26]
	v_add_co_ci_u32_e64 v8, s3, s7, v8, s3
	v_add_co_u32 v11, s3, s6, v9
	s_delay_alu instid0(VALU_DEP_1) | instskip(NEXT) | instid1(VALU_DEP_4)
	v_add_co_ci_u32_e64 v12, s3, s7, v10, s3
	v_add_co_u32 v9, s3, s6, v25
	s_delay_alu instid0(VALU_DEP_1)
	v_add_co_ci_u32_e64 v10, s3, s7, v26, s3
	s_clause 0x3
	flat_load_b32 v28, v[27:28]
	flat_load_b32 v27, v[29:30]
	;; [unrolled: 1-line block ×4, first 2 shown]
	s_clause 0x3
	flat_load_b32 v32, v[5:6]
	flat_load_b32 v30, v[7:8]
	;; [unrolled: 1-line block ×4, first 2 shown]
	s_and_saveexec_b32 s3, s0
	s_cbranch_execz .LBB204_19
; %bb.23:                               ;   in Loop: Header=BB204_21 Depth=1
	s_clause 0x3
	flat_load_b32 v36, v[5:6] offset:256
	flat_load_b32 v35, v[7:8] offset:256
	flat_load_b32 v34, v[11:12] offset:256
	flat_load_b32 v33, v[9:10] offset:256
	s_and_saveexec_b32 s26, s1
	s_cbranch_execz .LBB204_18
; %bb.24:                               ;   in Loop: Header=BB204_21 Depth=1
	s_clause 0x3
	flat_load_b32 v40, v[5:6] offset:512
	flat_load_b32 v39, v[7:8] offset:512
	flat_load_b32 v38, v[11:12] offset:512
	flat_load_b32 v37, v[9:10] offset:512
	s_and_saveexec_b32 s27, s2
	s_cbranch_execz .LBB204_17
; %bb.25:                               ;   in Loop: Header=BB204_21 Depth=1
	s_clause 0x3
	flat_load_b32 v5, v[5:6] offset:768
	flat_load_b32 v6, v[7:8] offset:768
	flat_load_b32 v7, v[11:12] offset:768
	flat_load_b32 v8, v[9:10] offset:768
	s_waitcnt vmcnt(3) lgkmcnt(3)
	v_fmac_f32_e32 v17, v28, v5
	s_waitcnt vmcnt(2) lgkmcnt(2)
	s_delay_alu instid0(VALU_DEP_1) | instskip(SKIP_1) | instid1(VALU_DEP_1)
	v_fmac_f32_e32 v17, v27, v6
	s_waitcnt vmcnt(1) lgkmcnt(1)
	v_fmac_f32_e32 v17, v26, v7
	s_waitcnt vmcnt(0) lgkmcnt(0)
	s_delay_alu instid0(VALU_DEP_1)
	v_fmac_f32_e32 v17, v25, v8
	s_branch .LBB204_17
.LBB204_26:
	s_or_b32 exec_lo, exec_lo, s22
.LBB204_27:
	s_delay_alu instid0(SALU_CYCLE_1) | instskip(SKIP_1) | instid1(SALU_CYCLE_1)
	s_or_b32 exec_lo, exec_lo, s20
	s_sub_i32 s0, s5, s19
	s_cmp_lt_i32 s0, 1
	s_cbranch_scc1 .LBB204_45
; %bb.28:
	v_cmp_gt_i32_e32 vcc_lo, s5, v19
	v_dual_mov_b32 v12, 0 :: v_dual_mov_b32 v11, 0
	v_or_b32_e32 v2, 1, v19
	v_mov_b32_e32 v20, 0
	v_mov_b32_e32 v10, 0
	s_and_saveexec_b32 s1, vcc_lo
	s_cbranch_execz .LBB204_36
; %bb.29:
	s_waitcnt lgkmcnt(0)
	v_mul_lo_u32 v3, v19, s8
	v_dual_mov_b32 v11, 0 :: v_dual_mov_b32 v20, 0
	v_mov_b32_e32 v12, 0
	s_mov_b32 s2, exec_lo
	s_delay_alu instid0(VALU_DEP_3) | instskip(NEXT) | instid1(VALU_DEP_1)
	v_ashrrev_i32_e32 v4, 31, v3
	v_lshlrev_b64 v[3:4], 2, v[3:4]
	s_delay_alu instid0(VALU_DEP_1) | instskip(NEXT) | instid1(VALU_DEP_1)
	v_add_co_u32 v3, s0, s12, v3
	v_add_co_ci_u32_e64 v4, s0, s13, v4, s0
	flat_load_b32 v10, v[3:4]
	v_cmpx_gt_i32_e64 s5, v2
	s_cbranch_execz .LBB204_35
; %bb.30:
	v_mul_lo_u32 v3, v2, s8
	v_mov_b32_e32 v20, 0
	v_mov_b32_e32 v12, 0
	s_mov_b32 s3, exec_lo
	s_delay_alu instid0(VALU_DEP_3) | instskip(NEXT) | instid1(VALU_DEP_1)
	v_ashrrev_i32_e32 v4, 31, v3
	v_lshlrev_b64 v[3:4], 2, v[3:4]
	s_delay_alu instid0(VALU_DEP_1) | instskip(NEXT) | instid1(VALU_DEP_1)
	v_add_co_u32 v3, s0, s12, v3
	v_add_co_ci_u32_e64 v4, s0, s13, v4, s0
	flat_load_b32 v11, v[3:4]
	v_or_b32_e32 v3, 2, v19
	s_delay_alu instid0(VALU_DEP_1)
	v_cmpx_gt_i32_e64 s5, v3
	s_cbranch_execz .LBB204_34
; %bb.31:
	v_mul_lo_u32 v3, v3, s8
	v_mov_b32_e32 v12, 0
	s_mov_b32 s19, exec_lo
	s_delay_alu instid0(VALU_DEP_2) | instskip(NEXT) | instid1(VALU_DEP_1)
	v_ashrrev_i32_e32 v4, 31, v3
	v_lshlrev_b64 v[3:4], 2, v[3:4]
	s_delay_alu instid0(VALU_DEP_1) | instskip(NEXT) | instid1(VALU_DEP_1)
	v_add_co_u32 v3, s0, s12, v3
	v_add_co_ci_u32_e64 v4, s0, s13, v4, s0
	flat_load_b32 v20, v[3:4]
	v_or_b32_e32 v3, 3, v19
	s_delay_alu instid0(VALU_DEP_1)
	v_cmpx_gt_i32_e64 s5, v3
	s_cbranch_execz .LBB204_33
; %bb.32:
	v_mul_lo_u32 v3, v3, s8
	s_delay_alu instid0(VALU_DEP_1) | instskip(NEXT) | instid1(VALU_DEP_1)
	v_ashrrev_i32_e32 v4, 31, v3
	v_lshlrev_b64 v[3:4], 2, v[3:4]
	s_delay_alu instid0(VALU_DEP_1) | instskip(NEXT) | instid1(VALU_DEP_1)
	v_add_co_u32 v3, s0, s12, v3
	v_add_co_ci_u32_e64 v4, s0, s13, v4, s0
	flat_load_b32 v12, v[3:4]
.LBB204_33:
	s_or_b32 exec_lo, exec_lo, s19
.LBB204_34:
	s_delay_alu instid0(SALU_CYCLE_1)
	s_or_b32 exec_lo, exec_lo, s3
.LBB204_35:
	s_delay_alu instid0(SALU_CYCLE_1)
	s_or_b32 exec_lo, exec_lo, s2
.LBB204_36:
	s_delay_alu instid0(SALU_CYCLE_1) | instskip(NEXT) | instid1(SALU_CYCLE_1)
	s_or_b32 exec_lo, exec_lo, s1
	s_mov_b32 s1, exec_lo
	v_cmpx_gt_i32_e64 s4, v18
	s_cbranch_execz .LBB204_44
; %bb.37:
	s_waitcnt lgkmcnt(0)
	v_mul_lo_u32 v3, v19, s18
	v_mul_lo_u32 v5, v2, s18
	v_or_b32_e32 v4, 2, v19
	v_or_b32_e32 v6, 3, v19
	s_mov_b32 s0, exec_lo
	s_delay_alu instid0(VALU_DEP_2)
	v_mul_lo_u32 v7, v4, s18
	v_cndmask_b32_e32 v3, 0, v3, vcc_lo
	v_cmp_gt_i32_e32 vcc_lo, s5, v2
	v_mul_lo_u32 v8, v6, s18
	v_cndmask_b32_e32 v5, 0, v5, vcc_lo
	v_cmp_gt_i32_e32 vcc_lo, s5, v4
	s_delay_alu instid0(VALU_DEP_2) | instskip(SKIP_2) | instid1(VALU_DEP_3)
	v_add_nc_u32_e32 v4, v5, v18
	v_dual_cndmask_b32 v7, 0, v7 :: v_dual_add_nc_u32 v2, v3, v18
	v_cmp_gt_i32_e32 vcc_lo, s5, v6
	v_ashrrev_i32_e32 v5, 31, v4
	s_delay_alu instid0(VALU_DEP_3) | instskip(SKIP_2) | instid1(VALU_DEP_4)
	v_ashrrev_i32_e32 v3, 31, v2
	v_cndmask_b32_e32 v8, 0, v8, vcc_lo
	v_add_nc_u32_e32 v6, v7, v18
	v_lshlrev_b64 v[4:5], 2, v[4:5]
	s_delay_alu instid0(VALU_DEP_4) | instskip(NEXT) | instid1(VALU_DEP_4)
	v_lshlrev_b64 v[2:3], 2, v[2:3]
	v_add_nc_u32_e32 v8, v8, v18
	s_delay_alu instid0(VALU_DEP_4) | instskip(NEXT) | instid1(VALU_DEP_2)
	v_ashrrev_i32_e32 v7, 31, v6
	v_ashrrev_i32_e32 v9, 31, v8
	s_delay_alu instid0(VALU_DEP_2)
	v_lshlrev_b64 v[21:22], 2, v[6:7]
	v_add_co_u32 v6, vcc_lo, s6, v2
	v_add_co_ci_u32_e32 v7, vcc_lo, s7, v3, vcc_lo
	v_add_co_u32 v2, vcc_lo, s6, v4
	v_add_co_ci_u32_e32 v3, vcc_lo, s7, v5, vcc_lo
	flat_load_b32 v23, v[6:7]
	v_add_co_u32 v4, vcc_lo, s6, v21
	v_add_co_ci_u32_e32 v5, vcc_lo, s7, v22, vcc_lo
	v_lshlrev_b64 v[8:9], 2, v[8:9]
	s_clause 0x1
	flat_load_b32 v21, v[2:3]
	flat_load_b32 v22, v[4:5]
	v_add_co_u32 v8, vcc_lo, s6, v8
	v_add_co_ci_u32_e32 v9, vcc_lo, s7, v9, vcc_lo
	flat_load_b32 v19, v[8:9]
	s_waitcnt vmcnt(3) lgkmcnt(3)
	v_fmac_f32_e32 v14, v10, v23
	s_waitcnt vmcnt(2) lgkmcnt(2)
	s_delay_alu instid0(VALU_DEP_1) | instskip(SKIP_1) | instid1(VALU_DEP_1)
	v_dual_fmac_f32 v14, v11, v21 :: v_dual_add_nc_u32 v21, 64, v18
	s_waitcnt vmcnt(1) lgkmcnt(1)
	v_fmac_f32_e32 v14, v20, v22
	s_delay_alu instid0(VALU_DEP_2)
	v_cmpx_gt_i32_e64 s4, v21
	s_cbranch_execz .LBB204_43
; %bb.38:
	s_clause 0x3
	flat_load_b32 v22, v[6:7] offset:256
	flat_load_b32 v23, v[2:3] offset:256
	;; [unrolled: 1-line block ×4, first 2 shown]
	s_mov_b32 s2, exec_lo
	s_waitcnt vmcnt(3) lgkmcnt(3)
	v_fmac_f32_e32 v15, v10, v22
	s_waitcnt vmcnt(2) lgkmcnt(2)
	s_delay_alu instid0(VALU_DEP_1) | instskip(SKIP_1) | instid1(VALU_DEP_1)
	v_dual_fmac_f32 v15, v11, v23 :: v_dual_add_nc_u32 v22, 0x80, v18
	s_waitcnt vmcnt(1) lgkmcnt(1)
	v_fmac_f32_e32 v15, v20, v24
	s_delay_alu instid0(VALU_DEP_2)
	v_cmpx_gt_i32_e64 s4, v22
	s_cbranch_execz .LBB204_42
; %bb.39:
	s_clause 0x3
	flat_load_b32 v23, v[6:7] offset:512
	flat_load_b32 v24, v[2:3] offset:512
	;; [unrolled: 1-line block ×4, first 2 shown]
	v_add_nc_u32_e32 v18, 0xc0, v18
	s_mov_b32 s3, exec_lo
	s_waitcnt vmcnt(3) lgkmcnt(3)
	v_fmac_f32_e32 v16, v10, v23
	s_waitcnt vmcnt(2) lgkmcnt(2)
	s_delay_alu instid0(VALU_DEP_1) | instskip(SKIP_1) | instid1(VALU_DEP_1)
	v_fmac_f32_e32 v16, v11, v24
	s_waitcnt vmcnt(1) lgkmcnt(1)
	v_fmac_f32_e32 v16, v20, v25
	v_cmpx_gt_i32_e64 s4, v18
	s_cbranch_execz .LBB204_41
; %bb.40:
	s_clause 0x3
	flat_load_b32 v6, v[6:7] offset:768
	flat_load_b32 v2, v[2:3] offset:768
	;; [unrolled: 1-line block ×4, first 2 shown]
	s_waitcnt vmcnt(3) lgkmcnt(3)
	v_fmac_f32_e32 v17, v10, v6
	s_waitcnt vmcnt(2) lgkmcnt(2)
	s_delay_alu instid0(VALU_DEP_1) | instskip(SKIP_1) | instid1(VALU_DEP_1)
	v_fmac_f32_e32 v17, v11, v2
	s_waitcnt vmcnt(1) lgkmcnt(1)
	v_fmac_f32_e32 v17, v20, v3
	s_waitcnt vmcnt(0) lgkmcnt(0)
	s_delay_alu instid0(VALU_DEP_1)
	v_fmac_f32_e32 v17, v12, v4
.LBB204_41:
	s_or_b32 exec_lo, exec_lo, s3
	s_waitcnt vmcnt(0) lgkmcnt(0)
	v_fmac_f32_e32 v16, v12, v22
.LBB204_42:
	s_or_b32 exec_lo, exec_lo, s2
	s_waitcnt vmcnt(0) lgkmcnt(0)
	v_fmac_f32_e32 v15, v12, v21
.LBB204_43:
	s_or_b32 exec_lo, exec_lo, s0
	s_waitcnt vmcnt(0) lgkmcnt(0)
	v_fmac_f32_e32 v14, v12, v19
.LBB204_44:
	s_or_b32 exec_lo, exec_lo, s1
.LBB204_45:
	v_lshlrev_b32_e32 v2, 8, v13
	s_mov_b32 s0, exec_lo
                                        ; implicit-def: $vgpr3
                                        ; implicit-def: $vgpr4_vgpr5
	s_delay_alu instid0(VALU_DEP_1)
	v_add_lshl_u32 v1, v2, v1, 2
	ds_store_2addr_stride64_b32 v1, v14, v15 offset1:1
	ds_store_2addr_stride64_b32 v1, v16, v17 offset0:2 offset1:3
	s_waitcnt vmcnt(0) lgkmcnt(0)
	s_barrier
	buffer_gl0_inv
	v_cmpx_gt_u32_e32 0x100, v0
	s_cbranch_execz .LBB204_51
; %bb.46:
	v_lshlrev_b32_e32 v7, 2, v0
	s_mov_b32 s2, s11
	s_mov_b32 s1, exec_lo
	ds_load_2addr_stride64_b32 v[1:2], v7 offset1:4
	ds_load_2addr_stride64_b32 v[3:4], v7 offset0:8 offset1:12
	ds_load_2addr_stride64_b32 v[5:6], v7 offset0:16 offset1:20
	s_waitcnt lgkmcnt(2)
	v_add_f32_e32 v8, v1, v2
	ds_load_2addr_stride64_b32 v[1:2], v7 offset0:24 offset1:28
	s_waitcnt lgkmcnt(2)
	v_add_f32_e32 v3, v3, v8
	s_delay_alu instid0(VALU_DEP_1) | instskip(SKIP_3) | instid1(VALU_DEP_1)
	v_add_f32_e32 v8, v4, v3
	ds_load_2addr_stride64_b32 v[3:4], v7 offset0:32 offset1:36
	s_waitcnt lgkmcnt(2)
	v_add_f32_e32 v5, v5, v8
	v_add_f32_e32 v8, v6, v5
	ds_load_2addr_stride64_b32 v[5:6], v7 offset0:40 offset1:44
	s_waitcnt lgkmcnt(2)
	v_add_f32_e32 v1, v1, v8
	s_delay_alu instid0(VALU_DEP_1) | instskip(SKIP_1) | instid1(VALU_DEP_1)
	v_add_f32_e32 v1, v2, v1
	s_waitcnt lgkmcnt(1)
	v_add_f32_e32 v3, v3, v1
	ds_load_2addr_stride64_b32 v[1:2], v7 offset0:48 offset1:52
	v_add_f32_e32 v3, v4, v3
	s_waitcnt lgkmcnt(1)
	s_delay_alu instid0(VALU_DEP_1) | instskip(SKIP_3) | instid1(VALU_DEP_1)
	v_add_f32_e32 v5, v5, v3
	ds_load_2addr_stride64_b32 v[3:4], v7 offset0:56 offset1:60
	v_add_f32_e32 v5, v6, v5
	s_waitcnt lgkmcnt(1)
	v_add_f32_e32 v1, v1, v5
	s_delay_alu instid0(VALU_DEP_1) | instskip(SKIP_1) | instid1(VALU_DEP_1)
	v_add_f32_e32 v1, v2, v1
	s_waitcnt lgkmcnt(0)
	v_add_f32_e32 v2, v3, v1
	v_or_b32_e32 v1, s14, v0
                                        ; implicit-def: $vgpr3
	s_delay_alu instid0(VALU_DEP_2)
	v_add_f32_e32 v0, v4, v2
                                        ; implicit-def: $vgpr4_vgpr5
	ds_store_b32 v7, v0
	v_cmpx_gt_i32_e64 s4, v1
	s_cbranch_execz .LBB204_50
; %bb.47:
	v_mul_lo_u32 v4, v1, s17
	v_cmp_eq_f32_e64 s2, s15, 0
	v_mul_f32_e32 v3, s16, v0
	s_delay_alu instid0(VALU_DEP_2) | instskip(NEXT) | instid1(VALU_DEP_3)
	s_and_b32 vcc_lo, exec_lo, s2
	v_ashrrev_i32_e32 v5, 31, v4
	s_cbranch_vccnz .LBB204_49
; %bb.48:
	s_delay_alu instid0(VALU_DEP_1) | instskip(NEXT) | instid1(VALU_DEP_1)
	v_lshlrev_b64 v[0:1], 2, v[4:5]
	v_add_co_u32 v0, vcc_lo, s9, v0
	s_delay_alu instid0(VALU_DEP_2)
	v_add_co_ci_u32_e32 v1, vcc_lo, s10, v1, vcc_lo
	global_load_b32 v0, v[0:1], off
	s_waitcnt vmcnt(0)
	v_fmac_f32_e32 v3, s15, v0
.LBB204_49:
	s_or_b32 s2, s11, exec_lo
.LBB204_50:
	s_or_b32 exec_lo, exec_lo, s1
	s_delay_alu instid0(SALU_CYCLE_1) | instskip(SKIP_1) | instid1(SALU_CYCLE_1)
	s_and_not1_b32 s1, s11, exec_lo
	s_and_b32 s2, s2, exec_lo
	s_or_b32 s11, s1, s2
.LBB204_51:
	s_or_b32 exec_lo, exec_lo, s0
.LBB204_52:
	s_and_saveexec_b32 s0, s11
	s_cbranch_execz .LBB204_54
; %bb.53:
	v_lshlrev_b64 v[0:1], 2, v[4:5]
	s_delay_alu instid0(VALU_DEP_1) | instskip(NEXT) | instid1(VALU_DEP_2)
	v_add_co_u32 v0, vcc_lo, s9, v0
	v_add_co_ci_u32_e32 v1, vcc_lo, s10, v1, vcc_lo
	global_store_b32 v[0:1], v3, off
.LBB204_54:
	s_nop 0
	s_sendmsg sendmsg(MSG_DEALLOC_VGPRS)
	s_endpgm
	.section	.rodata,"a",@progbits
	.p2align	6, 0x0
	.amdhsa_kernel _ZL20rocblas_gemvn_kernelILi64ELi16EiPKfS1_KPfEviiT3_lPKT2_lT1_lS7_lS8_lS4_lPT4_lS8_li
		.amdhsa_group_segment_fixed_size 16384
		.amdhsa_private_segment_fixed_size 0
		.amdhsa_kernarg_size 400
		.amdhsa_user_sgpr_count 14
		.amdhsa_user_sgpr_dispatch_ptr 0
		.amdhsa_user_sgpr_queue_ptr 0
		.amdhsa_user_sgpr_kernarg_segment_ptr 1
		.amdhsa_user_sgpr_dispatch_id 0
		.amdhsa_user_sgpr_private_segment_size 0
		.amdhsa_wavefront_size32 1
		.amdhsa_uses_dynamic_stack 0
		.amdhsa_enable_private_segment 0
		.amdhsa_system_sgpr_workgroup_id_x 1
		.amdhsa_system_sgpr_workgroup_id_y 0
		.amdhsa_system_sgpr_workgroup_id_z 1
		.amdhsa_system_sgpr_workgroup_info 0
		.amdhsa_system_vgpr_workitem_id 1
		.amdhsa_next_free_vgpr 41
		.amdhsa_next_free_sgpr 28
		.amdhsa_reserve_vcc 1
		.amdhsa_float_round_mode_32 0
		.amdhsa_float_round_mode_16_64 0
		.amdhsa_float_denorm_mode_32 3
		.amdhsa_float_denorm_mode_16_64 3
		.amdhsa_dx10_clamp 1
		.amdhsa_ieee_mode 1
		.amdhsa_fp16_overflow 0
		.amdhsa_workgroup_processor_mode 1
		.amdhsa_memory_ordered 1
		.amdhsa_forward_progress 0
		.amdhsa_shared_vgpr_count 0
		.amdhsa_exception_fp_ieee_invalid_op 0
		.amdhsa_exception_fp_denorm_src 0
		.amdhsa_exception_fp_ieee_div_zero 0
		.amdhsa_exception_fp_ieee_overflow 0
		.amdhsa_exception_fp_ieee_underflow 0
		.amdhsa_exception_fp_ieee_inexact 0
		.amdhsa_exception_int_div_zero 0
	.end_amdhsa_kernel
	.section	.text._ZL20rocblas_gemvn_kernelILi64ELi16EiPKfS1_KPfEviiT3_lPKT2_lT1_lS7_lS8_lS4_lPT4_lS8_li,"axG",@progbits,_ZL20rocblas_gemvn_kernelILi64ELi16EiPKfS1_KPfEviiT3_lPKT2_lT1_lS7_lS8_lS4_lPT4_lS8_li,comdat
.Lfunc_end204:
	.size	_ZL20rocblas_gemvn_kernelILi64ELi16EiPKfS1_KPfEviiT3_lPKT2_lT1_lS7_lS8_lS4_lPT4_lS8_li, .Lfunc_end204-_ZL20rocblas_gemvn_kernelILi64ELi16EiPKfS1_KPfEviiT3_lPKT2_lT1_lS7_lS8_lS4_lPT4_lS8_li
                                        ; -- End function
	.section	.AMDGPU.csdata,"",@progbits
; Kernel info:
; codeLenInByte = 3044
; NumSgprs: 30
; NumVgprs: 41
; ScratchSize: 0
; MemoryBound: 0
; FloatMode: 240
; IeeeMode: 1
; LDSByteSize: 16384 bytes/workgroup (compile time only)
; SGPRBlocks: 3
; VGPRBlocks: 5
; NumSGPRsForWavesPerEU: 30
; NumVGPRsForWavesPerEU: 41
; Occupancy: 16
; WaveLimiterHint : 1
; COMPUTE_PGM_RSRC2:SCRATCH_EN: 0
; COMPUTE_PGM_RSRC2:USER_SGPR: 14
; COMPUTE_PGM_RSRC2:TRAP_HANDLER: 0
; COMPUTE_PGM_RSRC2:TGID_X_EN: 1
; COMPUTE_PGM_RSRC2:TGID_Y_EN: 0
; COMPUTE_PGM_RSRC2:TGID_Z_EN: 1
; COMPUTE_PGM_RSRC2:TIDIG_COMP_CNT: 1
	.section	.text._ZL20rocblas_gemvn_kernelILi64ELi16ElPKfS1_KPfEviiT3_lPKT2_lT1_lS7_lS8_lS4_lPT4_lS8_li,"axG",@progbits,_ZL20rocblas_gemvn_kernelILi64ELi16ElPKfS1_KPfEviiT3_lPKT2_lT1_lS7_lS8_lS4_lPT4_lS8_li,comdat
	.globl	_ZL20rocblas_gemvn_kernelILi64ELi16ElPKfS1_KPfEviiT3_lPKT2_lT1_lS7_lS8_lS4_lPT4_lS8_li ; -- Begin function _ZL20rocblas_gemvn_kernelILi64ELi16ElPKfS1_KPfEviiT3_lPKT2_lT1_lS7_lS8_lS4_lPT4_lS8_li
	.p2align	8
	.type	_ZL20rocblas_gemvn_kernelILi64ELi16ElPKfS1_KPfEviiT3_lPKT2_lT1_lS7_lS8_lS4_lPT4_lS8_li,@function
_ZL20rocblas_gemvn_kernelILi64ELi16ElPKfS1_KPfEviiT3_lPKT2_lT1_lS7_lS8_lS4_lPT4_lS8_li: ; @_ZL20rocblas_gemvn_kernelILi64ELi16ElPKfS1_KPfEviiT3_lPKT2_lT1_lS7_lS8_lS4_lPT4_lS8_li
; %bb.0:
	s_load_b64 s[4:5], s[0:1], 0x9c
	s_waitcnt lgkmcnt(0)
	s_lshr_b32 s3, s4, 16
	s_and_b32 s4, s4, 0xffff
	s_and_b32 s5, s5, 0xffff
	s_mul_i32 s3, s3, s4
	s_delay_alu instid0(SALU_CYCLE_1) | instskip(NEXT) | instid1(SALU_CYCLE_1)
	s_mul_i32 s3, s3, s5
	s_cmpk_lg_i32 s3, 0x400
	s_cbranch_scc1 .LBB205_54
; %bb.1:
	s_clause 0x1
	s_load_b256 s[16:23], s[0:1], 0x8
	s_load_b256 s[4:11], s[0:1], 0x58
	s_mov_b32 s2, s15
	s_waitcnt lgkmcnt(0)
	s_mul_i32 s3, s15, s19
	s_mul_hi_u32 s13, s15, s18
	s_mul_i32 s12, s15, s18
	s_add_i32 s13, s13, s3
	s_mul_i32 s3, s15, s7
	s_lshl_b64 s[12:13], s[12:13], 2
	s_mul_hi_u32 s7, s15, s6
	s_add_u32 s12, s16, s12
	s_addc_u32 s13, s17, s13
	s_add_i32 s7, s7, s3
	s_mul_i32 s6, s15, s6
	s_delay_alu instid0(SALU_CYCLE_1) | instskip(NEXT) | instid1(SALU_CYCLE_1)
	s_lshl_b64 s[6:7], s[6:7], 2
	s_add_u32 s4, s4, s6
	s_addc_u32 s5, s5, s7
	s_load_b32 s27, s[12:13], 0x0
	s_load_b32 s26, s[4:5], 0x0
	s_waitcnt lgkmcnt(0)
	v_cmp_eq_f32_e64 s15, s27, 0
	v_cmp_eq_f32_e64 s3, s26, 1.0
	s_delay_alu instid0(VALU_DEP_1) | instskip(NEXT) | instid1(SALU_CYCLE_1)
	s_and_b32 s3, s15, s3
	s_and_b32 vcc_lo, exec_lo, s3
	s_mov_b32 s3, 0
	s_cbranch_vccnz .LBB205_54
; %bb.2:
	s_clause 0x1
	s_load_b64 s[16:17], s[0:1], 0x28
	s_load_b64 s[12:13], s[0:1], 0x78
	v_cmp_neq_f32_e64 s28, s27, 0
	s_mov_b64 s[24:25], 0
	s_and_b32 vcc_lo, exec_lo, s15
	s_mov_b64 s[18:19], 0
	s_cbranch_vccnz .LBB205_4
; %bb.3:
	s_lshl_b64 s[4:5], s[2:3], 3
	s_delay_alu instid0(SALU_CYCLE_1)
	s_add_u32 s4, s20, s4
	s_addc_u32 s5, s21, s5
	s_lshl_b64 s[6:7], s[22:23], 2
	s_load_b64 s[4:5], s[4:5], 0x0
	s_waitcnt lgkmcnt(0)
	s_add_u32 s18, s4, s6
	s_addc_u32 s19, s5, s7
.LBB205_4:
	s_clause 0x1
	s_load_b128 s[4:7], s[0:1], 0x38
	s_load_b64 s[20:21], s[0:1], 0x48
	s_and_not1_b32 vcc_lo, exec_lo, s28
	s_cbranch_vccnz .LBB205_6
; %bb.5:
	s_lshl_b64 s[22:23], s[2:3], 3
	s_waitcnt lgkmcnt(0)
	s_add_u32 s4, s4, s22
	s_addc_u32 s5, s5, s23
	s_lshl_b64 s[6:7], s[6:7], 2
	s_load_b64 s[4:5], s[4:5], 0x0
	s_waitcnt lgkmcnt(0)
	s_add_u32 s24, s4, s6
	s_addc_u32 s25, s5, s7
.LBB205_6:
	s_lshl_b64 s[2:3], s[2:3], 3
	v_and_b32_e32 v20, 0x3ff, v0
	s_add_u32 s2, s8, s2
	s_addc_u32 s3, s9, s3
	v_bfe_u32 v21, v0, 10, 10
	s_load_b64 s[2:3], s[2:3], 0x0
	s_waitcnt lgkmcnt(0)
	s_load_b64 s[6:7], s[0:1], 0x0
	s_lshl_b64 s[8:9], s[10:11], 2
	v_lshl_add_u32 v19, v21, 6, v20
	s_delay_alu instid0(VALU_DEP_1)
	v_cmp_gt_u32_e64 s0, 0x100, v19
	s_add_u32 s5, s2, s8
	s_addc_u32 s22, s3, s9
	s_and_not1_b32 vcc_lo, exec_lo, s15
	s_cbranch_vccnz .LBB205_13
; %bb.7:
	s_mov_b32 s1, 0
	s_mov_b32 s23, 0
                                        ; implicit-def: $vgpr1
                                        ; implicit-def: $vgpr2_vgpr3
	s_and_saveexec_b32 s2, s0
	s_cbranch_execz .LBB205_14
; %bb.8:
	v_lshl_or_b32 v0, s14, 8, v19
	v_mov_b32_e32 v1, 0
	s_waitcnt lgkmcnt(0)
	s_ashr_i32 s9, s6, 31
	s_mov_b32 s8, s6
	s_mov_b32 s3, 0
	s_mov_b32 s0, exec_lo
                                        ; implicit-def: $vgpr2_vgpr3
	v_cmpx_gt_i64_e64 s[8:9], v[0:1]
	s_cbranch_execz .LBB205_12
; %bb.9:
	v_mad_u64_u32 v[2:3], null, v0, s12, 0
	v_cmp_eq_f32_e64 s3, s26, 0
	s_delay_alu instid0(VALU_DEP_1) | instskip(NEXT) | instid1(VALU_DEP_2)
	s_and_b32 vcc_lo, exec_lo, s3
	v_mad_u64_u32 v[4:5], null, v0, s13, v[3:4]
	s_delay_alu instid0(VALU_DEP_1)
	v_mov_b32_e32 v3, v4
	s_cbranch_vccnz .LBB205_11
; %bb.10:
	s_delay_alu instid0(VALU_DEP_1) | instskip(NEXT) | instid1(VALU_DEP_1)
	v_lshlrev_b64 v[0:1], 2, v[2:3]
	v_add_co_u32 v0, vcc_lo, s5, v0
	s_delay_alu instid0(VALU_DEP_2)
	v_add_co_ci_u32_e32 v1, vcc_lo, s22, v1, vcc_lo
	global_load_b32 v0, v[0:1], off
	s_waitcnt vmcnt(0)
	v_mul_f32_e32 v1, s26, v0
.LBB205_11:
	s_mov_b32 s3, exec_lo
.LBB205_12:
	s_or_b32 exec_lo, exec_lo, s0
	s_delay_alu instid0(SALU_CYCLE_1) | instskip(SKIP_1) | instid1(SALU_CYCLE_1)
	s_and_b32 s23, s3, exec_lo
	s_or_b32 exec_lo, exec_lo, s2
	s_and_b32 vcc_lo, exec_lo, s1
	s_cbranch_vccnz .LBB205_15
	s_branch .LBB205_52
.LBB205_13:
	s_mov_b32 s23, 0
                                        ; implicit-def: $vgpr1
                                        ; implicit-def: $vgpr2_vgpr3
	s_cbranch_execnz .LBB205_15
	s_branch .LBB205_52
.LBB205_14:
	s_or_b32 exec_lo, exec_lo, s2
	s_delay_alu instid0(SALU_CYCLE_1)
	s_and_b32 vcc_lo, exec_lo, s1
	s_cbranch_vccz .LBB205_52
.LBB205_15:
	s_waitcnt lgkmcnt(0)
	s_ashr_i32 s0, s7, 31
	s_lshl_b32 s28, s14, 8
	s_lshr_b32 s0, s0, 26
	v_dual_mov_b32 v23, 0 :: v_dual_lshlrev_b32 v26, 2, v21
	v_dual_mov_b32 v22, 0 :: v_dual_mov_b32 v25, 0
	v_add_nc_u32_e32 v0, s28, v20
	v_mov_b32_e32 v24, 0
	s_add_i32 s29, s7, s0
	s_mov_b32 s30, exec_lo
	s_and_not1_b32 s29, s29, 63
	s_delay_alu instid0(SALU_CYCLE_1)
	v_cmpx_gt_i32_e64 s29, v26
	s_cbranch_execz .LBB205_27
; %bb.16:
	v_lshlrev_b32_e32 v29, 2, v21
	v_mad_u64_u32 v[5:6], null, s20, v21, 0
	v_add_nc_u32_e32 v2, 64, v0
	v_mad_u64_u32 v[7:8], null, s16, v21, 0
	s_delay_alu instid0(VALU_DEP_4) | instskip(SKIP_1) | instid1(VALU_DEP_4)
	v_or_b32_e32 v25, 3, v29
	v_add_nc_u32_e32 v9, 0x80, v0
	v_cmp_gt_i32_e64 s0, s6, v2
	v_ashrrev_i32_e32 v1, 31, v0
	v_cmp_gt_i32_e32 vcc_lo, s6, v0
	v_mad_u64_u32 v[3:4], null, s16, v25, 0
	v_mad_u64_u32 v[16:17], null, s20, v25, 0
	v_add_nc_u32_e32 v10, 0xc0, v0
	s_lshl_b64 s[8:9], s[16:17], 8
	s_lshl_b64 s[10:11], s[20:21], 8
	s_mov_b32 s31, 0
	s_delay_alu instid0(VALU_DEP_3)
	v_mov_b32_e32 v2, v4
	v_mov_b32_e32 v4, v6
	v_cmp_gt_i32_e64 s1, s6, v9
	v_cmp_gt_i32_e64 s2, s6, v10
	v_mov_b32_e32 v6, v8
	v_mad_u64_u32 v[9:10], null, s17, v25, v[2:3]
	v_or_b32_e32 v31, 2, v29
	v_mad_u64_u32 v[10:11], null, s21, v21, v[4:5]
	s_delay_alu instid0(VALU_DEP_4) | instskip(SKIP_1) | instid1(VALU_DEP_4)
	v_mad_u64_u32 v[11:12], null, s17, v21, v[6:7]
	v_mad_u64_u32 v[12:13], null, s20, v29, s[20:21]
	;; [unrolled: 1-line block ×3, first 2 shown]
	v_mov_b32_e32 v4, v9
	v_mov_b32_e32 v6, v10
	v_lshlrev_b64 v[1:2], 2, v[0:1]
	s_mov_b64 s[14:15], s[24:25]
	s_delay_alu instid0(VALU_DEP_3) | instskip(NEXT) | instid1(VALU_DEP_3)
	v_lshlrev_b64 v[9:10], 2, v[3:4]
	v_lshlrev_b64 v[3:4], 4, v[5:6]
	v_dual_mov_b32 v5, v15 :: v_dual_mov_b32 v6, v13
	s_delay_alu instid0(VALU_DEP_3) | instskip(NEXT) | instid1(VALU_DEP_2)
	v_add_co_u32 v27, s3, s18, v9
	v_mad_u64_u32 v[22:23], null, s17, v31, v[5:6]
	v_mov_b32_e32 v5, v17
	v_add_co_ci_u32_e64 v28, s3, s19, v10, s3
	v_mad_u64_u32 v[9:10], null, s16, v29, s[16:17]
	s_delay_alu instid0(VALU_DEP_3) | instskip(SKIP_2) | instid1(VALU_DEP_4)
	v_mad_u64_u32 v[23:24], null, s21, v25, v[5:6]
	v_mad_u64_u32 v[24:25], null, s20, v31, 0
	v_dual_mov_b32 v8, v11 :: v_dual_mov_b32 v15, v22
	v_mov_b32_e32 v5, v10
	s_delay_alu instid0(VALU_DEP_2) | instskip(NEXT) | instid1(VALU_DEP_2)
	v_lshlrev_b64 v[14:15], 2, v[14:15]
	v_mad_u64_u32 v[10:11], null, s17, v29, v[5:6]
	v_mov_b32_e32 v5, v25
	v_lshlrev_b64 v[7:8], 4, v[7:8]
	s_delay_alu instid0(VALU_DEP_3) | instskip(NEXT) | instid1(VALU_DEP_2)
	v_lshlrev_b64 v[9:10], 2, v[9:10]
	v_mad_u64_u32 v[17:18], null, s21, v29, v[6:7]
	v_add_co_u32 v29, s3, s18, v7
	s_delay_alu instid0(VALU_DEP_1) | instskip(NEXT) | instid1(VALU_DEP_3)
	v_add_co_ci_u32_e64 v30, s3, s19, v8, s3
	v_mov_b32_e32 v13, v17
	v_mov_b32_e32 v17, v23
	v_mad_u64_u32 v[22:23], null, s21, v31, v[5:6]
	v_add_co_u32 v31, s3, s18, v14
	s_delay_alu instid0(VALU_DEP_1) | instskip(SKIP_1) | instid1(VALU_DEP_4)
	v_add_co_ci_u32_e64 v32, s3, s19, v15, s3
	v_add_co_u32 v33, s3, s18, v9
	v_dual_mov_b32 v25, v22 :: v_dual_mov_b32 v22, 0
	v_lshlrev_b64 v[5:6], 2, v[12:13]
	v_lshlrev_b64 v[7:8], 2, v[16:17]
	v_add_co_ci_u32_e64 v34, s3, s19, v10, s3
	s_delay_alu instid0(VALU_DEP_4)
	v_lshlrev_b64 v[9:10], 2, v[24:25]
	v_dual_mov_b32 v23, 0 :: v_dual_mov_b32 v24, 0
	v_mov_b32_e32 v25, 0
	s_branch .LBB205_21
.LBB205_17:                             ;   in Loop: Header=BB205_21 Depth=1
	s_or_b32 exec_lo, exec_lo, s34
	s_waitcnt vmcnt(3) lgkmcnt(3)
	v_fmac_f32_e32 v24, v38, v50
	s_waitcnt vmcnt(2) lgkmcnt(2)
	s_delay_alu instid0(VALU_DEP_1) | instskip(SKIP_1) | instid1(VALU_DEP_1)
	v_fmac_f32_e32 v24, v37, v49
	s_waitcnt vmcnt(1) lgkmcnt(1)
	v_fmac_f32_e32 v24, v36, v48
	s_waitcnt vmcnt(0) lgkmcnt(0)
	s_delay_alu instid0(VALU_DEP_1)
	v_fmac_f32_e32 v24, v35, v47
.LBB205_18:                             ;   in Loop: Header=BB205_21 Depth=1
	s_or_b32 exec_lo, exec_lo, s33
	s_waitcnt vmcnt(3) lgkmcnt(3)
	v_fmac_f32_e32 v23, v38, v46
	s_waitcnt vmcnt(2) lgkmcnt(2)
	s_delay_alu instid0(VALU_DEP_1) | instskip(SKIP_1) | instid1(VALU_DEP_1)
	v_fmac_f32_e32 v23, v37, v45
	s_waitcnt vmcnt(1) lgkmcnt(1)
	v_fmac_f32_e32 v23, v36, v44
	s_waitcnt vmcnt(0) lgkmcnt(0)
	s_delay_alu instid0(VALU_DEP_1)
	v_fmac_f32_e32 v23, v35, v43
.LBB205_19:                             ;   in Loop: Header=BB205_21 Depth=1
	s_or_b32 exec_lo, exec_lo, s3
	s_waitcnt vmcnt(3) lgkmcnt(3)
	v_fmac_f32_e32 v22, v38, v42
	s_waitcnt vmcnt(2) lgkmcnt(2)
	s_delay_alu instid0(VALU_DEP_1) | instskip(SKIP_1) | instid1(VALU_DEP_1)
	v_fmac_f32_e32 v22, v37, v40
	s_waitcnt vmcnt(1) lgkmcnt(1)
	v_fmac_f32_e32 v22, v36, v39
	s_waitcnt vmcnt(0) lgkmcnt(0)
	s_delay_alu instid0(VALU_DEP_1)
	v_fmac_f32_e32 v22, v35, v41
.LBB205_20:                             ;   in Loop: Header=BB205_21 Depth=1
	s_or_b32 exec_lo, exec_lo, s4
	v_add_co_u32 v27, s3, v27, s8
	s_delay_alu instid0(VALU_DEP_1) | instskip(SKIP_4) | instid1(VALU_DEP_1)
	v_add_co_ci_u32_e64 v28, s3, s9, v28, s3
	v_add_co_u32 v29, s3, v29, s8
	v_add_nc_u32_e32 v26, 64, v26
	v_add_co_ci_u32_e64 v30, s3, s9, v30, s3
	v_add_co_u32 v31, s3, v31, s8
	v_add_co_ci_u32_e64 v32, s3, s9, v32, s3
	s_delay_alu instid0(VALU_DEP_4) | instskip(SKIP_1) | instid1(VALU_DEP_1)
	v_cmp_le_i32_e64 s3, s29, v26
	v_add_co_u32 v33, s4, v33, s8
	v_add_co_ci_u32_e64 v34, s4, s9, v34, s4
	s_add_u32 s14, s14, s10
	s_addc_u32 s15, s15, s11
	s_or_b32 s31, s3, s31
	s_delay_alu instid0(SALU_CYCLE_1)
	s_and_not1_b32 exec_lo, exec_lo, s31
	s_cbranch_execz .LBB205_26
.LBB205_21:                             ; =>This Inner Loop Header: Depth=1
	s_and_saveexec_b32 s4, vcc_lo
	s_cbranch_execz .LBB205_20
; %bb.22:                               ;   in Loop: Header=BB205_21 Depth=1
	v_add_co_u32 v35, s3, s14, v3
	s_delay_alu instid0(VALU_DEP_1) | instskip(SKIP_1) | instid1(VALU_DEP_1)
	v_add_co_ci_u32_e64 v36, s3, s15, v4, s3
	v_add_co_u32 v39, s3, s14, v5
	v_add_co_ci_u32_e64 v40, s3, s15, v6, s3
	v_add_co_u32 v41, s3, s14, v9
	s_delay_alu instid0(VALU_DEP_1) | instskip(SKIP_1) | instid1(VALU_DEP_1)
	v_add_co_ci_u32_e64 v42, s3, s15, v10, s3
	v_add_co_u32 v43, s3, s14, v7
	v_add_co_ci_u32_e64 v44, s3, s15, v8, s3
	;; [unrolled: 5-line block ×4, first 2 shown]
	s_clause 0x3
	flat_load_b32 v38, v[35:36]
	flat_load_b32 v37, v[39:40]
	flat_load_b32 v36, v[41:42]
	flat_load_b32 v35, v[43:44]
	flat_load_b32 v42, v[11:12]
	flat_load_b32 v40, v[13:14]
	flat_load_b32 v39, v[15:16]
	flat_load_b32 v41, v[17:18]
	s_and_saveexec_b32 s3, s0
	s_cbranch_execz .LBB205_19
; %bb.23:                               ;   in Loop: Header=BB205_21 Depth=1
	flat_load_b32 v46, v[11:12] offset:256
	flat_load_b32 v45, v[13:14] offset:256
	flat_load_b32 v44, v[15:16] offset:256
	flat_load_b32 v43, v[17:18] offset:256
	s_and_saveexec_b32 s33, s1
	s_cbranch_execz .LBB205_18
; %bb.24:                               ;   in Loop: Header=BB205_21 Depth=1
	flat_load_b32 v50, v[11:12] offset:512
	flat_load_b32 v49, v[13:14] offset:512
	flat_load_b32 v48, v[15:16] offset:512
	flat_load_b32 v47, v[17:18] offset:512
	;; [unrolled: 7-line block ×3, first 2 shown]
	s_waitcnt vmcnt(3) lgkmcnt(3)
	v_fmac_f32_e32 v25, v38, v11
	s_waitcnt vmcnt(2) lgkmcnt(2)
	s_delay_alu instid0(VALU_DEP_1) | instskip(SKIP_1) | instid1(VALU_DEP_1)
	v_fmac_f32_e32 v25, v37, v12
	s_waitcnt vmcnt(1) lgkmcnt(1)
	v_fmac_f32_e32 v25, v36, v13
	s_waitcnt vmcnt(0) lgkmcnt(0)
	s_delay_alu instid0(VALU_DEP_1)
	v_fmac_f32_e32 v25, v35, v14
	s_branch .LBB205_17
.LBB205_26:
	s_or_b32 exec_lo, exec_lo, s31
.LBB205_27:
	s_delay_alu instid0(SALU_CYCLE_1) | instskip(SKIP_1) | instid1(SALU_CYCLE_1)
	s_or_b32 exec_lo, exec_lo, s30
	s_sub_i32 s0, s7, s29
	s_cmp_lt_i32 s0, 1
	s_cbranch_scc1 .LBB205_45
; %bb.28:
	v_cmp_gt_i32_e32 vcc_lo, s7, v26
	v_dual_mov_b32 v11, 0 :: v_dual_mov_b32 v12, 0
	v_or_b32_e32 v2, 1, v26
	v_dual_mov_b32 v10, 0 :: v_dual_mov_b32 v9, 0
	s_and_saveexec_b32 s1, vcc_lo
	s_cbranch_execz .LBB205_36
; %bb.29:
	v_mad_u64_u32 v[3:4], null, v26, s20, 0
	v_dual_mov_b32 v12, 0 :: v_dual_mov_b32 v11, 0
	s_mov_b32 s2, exec_lo
	s_delay_alu instid0(VALU_DEP_2) | instskip(NEXT) | instid1(VALU_DEP_1)
	v_dual_mov_b32 v10, 0 :: v_dual_mov_b32 v1, v4
	v_mad_u64_u32 v[4:5], null, v26, s21, v[1:2]
	s_delay_alu instid0(VALU_DEP_1) | instskip(NEXT) | instid1(VALU_DEP_1)
	v_lshlrev_b64 v[3:4], 2, v[3:4]
	v_add_co_u32 v3, s0, s24, v3
	s_delay_alu instid0(VALU_DEP_1)
	v_add_co_ci_u32_e64 v4, s0, s25, v4, s0
	flat_load_b32 v9, v[3:4]
	v_cmpx_gt_i32_e64 s7, v2
	s_cbranch_execz .LBB205_35
; %bb.30:
	v_mad_u64_u32 v[3:4], null, v2, s20, 0
	v_mov_b32_e32 v11, 0
	s_mov_b32 s3, exec_lo
	s_delay_alu instid0(VALU_DEP_2) | instskip(NEXT) | instid1(VALU_DEP_1)
	v_dual_mov_b32 v12, 0 :: v_dual_mov_b32 v1, v4
	v_mad_u64_u32 v[4:5], null, v2, s21, v[1:2]
	v_or_b32_e32 v1, 2, v26
	s_delay_alu instid0(VALU_DEP_2) | instskip(NEXT) | instid1(VALU_DEP_1)
	v_lshlrev_b64 v[3:4], 2, v[3:4]
	v_add_co_u32 v3, s0, s24, v3
	s_delay_alu instid0(VALU_DEP_1)
	v_add_co_ci_u32_e64 v4, s0, s25, v4, s0
	flat_load_b32 v10, v[3:4]
	v_cmpx_gt_i32_e64 s7, v1
	s_cbranch_execz .LBB205_34
; %bb.31:
	v_mad_u64_u32 v[3:4], null, v1, s20, 0
	s_mov_b32 s4, exec_lo
	v_mov_b32_e32 v11, 0
	s_delay_alu instid0(VALU_DEP_2) | instskip(SKIP_1) | instid1(VALU_DEP_2)
	v_mad_u64_u32 v[5:6], null, v1, s21, v[4:5]
	v_or_b32_e32 v1, 3, v26
	v_mov_b32_e32 v4, v5
	s_delay_alu instid0(VALU_DEP_1) | instskip(NEXT) | instid1(VALU_DEP_1)
	v_lshlrev_b64 v[3:4], 2, v[3:4]
	v_add_co_u32 v3, s0, s24, v3
	s_delay_alu instid0(VALU_DEP_1)
	v_add_co_ci_u32_e64 v4, s0, s25, v4, s0
	flat_load_b32 v12, v[3:4]
	v_cmpx_gt_i32_e64 s7, v1
	s_cbranch_execz .LBB205_33
; %bb.32:
	v_mad_u64_u32 v[3:4], null, v1, s20, 0
	s_delay_alu instid0(VALU_DEP_1) | instskip(NEXT) | instid1(VALU_DEP_1)
	v_mad_u64_u32 v[5:6], null, v1, s21, v[4:5]
	v_mov_b32_e32 v4, v5
	s_delay_alu instid0(VALU_DEP_1) | instskip(NEXT) | instid1(VALU_DEP_1)
	v_lshlrev_b64 v[3:4], 2, v[3:4]
	v_add_co_u32 v3, s0, s24, v3
	s_delay_alu instid0(VALU_DEP_1)
	v_add_co_ci_u32_e64 v4, s0, s25, v4, s0
	flat_load_b32 v11, v[3:4]
.LBB205_33:
	s_or_b32 exec_lo, exec_lo, s4
.LBB205_34:
	s_delay_alu instid0(SALU_CYCLE_1)
	s_or_b32 exec_lo, exec_lo, s3
.LBB205_35:
	s_delay_alu instid0(SALU_CYCLE_1)
	s_or_b32 exec_lo, exec_lo, s2
.LBB205_36:
	s_delay_alu instid0(SALU_CYCLE_1) | instskip(NEXT) | instid1(SALU_CYCLE_1)
	s_or_b32 exec_lo, exec_lo, s1
	s_mov_b32 s1, exec_lo
	v_cmpx_gt_i32_e64 s6, v0
	s_cbranch_execz .LBB205_44
; %bb.37:
	v_mad_u64_u32 v[3:4], null, v26, s16, 0
	v_mad_u64_u32 v[5:6], null, v2, s16, 0
	v_or_b32_e32 v28, 2, v26
	v_ashrrev_i32_e32 v1, 31, v0
	v_or_b32_e32 v29, 3, v26
	v_cndmask_b32_e32 v3, 0, v3, vcc_lo
	s_delay_alu instid0(VALU_DEP_4)
	v_cmp_gt_i32_e64 s0, s7, v28
	v_mad_u64_u32 v[13:14], null, v26, s17, v[4:5]
	v_mad_u64_u32 v[14:15], null, v28, s16, 0
	v_lshlrev_b64 v[7:8], 2, v[0:1]
	v_mov_b32_e32 v1, v6
	v_mad_u64_u32 v[16:17], null, v29, s16, 0
	v_cndmask_b32_e32 v4, 0, v13, vcc_lo
	v_cmp_gt_i32_e32 vcc_lo, s7, v2
	s_delay_alu instid0(VALU_DEP_4)
	v_mad_u64_u32 v[26:27], null, v2, s17, v[1:2]
	v_mov_b32_e32 v1, v15
	v_cndmask_b32_e64 v13, 0, v14, s0
	v_mov_b32_e32 v6, v17
	v_cndmask_b32_e32 v2, 0, v5, vcc_lo
	v_lshlrev_b64 v[4:5], 2, v[3:4]
	s_delay_alu instid0(VALU_DEP_2) | instskip(NEXT) | instid1(VALU_DEP_1)
	v_mad_u64_u32 v[17:18], null, v28, s17, v[1:2]
	v_cndmask_b32_e64 v14, 0, v17, s0
	v_mad_u64_u32 v[17:18], null, v29, s17, v[6:7]
	v_cndmask_b32_e32 v3, 0, v26, vcc_lo
	v_add_co_u32 v1, vcc_lo, s18, v4
	v_add_co_ci_u32_e32 v5, vcc_lo, s19, v5, vcc_lo
	s_delay_alu instid0(VALU_DEP_3) | instskip(NEXT) | instid1(VALU_DEP_3)
	v_lshlrev_b64 v[3:4], 2, v[2:3]
	v_add_co_u32 v1, vcc_lo, v1, v7
	s_delay_alu instid0(VALU_DEP_3) | instskip(SKIP_1) | instid1(VALU_DEP_4)
	v_add_co_ci_u32_e32 v2, vcc_lo, v5, v8, vcc_lo
	v_lshlrev_b64 v[5:6], 2, v[13:14]
	v_add_co_u32 v3, vcc_lo, s18, v3
	v_add_co_ci_u32_e32 v4, vcc_lo, s19, v4, vcc_lo
	s_mov_b32 s0, exec_lo
	s_delay_alu instid0(VALU_DEP_2) | instskip(NEXT) | instid1(VALU_DEP_2)
	v_add_co_u32 v3, vcc_lo, v3, v7
	v_add_co_ci_u32_e32 v4, vcc_lo, v4, v8, vcc_lo
	s_clause 0x1
	flat_load_b32 v15, v[1:2]
	flat_load_b32 v18, v[3:4]
	v_cmp_gt_i32_e32 vcc_lo, s7, v29
	v_dual_cndmask_b32 v14, 0, v17 :: v_dual_cndmask_b32 v13, 0, v16
	v_add_co_u32 v5, vcc_lo, s18, v5
	v_add_co_ci_u32_e32 v6, vcc_lo, s19, v6, vcc_lo
	s_delay_alu instid0(VALU_DEP_2) | instskip(NEXT) | instid1(VALU_DEP_2)
	v_add_co_u32 v5, vcc_lo, v5, v7
	v_add_co_ci_u32_e32 v6, vcc_lo, v6, v8, vcc_lo
	flat_load_b32 v16, v[5:6]
	s_waitcnt vmcnt(2) lgkmcnt(2)
	v_fmac_f32_e32 v22, v9, v15
	v_lshlrev_b64 v[13:14], 2, v[13:14]
	s_waitcnt vmcnt(1) lgkmcnt(1)
	s_delay_alu instid0(VALU_DEP_2) | instskip(NEXT) | instid1(VALU_DEP_2)
	v_fmac_f32_e32 v22, v10, v18
	v_add_co_u32 v13, vcc_lo, s18, v13
	s_delay_alu instid0(VALU_DEP_3) | instskip(NEXT) | instid1(VALU_DEP_2)
	v_add_co_ci_u32_e32 v14, vcc_lo, s19, v14, vcc_lo
	v_add_co_u32 v7, vcc_lo, v13, v7
	s_delay_alu instid0(VALU_DEP_2)
	v_add_co_ci_u32_e32 v8, vcc_lo, v14, v8, vcc_lo
	v_add_nc_u32_e32 v14, 64, v0
	flat_load_b32 v13, v[7:8]
	s_waitcnt vmcnt(1) lgkmcnt(1)
	v_fmac_f32_e32 v22, v12, v16
	v_cmpx_gt_i32_e64 s6, v14
	s_cbranch_execz .LBB205_43
; %bb.38:
	s_clause 0x3
	flat_load_b32 v15, v[1:2] offset:256
	flat_load_b32 v16, v[3:4] offset:256
	;; [unrolled: 1-line block ×4, first 2 shown]
	s_mov_b32 s2, exec_lo
	s_waitcnt vmcnt(3) lgkmcnt(3)
	v_fmac_f32_e32 v23, v9, v15
	v_add_nc_u32_e32 v15, 0x80, v0
	s_waitcnt vmcnt(2) lgkmcnt(2)
	s_delay_alu instid0(VALU_DEP_2) | instskip(SKIP_1) | instid1(VALU_DEP_1)
	v_fmac_f32_e32 v23, v10, v16
	s_waitcnt vmcnt(1) lgkmcnt(1)
	v_fmac_f32_e32 v23, v12, v17
	v_cmpx_gt_i32_e64 s6, v15
	s_cbranch_execz .LBB205_42
; %bb.39:
	s_clause 0x3
	flat_load_b32 v16, v[1:2] offset:512
	flat_load_b32 v17, v[3:4] offset:512
	;; [unrolled: 1-line block ×4, first 2 shown]
	v_add_nc_u32_e32 v0, 0xc0, v0
	s_mov_b32 s3, exec_lo
	s_waitcnt vmcnt(3) lgkmcnt(3)
	v_fmac_f32_e32 v24, v9, v16
	s_waitcnt vmcnt(2) lgkmcnt(2)
	s_delay_alu instid0(VALU_DEP_1) | instskip(SKIP_1) | instid1(VALU_DEP_1)
	v_fmac_f32_e32 v24, v10, v17
	s_waitcnt vmcnt(1) lgkmcnt(1)
	v_fmac_f32_e32 v24, v12, v18
	v_cmpx_gt_i32_e64 s6, v0
	s_cbranch_execz .LBB205_41
; %bb.40:
	s_clause 0x3
	flat_load_b32 v0, v[1:2] offset:768
	flat_load_b32 v1, v[3:4] offset:768
	;; [unrolled: 1-line block ×4, first 2 shown]
	s_waitcnt vmcnt(3) lgkmcnt(3)
	v_fmac_f32_e32 v25, v9, v0
	s_waitcnt vmcnt(2) lgkmcnt(2)
	s_delay_alu instid0(VALU_DEP_1) | instskip(SKIP_1) | instid1(VALU_DEP_1)
	v_fmac_f32_e32 v25, v10, v1
	s_waitcnt vmcnt(1) lgkmcnt(1)
	v_fmac_f32_e32 v25, v12, v2
	s_waitcnt vmcnt(0) lgkmcnt(0)
	s_delay_alu instid0(VALU_DEP_1)
	v_fmac_f32_e32 v25, v11, v3
.LBB205_41:
	s_or_b32 exec_lo, exec_lo, s3
	s_waitcnt vmcnt(0) lgkmcnt(0)
	v_fmac_f32_e32 v24, v11, v15
.LBB205_42:
	s_or_b32 exec_lo, exec_lo, s2
	s_waitcnt vmcnt(0) lgkmcnt(0)
	v_fmac_f32_e32 v23, v11, v14
.LBB205_43:
	s_or_b32 exec_lo, exec_lo, s0
	s_waitcnt vmcnt(0) lgkmcnt(0)
	v_fmac_f32_e32 v22, v11, v13
.LBB205_44:
	s_or_b32 exec_lo, exec_lo, s1
.LBB205_45:
	v_lshlrev_b32_e32 v0, 8, v21
	s_mov_b32 s0, exec_lo
                                        ; implicit-def: $vgpr1
                                        ; implicit-def: $vgpr2_vgpr3
	s_delay_alu instid0(VALU_DEP_1)
	v_add_lshl_u32 v0, v0, v20, 2
	ds_store_2addr_stride64_b32 v0, v22, v23 offset1:1
	ds_store_2addr_stride64_b32 v0, v24, v25 offset0:2 offset1:3
	s_waitcnt vmcnt(0) lgkmcnt(0)
	s_barrier
	buffer_gl0_inv
	v_cmpx_gt_u32_e32 0x100, v19
	s_cbranch_execz .LBB205_51
; %bb.46:
	v_lshlrev_b32_e32 v6, 2, v19
	s_mov_b32 s2, s23
	s_mov_b32 s1, exec_lo
	ds_load_2addr_stride64_b32 v[0:1], v6 offset1:4
	ds_load_2addr_stride64_b32 v[2:3], v6 offset0:8 offset1:12
	ds_load_2addr_stride64_b32 v[4:5], v6 offset0:16 offset1:20
	s_waitcnt lgkmcnt(2)
	v_add_f32_e32 v7, v0, v1
	ds_load_2addr_stride64_b32 v[0:1], v6 offset0:24 offset1:28
	s_waitcnt lgkmcnt(2)
	v_add_f32_e32 v2, v2, v7
	s_delay_alu instid0(VALU_DEP_1) | instskip(SKIP_3) | instid1(VALU_DEP_1)
	v_add_f32_e32 v7, v3, v2
	ds_load_2addr_stride64_b32 v[2:3], v6 offset0:32 offset1:36
	s_waitcnt lgkmcnt(2)
	v_add_f32_e32 v4, v4, v7
	v_add_f32_e32 v7, v5, v4
	ds_load_2addr_stride64_b32 v[4:5], v6 offset0:40 offset1:44
	s_waitcnt lgkmcnt(2)
	v_add_f32_e32 v0, v0, v7
	s_delay_alu instid0(VALU_DEP_1) | instskip(SKIP_1) | instid1(VALU_DEP_1)
	v_add_f32_e32 v0, v1, v0
	s_waitcnt lgkmcnt(1)
	v_add_f32_e32 v2, v2, v0
	ds_load_2addr_stride64_b32 v[0:1], v6 offset0:48 offset1:52
	v_add_f32_e32 v2, v3, v2
	s_waitcnt lgkmcnt(1)
	s_delay_alu instid0(VALU_DEP_1) | instskip(SKIP_3) | instid1(VALU_DEP_1)
	v_add_f32_e32 v4, v4, v2
	ds_load_2addr_stride64_b32 v[2:3], v6 offset0:56 offset1:60
	v_add_f32_e32 v4, v5, v4
	s_waitcnt lgkmcnt(1)
	v_add_f32_e32 v0, v0, v4
	v_or_b32_e32 v4, s28, v19
	s_delay_alu instid0(VALU_DEP_2) | instskip(SKIP_1) | instid1(VALU_DEP_1)
	v_add_f32_e32 v0, v1, v0
                                        ; implicit-def: $vgpr1
	s_waitcnt lgkmcnt(0)
	v_add_f32_e32 v0, v2, v0
	s_delay_alu instid0(VALU_DEP_1)
	v_add_f32_e32 v0, v3, v0
                                        ; implicit-def: $vgpr2_vgpr3
	ds_store_b32 v6, v0
	v_cmpx_gt_i32_e64 s6, v4
	s_cbranch_execz .LBB205_50
; %bb.47:
	v_ashrrev_i32_e32 v1, 31, v4
	v_mul_lo_u32 v5, v4, s13
	v_mad_u64_u32 v[2:3], null, v4, s12, 0
	v_cmp_eq_f32_e64 s2, s26, 0
	s_delay_alu instid0(VALU_DEP_4) | instskip(SKIP_1) | instid1(VALU_DEP_3)
	v_mul_lo_u32 v4, v1, s12
	v_mul_f32_e32 v1, s27, v0
	s_and_b32 vcc_lo, exec_lo, s2
	s_delay_alu instid0(VALU_DEP_2)
	v_add3_u32 v3, v3, v5, v4
	s_cbranch_vccnz .LBB205_49
; %bb.48:
	s_delay_alu instid0(VALU_DEP_1) | instskip(NEXT) | instid1(VALU_DEP_1)
	v_lshlrev_b64 v[4:5], 2, v[2:3]
	v_add_co_u32 v4, vcc_lo, s5, v4
	s_delay_alu instid0(VALU_DEP_2)
	v_add_co_ci_u32_e32 v5, vcc_lo, s22, v5, vcc_lo
	global_load_b32 v0, v[4:5], off
	s_waitcnt vmcnt(0)
	v_fmac_f32_e32 v1, s26, v0
.LBB205_49:
	s_or_b32 s2, s23, exec_lo
.LBB205_50:
	s_or_b32 exec_lo, exec_lo, s1
	s_delay_alu instid0(SALU_CYCLE_1) | instskip(SKIP_1) | instid1(SALU_CYCLE_1)
	s_and_not1_b32 s1, s23, exec_lo
	s_and_b32 s2, s2, exec_lo
	s_or_b32 s23, s1, s2
.LBB205_51:
	s_or_b32 exec_lo, exec_lo, s0
.LBB205_52:
	s_and_saveexec_b32 s0, s23
	s_cbranch_execz .LBB205_54
; %bb.53:
	v_lshlrev_b64 v[2:3], 2, v[2:3]
	s_delay_alu instid0(VALU_DEP_1) | instskip(NEXT) | instid1(VALU_DEP_2)
	v_add_co_u32 v2, vcc_lo, s5, v2
	v_add_co_ci_u32_e32 v3, vcc_lo, s22, v3, vcc_lo
	global_store_b32 v[2:3], v1, off
.LBB205_54:
	s_nop 0
	s_sendmsg sendmsg(MSG_DEALLOC_VGPRS)
	s_endpgm
	.section	.rodata,"a",@progbits
	.p2align	6, 0x0
	.amdhsa_kernel _ZL20rocblas_gemvn_kernelILi64ELi16ElPKfS1_KPfEviiT3_lPKT2_lT1_lS7_lS8_lS4_lPT4_lS8_li
		.amdhsa_group_segment_fixed_size 16384
		.amdhsa_private_segment_fixed_size 0
		.amdhsa_kernarg_size 400
		.amdhsa_user_sgpr_count 14
		.amdhsa_user_sgpr_dispatch_ptr 0
		.amdhsa_user_sgpr_queue_ptr 0
		.amdhsa_user_sgpr_kernarg_segment_ptr 1
		.amdhsa_user_sgpr_dispatch_id 0
		.amdhsa_user_sgpr_private_segment_size 0
		.amdhsa_wavefront_size32 1
		.amdhsa_uses_dynamic_stack 0
		.amdhsa_enable_private_segment 0
		.amdhsa_system_sgpr_workgroup_id_x 1
		.amdhsa_system_sgpr_workgroup_id_y 0
		.amdhsa_system_sgpr_workgroup_id_z 1
		.amdhsa_system_sgpr_workgroup_info 0
		.amdhsa_system_vgpr_workitem_id 1
		.amdhsa_next_free_vgpr 51
		.amdhsa_next_free_sgpr 35
		.amdhsa_reserve_vcc 1
		.amdhsa_float_round_mode_32 0
		.amdhsa_float_round_mode_16_64 0
		.amdhsa_float_denorm_mode_32 3
		.amdhsa_float_denorm_mode_16_64 3
		.amdhsa_dx10_clamp 1
		.amdhsa_ieee_mode 1
		.amdhsa_fp16_overflow 0
		.amdhsa_workgroup_processor_mode 1
		.amdhsa_memory_ordered 1
		.amdhsa_forward_progress 0
		.amdhsa_shared_vgpr_count 0
		.amdhsa_exception_fp_ieee_invalid_op 0
		.amdhsa_exception_fp_denorm_src 0
		.amdhsa_exception_fp_ieee_div_zero 0
		.amdhsa_exception_fp_ieee_overflow 0
		.amdhsa_exception_fp_ieee_underflow 0
		.amdhsa_exception_fp_ieee_inexact 0
		.amdhsa_exception_int_div_zero 0
	.end_amdhsa_kernel
	.section	.text._ZL20rocblas_gemvn_kernelILi64ELi16ElPKfS1_KPfEviiT3_lPKT2_lT1_lS7_lS8_lS4_lPT4_lS8_li,"axG",@progbits,_ZL20rocblas_gemvn_kernelILi64ELi16ElPKfS1_KPfEviiT3_lPKT2_lT1_lS7_lS8_lS4_lPT4_lS8_li,comdat
.Lfunc_end205:
	.size	_ZL20rocblas_gemvn_kernelILi64ELi16ElPKfS1_KPfEviiT3_lPKT2_lT1_lS7_lS8_lS4_lPT4_lS8_li, .Lfunc_end205-_ZL20rocblas_gemvn_kernelILi64ELi16ElPKfS1_KPfEviiT3_lPKT2_lT1_lS7_lS8_lS4_lPT4_lS8_li
                                        ; -- End function
	.section	.AMDGPU.csdata,"",@progbits
; Kernel info:
; codeLenInByte = 3404
; NumSgprs: 37
; NumVgprs: 51
; ScratchSize: 0
; MemoryBound: 0
; FloatMode: 240
; IeeeMode: 1
; LDSByteSize: 16384 bytes/workgroup (compile time only)
; SGPRBlocks: 4
; VGPRBlocks: 6
; NumSGPRsForWavesPerEU: 37
; NumVGPRsForWavesPerEU: 51
; Occupancy: 16
; WaveLimiterHint : 1
; COMPUTE_PGM_RSRC2:SCRATCH_EN: 0
; COMPUTE_PGM_RSRC2:USER_SGPR: 14
; COMPUTE_PGM_RSRC2:TRAP_HANDLER: 0
; COMPUTE_PGM_RSRC2:TGID_X_EN: 1
; COMPUTE_PGM_RSRC2:TGID_Y_EN: 0
; COMPUTE_PGM_RSRC2:TGID_Z_EN: 1
; COMPUTE_PGM_RSRC2:TIDIG_COMP_CNT: 1
	.section	.text._ZL20rocblas_gemvn_kernelILi64ELi16EiPKffKPfEviiT3_lPKT2_lT1_lS7_lS8_lS4_lPT4_lS8_li,"axG",@progbits,_ZL20rocblas_gemvn_kernelILi64ELi16EiPKffKPfEviiT3_lPKT2_lT1_lS7_lS8_lS4_lPT4_lS8_li,comdat
	.globl	_ZL20rocblas_gemvn_kernelILi64ELi16EiPKffKPfEviiT3_lPKT2_lT1_lS7_lS8_lS4_lPT4_lS8_li ; -- Begin function _ZL20rocblas_gemvn_kernelILi64ELi16EiPKffKPfEviiT3_lPKT2_lT1_lS7_lS8_lS4_lPT4_lS8_li
	.p2align	8
	.type	_ZL20rocblas_gemvn_kernelILi64ELi16EiPKffKPfEviiT3_lPKT2_lT1_lS7_lS8_lS4_lPT4_lS8_li,@function
_ZL20rocblas_gemvn_kernelILi64ELi16EiPKffKPfEviiT3_lPKT2_lT1_lS7_lS8_lS4_lPT4_lS8_li: ; @_ZL20rocblas_gemvn_kernelILi64ELi16EiPKffKPfEviiT3_lPKT2_lT1_lS7_lS8_lS4_lPT4_lS8_li
; %bb.0:
	s_load_b64 s[4:5], s[0:1], 0x9c
	s_waitcnt lgkmcnt(0)
	s_lshr_b32 s3, s4, 16
	s_and_b32 s4, s4, 0xffff
	s_and_b32 s5, s5, 0xffff
	s_mul_i32 s3, s3, s4
	s_delay_alu instid0(SALU_CYCLE_1) | instskip(NEXT) | instid1(SALU_CYCLE_1)
	s_mul_i32 s3, s3, s5
	s_cmpk_lg_i32 s3, 0x400
	s_cbranch_scc1 .LBB206_57
; %bb.1:
	s_load_b128 s[4:7], s[0:1], 0x0
	s_waitcnt lgkmcnt(0)
	s_load_b32 s7, s[0:1], 0x58
	v_cmp_eq_f32_e64 s12, s6, 0
	s_waitcnt lgkmcnt(0)
	v_cmp_eq_f32_e64 s3, s7, 1.0
	s_delay_alu instid0(VALU_DEP_1) | instskip(NEXT) | instid1(SALU_CYCLE_1)
	s_and_b32 s3, s12, s3
	s_and_b32 vcc_lo, exec_lo, s3
	s_cbranch_vccnz .LBB206_57
; %bb.2:
	v_cmp_neq_f32_e64 s10, s6, 0
	s_mov_b32 s2, s15
	s_delay_alu instid0(VALU_DEP_1)
	s_and_b32 vcc_lo, exec_lo, s10
	s_cbranch_vccnz .LBB206_4
; %bb.3:
	s_mov_b32 s3, 0
	s_mov_b64 s[8:9], 0
	s_cbranch_execz .LBB206_5
	s_branch .LBB206_6
.LBB206_4:
	s_mov_b32 s3, -1
                                        ; implicit-def: $sgpr8_sgpr9
.LBB206_5:
	s_load_b128 s[16:19], s[0:1], 0x18
	s_mov_b32 s3, 0
	s_delay_alu instid0(SALU_CYCLE_1)
	s_lshl_b64 s[8:9], s[2:3], 3
	s_waitcnt lgkmcnt(0)
	s_add_u32 s8, s16, s8
	s_addc_u32 s9, s17, s9
	s_lshl_b64 s[16:17], s[18:19], 2
	s_load_b64 s[8:9], s[8:9], 0x0
	s_waitcnt lgkmcnt(0)
	s_add_u32 s8, s8, s16
	s_addc_u32 s9, s9, s17
.LBB206_6:
	s_and_not1_b32 vcc_lo, exec_lo, s10
	s_cbranch_vccnz .LBB206_8
; %bb.7:
	s_load_b128 s[16:19], s[0:1], 0x38
	s_lshl_b64 s[10:11], s[2:3], 3
	s_waitcnt lgkmcnt(0)
	s_add_u32 s10, s16, s10
	s_addc_u32 s11, s17, s11
	s_lshl_b64 s[16:17], s[18:19], 2
	s_load_b64 s[10:11], s[10:11], 0x0
	s_waitcnt lgkmcnt(0)
	s_add_u32 s10, s10, s16
	s_addc_u32 s11, s11, s17
	s_branch .LBB206_9
.LBB206_8:
	s_mov_b64 s[10:11], 0
.LBB206_9:
	s_clause 0x1
	s_load_b128 s[20:23], s[0:1], 0x68
	s_load_b32 s16, s[0:1], 0x78
	s_lshl_b64 s[2:3], s[2:3], 3
	v_and_b32_e32 v1, 0x3ff, v0
	v_bfe_u32 v13, v0, 10, 10
	s_delay_alu instid0(VALU_DEP_1)
	v_lshl_add_u32 v0, v13, 6, v1
	s_waitcnt lgkmcnt(0)
	s_add_u32 s2, s20, s2
	s_addc_u32 s3, s21, s3
	s_lshl_b64 s[20:21], s[22:23], 2
	s_load_b64 s[18:19], s[2:3], 0x0
	v_cmp_gt_u32_e64 s2, 0x100, v0
	s_waitcnt lgkmcnt(0)
	s_add_u32 s13, s18, s20
	s_addc_u32 s15, s19, s21
	s_and_not1_b32 vcc_lo, exec_lo, s12
	s_cbranch_vccnz .LBB206_16
; %bb.10:
	s_mov_b32 s3, 0
	s_mov_b32 s17, 0
                                        ; implicit-def: $vgpr3
                                        ; implicit-def: $vgpr4_vgpr5
	s_and_saveexec_b32 s12, s2
	s_cbranch_execz .LBB206_17
; %bb.11:
	v_lshl_or_b32 v2, s14, 8, v0
	v_mov_b32_e32 v3, 0
	s_ashr_i32 s19, s4, 31
	s_mov_b32 s18, s4
	s_mov_b32 s2, exec_lo
                                        ; implicit-def: $vgpr4_vgpr5
	s_delay_alu instid0(VALU_DEP_1)
	v_cmpx_gt_i64_e64 s[18:19], v[2:3]
	s_cbranch_execz .LBB206_15
; %bb.12:
	v_mad_u64_u32 v[4:5], null, s16, v2, 0
	s_ashr_i32 s17, s16, 31
	s_delay_alu instid0(VALU_DEP_1) | instid1(SALU_CYCLE_1)
	v_mad_u64_u32 v[6:7], null, s17, v2, v[5:6]
	v_cmp_eq_f32_e64 s17, s7, 0
	s_delay_alu instid0(VALU_DEP_1) | instskip(NEXT) | instid1(VALU_DEP_2)
	s_and_b32 vcc_lo, exec_lo, s17
	v_mov_b32_e32 v5, v6
	s_cbranch_vccnz .LBB206_14
; %bb.13:
	s_delay_alu instid0(VALU_DEP_1) | instskip(NEXT) | instid1(VALU_DEP_1)
	v_lshlrev_b64 v[2:3], 2, v[4:5]
	v_add_co_u32 v2, vcc_lo, s13, v2
	s_delay_alu instid0(VALU_DEP_2)
	v_add_co_ci_u32_e32 v3, vcc_lo, s15, v3, vcc_lo
	global_load_b32 v2, v[2:3], off
	s_waitcnt vmcnt(0)
	v_mul_f32_e32 v3, s7, v2
.LBB206_14:
	s_mov_b32 s17, exec_lo
.LBB206_15:
	s_or_b32 exec_lo, exec_lo, s2
	s_delay_alu instid0(SALU_CYCLE_1) | instskip(SKIP_1) | instid1(SALU_CYCLE_1)
	s_and_b32 s17, s17, exec_lo
	s_or_b32 exec_lo, exec_lo, s12
	s_and_b32 vcc_lo, exec_lo, s3
	s_cbranch_vccnz .LBB206_18
	s_branch .LBB206_55
.LBB206_16:
	s_mov_b32 s17, 0
                                        ; implicit-def: $vgpr3
                                        ; implicit-def: $vgpr4_vgpr5
	s_cbranch_execnz .LBB206_18
	s_branch .LBB206_55
.LBB206_17:
	s_or_b32 exec_lo, exec_lo, s12
	s_delay_alu instid0(SALU_CYCLE_1)
	s_and_b32 vcc_lo, exec_lo, s3
	s_cbranch_vccz .LBB206_55
.LBB206_18:
	s_clause 0x1
	s_load_b32 s18, s[0:1], 0x28
	s_load_b32 s12, s[0:1], 0x48
	s_ashr_i32 s0, s5, 31
	s_lshl_b32 s14, s14, 8
	s_lshr_b32 s0, s0, 26
	v_dual_mov_b32 v14, 0 :: v_dual_lshlrev_b32 v19, 2, v13
	v_dual_mov_b32 v15, 0 :: v_dual_add_nc_u32 v18, s14, v1
	v_dual_mov_b32 v16, 0 :: v_dual_mov_b32 v17, 0
	s_add_i32 s19, s5, s0
	s_mov_b32 s20, exec_lo
	s_and_not1_b32 s19, s19, 63
	s_delay_alu instid0(SALU_CYCLE_1)
	v_cmpx_gt_i32_e64 s19, v19
	s_cbranch_execz .LBB206_30
; %bb.19:
	s_waitcnt lgkmcnt(0)
	v_mul_lo_u32 v3, s18, v19
	v_dual_mov_b32 v15, 0 :: v_dual_add_nc_u32 v2, 64, v18
	v_add_nc_u32_e32 v6, 2, v19
	v_dual_mov_b32 v14, 0 :: v_dual_add_nc_u32 v5, 0xc0, v18
	s_delay_alu instid0(VALU_DEP_3)
	v_cmp_gt_i32_e64 s0, s4, v2
	v_dual_mov_b32 v17, 0 :: v_dual_add_nc_u32 v4, 0x80, v18
	v_add3_u32 v20, v3, s18, v1
	v_mad_u64_u32 v[2:3], null, s18, v6, v[1:2]
	v_cmp_gt_i32_e64 s2, s4, v5
	v_mul_lo_u32 v5, v13, s18
	v_dual_mov_b32 v16, 0 :: v_dual_add_nc_u32 v7, 3, v19
	v_mul_lo_u32 v8, v13, s12
	v_cmp_gt_i32_e64 s1, s4, v4
	v_mul_lo_u32 v22, s12, v6
	s_delay_alu instid0(VALU_DEP_4)
	v_mad_u64_u32 v[3:4], null, s18, v7, v[1:2]
	v_lshl_add_u32 v21, v5, 2, v1
	v_mad_u64_u32 v[4:5], null, s12, v19, s[12:13]
	v_mul_lo_u32 v23, s12, v7
	v_cmp_gt_i32_e32 vcc_lo, s4, v18
	v_lshlrev_b32_e32 v24, 2, v8
	s_lshl_b32 s21, s18, 6
	s_lshl_b32 s23, s12, 6
	s_mov_b32 s22, 0
	s_mov_b32 s24, 0
	s_branch .LBB206_24
.LBB206_20:                             ;   in Loop: Header=BB206_24 Depth=1
	s_or_b32 exec_lo, exec_lo, s27
	s_waitcnt vmcnt(3) lgkmcnt(3)
	v_fmac_f32_e32 v16, v28, v40
	s_waitcnt vmcnt(2) lgkmcnt(2)
	s_delay_alu instid0(VALU_DEP_1) | instskip(SKIP_1) | instid1(VALU_DEP_1)
	v_fmac_f32_e32 v16, v27, v39
	s_waitcnt vmcnt(1) lgkmcnt(1)
	v_fmac_f32_e32 v16, v26, v38
	s_waitcnt vmcnt(0) lgkmcnt(0)
	s_delay_alu instid0(VALU_DEP_1)
	v_fmac_f32_e32 v16, v25, v37
.LBB206_21:                             ;   in Loop: Header=BB206_24 Depth=1
	s_or_b32 exec_lo, exec_lo, s26
	s_waitcnt vmcnt(3) lgkmcnt(3)
	v_fmac_f32_e32 v15, v28, v36
	s_waitcnt vmcnt(2) lgkmcnt(2)
	s_delay_alu instid0(VALU_DEP_1) | instskip(SKIP_1) | instid1(VALU_DEP_1)
	v_fmac_f32_e32 v15, v27, v35
	s_waitcnt vmcnt(1) lgkmcnt(1)
	v_fmac_f32_e32 v15, v26, v34
	s_waitcnt vmcnt(0) lgkmcnt(0)
	s_delay_alu instid0(VALU_DEP_1)
	v_fmac_f32_e32 v15, v25, v33
.LBB206_22:                             ;   in Loop: Header=BB206_24 Depth=1
	s_or_b32 exec_lo, exec_lo, s3
	s_waitcnt vmcnt(3) lgkmcnt(3)
	v_fmac_f32_e32 v14, v28, v32
	s_waitcnt vmcnt(2) lgkmcnt(2)
	s_delay_alu instid0(VALU_DEP_1) | instskip(SKIP_1) | instid1(VALU_DEP_1)
	v_fmac_f32_e32 v14, v27, v30
	s_waitcnt vmcnt(1) lgkmcnt(1)
	v_fmac_f32_e32 v14, v26, v29
	s_waitcnt vmcnt(0) lgkmcnt(0)
	s_delay_alu instid0(VALU_DEP_1)
	v_fmac_f32_e32 v14, v25, v31
.LBB206_23:                             ;   in Loop: Header=BB206_24 Depth=1
	s_or_b32 exec_lo, exec_lo, s25
	v_add_nc_u32_e32 v19, 64, v19
	v_add_nc_u32_e32 v20, s21, v20
	;; [unrolled: 1-line block ×5, first 2 shown]
	v_cmp_le_i32_e64 s3, s19, v19
	s_add_i32 s24, s24, s23
	s_delay_alu instid0(VALU_DEP_1) | instskip(NEXT) | instid1(SALU_CYCLE_1)
	s_or_b32 s22, s3, s22
	s_and_not1_b32 exec_lo, exec_lo, s22
	s_cbranch_execz .LBB206_29
.LBB206_24:                             ; =>This Inner Loop Header: Depth=1
	s_and_saveexec_b32 s25, vcc_lo
	s_cbranch_execz .LBB206_23
; %bb.25:                               ;   in Loop: Header=BB206_24 Depth=1
	v_add_nc_u32_e32 v5, s24, v24
	v_add_nc_u32_e32 v7, s24, v4
	;; [unrolled: 1-line block ×5, first 2 shown]
	v_ashrrev_i32_e32 v6, 31, v5
	v_ashrrev_i32_e32 v8, 31, v7
	;; [unrolled: 1-line block ×5, first 2 shown]
	v_lshlrev_b64 v[5:6], 2, v[5:6]
	v_lshlrev_b64 v[7:8], 2, v[7:8]
	;; [unrolled: 1-line block ×3, first 2 shown]
	s_delay_alu instid0(VALU_DEP_3) | instskip(NEXT) | instid1(VALU_DEP_1)
	v_add_co_u32 v27, s3, s10, v5
	v_add_co_ci_u32_e64 v28, s3, s11, v6, s3
	s_delay_alu instid0(VALU_DEP_4)
	v_add_co_u32 v29, s3, s10, v7
	v_add_nc_u32_e32 v7, s14, v20
	v_add_co_ci_u32_e64 v30, s3, s11, v8, s3
	v_lshlrev_b64 v[5:6], 2, v[11:12]
	v_add_co_u32 v31, s3, s10, v9
	v_add_nc_u32_e32 v11, s14, v2
	v_add_co_ci_u32_e64 v32, s3, s11, v10, s3
	v_lshlrev_b64 v[9:10], 2, v[25:26]
	v_ashrrev_i32_e32 v8, 31, v7
	v_add_nc_u32_e32 v25, s14, v3
	v_add_co_u32 v33, s3, s10, v5
	v_ashrrev_i32_e32 v12, 31, v11
	v_add_co_ci_u32_e64 v34, s3, s11, v6, s3
	v_lshlrev_b64 v[7:8], 2, v[7:8]
	v_add_co_u32 v5, s3, s8, v9
	v_ashrrev_i32_e32 v26, 31, v25
	v_add_co_ci_u32_e64 v6, s3, s9, v10, s3
	v_lshlrev_b64 v[9:10], 2, v[11:12]
	v_add_co_u32 v7, s3, s8, v7
	s_delay_alu instid0(VALU_DEP_4) | instskip(SKIP_1) | instid1(VALU_DEP_4)
	v_lshlrev_b64 v[25:26], 2, v[25:26]
	v_add_co_ci_u32_e64 v8, s3, s9, v8, s3
	v_add_co_u32 v11, s3, s8, v9
	s_delay_alu instid0(VALU_DEP_1) | instskip(NEXT) | instid1(VALU_DEP_4)
	v_add_co_ci_u32_e64 v12, s3, s9, v10, s3
	v_add_co_u32 v9, s3, s8, v25
	s_delay_alu instid0(VALU_DEP_1)
	v_add_co_ci_u32_e64 v10, s3, s9, v26, s3
	s_clause 0x3
	flat_load_b32 v28, v[27:28]
	flat_load_b32 v27, v[29:30]
	;; [unrolled: 1-line block ×4, first 2 shown]
	s_clause 0x3
	flat_load_b32 v32, v[5:6]
	flat_load_b32 v30, v[7:8]
	;; [unrolled: 1-line block ×4, first 2 shown]
	s_and_saveexec_b32 s3, s0
	s_cbranch_execz .LBB206_22
; %bb.26:                               ;   in Loop: Header=BB206_24 Depth=1
	s_clause 0x3
	flat_load_b32 v36, v[5:6] offset:256
	flat_load_b32 v35, v[7:8] offset:256
	flat_load_b32 v34, v[11:12] offset:256
	flat_load_b32 v33, v[9:10] offset:256
	s_and_saveexec_b32 s26, s1
	s_cbranch_execz .LBB206_21
; %bb.27:                               ;   in Loop: Header=BB206_24 Depth=1
	s_clause 0x3
	flat_load_b32 v40, v[5:6] offset:512
	flat_load_b32 v39, v[7:8] offset:512
	flat_load_b32 v38, v[11:12] offset:512
	flat_load_b32 v37, v[9:10] offset:512
	;; [unrolled: 8-line block ×3, first 2 shown]
	s_waitcnt vmcnt(3) lgkmcnt(3)
	v_fmac_f32_e32 v17, v28, v5
	s_waitcnt vmcnt(2) lgkmcnt(2)
	s_delay_alu instid0(VALU_DEP_1) | instskip(SKIP_1) | instid1(VALU_DEP_1)
	v_fmac_f32_e32 v17, v27, v6
	s_waitcnt vmcnt(1) lgkmcnt(1)
	v_fmac_f32_e32 v17, v26, v7
	s_waitcnt vmcnt(0) lgkmcnt(0)
	s_delay_alu instid0(VALU_DEP_1)
	v_fmac_f32_e32 v17, v25, v8
	s_branch .LBB206_20
.LBB206_29:
	s_or_b32 exec_lo, exec_lo, s22
.LBB206_30:
	s_delay_alu instid0(SALU_CYCLE_1) | instskip(SKIP_1) | instid1(SALU_CYCLE_1)
	s_or_b32 exec_lo, exec_lo, s20
	s_sub_i32 s0, s5, s19
	s_cmp_lt_i32 s0, 1
	s_cbranch_scc1 .LBB206_48
; %bb.31:
	v_cmp_gt_i32_e32 vcc_lo, s5, v19
	v_dual_mov_b32 v12, 0 :: v_dual_mov_b32 v11, 0
	v_or_b32_e32 v2, 1, v19
	v_mov_b32_e32 v20, 0
	v_mov_b32_e32 v10, 0
	s_and_saveexec_b32 s1, vcc_lo
	s_cbranch_execz .LBB206_39
; %bb.32:
	s_waitcnt lgkmcnt(0)
	v_mul_lo_u32 v3, v19, s12
	v_dual_mov_b32 v11, 0 :: v_dual_mov_b32 v20, 0
	v_mov_b32_e32 v12, 0
	s_mov_b32 s2, exec_lo
	s_delay_alu instid0(VALU_DEP_3) | instskip(NEXT) | instid1(VALU_DEP_1)
	v_ashrrev_i32_e32 v4, 31, v3
	v_lshlrev_b64 v[3:4], 2, v[3:4]
	s_delay_alu instid0(VALU_DEP_1) | instskip(NEXT) | instid1(VALU_DEP_1)
	v_add_co_u32 v3, s0, s10, v3
	v_add_co_ci_u32_e64 v4, s0, s11, v4, s0
	flat_load_b32 v10, v[3:4]
	v_cmpx_gt_i32_e64 s5, v2
	s_cbranch_execz .LBB206_38
; %bb.33:
	v_mul_lo_u32 v3, v2, s12
	v_mov_b32_e32 v20, 0
	v_mov_b32_e32 v12, 0
	s_mov_b32 s3, exec_lo
	s_delay_alu instid0(VALU_DEP_3) | instskip(NEXT) | instid1(VALU_DEP_1)
	v_ashrrev_i32_e32 v4, 31, v3
	v_lshlrev_b64 v[3:4], 2, v[3:4]
	s_delay_alu instid0(VALU_DEP_1) | instskip(NEXT) | instid1(VALU_DEP_1)
	v_add_co_u32 v3, s0, s10, v3
	v_add_co_ci_u32_e64 v4, s0, s11, v4, s0
	flat_load_b32 v11, v[3:4]
	v_or_b32_e32 v3, 2, v19
	s_delay_alu instid0(VALU_DEP_1)
	v_cmpx_gt_i32_e64 s5, v3
	s_cbranch_execz .LBB206_37
; %bb.34:
	v_mul_lo_u32 v3, v3, s12
	v_mov_b32_e32 v12, 0
	s_mov_b32 s19, exec_lo
	s_delay_alu instid0(VALU_DEP_2) | instskip(NEXT) | instid1(VALU_DEP_1)
	v_ashrrev_i32_e32 v4, 31, v3
	v_lshlrev_b64 v[3:4], 2, v[3:4]
	s_delay_alu instid0(VALU_DEP_1) | instskip(NEXT) | instid1(VALU_DEP_1)
	v_add_co_u32 v3, s0, s10, v3
	v_add_co_ci_u32_e64 v4, s0, s11, v4, s0
	flat_load_b32 v20, v[3:4]
	v_or_b32_e32 v3, 3, v19
	s_delay_alu instid0(VALU_DEP_1)
	v_cmpx_gt_i32_e64 s5, v3
	s_cbranch_execz .LBB206_36
; %bb.35:
	v_mul_lo_u32 v3, v3, s12
	s_delay_alu instid0(VALU_DEP_1) | instskip(NEXT) | instid1(VALU_DEP_1)
	v_ashrrev_i32_e32 v4, 31, v3
	v_lshlrev_b64 v[3:4], 2, v[3:4]
	s_delay_alu instid0(VALU_DEP_1) | instskip(NEXT) | instid1(VALU_DEP_1)
	v_add_co_u32 v3, s0, s10, v3
	v_add_co_ci_u32_e64 v4, s0, s11, v4, s0
	flat_load_b32 v12, v[3:4]
.LBB206_36:
	s_or_b32 exec_lo, exec_lo, s19
.LBB206_37:
	s_delay_alu instid0(SALU_CYCLE_1)
	s_or_b32 exec_lo, exec_lo, s3
.LBB206_38:
	s_delay_alu instid0(SALU_CYCLE_1)
	s_or_b32 exec_lo, exec_lo, s2
.LBB206_39:
	s_delay_alu instid0(SALU_CYCLE_1) | instskip(NEXT) | instid1(SALU_CYCLE_1)
	s_or_b32 exec_lo, exec_lo, s1
	s_mov_b32 s1, exec_lo
	v_cmpx_gt_i32_e64 s4, v18
	s_cbranch_execz .LBB206_47
; %bb.40:
	s_waitcnt lgkmcnt(0)
	v_mul_lo_u32 v3, v19, s18
	v_mul_lo_u32 v5, v2, s18
	v_or_b32_e32 v4, 2, v19
	v_or_b32_e32 v6, 3, v19
	s_mov_b32 s0, exec_lo
	s_delay_alu instid0(VALU_DEP_2)
	v_mul_lo_u32 v7, v4, s18
	v_cndmask_b32_e32 v3, 0, v3, vcc_lo
	v_cmp_gt_i32_e32 vcc_lo, s5, v2
	v_mul_lo_u32 v8, v6, s18
	v_cndmask_b32_e32 v5, 0, v5, vcc_lo
	v_cmp_gt_i32_e32 vcc_lo, s5, v4
	s_delay_alu instid0(VALU_DEP_2) | instskip(SKIP_2) | instid1(VALU_DEP_3)
	v_add_nc_u32_e32 v4, v5, v18
	v_dual_cndmask_b32 v7, 0, v7 :: v_dual_add_nc_u32 v2, v3, v18
	v_cmp_gt_i32_e32 vcc_lo, s5, v6
	v_ashrrev_i32_e32 v5, 31, v4
	s_delay_alu instid0(VALU_DEP_3) | instskip(SKIP_2) | instid1(VALU_DEP_4)
	v_ashrrev_i32_e32 v3, 31, v2
	v_cndmask_b32_e32 v8, 0, v8, vcc_lo
	v_add_nc_u32_e32 v6, v7, v18
	v_lshlrev_b64 v[4:5], 2, v[4:5]
	s_delay_alu instid0(VALU_DEP_4) | instskip(NEXT) | instid1(VALU_DEP_4)
	v_lshlrev_b64 v[2:3], 2, v[2:3]
	v_add_nc_u32_e32 v8, v8, v18
	s_delay_alu instid0(VALU_DEP_4) | instskip(NEXT) | instid1(VALU_DEP_2)
	v_ashrrev_i32_e32 v7, 31, v6
	v_ashrrev_i32_e32 v9, 31, v8
	s_delay_alu instid0(VALU_DEP_2)
	v_lshlrev_b64 v[21:22], 2, v[6:7]
	v_add_co_u32 v6, vcc_lo, s8, v2
	v_add_co_ci_u32_e32 v7, vcc_lo, s9, v3, vcc_lo
	v_add_co_u32 v2, vcc_lo, s8, v4
	v_add_co_ci_u32_e32 v3, vcc_lo, s9, v5, vcc_lo
	flat_load_b32 v23, v[6:7]
	v_add_co_u32 v4, vcc_lo, s8, v21
	v_add_co_ci_u32_e32 v5, vcc_lo, s9, v22, vcc_lo
	v_lshlrev_b64 v[8:9], 2, v[8:9]
	s_clause 0x1
	flat_load_b32 v21, v[2:3]
	flat_load_b32 v22, v[4:5]
	v_add_co_u32 v8, vcc_lo, s8, v8
	v_add_co_ci_u32_e32 v9, vcc_lo, s9, v9, vcc_lo
	flat_load_b32 v19, v[8:9]
	s_waitcnt vmcnt(3) lgkmcnt(3)
	v_fmac_f32_e32 v14, v10, v23
	s_waitcnt vmcnt(2) lgkmcnt(2)
	s_delay_alu instid0(VALU_DEP_1) | instskip(SKIP_1) | instid1(VALU_DEP_1)
	v_dual_fmac_f32 v14, v11, v21 :: v_dual_add_nc_u32 v21, 64, v18
	s_waitcnt vmcnt(1) lgkmcnt(1)
	v_fmac_f32_e32 v14, v20, v22
	s_delay_alu instid0(VALU_DEP_2)
	v_cmpx_gt_i32_e64 s4, v21
	s_cbranch_execz .LBB206_46
; %bb.41:
	s_clause 0x3
	flat_load_b32 v22, v[6:7] offset:256
	flat_load_b32 v23, v[2:3] offset:256
	flat_load_b32 v24, v[4:5] offset:256
	flat_load_b32 v21, v[8:9] offset:256
	s_mov_b32 s2, exec_lo
	s_waitcnt vmcnt(3) lgkmcnt(3)
	v_fmac_f32_e32 v15, v10, v22
	s_waitcnt vmcnt(2) lgkmcnt(2)
	s_delay_alu instid0(VALU_DEP_1) | instskip(SKIP_1) | instid1(VALU_DEP_1)
	v_dual_fmac_f32 v15, v11, v23 :: v_dual_add_nc_u32 v22, 0x80, v18
	s_waitcnt vmcnt(1) lgkmcnt(1)
	v_fmac_f32_e32 v15, v20, v24
	s_delay_alu instid0(VALU_DEP_2)
	v_cmpx_gt_i32_e64 s4, v22
	s_cbranch_execz .LBB206_45
; %bb.42:
	s_clause 0x3
	flat_load_b32 v23, v[6:7] offset:512
	flat_load_b32 v24, v[2:3] offset:512
	;; [unrolled: 1-line block ×4, first 2 shown]
	v_add_nc_u32_e32 v18, 0xc0, v18
	s_mov_b32 s3, exec_lo
	s_waitcnt vmcnt(3) lgkmcnt(3)
	v_fmac_f32_e32 v16, v10, v23
	s_waitcnt vmcnt(2) lgkmcnt(2)
	s_delay_alu instid0(VALU_DEP_1) | instskip(SKIP_1) | instid1(VALU_DEP_1)
	v_fmac_f32_e32 v16, v11, v24
	s_waitcnt vmcnt(1) lgkmcnt(1)
	v_fmac_f32_e32 v16, v20, v25
	v_cmpx_gt_i32_e64 s4, v18
	s_cbranch_execz .LBB206_44
; %bb.43:
	s_clause 0x3
	flat_load_b32 v6, v[6:7] offset:768
	flat_load_b32 v2, v[2:3] offset:768
	;; [unrolled: 1-line block ×4, first 2 shown]
	s_waitcnt vmcnt(3) lgkmcnt(3)
	v_fmac_f32_e32 v17, v10, v6
	s_waitcnt vmcnt(2) lgkmcnt(2)
	s_delay_alu instid0(VALU_DEP_1) | instskip(SKIP_1) | instid1(VALU_DEP_1)
	v_fmac_f32_e32 v17, v11, v2
	s_waitcnt vmcnt(1) lgkmcnt(1)
	v_fmac_f32_e32 v17, v20, v3
	s_waitcnt vmcnt(0) lgkmcnt(0)
	s_delay_alu instid0(VALU_DEP_1)
	v_fmac_f32_e32 v17, v12, v4
.LBB206_44:
	s_or_b32 exec_lo, exec_lo, s3
	s_waitcnt vmcnt(0) lgkmcnt(0)
	v_fmac_f32_e32 v16, v12, v22
.LBB206_45:
	s_or_b32 exec_lo, exec_lo, s2
	s_waitcnt vmcnt(0) lgkmcnt(0)
	v_fmac_f32_e32 v15, v12, v21
.LBB206_46:
	s_or_b32 exec_lo, exec_lo, s0
	s_waitcnt vmcnt(0) lgkmcnt(0)
	v_fmac_f32_e32 v14, v12, v19
.LBB206_47:
	s_or_b32 exec_lo, exec_lo, s1
.LBB206_48:
	v_lshlrev_b32_e32 v2, 8, v13
	s_mov_b32 s0, exec_lo
                                        ; implicit-def: $vgpr3
                                        ; implicit-def: $vgpr4_vgpr5
	s_delay_alu instid0(VALU_DEP_1)
	v_add_lshl_u32 v1, v2, v1, 2
	ds_store_2addr_stride64_b32 v1, v14, v15 offset1:1
	ds_store_2addr_stride64_b32 v1, v16, v17 offset0:2 offset1:3
	s_waitcnt vmcnt(0) lgkmcnt(0)
	s_barrier
	buffer_gl0_inv
	v_cmpx_gt_u32_e32 0x100, v0
	s_cbranch_execz .LBB206_54
; %bb.49:
	v_lshlrev_b32_e32 v7, 2, v0
	s_mov_b32 s2, s17
	s_mov_b32 s1, exec_lo
	ds_load_2addr_stride64_b32 v[1:2], v7 offset1:4
	ds_load_2addr_stride64_b32 v[3:4], v7 offset0:8 offset1:12
	ds_load_2addr_stride64_b32 v[5:6], v7 offset0:16 offset1:20
	s_waitcnt lgkmcnt(2)
	v_add_f32_e32 v8, v1, v2
	ds_load_2addr_stride64_b32 v[1:2], v7 offset0:24 offset1:28
	s_waitcnt lgkmcnt(2)
	v_add_f32_e32 v3, v3, v8
	s_delay_alu instid0(VALU_DEP_1) | instskip(SKIP_3) | instid1(VALU_DEP_1)
	v_add_f32_e32 v8, v4, v3
	ds_load_2addr_stride64_b32 v[3:4], v7 offset0:32 offset1:36
	s_waitcnt lgkmcnt(2)
	v_add_f32_e32 v5, v5, v8
	v_add_f32_e32 v8, v6, v5
	ds_load_2addr_stride64_b32 v[5:6], v7 offset0:40 offset1:44
	s_waitcnt lgkmcnt(2)
	v_add_f32_e32 v1, v1, v8
	s_delay_alu instid0(VALU_DEP_1) | instskip(SKIP_1) | instid1(VALU_DEP_1)
	v_add_f32_e32 v1, v2, v1
	s_waitcnt lgkmcnt(1)
	v_add_f32_e32 v3, v3, v1
	ds_load_2addr_stride64_b32 v[1:2], v7 offset0:48 offset1:52
	v_add_f32_e32 v3, v4, v3
	s_waitcnt lgkmcnt(1)
	s_delay_alu instid0(VALU_DEP_1) | instskip(SKIP_3) | instid1(VALU_DEP_1)
	v_add_f32_e32 v5, v5, v3
	ds_load_2addr_stride64_b32 v[3:4], v7 offset0:56 offset1:60
	v_add_f32_e32 v5, v6, v5
	s_waitcnt lgkmcnt(1)
	v_add_f32_e32 v1, v1, v5
	s_delay_alu instid0(VALU_DEP_1) | instskip(SKIP_1) | instid1(VALU_DEP_1)
	v_add_f32_e32 v1, v2, v1
	s_waitcnt lgkmcnt(0)
	v_add_f32_e32 v2, v3, v1
	v_or_b32_e32 v1, s14, v0
                                        ; implicit-def: $vgpr3
	s_delay_alu instid0(VALU_DEP_2)
	v_add_f32_e32 v0, v4, v2
                                        ; implicit-def: $vgpr4_vgpr5
	ds_store_b32 v7, v0
	v_cmpx_gt_i32_e64 s4, v1
	s_cbranch_execz .LBB206_53
; %bb.50:
	v_mul_lo_u32 v4, v1, s16
	v_cmp_eq_f32_e64 s2, s7, 0
	v_mul_f32_e32 v3, s6, v0
	s_delay_alu instid0(VALU_DEP_2) | instskip(NEXT) | instid1(VALU_DEP_3)
	s_and_b32 vcc_lo, exec_lo, s2
	v_ashrrev_i32_e32 v5, 31, v4
	s_cbranch_vccnz .LBB206_52
; %bb.51:
	s_delay_alu instid0(VALU_DEP_1) | instskip(NEXT) | instid1(VALU_DEP_1)
	v_lshlrev_b64 v[0:1], 2, v[4:5]
	v_add_co_u32 v0, vcc_lo, s13, v0
	s_delay_alu instid0(VALU_DEP_2)
	v_add_co_ci_u32_e32 v1, vcc_lo, s15, v1, vcc_lo
	global_load_b32 v0, v[0:1], off
	s_waitcnt vmcnt(0)
	v_fmac_f32_e32 v3, s7, v0
.LBB206_52:
	s_or_b32 s2, s17, exec_lo
.LBB206_53:
	s_or_b32 exec_lo, exec_lo, s1
	s_delay_alu instid0(SALU_CYCLE_1) | instskip(SKIP_1) | instid1(SALU_CYCLE_1)
	s_and_not1_b32 s1, s17, exec_lo
	s_and_b32 s2, s2, exec_lo
	s_or_b32 s17, s1, s2
.LBB206_54:
	s_or_b32 exec_lo, exec_lo, s0
.LBB206_55:
	s_and_saveexec_b32 s0, s17
	s_cbranch_execz .LBB206_57
; %bb.56:
	v_lshlrev_b64 v[0:1], 2, v[4:5]
	s_delay_alu instid0(VALU_DEP_1) | instskip(NEXT) | instid1(VALU_DEP_2)
	v_add_co_u32 v0, vcc_lo, s13, v0
	v_add_co_ci_u32_e32 v1, vcc_lo, s15, v1, vcc_lo
	global_store_b32 v[0:1], v3, off
.LBB206_57:
	s_nop 0
	s_sendmsg sendmsg(MSG_DEALLOC_VGPRS)
	s_endpgm
	.section	.rodata,"a",@progbits
	.p2align	6, 0x0
	.amdhsa_kernel _ZL20rocblas_gemvn_kernelILi64ELi16EiPKffKPfEviiT3_lPKT2_lT1_lS7_lS8_lS4_lPT4_lS8_li
		.amdhsa_group_segment_fixed_size 16384
		.amdhsa_private_segment_fixed_size 0
		.amdhsa_kernarg_size 400
		.amdhsa_user_sgpr_count 14
		.amdhsa_user_sgpr_dispatch_ptr 0
		.amdhsa_user_sgpr_queue_ptr 0
		.amdhsa_user_sgpr_kernarg_segment_ptr 1
		.amdhsa_user_sgpr_dispatch_id 0
		.amdhsa_user_sgpr_private_segment_size 0
		.amdhsa_wavefront_size32 1
		.amdhsa_uses_dynamic_stack 0
		.amdhsa_enable_private_segment 0
		.amdhsa_system_sgpr_workgroup_id_x 1
		.amdhsa_system_sgpr_workgroup_id_y 0
		.amdhsa_system_sgpr_workgroup_id_z 1
		.amdhsa_system_sgpr_workgroup_info 0
		.amdhsa_system_vgpr_workitem_id 1
		.amdhsa_next_free_vgpr 41
		.amdhsa_next_free_sgpr 28
		.amdhsa_reserve_vcc 1
		.amdhsa_float_round_mode_32 0
		.amdhsa_float_round_mode_16_64 0
		.amdhsa_float_denorm_mode_32 3
		.amdhsa_float_denorm_mode_16_64 3
		.amdhsa_dx10_clamp 1
		.amdhsa_ieee_mode 1
		.amdhsa_fp16_overflow 0
		.amdhsa_workgroup_processor_mode 1
		.amdhsa_memory_ordered 1
		.amdhsa_forward_progress 0
		.amdhsa_shared_vgpr_count 0
		.amdhsa_exception_fp_ieee_invalid_op 0
		.amdhsa_exception_fp_denorm_src 0
		.amdhsa_exception_fp_ieee_div_zero 0
		.amdhsa_exception_fp_ieee_overflow 0
		.amdhsa_exception_fp_ieee_underflow 0
		.amdhsa_exception_fp_ieee_inexact 0
		.amdhsa_exception_int_div_zero 0
	.end_amdhsa_kernel
	.section	.text._ZL20rocblas_gemvn_kernelILi64ELi16EiPKffKPfEviiT3_lPKT2_lT1_lS7_lS8_lS4_lPT4_lS8_li,"axG",@progbits,_ZL20rocblas_gemvn_kernelILi64ELi16EiPKffKPfEviiT3_lPKT2_lT1_lS7_lS8_lS4_lPT4_lS8_li,comdat
.Lfunc_end206:
	.size	_ZL20rocblas_gemvn_kernelILi64ELi16EiPKffKPfEviiT3_lPKT2_lT1_lS7_lS8_lS4_lPT4_lS8_li, .Lfunc_end206-_ZL20rocblas_gemvn_kernelILi64ELi16EiPKffKPfEviiT3_lPKT2_lT1_lS7_lS8_lS4_lPT4_lS8_li
                                        ; -- End function
	.section	.AMDGPU.csdata,"",@progbits
; Kernel info:
; codeLenInByte = 3004
; NumSgprs: 30
; NumVgprs: 41
; ScratchSize: 0
; MemoryBound: 0
; FloatMode: 240
; IeeeMode: 1
; LDSByteSize: 16384 bytes/workgroup (compile time only)
; SGPRBlocks: 3
; VGPRBlocks: 5
; NumSGPRsForWavesPerEU: 30
; NumVGPRsForWavesPerEU: 41
; Occupancy: 16
; WaveLimiterHint : 1
; COMPUTE_PGM_RSRC2:SCRATCH_EN: 0
; COMPUTE_PGM_RSRC2:USER_SGPR: 14
; COMPUTE_PGM_RSRC2:TRAP_HANDLER: 0
; COMPUTE_PGM_RSRC2:TGID_X_EN: 1
; COMPUTE_PGM_RSRC2:TGID_Y_EN: 0
; COMPUTE_PGM_RSRC2:TGID_Z_EN: 1
; COMPUTE_PGM_RSRC2:TIDIG_COMP_CNT: 1
	.section	.text._ZL20rocblas_gemvn_kernelILi64ELi16ElPKffKPfEviiT3_lPKT2_lT1_lS7_lS8_lS4_lPT4_lS8_li,"axG",@progbits,_ZL20rocblas_gemvn_kernelILi64ELi16ElPKffKPfEviiT3_lPKT2_lT1_lS7_lS8_lS4_lPT4_lS8_li,comdat
	.globl	_ZL20rocblas_gemvn_kernelILi64ELi16ElPKffKPfEviiT3_lPKT2_lT1_lS7_lS8_lS4_lPT4_lS8_li ; -- Begin function _ZL20rocblas_gemvn_kernelILi64ELi16ElPKffKPfEviiT3_lPKT2_lT1_lS7_lS8_lS4_lPT4_lS8_li
	.p2align	8
	.type	_ZL20rocblas_gemvn_kernelILi64ELi16ElPKffKPfEviiT3_lPKT2_lT1_lS7_lS8_lS4_lPT4_lS8_li,@function
_ZL20rocblas_gemvn_kernelILi64ELi16ElPKffKPfEviiT3_lPKT2_lT1_lS7_lS8_lS4_lPT4_lS8_li: ; @_ZL20rocblas_gemvn_kernelILi64ELi16ElPKffKPfEviiT3_lPKT2_lT1_lS7_lS8_lS4_lPT4_lS8_li
; %bb.0:
	s_load_b64 s[4:5], s[0:1], 0x9c
	s_waitcnt lgkmcnt(0)
	s_lshr_b32 s3, s4, 16
	s_and_b32 s4, s4, 0xffff
	s_and_b32 s5, s5, 0xffff
	s_mul_i32 s3, s3, s4
	s_delay_alu instid0(SALU_CYCLE_1) | instskip(NEXT) | instid1(SALU_CYCLE_1)
	s_mul_i32 s3, s3, s5
	s_cmpk_lg_i32 s3, 0x400
	s_cbranch_scc1 .LBB207_57
; %bb.1:
	s_load_b128 s[8:11], s[0:1], 0x0
	s_waitcnt lgkmcnt(0)
	s_load_b32 s11, s[0:1], 0x58
	s_mov_b32 s2, s15
	v_cmp_eq_f32_e64 s15, s10, 0
	s_waitcnt lgkmcnt(0)
	v_cmp_eq_f32_e64 s3, s11, 1.0
	s_delay_alu instid0(VALU_DEP_1) | instskip(NEXT) | instid1(SALU_CYCLE_1)
	s_and_b32 s3, s15, s3
	s_and_b32 vcc_lo, exec_lo, s3
	s_cbranch_vccnz .LBB207_57
; %bb.2:
	s_clause 0x1
	s_load_b128 s[4:7], s[0:1], 0x18
	s_load_b64 s[12:13], s[0:1], 0x28
	v_cmp_neq_f32_e64 s20, s10, 0
	s_delay_alu instid0(VALU_DEP_1)
	s_and_b32 vcc_lo, exec_lo, s20
	s_cbranch_vccnz .LBB207_4
; %bb.3:
	s_mov_b32 s3, 0
	s_mov_b64 s[16:17], 0
	s_cbranch_execz .LBB207_5
	s_branch .LBB207_6
.LBB207_4:
	s_mov_b32 s3, -1
                                        ; implicit-def: $sgpr16_sgpr17
.LBB207_5:
	s_mov_b32 s3, 0
	s_delay_alu instid0(SALU_CYCLE_1)
	s_lshl_b64 s[16:17], s[2:3], 3
	s_waitcnt lgkmcnt(0)
	s_add_u32 s4, s4, s16
	s_addc_u32 s5, s5, s17
	s_lshl_b64 s[6:7], s[6:7], 2
	s_load_b64 s[4:5], s[4:5], 0x0
	s_waitcnt lgkmcnt(0)
	s_add_u32 s16, s4, s6
	s_addc_u32 s17, s5, s7
.LBB207_6:
	s_waitcnt lgkmcnt(0)
	s_clause 0x1
	s_load_b128 s[4:7], s[0:1], 0x38
	s_load_b64 s[18:19], s[0:1], 0x48
	s_and_not1_b32 vcc_lo, exec_lo, s20
	s_cbranch_vccnz .LBB207_8
; %bb.7:
	s_lshl_b64 s[20:21], s[2:3], 3
	s_waitcnt lgkmcnt(0)
	s_add_u32 s4, s4, s20
	s_addc_u32 s5, s5, s21
	s_lshl_b64 s[6:7], s[6:7], 2
	s_load_b64 s[4:5], s[4:5], 0x0
	s_waitcnt lgkmcnt(0)
	s_add_u32 s20, s4, s6
	s_addc_u32 s21, s5, s7
	s_branch .LBB207_9
.LBB207_8:
	s_mov_b64 s[20:21], 0
.LBB207_9:
	s_load_b128 s[24:27], s[0:1], 0x68
	s_waitcnt lgkmcnt(0)
	s_load_b64 s[6:7], s[0:1], 0x78
	s_lshl_b64 s[2:3], s[2:3], 3
	v_and_b32_e32 v20, 0x3ff, v0
	v_bfe_u32 v21, v0, 10, 10
	s_delay_alu instid0(VALU_DEP_1)
	v_lshl_add_u32 v19, v21, 6, v20
	s_add_u32 s0, s24, s2
	s_addc_u32 s1, s25, s3
	s_lshl_b64 s[22:23], s[26:27], 2
	s_load_b64 s[2:3], s[0:1], 0x0
	v_cmp_gt_u32_e64 s0, 0x100, v19
	s_waitcnt lgkmcnt(0)
	s_add_u32 s5, s2, s22
	s_addc_u32 s26, s3, s23
	s_and_not1_b32 vcc_lo, exec_lo, s15
	s_cbranch_vccnz .LBB207_16
; %bb.10:
	s_mov_b32 s1, 0
	s_mov_b32 s27, 0
                                        ; implicit-def: $vgpr1
                                        ; implicit-def: $vgpr2_vgpr3
	s_and_saveexec_b32 s2, s0
	s_cbranch_execz .LBB207_17
; %bb.11:
	v_lshl_or_b32 v0, s14, 8, v19
	v_mov_b32_e32 v1, 0
	s_ashr_i32 s23, s8, 31
	s_mov_b32 s22, s8
	s_mov_b32 s3, 0
	s_mov_b32 s0, exec_lo
                                        ; implicit-def: $vgpr2_vgpr3
	v_cmpx_gt_i64_e64 s[22:23], v[0:1]
	s_cbranch_execz .LBB207_15
; %bb.12:
	v_mad_u64_u32 v[2:3], null, v0, s6, 0
	v_cmp_eq_f32_e64 s3, s11, 0
	s_delay_alu instid0(VALU_DEP_1) | instskip(NEXT) | instid1(VALU_DEP_2)
	s_and_b32 vcc_lo, exec_lo, s3
	v_mad_u64_u32 v[4:5], null, v0, s7, v[3:4]
	s_delay_alu instid0(VALU_DEP_1)
	v_mov_b32_e32 v3, v4
	s_cbranch_vccnz .LBB207_14
; %bb.13:
	s_delay_alu instid0(VALU_DEP_1) | instskip(NEXT) | instid1(VALU_DEP_1)
	v_lshlrev_b64 v[0:1], 2, v[2:3]
	v_add_co_u32 v0, vcc_lo, s5, v0
	s_delay_alu instid0(VALU_DEP_2)
	v_add_co_ci_u32_e32 v1, vcc_lo, s26, v1, vcc_lo
	global_load_b32 v0, v[0:1], off
	s_waitcnt vmcnt(0)
	v_mul_f32_e32 v1, s11, v0
.LBB207_14:
	s_mov_b32 s3, exec_lo
.LBB207_15:
	s_or_b32 exec_lo, exec_lo, s0
	s_delay_alu instid0(SALU_CYCLE_1) | instskip(SKIP_1) | instid1(SALU_CYCLE_1)
	s_and_b32 s27, s3, exec_lo
	s_or_b32 exec_lo, exec_lo, s2
	s_and_b32 vcc_lo, exec_lo, s1
	s_cbranch_vccnz .LBB207_18
	s_branch .LBB207_55
.LBB207_16:
	s_mov_b32 s27, 0
                                        ; implicit-def: $vgpr1
                                        ; implicit-def: $vgpr2_vgpr3
	s_cbranch_execnz .LBB207_18
	s_branch .LBB207_55
.LBB207_17:
	s_or_b32 exec_lo, exec_lo, s2
	s_delay_alu instid0(SALU_CYCLE_1)
	s_and_b32 vcc_lo, exec_lo, s1
	s_cbranch_vccz .LBB207_55
.LBB207_18:
	s_ashr_i32 s0, s9, 31
	s_lshl_b32 s28, s14, 8
	s_lshr_b32 s0, s0, 26
	v_dual_mov_b32 v23, 0 :: v_dual_lshlrev_b32 v26, 2, v21
	v_dual_mov_b32 v22, 0 :: v_dual_mov_b32 v25, 0
	v_add_nc_u32_e32 v0, s28, v20
	v_mov_b32_e32 v24, 0
	s_add_i32 s29, s9, s0
	s_mov_b32 s30, exec_lo
	s_and_not1_b32 s29, s29, 63
	s_delay_alu instid0(SALU_CYCLE_1)
	v_cmpx_gt_i32_e64 s29, v26
	s_cbranch_execz .LBB207_30
; %bb.19:
	v_lshlrev_b32_e32 v29, 2, v21
	v_mad_u64_u32 v[5:6], null, s18, v21, 0
	v_add_nc_u32_e32 v2, 64, v0
	v_mad_u64_u32 v[7:8], null, s12, v21, 0
	s_delay_alu instid0(VALU_DEP_4) | instskip(SKIP_1) | instid1(VALU_DEP_4)
	v_or_b32_e32 v25, 3, v29
	v_add_nc_u32_e32 v9, 0x80, v0
	v_cmp_gt_i32_e64 s0, s8, v2
	v_ashrrev_i32_e32 v1, 31, v0
	v_cmp_gt_i32_e32 vcc_lo, s8, v0
	v_mad_u64_u32 v[3:4], null, s12, v25, 0
	v_mad_u64_u32 v[16:17], null, s18, v25, 0
	v_add_nc_u32_e32 v10, 0xc0, v0
	s_lshl_b64 s[14:15], s[12:13], 8
	s_lshl_b64 s[22:23], s[18:19], 8
	s_mov_b32 s31, 0
	s_delay_alu instid0(VALU_DEP_3)
	v_mov_b32_e32 v2, v4
	v_mov_b32_e32 v4, v6
	v_cmp_gt_i32_e64 s1, s8, v9
	v_cmp_gt_i32_e64 s2, s8, v10
	v_mov_b32_e32 v6, v8
	v_mad_u64_u32 v[9:10], null, s13, v25, v[2:3]
	v_or_b32_e32 v31, 2, v29
	v_mad_u64_u32 v[10:11], null, s19, v21, v[4:5]
	s_delay_alu instid0(VALU_DEP_4) | instskip(SKIP_1) | instid1(VALU_DEP_4)
	v_mad_u64_u32 v[11:12], null, s13, v21, v[6:7]
	v_mad_u64_u32 v[12:13], null, s18, v29, s[18:19]
	;; [unrolled: 1-line block ×3, first 2 shown]
	v_mov_b32_e32 v4, v9
	v_mov_b32_e32 v6, v10
	v_lshlrev_b64 v[1:2], 2, v[0:1]
	s_mov_b64 s[24:25], s[20:21]
	s_delay_alu instid0(VALU_DEP_3) | instskip(NEXT) | instid1(VALU_DEP_3)
	v_lshlrev_b64 v[9:10], 2, v[3:4]
	v_lshlrev_b64 v[3:4], 4, v[5:6]
	v_dual_mov_b32 v5, v15 :: v_dual_mov_b32 v6, v13
	s_delay_alu instid0(VALU_DEP_3) | instskip(NEXT) | instid1(VALU_DEP_2)
	v_add_co_u32 v27, s3, s16, v9
	v_mad_u64_u32 v[22:23], null, s13, v31, v[5:6]
	v_mov_b32_e32 v5, v17
	v_add_co_ci_u32_e64 v28, s3, s17, v10, s3
	v_mad_u64_u32 v[9:10], null, s12, v29, s[12:13]
	s_delay_alu instid0(VALU_DEP_3) | instskip(SKIP_2) | instid1(VALU_DEP_4)
	v_mad_u64_u32 v[23:24], null, s19, v25, v[5:6]
	v_mad_u64_u32 v[24:25], null, s18, v31, 0
	v_dual_mov_b32 v8, v11 :: v_dual_mov_b32 v15, v22
	v_mov_b32_e32 v5, v10
	s_delay_alu instid0(VALU_DEP_2) | instskip(NEXT) | instid1(VALU_DEP_2)
	v_lshlrev_b64 v[14:15], 2, v[14:15]
	v_mad_u64_u32 v[10:11], null, s13, v29, v[5:6]
	v_mov_b32_e32 v5, v25
	v_lshlrev_b64 v[7:8], 4, v[7:8]
	s_delay_alu instid0(VALU_DEP_3) | instskip(NEXT) | instid1(VALU_DEP_2)
	v_lshlrev_b64 v[9:10], 2, v[9:10]
	v_mad_u64_u32 v[17:18], null, s19, v29, v[6:7]
	v_add_co_u32 v29, s3, s16, v7
	s_delay_alu instid0(VALU_DEP_1) | instskip(NEXT) | instid1(VALU_DEP_3)
	v_add_co_ci_u32_e64 v30, s3, s17, v8, s3
	v_mov_b32_e32 v13, v17
	v_mov_b32_e32 v17, v23
	v_mad_u64_u32 v[22:23], null, s19, v31, v[5:6]
	v_add_co_u32 v31, s3, s16, v14
	s_delay_alu instid0(VALU_DEP_1) | instskip(SKIP_1) | instid1(VALU_DEP_4)
	v_add_co_ci_u32_e64 v32, s3, s17, v15, s3
	v_add_co_u32 v33, s3, s16, v9
	v_dual_mov_b32 v25, v22 :: v_dual_mov_b32 v22, 0
	v_lshlrev_b64 v[5:6], 2, v[12:13]
	v_lshlrev_b64 v[7:8], 2, v[16:17]
	v_add_co_ci_u32_e64 v34, s3, s17, v10, s3
	s_delay_alu instid0(VALU_DEP_4)
	v_lshlrev_b64 v[9:10], 2, v[24:25]
	v_dual_mov_b32 v23, 0 :: v_dual_mov_b32 v24, 0
	v_mov_b32_e32 v25, 0
	s_branch .LBB207_24
.LBB207_20:                             ;   in Loop: Header=BB207_24 Depth=1
	s_or_b32 exec_lo, exec_lo, s34
	s_waitcnt vmcnt(3) lgkmcnt(3)
	v_fmac_f32_e32 v24, v38, v50
	s_waitcnt vmcnt(2) lgkmcnt(2)
	s_delay_alu instid0(VALU_DEP_1) | instskip(SKIP_1) | instid1(VALU_DEP_1)
	v_fmac_f32_e32 v24, v37, v49
	s_waitcnt vmcnt(1) lgkmcnt(1)
	v_fmac_f32_e32 v24, v36, v48
	s_waitcnt vmcnt(0) lgkmcnt(0)
	s_delay_alu instid0(VALU_DEP_1)
	v_fmac_f32_e32 v24, v35, v47
.LBB207_21:                             ;   in Loop: Header=BB207_24 Depth=1
	s_or_b32 exec_lo, exec_lo, s33
	s_waitcnt vmcnt(3) lgkmcnt(3)
	v_fmac_f32_e32 v23, v38, v46
	s_waitcnt vmcnt(2) lgkmcnt(2)
	s_delay_alu instid0(VALU_DEP_1) | instskip(SKIP_1) | instid1(VALU_DEP_1)
	v_fmac_f32_e32 v23, v37, v45
	s_waitcnt vmcnt(1) lgkmcnt(1)
	v_fmac_f32_e32 v23, v36, v44
	s_waitcnt vmcnt(0) lgkmcnt(0)
	s_delay_alu instid0(VALU_DEP_1)
	v_fmac_f32_e32 v23, v35, v43
.LBB207_22:                             ;   in Loop: Header=BB207_24 Depth=1
	s_or_b32 exec_lo, exec_lo, s3
	s_waitcnt vmcnt(3) lgkmcnt(3)
	v_fmac_f32_e32 v22, v38, v42
	s_waitcnt vmcnt(2) lgkmcnt(2)
	s_delay_alu instid0(VALU_DEP_1) | instskip(SKIP_1) | instid1(VALU_DEP_1)
	v_fmac_f32_e32 v22, v37, v40
	s_waitcnt vmcnt(1) lgkmcnt(1)
	v_fmac_f32_e32 v22, v36, v39
	s_waitcnt vmcnt(0) lgkmcnt(0)
	s_delay_alu instid0(VALU_DEP_1)
	v_fmac_f32_e32 v22, v35, v41
.LBB207_23:                             ;   in Loop: Header=BB207_24 Depth=1
	s_or_b32 exec_lo, exec_lo, s4
	v_add_co_u32 v27, s3, v27, s14
	s_delay_alu instid0(VALU_DEP_1) | instskip(SKIP_4) | instid1(VALU_DEP_1)
	v_add_co_ci_u32_e64 v28, s3, s15, v28, s3
	v_add_co_u32 v29, s3, v29, s14
	v_add_nc_u32_e32 v26, 64, v26
	v_add_co_ci_u32_e64 v30, s3, s15, v30, s3
	v_add_co_u32 v31, s3, v31, s14
	v_add_co_ci_u32_e64 v32, s3, s15, v32, s3
	s_delay_alu instid0(VALU_DEP_4) | instskip(SKIP_1) | instid1(VALU_DEP_1)
	v_cmp_le_i32_e64 s3, s29, v26
	v_add_co_u32 v33, s4, v33, s14
	v_add_co_ci_u32_e64 v34, s4, s15, v34, s4
	s_add_u32 s24, s24, s22
	s_addc_u32 s25, s25, s23
	s_or_b32 s31, s3, s31
	s_delay_alu instid0(SALU_CYCLE_1)
	s_and_not1_b32 exec_lo, exec_lo, s31
	s_cbranch_execz .LBB207_29
.LBB207_24:                             ; =>This Inner Loop Header: Depth=1
	s_and_saveexec_b32 s4, vcc_lo
	s_cbranch_execz .LBB207_23
; %bb.25:                               ;   in Loop: Header=BB207_24 Depth=1
	v_add_co_u32 v35, s3, s24, v3
	s_delay_alu instid0(VALU_DEP_1) | instskip(SKIP_1) | instid1(VALU_DEP_1)
	v_add_co_ci_u32_e64 v36, s3, s25, v4, s3
	v_add_co_u32 v39, s3, s24, v5
	v_add_co_ci_u32_e64 v40, s3, s25, v6, s3
	v_add_co_u32 v41, s3, s24, v9
	s_delay_alu instid0(VALU_DEP_1) | instskip(SKIP_1) | instid1(VALU_DEP_1)
	v_add_co_ci_u32_e64 v42, s3, s25, v10, s3
	v_add_co_u32 v43, s3, s24, v7
	v_add_co_ci_u32_e64 v44, s3, s25, v8, s3
	;; [unrolled: 5-line block ×4, first 2 shown]
	s_clause 0x3
	flat_load_b32 v38, v[35:36]
	flat_load_b32 v37, v[39:40]
	flat_load_b32 v36, v[41:42]
	flat_load_b32 v35, v[43:44]
	flat_load_b32 v42, v[11:12]
	flat_load_b32 v40, v[13:14]
	flat_load_b32 v39, v[15:16]
	flat_load_b32 v41, v[17:18]
	s_and_saveexec_b32 s3, s0
	s_cbranch_execz .LBB207_22
; %bb.26:                               ;   in Loop: Header=BB207_24 Depth=1
	flat_load_b32 v46, v[11:12] offset:256
	flat_load_b32 v45, v[13:14] offset:256
	flat_load_b32 v44, v[15:16] offset:256
	flat_load_b32 v43, v[17:18] offset:256
	s_and_saveexec_b32 s33, s1
	s_cbranch_execz .LBB207_21
; %bb.27:                               ;   in Loop: Header=BB207_24 Depth=1
	flat_load_b32 v50, v[11:12] offset:512
	flat_load_b32 v49, v[13:14] offset:512
	flat_load_b32 v48, v[15:16] offset:512
	flat_load_b32 v47, v[17:18] offset:512
	;; [unrolled: 7-line block ×3, first 2 shown]
	s_waitcnt vmcnt(3) lgkmcnt(3)
	v_fmac_f32_e32 v25, v38, v11
	s_waitcnt vmcnt(2) lgkmcnt(2)
	s_delay_alu instid0(VALU_DEP_1) | instskip(SKIP_1) | instid1(VALU_DEP_1)
	v_fmac_f32_e32 v25, v37, v12
	s_waitcnt vmcnt(1) lgkmcnt(1)
	v_fmac_f32_e32 v25, v36, v13
	s_waitcnt vmcnt(0) lgkmcnt(0)
	s_delay_alu instid0(VALU_DEP_1)
	v_fmac_f32_e32 v25, v35, v14
	s_branch .LBB207_20
.LBB207_29:
	s_or_b32 exec_lo, exec_lo, s31
.LBB207_30:
	s_delay_alu instid0(SALU_CYCLE_1) | instskip(SKIP_1) | instid1(SALU_CYCLE_1)
	s_or_b32 exec_lo, exec_lo, s30
	s_sub_i32 s0, s9, s29
	s_cmp_lt_i32 s0, 1
	s_cbranch_scc1 .LBB207_48
; %bb.31:
	v_cmp_gt_i32_e32 vcc_lo, s9, v26
	v_dual_mov_b32 v11, 0 :: v_dual_mov_b32 v12, 0
	v_or_b32_e32 v2, 1, v26
	v_dual_mov_b32 v10, 0 :: v_dual_mov_b32 v9, 0
	s_and_saveexec_b32 s1, vcc_lo
	s_cbranch_execz .LBB207_39
; %bb.32:
	v_mad_u64_u32 v[3:4], null, v26, s18, 0
	v_dual_mov_b32 v12, 0 :: v_dual_mov_b32 v11, 0
	s_mov_b32 s2, exec_lo
	s_delay_alu instid0(VALU_DEP_2) | instskip(NEXT) | instid1(VALU_DEP_1)
	v_dual_mov_b32 v10, 0 :: v_dual_mov_b32 v1, v4
	v_mad_u64_u32 v[4:5], null, v26, s19, v[1:2]
	s_delay_alu instid0(VALU_DEP_1) | instskip(NEXT) | instid1(VALU_DEP_1)
	v_lshlrev_b64 v[3:4], 2, v[3:4]
	v_add_co_u32 v3, s0, s20, v3
	s_delay_alu instid0(VALU_DEP_1)
	v_add_co_ci_u32_e64 v4, s0, s21, v4, s0
	flat_load_b32 v9, v[3:4]
	v_cmpx_gt_i32_e64 s9, v2
	s_cbranch_execz .LBB207_38
; %bb.33:
	v_mad_u64_u32 v[3:4], null, v2, s18, 0
	v_mov_b32_e32 v11, 0
	s_mov_b32 s3, exec_lo
	s_delay_alu instid0(VALU_DEP_2) | instskip(NEXT) | instid1(VALU_DEP_1)
	v_dual_mov_b32 v12, 0 :: v_dual_mov_b32 v1, v4
	v_mad_u64_u32 v[4:5], null, v2, s19, v[1:2]
	v_or_b32_e32 v1, 2, v26
	s_delay_alu instid0(VALU_DEP_2) | instskip(NEXT) | instid1(VALU_DEP_1)
	v_lshlrev_b64 v[3:4], 2, v[3:4]
	v_add_co_u32 v3, s0, s20, v3
	s_delay_alu instid0(VALU_DEP_1)
	v_add_co_ci_u32_e64 v4, s0, s21, v4, s0
	flat_load_b32 v10, v[3:4]
	v_cmpx_gt_i32_e64 s9, v1
	s_cbranch_execz .LBB207_37
; %bb.34:
	v_mad_u64_u32 v[3:4], null, v1, s18, 0
	s_mov_b32 s4, exec_lo
	v_mov_b32_e32 v11, 0
	s_delay_alu instid0(VALU_DEP_2) | instskip(SKIP_1) | instid1(VALU_DEP_2)
	v_mad_u64_u32 v[5:6], null, v1, s19, v[4:5]
	v_or_b32_e32 v1, 3, v26
	v_mov_b32_e32 v4, v5
	s_delay_alu instid0(VALU_DEP_1) | instskip(NEXT) | instid1(VALU_DEP_1)
	v_lshlrev_b64 v[3:4], 2, v[3:4]
	v_add_co_u32 v3, s0, s20, v3
	s_delay_alu instid0(VALU_DEP_1)
	v_add_co_ci_u32_e64 v4, s0, s21, v4, s0
	flat_load_b32 v12, v[3:4]
	v_cmpx_gt_i32_e64 s9, v1
	s_cbranch_execz .LBB207_36
; %bb.35:
	v_mad_u64_u32 v[3:4], null, v1, s18, 0
	s_delay_alu instid0(VALU_DEP_1) | instskip(NEXT) | instid1(VALU_DEP_1)
	v_mad_u64_u32 v[5:6], null, v1, s19, v[4:5]
	v_mov_b32_e32 v4, v5
	s_delay_alu instid0(VALU_DEP_1) | instskip(NEXT) | instid1(VALU_DEP_1)
	v_lshlrev_b64 v[3:4], 2, v[3:4]
	v_add_co_u32 v3, s0, s20, v3
	s_delay_alu instid0(VALU_DEP_1)
	v_add_co_ci_u32_e64 v4, s0, s21, v4, s0
	flat_load_b32 v11, v[3:4]
.LBB207_36:
	s_or_b32 exec_lo, exec_lo, s4
.LBB207_37:
	s_delay_alu instid0(SALU_CYCLE_1)
	s_or_b32 exec_lo, exec_lo, s3
.LBB207_38:
	s_delay_alu instid0(SALU_CYCLE_1)
	s_or_b32 exec_lo, exec_lo, s2
.LBB207_39:
	s_delay_alu instid0(SALU_CYCLE_1) | instskip(NEXT) | instid1(SALU_CYCLE_1)
	s_or_b32 exec_lo, exec_lo, s1
	s_mov_b32 s1, exec_lo
	v_cmpx_gt_i32_e64 s8, v0
	s_cbranch_execz .LBB207_47
; %bb.40:
	v_mad_u64_u32 v[3:4], null, v26, s12, 0
	v_mad_u64_u32 v[5:6], null, v2, s12, 0
	v_or_b32_e32 v28, 2, v26
	v_ashrrev_i32_e32 v1, 31, v0
	v_or_b32_e32 v29, 3, v26
	v_cndmask_b32_e32 v3, 0, v3, vcc_lo
	s_delay_alu instid0(VALU_DEP_4)
	v_cmp_gt_i32_e64 s0, s9, v28
	v_mad_u64_u32 v[13:14], null, v26, s13, v[4:5]
	v_mad_u64_u32 v[14:15], null, v28, s12, 0
	v_lshlrev_b64 v[7:8], 2, v[0:1]
	v_mov_b32_e32 v1, v6
	v_mad_u64_u32 v[16:17], null, v29, s12, 0
	v_cndmask_b32_e32 v4, 0, v13, vcc_lo
	v_cmp_gt_i32_e32 vcc_lo, s9, v2
	s_delay_alu instid0(VALU_DEP_4)
	v_mad_u64_u32 v[26:27], null, v2, s13, v[1:2]
	v_mov_b32_e32 v1, v15
	v_cndmask_b32_e64 v13, 0, v14, s0
	v_mov_b32_e32 v6, v17
	v_cndmask_b32_e32 v2, 0, v5, vcc_lo
	v_lshlrev_b64 v[4:5], 2, v[3:4]
	s_delay_alu instid0(VALU_DEP_2) | instskip(NEXT) | instid1(VALU_DEP_1)
	v_mad_u64_u32 v[17:18], null, v28, s13, v[1:2]
	v_cndmask_b32_e64 v14, 0, v17, s0
	v_mad_u64_u32 v[17:18], null, v29, s13, v[6:7]
	v_cndmask_b32_e32 v3, 0, v26, vcc_lo
	v_add_co_u32 v1, vcc_lo, s16, v4
	v_add_co_ci_u32_e32 v5, vcc_lo, s17, v5, vcc_lo
	s_delay_alu instid0(VALU_DEP_3) | instskip(NEXT) | instid1(VALU_DEP_3)
	v_lshlrev_b64 v[3:4], 2, v[2:3]
	v_add_co_u32 v1, vcc_lo, v1, v7
	s_delay_alu instid0(VALU_DEP_3) | instskip(SKIP_1) | instid1(VALU_DEP_4)
	v_add_co_ci_u32_e32 v2, vcc_lo, v5, v8, vcc_lo
	v_lshlrev_b64 v[5:6], 2, v[13:14]
	v_add_co_u32 v3, vcc_lo, s16, v3
	v_add_co_ci_u32_e32 v4, vcc_lo, s17, v4, vcc_lo
	s_mov_b32 s0, exec_lo
	s_delay_alu instid0(VALU_DEP_2) | instskip(NEXT) | instid1(VALU_DEP_2)
	v_add_co_u32 v3, vcc_lo, v3, v7
	v_add_co_ci_u32_e32 v4, vcc_lo, v4, v8, vcc_lo
	s_clause 0x1
	flat_load_b32 v15, v[1:2]
	flat_load_b32 v18, v[3:4]
	v_cmp_gt_i32_e32 vcc_lo, s9, v29
	v_dual_cndmask_b32 v14, 0, v17 :: v_dual_cndmask_b32 v13, 0, v16
	v_add_co_u32 v5, vcc_lo, s16, v5
	v_add_co_ci_u32_e32 v6, vcc_lo, s17, v6, vcc_lo
	s_delay_alu instid0(VALU_DEP_2) | instskip(NEXT) | instid1(VALU_DEP_2)
	v_add_co_u32 v5, vcc_lo, v5, v7
	v_add_co_ci_u32_e32 v6, vcc_lo, v6, v8, vcc_lo
	flat_load_b32 v16, v[5:6]
	s_waitcnt vmcnt(2) lgkmcnt(2)
	v_fmac_f32_e32 v22, v9, v15
	v_lshlrev_b64 v[13:14], 2, v[13:14]
	s_waitcnt vmcnt(1) lgkmcnt(1)
	s_delay_alu instid0(VALU_DEP_2) | instskip(NEXT) | instid1(VALU_DEP_2)
	v_fmac_f32_e32 v22, v10, v18
	v_add_co_u32 v13, vcc_lo, s16, v13
	s_delay_alu instid0(VALU_DEP_3) | instskip(NEXT) | instid1(VALU_DEP_2)
	v_add_co_ci_u32_e32 v14, vcc_lo, s17, v14, vcc_lo
	v_add_co_u32 v7, vcc_lo, v13, v7
	s_delay_alu instid0(VALU_DEP_2)
	v_add_co_ci_u32_e32 v8, vcc_lo, v14, v8, vcc_lo
	v_add_nc_u32_e32 v14, 64, v0
	flat_load_b32 v13, v[7:8]
	s_waitcnt vmcnt(1) lgkmcnt(1)
	v_fmac_f32_e32 v22, v12, v16
	v_cmpx_gt_i32_e64 s8, v14
	s_cbranch_execz .LBB207_46
; %bb.41:
	s_clause 0x3
	flat_load_b32 v15, v[1:2] offset:256
	flat_load_b32 v16, v[3:4] offset:256
	;; [unrolled: 1-line block ×4, first 2 shown]
	s_mov_b32 s2, exec_lo
	s_waitcnt vmcnt(3) lgkmcnt(3)
	v_fmac_f32_e32 v23, v9, v15
	v_add_nc_u32_e32 v15, 0x80, v0
	s_waitcnt vmcnt(2) lgkmcnt(2)
	s_delay_alu instid0(VALU_DEP_2) | instskip(SKIP_1) | instid1(VALU_DEP_1)
	v_fmac_f32_e32 v23, v10, v16
	s_waitcnt vmcnt(1) lgkmcnt(1)
	v_fmac_f32_e32 v23, v12, v17
	v_cmpx_gt_i32_e64 s8, v15
	s_cbranch_execz .LBB207_45
; %bb.42:
	s_clause 0x3
	flat_load_b32 v16, v[1:2] offset:512
	flat_load_b32 v17, v[3:4] offset:512
	;; [unrolled: 1-line block ×4, first 2 shown]
	v_add_nc_u32_e32 v0, 0xc0, v0
	s_mov_b32 s3, exec_lo
	s_waitcnt vmcnt(3) lgkmcnt(3)
	v_fmac_f32_e32 v24, v9, v16
	s_waitcnt vmcnt(2) lgkmcnt(2)
	s_delay_alu instid0(VALU_DEP_1) | instskip(SKIP_1) | instid1(VALU_DEP_1)
	v_fmac_f32_e32 v24, v10, v17
	s_waitcnt vmcnt(1) lgkmcnt(1)
	v_fmac_f32_e32 v24, v12, v18
	v_cmpx_gt_i32_e64 s8, v0
	s_cbranch_execz .LBB207_44
; %bb.43:
	s_clause 0x3
	flat_load_b32 v0, v[1:2] offset:768
	flat_load_b32 v1, v[3:4] offset:768
	;; [unrolled: 1-line block ×4, first 2 shown]
	s_waitcnt vmcnt(3) lgkmcnt(3)
	v_fmac_f32_e32 v25, v9, v0
	s_waitcnt vmcnt(2) lgkmcnt(2)
	s_delay_alu instid0(VALU_DEP_1) | instskip(SKIP_1) | instid1(VALU_DEP_1)
	v_fmac_f32_e32 v25, v10, v1
	s_waitcnt vmcnt(1) lgkmcnt(1)
	v_fmac_f32_e32 v25, v12, v2
	s_waitcnt vmcnt(0) lgkmcnt(0)
	s_delay_alu instid0(VALU_DEP_1)
	v_fmac_f32_e32 v25, v11, v3
.LBB207_44:
	s_or_b32 exec_lo, exec_lo, s3
	s_waitcnt vmcnt(0) lgkmcnt(0)
	v_fmac_f32_e32 v24, v11, v15
.LBB207_45:
	s_or_b32 exec_lo, exec_lo, s2
	s_waitcnt vmcnt(0) lgkmcnt(0)
	v_fmac_f32_e32 v23, v11, v14
.LBB207_46:
	s_or_b32 exec_lo, exec_lo, s0
	s_waitcnt vmcnt(0) lgkmcnt(0)
	v_fmac_f32_e32 v22, v11, v13
.LBB207_47:
	s_or_b32 exec_lo, exec_lo, s1
.LBB207_48:
	v_lshlrev_b32_e32 v0, 8, v21
	s_mov_b32 s0, exec_lo
                                        ; implicit-def: $vgpr1
                                        ; implicit-def: $vgpr2_vgpr3
	s_delay_alu instid0(VALU_DEP_1)
	v_add_lshl_u32 v0, v0, v20, 2
	ds_store_2addr_stride64_b32 v0, v22, v23 offset1:1
	ds_store_2addr_stride64_b32 v0, v24, v25 offset0:2 offset1:3
	s_waitcnt vmcnt(0) lgkmcnt(0)
	s_barrier
	buffer_gl0_inv
	v_cmpx_gt_u32_e32 0x100, v19
	s_cbranch_execz .LBB207_54
; %bb.49:
	v_lshlrev_b32_e32 v6, 2, v19
	s_mov_b32 s2, s27
	s_mov_b32 s1, exec_lo
	ds_load_2addr_stride64_b32 v[0:1], v6 offset1:4
	ds_load_2addr_stride64_b32 v[2:3], v6 offset0:8 offset1:12
	ds_load_2addr_stride64_b32 v[4:5], v6 offset0:16 offset1:20
	s_waitcnt lgkmcnt(2)
	v_add_f32_e32 v7, v0, v1
	ds_load_2addr_stride64_b32 v[0:1], v6 offset0:24 offset1:28
	s_waitcnt lgkmcnt(2)
	v_add_f32_e32 v2, v2, v7
	s_delay_alu instid0(VALU_DEP_1) | instskip(SKIP_3) | instid1(VALU_DEP_1)
	v_add_f32_e32 v7, v3, v2
	ds_load_2addr_stride64_b32 v[2:3], v6 offset0:32 offset1:36
	s_waitcnt lgkmcnt(2)
	v_add_f32_e32 v4, v4, v7
	v_add_f32_e32 v7, v5, v4
	ds_load_2addr_stride64_b32 v[4:5], v6 offset0:40 offset1:44
	s_waitcnt lgkmcnt(2)
	v_add_f32_e32 v0, v0, v7
	s_delay_alu instid0(VALU_DEP_1) | instskip(SKIP_1) | instid1(VALU_DEP_1)
	v_add_f32_e32 v0, v1, v0
	s_waitcnt lgkmcnt(1)
	v_add_f32_e32 v2, v2, v0
	ds_load_2addr_stride64_b32 v[0:1], v6 offset0:48 offset1:52
	v_add_f32_e32 v2, v3, v2
	s_waitcnt lgkmcnt(1)
	s_delay_alu instid0(VALU_DEP_1) | instskip(SKIP_3) | instid1(VALU_DEP_1)
	v_add_f32_e32 v4, v4, v2
	ds_load_2addr_stride64_b32 v[2:3], v6 offset0:56 offset1:60
	v_add_f32_e32 v4, v5, v4
	s_waitcnt lgkmcnt(1)
	v_add_f32_e32 v0, v0, v4
	v_or_b32_e32 v4, s28, v19
	s_delay_alu instid0(VALU_DEP_2) | instskip(SKIP_1) | instid1(VALU_DEP_1)
	v_add_f32_e32 v0, v1, v0
                                        ; implicit-def: $vgpr1
	s_waitcnt lgkmcnt(0)
	v_add_f32_e32 v0, v2, v0
	s_delay_alu instid0(VALU_DEP_1)
	v_add_f32_e32 v0, v3, v0
                                        ; implicit-def: $vgpr2_vgpr3
	ds_store_b32 v6, v0
	v_cmpx_gt_i32_e64 s8, v4
	s_cbranch_execz .LBB207_53
; %bb.50:
	v_ashrrev_i32_e32 v1, 31, v4
	v_mul_lo_u32 v5, v4, s7
	v_mad_u64_u32 v[2:3], null, v4, s6, 0
	v_cmp_eq_f32_e64 s2, s11, 0
	s_delay_alu instid0(VALU_DEP_4) | instskip(SKIP_1) | instid1(VALU_DEP_3)
	v_mul_lo_u32 v4, v1, s6
	v_mul_f32_e32 v1, s10, v0
	s_and_b32 vcc_lo, exec_lo, s2
	s_delay_alu instid0(VALU_DEP_2)
	v_add3_u32 v3, v3, v5, v4
	s_cbranch_vccnz .LBB207_52
; %bb.51:
	s_delay_alu instid0(VALU_DEP_1) | instskip(NEXT) | instid1(VALU_DEP_1)
	v_lshlrev_b64 v[4:5], 2, v[2:3]
	v_add_co_u32 v4, vcc_lo, s5, v4
	s_delay_alu instid0(VALU_DEP_2)
	v_add_co_ci_u32_e32 v5, vcc_lo, s26, v5, vcc_lo
	global_load_b32 v0, v[4:5], off
	s_waitcnt vmcnt(0)
	v_fmac_f32_e32 v1, s11, v0
.LBB207_52:
	s_or_b32 s2, s27, exec_lo
.LBB207_53:
	s_or_b32 exec_lo, exec_lo, s1
	s_delay_alu instid0(SALU_CYCLE_1) | instskip(SKIP_1) | instid1(SALU_CYCLE_1)
	s_and_not1_b32 s1, s27, exec_lo
	s_and_b32 s2, s2, exec_lo
	s_or_b32 s27, s1, s2
.LBB207_54:
	s_or_b32 exec_lo, exec_lo, s0
.LBB207_55:
	s_and_saveexec_b32 s0, s27
	s_cbranch_execz .LBB207_57
; %bb.56:
	v_lshlrev_b64 v[2:3], 2, v[2:3]
	s_delay_alu instid0(VALU_DEP_1) | instskip(NEXT) | instid1(VALU_DEP_2)
	v_add_co_u32 v2, vcc_lo, s5, v2
	v_add_co_ci_u32_e32 v3, vcc_lo, s26, v3, vcc_lo
	global_store_b32 v[2:3], v1, off
.LBB207_57:
	s_nop 0
	s_sendmsg sendmsg(MSG_DEALLOC_VGPRS)
	s_endpgm
	.section	.rodata,"a",@progbits
	.p2align	6, 0x0
	.amdhsa_kernel _ZL20rocblas_gemvn_kernelILi64ELi16ElPKffKPfEviiT3_lPKT2_lT1_lS7_lS8_lS4_lPT4_lS8_li
		.amdhsa_group_segment_fixed_size 16384
		.amdhsa_private_segment_fixed_size 0
		.amdhsa_kernarg_size 400
		.amdhsa_user_sgpr_count 14
		.amdhsa_user_sgpr_dispatch_ptr 0
		.amdhsa_user_sgpr_queue_ptr 0
		.amdhsa_user_sgpr_kernarg_segment_ptr 1
		.amdhsa_user_sgpr_dispatch_id 0
		.amdhsa_user_sgpr_private_segment_size 0
		.amdhsa_wavefront_size32 1
		.amdhsa_uses_dynamic_stack 0
		.amdhsa_enable_private_segment 0
		.amdhsa_system_sgpr_workgroup_id_x 1
		.amdhsa_system_sgpr_workgroup_id_y 0
		.amdhsa_system_sgpr_workgroup_id_z 1
		.amdhsa_system_sgpr_workgroup_info 0
		.amdhsa_system_vgpr_workitem_id 1
		.amdhsa_next_free_vgpr 51
		.amdhsa_next_free_sgpr 35
		.amdhsa_reserve_vcc 1
		.amdhsa_float_round_mode_32 0
		.amdhsa_float_round_mode_16_64 0
		.amdhsa_float_denorm_mode_32 3
		.amdhsa_float_denorm_mode_16_64 3
		.amdhsa_dx10_clamp 1
		.amdhsa_ieee_mode 1
		.amdhsa_fp16_overflow 0
		.amdhsa_workgroup_processor_mode 1
		.amdhsa_memory_ordered 1
		.amdhsa_forward_progress 0
		.amdhsa_shared_vgpr_count 0
		.amdhsa_exception_fp_ieee_invalid_op 0
		.amdhsa_exception_fp_denorm_src 0
		.amdhsa_exception_fp_ieee_div_zero 0
		.amdhsa_exception_fp_ieee_overflow 0
		.amdhsa_exception_fp_ieee_underflow 0
		.amdhsa_exception_fp_ieee_inexact 0
		.amdhsa_exception_int_div_zero 0
	.end_amdhsa_kernel
	.section	.text._ZL20rocblas_gemvn_kernelILi64ELi16ElPKffKPfEviiT3_lPKT2_lT1_lS7_lS8_lS4_lPT4_lS8_li,"axG",@progbits,_ZL20rocblas_gemvn_kernelILi64ELi16ElPKffKPfEviiT3_lPKT2_lT1_lS7_lS8_lS4_lPT4_lS8_li,comdat
.Lfunc_end207:
	.size	_ZL20rocblas_gemvn_kernelILi64ELi16ElPKffKPfEviiT3_lPKT2_lT1_lS7_lS8_lS4_lPT4_lS8_li, .Lfunc_end207-_ZL20rocblas_gemvn_kernelILi64ELi16ElPKffKPfEviiT3_lPKT2_lT1_lS7_lS8_lS4_lPT4_lS8_li
                                        ; -- End function
	.section	.AMDGPU.csdata,"",@progbits
; Kernel info:
; codeLenInByte = 3360
; NumSgprs: 37
; NumVgprs: 51
; ScratchSize: 0
; MemoryBound: 0
; FloatMode: 240
; IeeeMode: 1
; LDSByteSize: 16384 bytes/workgroup (compile time only)
; SGPRBlocks: 4
; VGPRBlocks: 6
; NumSGPRsForWavesPerEU: 37
; NumVGPRsForWavesPerEU: 51
; Occupancy: 16
; WaveLimiterHint : 1
; COMPUTE_PGM_RSRC2:SCRATCH_EN: 0
; COMPUTE_PGM_RSRC2:USER_SGPR: 14
; COMPUTE_PGM_RSRC2:TRAP_HANDLER: 0
; COMPUTE_PGM_RSRC2:TGID_X_EN: 1
; COMPUTE_PGM_RSRC2:TGID_Y_EN: 0
; COMPUTE_PGM_RSRC2:TGID_Z_EN: 1
; COMPUTE_PGM_RSRC2:TIDIG_COMP_CNT: 1
	.section	.text._ZL22rocblas_gemvtsm_kernelILb0ELi256EPKfS1_KPfEviiT2_lPKT1_lilS7_lilS4_lPT3_lil,"axG",@progbits,_ZL22rocblas_gemvtsm_kernelILb0ELi256EPKfS1_KPfEviiT2_lPKT1_lilS7_lilS4_lPT3_lil,comdat
	.globl	_ZL22rocblas_gemvtsm_kernelILb0ELi256EPKfS1_KPfEviiT2_lPKT1_lilS7_lilS4_lPT3_lil ; -- Begin function _ZL22rocblas_gemvtsm_kernelILb0ELi256EPKfS1_KPfEviiT2_lPKT1_lilS7_lilS4_lPT3_lil
	.p2align	8
	.type	_ZL22rocblas_gemvtsm_kernelILb0ELi256EPKfS1_KPfEviiT2_lPKT1_lilS7_lilS4_lPT3_lil,@function
_ZL22rocblas_gemvtsm_kernelILb0ELi256EPKfS1_KPfEviiT2_lPKT1_lilS7_lilS4_lPT3_lil: ; @_ZL22rocblas_gemvtsm_kernelILb0ELi256EPKfS1_KPfEviiT2_lPKT1_lilS7_lilS4_lPT3_lil
; %bb.0:
	s_mov_b32 s2, s15
	s_clause 0x1
	s_load_b256 s[12:19], s[0:1], 0x8
	s_load_b256 s[4:11], s[0:1], 0x58
	s_waitcnt lgkmcnt(0)
	s_mul_i32 s3, s2, s15
	s_mul_hi_u32 s15, s2, s14
	s_mul_i32 s14, s2, s14
	s_add_i32 s15, s15, s3
	s_mul_i32 s3, s2, s7
	s_lshl_b64 s[14:15], s[14:15], 2
	s_mul_hi_u32 s7, s2, s6
	s_add_u32 s12, s12, s14
	s_addc_u32 s13, s13, s15
	s_add_i32 s7, s7, s3
	s_mul_i32 s6, s2, s6
	s_delay_alu instid0(SALU_CYCLE_1) | instskip(NEXT) | instid1(SALU_CYCLE_1)
	s_lshl_b64 s[6:7], s[6:7], 2
	s_add_u32 s4, s4, s6
	s_addc_u32 s5, s5, s7
	s_load_b32 s21, s[12:13], 0x0
	s_load_b32 s20, s[4:5], 0x0
	s_waitcnt lgkmcnt(0)
	v_cmp_eq_f32_e64 s7, s21, 0
	v_cmp_eq_f32_e64 s3, s20, 1.0
	s_delay_alu instid0(VALU_DEP_1) | instskip(NEXT) | instid1(SALU_CYCLE_1)
	s_and_b32 s3, s7, s3
	s_and_b32 vcc_lo, exec_lo, s3
	s_mov_b32 s3, 0
	s_cbranch_vccnz .LBB208_38
; %bb.1:
	v_cmp_neq_f32_e64 s4, s21, 0
	s_mov_b64 s[14:15], 0
	s_and_b32 vcc_lo, exec_lo, s7
	s_mov_b64 s[12:13], 0
	s_cbranch_vccnz .LBB208_3
; %bb.2:
	s_lshl_b64 s[12:13], s[2:3], 3
	s_delay_alu instid0(SALU_CYCLE_1)
	s_add_u32 s12, s16, s12
	s_addc_u32 s13, s17, s13
	s_lshl_b64 s[16:17], s[18:19], 2
	s_load_b64 s[12:13], s[12:13], 0x0
	s_waitcnt lgkmcnt(0)
	s_add_u32 s12, s12, s16
	s_addc_u32 s13, s13, s17
.LBB208_3:
	s_and_not1_b32 vcc_lo, exec_lo, s4
	s_cbranch_vccnz .LBB208_5
; %bb.4:
	s_load_b128 s[16:19], s[0:1], 0x38
	s_lshl_b64 s[4:5], s[2:3], 3
	s_waitcnt lgkmcnt(0)
	s_add_u32 s4, s16, s4
	s_addc_u32 s5, s17, s5
	s_lshl_b64 s[14:15], s[18:19], 2
	s_load_b64 s[4:5], s[4:5], 0x0
	s_waitcnt lgkmcnt(0)
	s_add_u32 s14, s4, s14
	s_addc_u32 s15, s5, s15
.LBB208_5:
	s_lshl_b64 s[2:3], s[2:3], 3
	s_delay_alu instid0(SALU_CYCLE_1)
	s_add_u32 s2, s8, s2
	s_addc_u32 s3, s9, s3
	s_clause 0x1
	s_load_b64 s[4:5], s[0:1], 0x0
	s_load_b32 s6, s[0:1], 0x78
	s_load_b64 s[8:9], s[2:3], 0x0
	s_and_not1_b32 vcc_lo, exec_lo, s7
	s_mov_b32 s2, -1
	s_cbranch_vccnz .LBB208_20
; %bb.6:
	s_waitcnt lgkmcnt(0)
	s_cmp_gt_i32 s5, 0
	v_cmp_neq_f32_e64 s2, s20, 0
	s_cselect_b32 s16, -1, 0
	s_delay_alu instid0(SALU_CYCLE_1) | instskip(NEXT) | instid1(VALU_DEP_2)
	v_cndmask_b32_e64 v1, 0, 1, s16
	s_and_b32 vcc_lo, exec_lo, s2
	s_delay_alu instid0(VALU_DEP_1)
	v_cmp_ne_u32_e64 s2, 1, v1
	s_cbranch_vccnz .LBB208_13
; %bb.7:
	s_delay_alu instid0(VALU_DEP_1)
	s_and_b32 vcc_lo, exec_lo, s2
	s_cbranch_vccnz .LBB208_12
; %bb.8:
	v_mad_i64_i32 v[1:2], null, s6, v0, 0
	s_lshl_b64 s[2:3], s[10:11], 2
	s_ashr_i32 s7, s6, 31
	s_add_u32 s2, s8, s2
	s_addc_u32 s3, s9, s3
	v_mov_b32_e32 v3, 0
	s_delay_alu instid0(VALU_DEP_2) | instskip(NEXT) | instid1(VALU_DEP_1)
	v_lshlrev_b64 v[1:2], 2, v[1:2]
	v_add_co_u32 v1, vcc_lo, s2, v1
	s_delay_alu instid0(VALU_DEP_2)
	v_add_co_ci_u32_e32 v2, vcc_lo, s3, v2, vcc_lo
	s_lshl_b64 s[2:3], s[6:7], 10
	s_mov_b32 s7, 0
	s_branch .LBB208_10
.LBB208_9:                              ;   in Loop: Header=BB208_10 Depth=1
	s_or_b32 exec_lo, exec_lo, s17
	v_add_co_u32 v1, vcc_lo, v1, s2
	v_add_co_ci_u32_e32 v2, vcc_lo, s3, v2, vcc_lo
	s_addk_i32 s7, 0x100
	s_delay_alu instid0(SALU_CYCLE_1)
	s_cmp_ge_i32 s7, s5
	s_cbranch_scc1 .LBB208_12
.LBB208_10:                             ; =>This Inner Loop Header: Depth=1
	v_add_nc_u32_e32 v4, s7, v0
	s_mov_b32 s17, exec_lo
	s_delay_alu instid0(VALU_DEP_1)
	v_cmpx_gt_i32_e64 s5, v4
	s_cbranch_execz .LBB208_9
; %bb.11:                               ;   in Loop: Header=BB208_10 Depth=1
	global_store_b32 v[1:2], v3, off
	s_branch .LBB208_9
.LBB208_12:
	s_cbranch_execz .LBB208_14
	s_branch .LBB208_19
.LBB208_13:
.LBB208_14:
	s_and_not1_b32 vcc_lo, exec_lo, s16
	s_cbranch_vccnz .LBB208_19
; %bb.15:
	v_mad_i64_i32 v[1:2], null, s6, v0, 0
	s_lshl_b64 s[2:3], s[10:11], 2
	s_ashr_i32 s7, s6, 31
	s_add_u32 s2, s8, s2
	s_addc_u32 s3, s9, s3
	s_delay_alu instid0(VALU_DEP_1) | instskip(NEXT) | instid1(VALU_DEP_1)
	v_lshlrev_b64 v[1:2], 2, v[1:2]
	v_add_co_u32 v1, vcc_lo, s2, v1
	s_delay_alu instid0(VALU_DEP_2)
	v_add_co_ci_u32_e32 v2, vcc_lo, s3, v2, vcc_lo
	s_lshl_b64 s[2:3], s[6:7], 10
	s_mov_b32 s7, 0
	s_branch .LBB208_17
	.p2align	6
.LBB208_16:                             ;   in Loop: Header=BB208_17 Depth=1
	s_or_b32 exec_lo, exec_lo, s16
	v_add_co_u32 v1, vcc_lo, v1, s2
	v_add_co_ci_u32_e32 v2, vcc_lo, s3, v2, vcc_lo
	s_addk_i32 s7, 0x100
	s_delay_alu instid0(SALU_CYCLE_1)
	s_cmp_ge_i32 s7, s5
	s_cbranch_scc1 .LBB208_19
.LBB208_17:                             ; =>This Inner Loop Header: Depth=1
	v_add_nc_u32_e32 v3, s7, v0
	s_mov_b32 s16, exec_lo
	s_delay_alu instid0(VALU_DEP_1)
	v_cmpx_gt_i32_e64 s5, v3
	s_cbranch_execz .LBB208_16
; %bb.18:                               ;   in Loop: Header=BB208_17 Depth=1
	global_load_b32 v3, v[1:2], off
	s_waitcnt vmcnt(0)
	v_mul_f32_e32 v3, s20, v3
	global_store_b32 v[1:2], v3, off
	s_branch .LBB208_16
.LBB208_19:
	s_mov_b32 s2, 0
.LBB208_20:
	s_delay_alu instid0(SALU_CYCLE_1)
	s_and_not1_b32 vcc_lo, exec_lo, s2
	s_cbranch_vccnz .LBB208_38
; %bb.21:
	s_mov_b32 s2, exec_lo
	s_waitcnt lgkmcnt(0)
	v_cmpx_gt_i32_e64 s4, v0
	s_cbranch_execz .LBB208_23
; %bb.22:
	s_load_b32 s3, s[0:1], 0x48
	s_waitcnt lgkmcnt(0)
	v_mad_i64_i32 v[1:2], null, s3, v0, 0
	s_delay_alu instid0(VALU_DEP_1) | instskip(NEXT) | instid1(VALU_DEP_1)
	v_lshlrev_b64 v[1:2], 2, v[1:2]
	v_add_co_u32 v1, vcc_lo, s14, v1
	s_delay_alu instid0(VALU_DEP_2)
	v_add_co_ci_u32_e32 v2, vcc_lo, s15, v2, vcc_lo
	flat_load_b32 v1, v[1:2]
	s_waitcnt vmcnt(0) lgkmcnt(0)
	v_dual_mul_f32 v1, s21, v1 :: v_dual_lshlrev_b32 v2, 2, v0
	ds_store_b32 v2, v1
.LBB208_23:
	s_or_b32 exec_lo, exec_lo, s2
	s_cmp_lt_i32 s5, 1
	s_waitcnt lgkmcnt(0)
	s_waitcnt_vscnt null, 0x0
	s_barrier
	buffer_gl0_inv
	s_cbranch_scc1 .LBB208_38
; %bb.24:
	s_load_b32 s2, s[0:1], 0x28
	s_lshl_b64 s[0:1], s[10:11], 2
	v_cmp_neq_f32_e64 s10, s20, 0
	s_add_u32 s7, s8, s0
	s_addc_u32 s8, s9, s1
	s_ashr_i32 s9, s6, 31
	s_mov_b32 s1, 0
	s_waitcnt lgkmcnt(0)
	v_mad_i64_i32 v[1:2], null, s2, v0, 0
	s_ashr_i32 s3, s2, 31
	s_cmp_gt_i32 s4, 0
	s_cselect_b32 s11, -1, 0
	s_and_b32 s14, s4, 7
	s_cmp_gt_u32 s4, 7
	s_delay_alu instid0(VALU_DEP_1) | instskip(SKIP_3) | instid1(VALU_DEP_1)
	v_lshlrev_b64 v[1:2], 2, v[1:2]
	s_cselect_b32 s15, -1, 0
	s_and_b32 s4, s4, 0x7ffffff8
	s_cmp_lg_u32 s14, 0
	v_add_co_u32 v1, vcc_lo, s12, v1
	s_delay_alu instid0(VALU_DEP_2)
	v_add_co_ci_u32_e32 v2, vcc_lo, s13, v2, vcc_lo
	s_cselect_b32 s12, -1, 0
	s_lshl_b64 s[2:3], s[2:3], 10
	s_mov_b32 s13, 0
	s_branch .LBB208_27
.LBB208_25:                             ;   in Loop: Header=BB208_27 Depth=1
	s_delay_alu instid0(VALU_DEP_2)
	v_add_co_u32 v3, vcc_lo, s7, v3
	v_add_co_ci_u32_e32 v4, vcc_lo, s8, v4, vcc_lo
	global_store_b32 v[3:4], v7, off
.LBB208_26:                             ;   in Loop: Header=BB208_27 Depth=1
	s_or_b32 exec_lo, exec_lo, s16
	v_add_co_u32 v1, vcc_lo, v1, s2
	v_add_co_ci_u32_e32 v2, vcc_lo, s3, v2, vcc_lo
	s_addk_i32 s13, 0x100
	s_delay_alu instid0(SALU_CYCLE_1)
	s_cmp_ge_i32 s13, s5
	s_cbranch_scc1 .LBB208_38
.LBB208_27:                             ; =>This Loop Header: Depth=1
                                        ;     Child Loop BB208_33 Depth 2
                                        ;     Child Loop BB208_37 Depth 2
	v_add_nc_u32_e32 v3, s13, v0
	s_mov_b32 s16, exec_lo
	s_delay_alu instid0(VALU_DEP_1)
	v_cmpx_gt_i32_e64 s5, v3
	s_cbranch_execz .LBB208_26
; %bb.28:                               ;   in Loop: Header=BB208_27 Depth=1
	v_mad_u64_u32 v[4:5], null, v3, s6, 0
	s_and_not1_b32 vcc_lo, exec_lo, s10
	s_delay_alu instid0(VALU_DEP_1) | instskip(NEXT) | instid1(VALU_DEP_1)
	v_mad_u64_u32 v[6:7], null, v3, s9, v[5:6]
	v_mov_b32_e32 v5, v6
	s_delay_alu instid0(VALU_DEP_1)
	v_lshlrev_b64 v[3:4], 2, v[4:5]
	s_cbranch_vccnz .LBB208_30
; %bb.29:                               ;   in Loop: Header=BB208_27 Depth=1
	s_delay_alu instid0(VALU_DEP_1) | instskip(NEXT) | instid1(VALU_DEP_2)
	v_add_co_u32 v5, vcc_lo, s7, v3
	v_add_co_ci_u32_e32 v6, vcc_lo, s8, v4, vcc_lo
	global_load_b32 v5, v[5:6], off
	s_waitcnt vmcnt(0)
	v_mul_f32_e32 v7, s20, v5
	s_and_not1_b32 vcc_lo, exec_lo, s11
	s_cbranch_vccz .LBB208_31
	s_branch .LBB208_25
.LBB208_30:                             ;   in Loop: Header=BB208_27 Depth=1
	v_mov_b32_e32 v7, 0
	s_and_not1_b32 vcc_lo, exec_lo, s11
	s_cbranch_vccnz .LBB208_25
.LBB208_31:                             ;   in Loop: Header=BB208_27 Depth=1
	s_and_not1_b32 vcc_lo, exec_lo, s15
	s_cbranch_vccnz .LBB208_35
; %bb.32:                               ;   in Loop: Header=BB208_27 Depth=1
	v_dual_mov_b32 v6, v2 :: v_dual_mov_b32 v5, v1
	s_mov_b32 s0, 0
	s_mov_b32 s17, 0
	.p2align	6
.LBB208_33:                             ;   Parent Loop BB208_27 Depth=1
                                        ; =>  This Inner Loop Header: Depth=2
	s_clause 0x1
	flat_load_b128 v[8:11], v[5:6]
	flat_load_b128 v[12:15], v[5:6] offset:16
	v_mov_b32_e32 v20, s0
	v_add_co_u32 v5, vcc_lo, v5, 32
	v_add_co_ci_u32_e32 v6, vcc_lo, 0, v6, vcc_lo
	ds_load_b128 v[16:19], v20
	ds_load_b128 v[20:23], v20 offset:16
	s_add_i32 s17, s17, 8
	s_add_i32 s0, s0, 32
	s_cmp_eq_u32 s4, s17
	s_waitcnt vmcnt(1) lgkmcnt(1)
	v_fmac_f32_e32 v7, v16, v8
	s_delay_alu instid0(VALU_DEP_1) | instskip(NEXT) | instid1(VALU_DEP_1)
	v_fmac_f32_e32 v7, v17, v9
	v_fmac_f32_e32 v7, v18, v10
	s_delay_alu instid0(VALU_DEP_1) | instskip(SKIP_1) | instid1(VALU_DEP_1)
	v_fmac_f32_e32 v7, v19, v11
	s_waitcnt vmcnt(0) lgkmcnt(0)
	v_fmac_f32_e32 v7, v20, v12
	s_delay_alu instid0(VALU_DEP_1) | instskip(NEXT) | instid1(VALU_DEP_1)
	v_fmac_f32_e32 v7, v21, v13
	v_fmac_f32_e32 v7, v22, v14
	s_delay_alu instid0(VALU_DEP_1)
	v_fmac_f32_e32 v7, v23, v15
	s_cbranch_scc0 .LBB208_33
; %bb.34:                               ;   in Loop: Header=BB208_27 Depth=1
	s_mov_b32 s0, s4
	s_and_not1_b32 vcc_lo, exec_lo, s12
	s_cbranch_vccz .LBB208_36
	s_branch .LBB208_25
.LBB208_35:                             ;   in Loop: Header=BB208_27 Depth=1
	s_mov_b32 s0, 0
	s_and_not1_b32 vcc_lo, exec_lo, s12
	s_cbranch_vccnz .LBB208_25
.LBB208_36:                             ;   in Loop: Header=BB208_27 Depth=1
	s_lshl_b64 s[18:19], s[0:1], 2
	s_lshl_b32 s0, s0, 2
	v_add_co_u32 v5, vcc_lo, v1, s18
	v_add_co_ci_u32_e32 v6, vcc_lo, s19, v2, vcc_lo
	s_mov_b32 s17, s14
.LBB208_37:                             ;   Parent Loop BB208_27 Depth=1
                                        ; =>  This Inner Loop Header: Depth=2
	flat_load_b32 v8, v[5:6]
	v_mov_b32_e32 v9, s0
	v_add_co_u32 v5, vcc_lo, v5, 4
	v_add_co_ci_u32_e32 v6, vcc_lo, 0, v6, vcc_lo
	ds_load_b32 v9, v9
	s_add_i32 s17, s17, -1
	s_add_i32 s0, s0, 4
	s_cmp_lg_u32 s17, 0
	s_waitcnt vmcnt(0) lgkmcnt(0)
	v_fmac_f32_e32 v7, v9, v8
	s_cbranch_scc1 .LBB208_37
	s_branch .LBB208_25
.LBB208_38:
	s_nop 0
	s_sendmsg sendmsg(MSG_DEALLOC_VGPRS)
	s_endpgm
	.section	.rodata,"a",@progbits
	.p2align	6, 0x0
	.amdhsa_kernel _ZL22rocblas_gemvtsm_kernelILb0ELi256EPKfS1_KPfEviiT2_lPKT1_lilS7_lilS4_lPT3_lil
		.amdhsa_group_segment_fixed_size 256
		.amdhsa_private_segment_fixed_size 0
		.amdhsa_kernarg_size 136
		.amdhsa_user_sgpr_count 15
		.amdhsa_user_sgpr_dispatch_ptr 0
		.amdhsa_user_sgpr_queue_ptr 0
		.amdhsa_user_sgpr_kernarg_segment_ptr 1
		.amdhsa_user_sgpr_dispatch_id 0
		.amdhsa_user_sgpr_private_segment_size 0
		.amdhsa_wavefront_size32 1
		.amdhsa_uses_dynamic_stack 0
		.amdhsa_enable_private_segment 0
		.amdhsa_system_sgpr_workgroup_id_x 1
		.amdhsa_system_sgpr_workgroup_id_y 0
		.amdhsa_system_sgpr_workgroup_id_z 0
		.amdhsa_system_sgpr_workgroup_info 0
		.amdhsa_system_vgpr_workitem_id 0
		.amdhsa_next_free_vgpr 24
		.amdhsa_next_free_sgpr 22
		.amdhsa_reserve_vcc 1
		.amdhsa_float_round_mode_32 0
		.amdhsa_float_round_mode_16_64 0
		.amdhsa_float_denorm_mode_32 3
		.amdhsa_float_denorm_mode_16_64 3
		.amdhsa_dx10_clamp 1
		.amdhsa_ieee_mode 1
		.amdhsa_fp16_overflow 0
		.amdhsa_workgroup_processor_mode 1
		.amdhsa_memory_ordered 1
		.amdhsa_forward_progress 0
		.amdhsa_shared_vgpr_count 0
		.amdhsa_exception_fp_ieee_invalid_op 0
		.amdhsa_exception_fp_denorm_src 0
		.amdhsa_exception_fp_ieee_div_zero 0
		.amdhsa_exception_fp_ieee_overflow 0
		.amdhsa_exception_fp_ieee_underflow 0
		.amdhsa_exception_fp_ieee_inexact 0
		.amdhsa_exception_int_div_zero 0
	.end_amdhsa_kernel
	.section	.text._ZL22rocblas_gemvtsm_kernelILb0ELi256EPKfS1_KPfEviiT2_lPKT1_lilS7_lilS4_lPT3_lil,"axG",@progbits,_ZL22rocblas_gemvtsm_kernelILb0ELi256EPKfS1_KPfEviiT2_lPKT1_lilS7_lilS4_lPT3_lil,comdat
.Lfunc_end208:
	.size	_ZL22rocblas_gemvtsm_kernelILb0ELi256EPKfS1_KPfEviiT2_lPKT1_lilS7_lilS4_lPT3_lil, .Lfunc_end208-_ZL22rocblas_gemvtsm_kernelILb0ELi256EPKfS1_KPfEviiT2_lPKT1_lilS7_lilS4_lPT3_lil
                                        ; -- End function
	.section	.AMDGPU.csdata,"",@progbits
; Kernel info:
; codeLenInByte = 1408
; NumSgprs: 24
; NumVgprs: 24
; ScratchSize: 0
; MemoryBound: 0
; FloatMode: 240
; IeeeMode: 1
; LDSByteSize: 256 bytes/workgroup (compile time only)
; SGPRBlocks: 2
; VGPRBlocks: 2
; NumSGPRsForWavesPerEU: 24
; NumVGPRsForWavesPerEU: 24
; Occupancy: 16
; WaveLimiterHint : 1
; COMPUTE_PGM_RSRC2:SCRATCH_EN: 0
; COMPUTE_PGM_RSRC2:USER_SGPR: 15
; COMPUTE_PGM_RSRC2:TRAP_HANDLER: 0
; COMPUTE_PGM_RSRC2:TGID_X_EN: 1
; COMPUTE_PGM_RSRC2:TGID_Y_EN: 0
; COMPUTE_PGM_RSRC2:TGID_Z_EN: 0
; COMPUTE_PGM_RSRC2:TIDIG_COMP_CNT: 0
	.section	.text._ZL22rocblas_gemvtsm_kernelILb0ELi256EPKffKPfEviiT2_lPKT1_lilS7_lilS4_lPT3_lil,"axG",@progbits,_ZL22rocblas_gemvtsm_kernelILb0ELi256EPKffKPfEviiT2_lPKT1_lilS7_lilS4_lPT3_lil,comdat
	.globl	_ZL22rocblas_gemvtsm_kernelILb0ELi256EPKffKPfEviiT2_lPKT1_lilS7_lilS4_lPT3_lil ; -- Begin function _ZL22rocblas_gemvtsm_kernelILb0ELi256EPKffKPfEviiT2_lPKT1_lilS7_lilS4_lPT3_lil
	.p2align	8
	.type	_ZL22rocblas_gemvtsm_kernelILb0ELi256EPKffKPfEviiT2_lPKT1_lilS7_lilS4_lPT3_lil,@function
_ZL22rocblas_gemvtsm_kernelILb0ELi256EPKffKPfEviiT2_lPKT1_lilS7_lilS4_lPT3_lil: ; @_ZL22rocblas_gemvtsm_kernelILb0ELi256EPKffKPfEviiT2_lPKT1_lilS7_lilS4_lPT3_lil
; %bb.0:
	s_load_b128 s[4:7], s[0:1], 0x0
	s_waitcnt lgkmcnt(0)
	s_load_b32 s7, s[0:1], 0x58
	v_cmp_eq_f32_e64 s13, s6, 0
	s_waitcnt lgkmcnt(0)
	v_cmp_eq_f32_e64 s3, s7, 1.0
	s_delay_alu instid0(VALU_DEP_1) | instskip(NEXT) | instid1(SALU_CYCLE_1)
	s_and_b32 s3, s13, s3
	s_and_b32 vcc_lo, exec_lo, s3
	s_cbranch_vccnz .LBB209_41
; %bb.1:
	v_cmp_neq_f32_e64 s8, s6, 0
	s_mov_b32 s2, s15
	s_delay_alu instid0(VALU_DEP_1)
	s_and_b32 vcc_lo, exec_lo, s8
	s_cbranch_vccnz .LBB209_3
; %bb.2:
	s_mov_b32 s3, 0
	s_mov_b64 s[14:15], 0
	s_cbranch_execz .LBB209_4
	s_branch .LBB209_5
.LBB209_3:
	s_mov_b32 s3, -1
                                        ; implicit-def: $sgpr14_sgpr15
.LBB209_4:
	s_load_b128 s[16:19], s[0:1], 0x18
	s_mov_b32 s3, 0
	s_delay_alu instid0(SALU_CYCLE_1)
	s_lshl_b64 s[10:11], s[2:3], 3
	s_waitcnt lgkmcnt(0)
	s_add_u32 s10, s16, s10
	s_addc_u32 s11, s17, s11
	s_lshl_b64 s[14:15], s[18:19], 2
	s_load_b64 s[10:11], s[10:11], 0x0
	s_waitcnt lgkmcnt(0)
	s_add_u32 s14, s10, s14
	s_addc_u32 s15, s11, s15
.LBB209_5:
	s_and_not1_b32 vcc_lo, exec_lo, s8
	s_cbranch_vccnz .LBB209_7
; %bb.6:
	s_load_b128 s[8:11], s[0:1], 0x38
	s_lshl_b64 s[16:17], s[2:3], 3
	s_waitcnt lgkmcnt(0)
	s_add_u32 s8, s8, s16
	s_addc_u32 s9, s9, s17
	s_lshl_b64 s[10:11], s[10:11], 2
	s_load_b64 s[8:9], s[8:9], 0x0
	s_waitcnt lgkmcnt(0)
	s_add_u32 s16, s8, s10
	s_addc_u32 s17, s9, s11
	s_branch .LBB209_8
.LBB209_7:
	s_mov_b64 s[16:17], 0
.LBB209_8:
	s_clause 0x1
	s_load_b128 s[8:11], s[0:1], 0x68
	s_load_b32 s12, s[0:1], 0x78
	s_lshl_b64 s[2:3], s[2:3], 3
	s_waitcnt lgkmcnt(0)
	s_add_u32 s2, s8, s2
	s_addc_u32 s3, s9, s3
	s_and_not1_b32 vcc_lo, exec_lo, s13
	s_load_b64 s[8:9], s[2:3], 0x0
	s_mov_b32 s2, -1
	s_cbranch_vccnz .LBB209_23
; %bb.9:
	s_cmp_gt_i32 s5, 0
	v_cmp_neq_f32_e64 s2, s7, 0
	s_cselect_b32 s18, -1, 0
	s_delay_alu instid0(SALU_CYCLE_1) | instskip(NEXT) | instid1(VALU_DEP_2)
	v_cndmask_b32_e64 v1, 0, 1, s18
	s_and_b32 vcc_lo, exec_lo, s2
	s_delay_alu instid0(VALU_DEP_1)
	v_cmp_ne_u32_e64 s2, 1, v1
	s_cbranch_vccnz .LBB209_16
; %bb.10:
	s_delay_alu instid0(VALU_DEP_1)
	s_and_b32 vcc_lo, exec_lo, s2
	s_cbranch_vccnz .LBB209_15
; %bb.11:
	v_mad_i64_i32 v[1:2], null, s12, v0, 0
	s_lshl_b64 s[2:3], s[10:11], 2
	s_ashr_i32 s13, s12, 31
	s_waitcnt lgkmcnt(0)
	s_add_u32 s2, s8, s2
	s_addc_u32 s3, s9, s3
	v_mov_b32_e32 v3, 0
	s_delay_alu instid0(VALU_DEP_2) | instskip(NEXT) | instid1(VALU_DEP_1)
	v_lshlrev_b64 v[1:2], 2, v[1:2]
	v_add_co_u32 v1, vcc_lo, s2, v1
	s_delay_alu instid0(VALU_DEP_2)
	v_add_co_ci_u32_e32 v2, vcc_lo, s3, v2, vcc_lo
	s_lshl_b64 s[2:3], s[12:13], 10
	s_mov_b32 s13, 0
	s_branch .LBB209_13
.LBB209_12:                             ;   in Loop: Header=BB209_13 Depth=1
	s_or_b32 exec_lo, exec_lo, s19
	v_add_co_u32 v1, vcc_lo, v1, s2
	v_add_co_ci_u32_e32 v2, vcc_lo, s3, v2, vcc_lo
	s_addk_i32 s13, 0x100
	s_delay_alu instid0(SALU_CYCLE_1)
	s_cmp_ge_i32 s13, s5
	s_cbranch_scc1 .LBB209_15
.LBB209_13:                             ; =>This Inner Loop Header: Depth=1
	v_add_nc_u32_e32 v4, s13, v0
	s_mov_b32 s19, exec_lo
	s_delay_alu instid0(VALU_DEP_1)
	v_cmpx_gt_i32_e64 s5, v4
	s_cbranch_execz .LBB209_12
; %bb.14:                               ;   in Loop: Header=BB209_13 Depth=1
	global_store_b32 v[1:2], v3, off
	s_branch .LBB209_12
.LBB209_15:
	s_cbranch_execz .LBB209_17
	s_branch .LBB209_22
.LBB209_16:
.LBB209_17:
	s_and_not1_b32 vcc_lo, exec_lo, s18
	s_cbranch_vccnz .LBB209_22
; %bb.18:
	v_mad_i64_i32 v[1:2], null, s12, v0, 0
	s_lshl_b64 s[2:3], s[10:11], 2
	s_ashr_i32 s13, s12, 31
	s_waitcnt lgkmcnt(0)
	s_add_u32 s2, s8, s2
	s_addc_u32 s3, s9, s3
	s_delay_alu instid0(VALU_DEP_1) | instskip(NEXT) | instid1(VALU_DEP_1)
	v_lshlrev_b64 v[1:2], 2, v[1:2]
	v_add_co_u32 v1, vcc_lo, s2, v1
	s_delay_alu instid0(VALU_DEP_2)
	v_add_co_ci_u32_e32 v2, vcc_lo, s3, v2, vcc_lo
	s_lshl_b64 s[2:3], s[12:13], 10
	s_mov_b32 s13, 0
	s_branch .LBB209_20
	.p2align	6
.LBB209_19:                             ;   in Loop: Header=BB209_20 Depth=1
	s_or_b32 exec_lo, exec_lo, s18
	v_add_co_u32 v1, vcc_lo, v1, s2
	v_add_co_ci_u32_e32 v2, vcc_lo, s3, v2, vcc_lo
	s_addk_i32 s13, 0x100
	s_delay_alu instid0(SALU_CYCLE_1)
	s_cmp_ge_i32 s13, s5
	s_cbranch_scc1 .LBB209_22
.LBB209_20:                             ; =>This Inner Loop Header: Depth=1
	v_add_nc_u32_e32 v3, s13, v0
	s_mov_b32 s18, exec_lo
	s_delay_alu instid0(VALU_DEP_1)
	v_cmpx_gt_i32_e64 s5, v3
	s_cbranch_execz .LBB209_19
; %bb.21:                               ;   in Loop: Header=BB209_20 Depth=1
	global_load_b32 v3, v[1:2], off
	s_waitcnt vmcnt(0)
	v_mul_f32_e32 v3, s7, v3
	global_store_b32 v[1:2], v3, off
	s_branch .LBB209_19
.LBB209_22:
	s_mov_b32 s2, 0
.LBB209_23:
	s_delay_alu instid0(SALU_CYCLE_1)
	s_and_not1_b32 vcc_lo, exec_lo, s2
	s_cbranch_vccnz .LBB209_41
; %bb.24:
	s_mov_b32 s2, exec_lo
	v_cmpx_gt_i32_e64 s4, v0
	s_cbranch_execz .LBB209_26
; %bb.25:
	s_load_b32 s3, s[0:1], 0x48
	s_waitcnt lgkmcnt(0)
	v_mad_i64_i32 v[1:2], null, s3, v0, 0
	s_delay_alu instid0(VALU_DEP_1) | instskip(NEXT) | instid1(VALU_DEP_1)
	v_lshlrev_b64 v[1:2], 2, v[1:2]
	v_add_co_u32 v1, vcc_lo, s16, v1
	s_delay_alu instid0(VALU_DEP_2)
	v_add_co_ci_u32_e32 v2, vcc_lo, s17, v2, vcc_lo
	flat_load_b32 v1, v[1:2]
	s_waitcnt vmcnt(0) lgkmcnt(0)
	v_dual_mul_f32 v1, s6, v1 :: v_dual_lshlrev_b32 v2, 2, v0
	ds_store_b32 v2, v1
.LBB209_26:
	s_or_b32 exec_lo, exec_lo, s2
	s_cmp_lt_i32 s5, 1
	s_waitcnt lgkmcnt(0)
	s_waitcnt_vscnt null, 0x0
	s_barrier
	buffer_gl0_inv
	s_cbranch_scc1 .LBB209_41
; %bb.27:
	s_load_b32 s2, s[0:1], 0x28
	s_lshl_b64 s[0:1], s[10:11], 2
	v_cmp_neq_f32_e64 s10, s7, 0
	s_add_u32 s6, s8, s0
	s_addc_u32 s8, s9, s1
	s_ashr_i32 s9, s12, 31
	s_mov_b32 s1, 0
	s_waitcnt lgkmcnt(0)
	v_mad_i64_i32 v[1:2], null, s2, v0, 0
	s_ashr_i32 s3, s2, 31
	s_cmp_gt_i32 s4, 0
	s_cselect_b32 s11, -1, 0
	s_and_b32 s13, s4, 7
	s_cmp_gt_u32 s4, 7
	s_delay_alu instid0(VALU_DEP_1) | instskip(SKIP_3) | instid1(VALU_DEP_1)
	v_lshlrev_b64 v[1:2], 2, v[1:2]
	s_cselect_b32 s16, -1, 0
	s_and_b32 s4, s4, 0x7ffffff8
	s_cmp_lg_u32 s13, 0
	v_add_co_u32 v1, vcc_lo, s14, v1
	s_delay_alu instid0(VALU_DEP_2)
	v_add_co_ci_u32_e32 v2, vcc_lo, s15, v2, vcc_lo
	s_cselect_b32 s14, -1, 0
	s_lshl_b64 s[2:3], s[2:3], 10
	s_mov_b32 s15, 0
	s_branch .LBB209_30
.LBB209_28:                             ;   in Loop: Header=BB209_30 Depth=1
	s_delay_alu instid0(VALU_DEP_2)
	v_add_co_u32 v3, vcc_lo, s6, v3
	v_add_co_ci_u32_e32 v4, vcc_lo, s8, v4, vcc_lo
	global_store_b32 v[3:4], v7, off
.LBB209_29:                             ;   in Loop: Header=BB209_30 Depth=1
	s_or_b32 exec_lo, exec_lo, s17
	v_add_co_u32 v1, vcc_lo, v1, s2
	v_add_co_ci_u32_e32 v2, vcc_lo, s3, v2, vcc_lo
	s_addk_i32 s15, 0x100
	s_delay_alu instid0(SALU_CYCLE_1)
	s_cmp_ge_i32 s15, s5
	s_cbranch_scc1 .LBB209_41
.LBB209_30:                             ; =>This Loop Header: Depth=1
                                        ;     Child Loop BB209_36 Depth 2
                                        ;     Child Loop BB209_40 Depth 2
	v_add_nc_u32_e32 v3, s15, v0
	s_mov_b32 s17, exec_lo
	s_delay_alu instid0(VALU_DEP_1)
	v_cmpx_gt_i32_e64 s5, v3
	s_cbranch_execz .LBB209_29
; %bb.31:                               ;   in Loop: Header=BB209_30 Depth=1
	v_mad_u64_u32 v[4:5], null, v3, s12, 0
	s_and_not1_b32 vcc_lo, exec_lo, s10
	s_delay_alu instid0(VALU_DEP_1) | instskip(NEXT) | instid1(VALU_DEP_1)
	v_mad_u64_u32 v[6:7], null, v3, s9, v[5:6]
	v_mov_b32_e32 v5, v6
	s_delay_alu instid0(VALU_DEP_1)
	v_lshlrev_b64 v[3:4], 2, v[4:5]
	s_cbranch_vccnz .LBB209_33
; %bb.32:                               ;   in Loop: Header=BB209_30 Depth=1
	s_delay_alu instid0(VALU_DEP_1) | instskip(NEXT) | instid1(VALU_DEP_2)
	v_add_co_u32 v5, vcc_lo, s6, v3
	v_add_co_ci_u32_e32 v6, vcc_lo, s8, v4, vcc_lo
	global_load_b32 v5, v[5:6], off
	s_waitcnt vmcnt(0)
	v_mul_f32_e32 v7, s7, v5
	s_and_not1_b32 vcc_lo, exec_lo, s11
	s_cbranch_vccz .LBB209_34
	s_branch .LBB209_28
.LBB209_33:                             ;   in Loop: Header=BB209_30 Depth=1
	v_mov_b32_e32 v7, 0
	s_and_not1_b32 vcc_lo, exec_lo, s11
	s_cbranch_vccnz .LBB209_28
.LBB209_34:                             ;   in Loop: Header=BB209_30 Depth=1
	s_and_not1_b32 vcc_lo, exec_lo, s16
	s_cbranch_vccnz .LBB209_38
; %bb.35:                               ;   in Loop: Header=BB209_30 Depth=1
	v_dual_mov_b32 v6, v2 :: v_dual_mov_b32 v5, v1
	s_mov_b32 s0, 0
	s_mov_b32 s18, 0
	.p2align	6
.LBB209_36:                             ;   Parent Loop BB209_30 Depth=1
                                        ; =>  This Inner Loop Header: Depth=2
	s_clause 0x1
	flat_load_b128 v[8:11], v[5:6]
	flat_load_b128 v[12:15], v[5:6] offset:16
	v_mov_b32_e32 v20, s0
	v_add_co_u32 v5, vcc_lo, v5, 32
	v_add_co_ci_u32_e32 v6, vcc_lo, 0, v6, vcc_lo
	ds_load_b128 v[16:19], v20
	ds_load_b128 v[20:23], v20 offset:16
	s_add_i32 s18, s18, 8
	s_add_i32 s0, s0, 32
	s_cmp_eq_u32 s4, s18
	s_waitcnt vmcnt(1) lgkmcnt(1)
	v_fmac_f32_e32 v7, v16, v8
	s_delay_alu instid0(VALU_DEP_1) | instskip(NEXT) | instid1(VALU_DEP_1)
	v_fmac_f32_e32 v7, v17, v9
	v_fmac_f32_e32 v7, v18, v10
	s_delay_alu instid0(VALU_DEP_1) | instskip(SKIP_1) | instid1(VALU_DEP_1)
	v_fmac_f32_e32 v7, v19, v11
	s_waitcnt vmcnt(0) lgkmcnt(0)
	v_fmac_f32_e32 v7, v20, v12
	s_delay_alu instid0(VALU_DEP_1) | instskip(NEXT) | instid1(VALU_DEP_1)
	v_fmac_f32_e32 v7, v21, v13
	v_fmac_f32_e32 v7, v22, v14
	s_delay_alu instid0(VALU_DEP_1)
	v_fmac_f32_e32 v7, v23, v15
	s_cbranch_scc0 .LBB209_36
; %bb.37:                               ;   in Loop: Header=BB209_30 Depth=1
	s_mov_b32 s0, s4
	s_and_not1_b32 vcc_lo, exec_lo, s14
	s_cbranch_vccz .LBB209_39
	s_branch .LBB209_28
.LBB209_38:                             ;   in Loop: Header=BB209_30 Depth=1
	s_mov_b32 s0, 0
	s_and_not1_b32 vcc_lo, exec_lo, s14
	s_cbranch_vccnz .LBB209_28
.LBB209_39:                             ;   in Loop: Header=BB209_30 Depth=1
	s_lshl_b64 s[18:19], s[0:1], 2
	s_lshl_b32 s0, s0, 2
	v_add_co_u32 v5, vcc_lo, v1, s18
	v_add_co_ci_u32_e32 v6, vcc_lo, s19, v2, vcc_lo
	s_mov_b32 s18, s13
.LBB209_40:                             ;   Parent Loop BB209_30 Depth=1
                                        ; =>  This Inner Loop Header: Depth=2
	flat_load_b32 v8, v[5:6]
	v_mov_b32_e32 v9, s0
	v_add_co_u32 v5, vcc_lo, v5, 4
	v_add_co_ci_u32_e32 v6, vcc_lo, 0, v6, vcc_lo
	ds_load_b32 v9, v9
	s_add_i32 s18, s18, -1
	s_add_i32 s0, s0, 4
	s_cmp_lg_u32 s18, 0
	s_waitcnt vmcnt(0) lgkmcnt(0)
	v_fmac_f32_e32 v7, v9, v8
	s_cbranch_scc1 .LBB209_40
	s_branch .LBB209_28
.LBB209_41:
	s_nop 0
	s_sendmsg sendmsg(MSG_DEALLOC_VGPRS)
	s_endpgm
	.section	.rodata,"a",@progbits
	.p2align	6, 0x0
	.amdhsa_kernel _ZL22rocblas_gemvtsm_kernelILb0ELi256EPKffKPfEviiT2_lPKT1_lilS7_lilS4_lPT3_lil
		.amdhsa_group_segment_fixed_size 256
		.amdhsa_private_segment_fixed_size 0
		.amdhsa_kernarg_size 136
		.amdhsa_user_sgpr_count 15
		.amdhsa_user_sgpr_dispatch_ptr 0
		.amdhsa_user_sgpr_queue_ptr 0
		.amdhsa_user_sgpr_kernarg_segment_ptr 1
		.amdhsa_user_sgpr_dispatch_id 0
		.amdhsa_user_sgpr_private_segment_size 0
		.amdhsa_wavefront_size32 1
		.amdhsa_uses_dynamic_stack 0
		.amdhsa_enable_private_segment 0
		.amdhsa_system_sgpr_workgroup_id_x 1
		.amdhsa_system_sgpr_workgroup_id_y 0
		.amdhsa_system_sgpr_workgroup_id_z 0
		.amdhsa_system_sgpr_workgroup_info 0
		.amdhsa_system_vgpr_workitem_id 0
		.amdhsa_next_free_vgpr 24
		.amdhsa_next_free_sgpr 20
		.amdhsa_reserve_vcc 1
		.amdhsa_float_round_mode_32 0
		.amdhsa_float_round_mode_16_64 0
		.amdhsa_float_denorm_mode_32 3
		.amdhsa_float_denorm_mode_16_64 3
		.amdhsa_dx10_clamp 1
		.amdhsa_ieee_mode 1
		.amdhsa_fp16_overflow 0
		.amdhsa_workgroup_processor_mode 1
		.amdhsa_memory_ordered 1
		.amdhsa_forward_progress 0
		.amdhsa_shared_vgpr_count 0
		.amdhsa_exception_fp_ieee_invalid_op 0
		.amdhsa_exception_fp_denorm_src 0
		.amdhsa_exception_fp_ieee_div_zero 0
		.amdhsa_exception_fp_ieee_overflow 0
		.amdhsa_exception_fp_ieee_underflow 0
		.amdhsa_exception_fp_ieee_inexact 0
		.amdhsa_exception_int_div_zero 0
	.end_amdhsa_kernel
	.section	.text._ZL22rocblas_gemvtsm_kernelILb0ELi256EPKffKPfEviiT2_lPKT1_lilS7_lilS4_lPT3_lil,"axG",@progbits,_ZL22rocblas_gemvtsm_kernelILb0ELi256EPKffKPfEviiT2_lPKT1_lilS7_lilS4_lPT3_lil,comdat
.Lfunc_end209:
	.size	_ZL22rocblas_gemvtsm_kernelILb0ELi256EPKffKPfEviiT2_lPKT1_lilS7_lilS4_lPT3_lil, .Lfunc_end209-_ZL22rocblas_gemvtsm_kernelILb0ELi256EPKffKPfEviiT2_lPKT1_lilS7_lilS4_lPT3_lil
                                        ; -- End function
	.section	.AMDGPU.csdata,"",@progbits
; Kernel info:
; codeLenInByte = 1364
; NumSgprs: 22
; NumVgprs: 24
; ScratchSize: 0
; MemoryBound: 0
; FloatMode: 240
; IeeeMode: 1
; LDSByteSize: 256 bytes/workgroup (compile time only)
; SGPRBlocks: 2
; VGPRBlocks: 2
; NumSGPRsForWavesPerEU: 22
; NumVGPRsForWavesPerEU: 24
; Occupancy: 16
; WaveLimiterHint : 1
; COMPUTE_PGM_RSRC2:SCRATCH_EN: 0
; COMPUTE_PGM_RSRC2:USER_SGPR: 15
; COMPUTE_PGM_RSRC2:TRAP_HANDLER: 0
; COMPUTE_PGM_RSRC2:TGID_X_EN: 1
; COMPUTE_PGM_RSRC2:TGID_Y_EN: 0
; COMPUTE_PGM_RSRC2:TGID_Z_EN: 0
; COMPUTE_PGM_RSRC2:TIDIG_COMP_CNT: 0
	.section	.text._ZL23rocblas_gemvt_sn_kernelILb0ELi256ELi4EiPKfS1_fEviiT4_lPKT3_lilS5_lilPT5_i,"axG",@progbits,_ZL23rocblas_gemvt_sn_kernelILb0ELi256ELi4EiPKfS1_fEviiT4_lPKT3_lilS5_lilPT5_i,comdat
	.globl	_ZL23rocblas_gemvt_sn_kernelILb0ELi256ELi4EiPKfS1_fEviiT4_lPKT3_lilS5_lilPT5_i ; -- Begin function _ZL23rocblas_gemvt_sn_kernelILb0ELi256ELi4EiPKfS1_fEviiT4_lPKT3_lilS5_lilPT5_i
	.p2align	8
	.type	_ZL23rocblas_gemvt_sn_kernelILb0ELi256ELi4EiPKfS1_fEviiT4_lPKT3_lilS5_lilPT5_i,@function
_ZL23rocblas_gemvt_sn_kernelILb0ELi256ELi4EiPKfS1_fEviiT4_lPKT3_lilS5_lilPT5_i: ; @_ZL23rocblas_gemvt_sn_kernelILb0ELi256ELi4EiPKfS1_fEviiT4_lPKT3_lilS5_lilPT5_i
; %bb.0:
	s_load_b256 s[4:11], s[0:1], 0x8
	s_mov_b32 s18, s15
	s_mov_b32 s19, 0
	s_mov_b64 s[12:13], 0
	s_waitcnt lgkmcnt(0)
	s_mul_i32 s2, s15, s7
	s_mul_hi_u32 s3, s15, s6
	s_delay_alu instid0(SALU_CYCLE_1) | instskip(SKIP_1) | instid1(SALU_CYCLE_1)
	s_add_i32 s3, s3, s2
	s_mul_i32 s2, s15, s6
	s_lshl_b64 s[2:3], s[2:3], 2
	s_delay_alu instid0(SALU_CYCLE_1)
	s_add_u32 s2, s4, s2
	s_addc_u32 s3, s5, s3
	s_load_b32 s28, s[2:3], 0x0
	s_mov_b64 s[2:3], 0
	s_waitcnt lgkmcnt(0)
	v_cmp_eq_f32_e64 s4, s28, 0
	v_cmp_neq_f32_e64 s5, s28, 0
	s_delay_alu instid0(VALU_DEP_2)
	s_and_b32 vcc_lo, exec_lo, s4
	s_cbranch_vccnz .LBB210_2
; %bb.1:
	s_lshl_b64 s[2:3], s[18:19], 3
	s_delay_alu instid0(SALU_CYCLE_1)
	s_add_u32 s2, s8, s2
	s_addc_u32 s3, s9, s3
	s_lshl_b64 s[6:7], s[10:11], 2
	s_load_b64 s[2:3], s[2:3], 0x0
	s_waitcnt lgkmcnt(0)
	s_add_u32 s2, s2, s6
	s_addc_u32 s3, s3, s7
.LBB210_2:
	s_delay_alu instid0(VALU_DEP_1)
	s_and_not1_b32 vcc_lo, exec_lo, s5
	s_cbranch_vccnz .LBB210_4
; %bb.3:
	s_load_b128 s[8:11], s[0:1], 0x38
	s_lshl_b64 s[6:7], s[18:19], 3
	s_waitcnt lgkmcnt(0)
	s_add_u32 s6, s8, s6
	s_addc_u32 s7, s9, s7
	s_lshl_b64 s[8:9], s[10:11], 2
	s_load_b64 s[6:7], s[6:7], 0x0
	s_waitcnt lgkmcnt(0)
	s_add_u32 s12, s6, s8
	s_addc_u32 s13, s7, s9
.LBB210_4:
	s_clause 0x2
	s_load_b64 s[10:11], s[0:1], 0x0
	s_load_b32 s16, s[0:1], 0x68
	s_load_b64 s[6:7], s[0:1], 0x58
	s_mov_b32 s17, 0
	s_waitcnt lgkmcnt(0)
	s_ashr_i32 s8, s11, 31
	s_mul_hi_u32 s5, s11, s18
	s_mul_i32 s9, s8, s18
	s_mul_i32 s15, s11, s18
	s_add_i32 s5, s5, s9
	s_mul_hi_u32 s9, s15, s16
	s_mul_i32 s5, s5, s16
	s_mul_i32 s18, s15, s16
	s_add_i32 s19, s9, s5
	s_delay_alu instid0(SALU_CYCLE_1) | instskip(NEXT) | instid1(SALU_CYCLE_1)
	s_lshl_b64 s[18:19], s[18:19], 2
	s_add_u32 s30, s6, s18
	s_addc_u32 s31, s7, s19
	s_and_not1_b32 vcc_lo, exec_lo, s4
	s_mov_b32 s4, -1
	s_cbranch_vccnz .LBB210_9
; %bb.5:
	v_cmp_eq_u32_e32 vcc_lo, 0, v0
	s_cmp_gt_i32 s11, 0
	s_cselect_b32 s4, -1, 0
	s_delay_alu instid0(SALU_CYCLE_1) | instskip(NEXT) | instid1(SALU_CYCLE_1)
	s_and_b32 s4, vcc_lo, s4
	s_and_saveexec_b32 s9, s4
	s_cbranch_execz .LBB210_8
; %bb.6:
	s_mov_b32 s15, 0
	v_mov_b32_e32 v1, 0
	s_lshl_b64 s[4:5], s[14:15], 2
	s_mov_b32 s15, s11
	s_add_u32 s4, s30, s4
	s_addc_u32 s5, s31, s5
	s_lshl_b64 s[6:7], s[16:17], 2
.LBB210_7:                              ; =>This Inner Loop Header: Depth=1
	s_add_i32 s15, s15, -1
	global_store_b32 v1, v1, s[4:5]
	s_add_u32 s4, s4, s6
	s_addc_u32 s5, s5, s7
	s_cmp_eq_u32 s15, 0
	s_cbranch_scc0 .LBB210_7
.LBB210_8:
	s_or_b32 exec_lo, exec_lo, s9
	s_mov_b32 s4, 0
.LBB210_9:
	s_delay_alu instid0(SALU_CYCLE_1)
	s_and_not1_b32 vcc_lo, exec_lo, s4
	s_cbranch_vccnz .LBB210_83
; %bb.10:
	s_clause 0x1
	s_load_b32 s18, s[0:1], 0x28
	s_load_b32 s17, s[0:1], 0x48
	s_lshl_b32 s4, s14, 10
	s_ashr_i32 s0, s10, 31
	v_lshl_or_b32 v1, v0, 2, s4
	s_lshr_b32 s0, s0, 30
	s_lshr_b32 s1, s8, 30
	s_add_i32 s0, s10, s0
	s_add_i32 s1, s11, s1
	v_ashrrev_i32_e32 v2, 31, v1
	s_and_b32 s0, s0, -4
	s_and_b32 s15, s1, -4
	s_sub_i32 s29, s10, s0
	v_add_nc_u32_e32 v22, 4, v1
	v_lshlrev_b64 v[2:3], 2, v[1:2]
	v_add_nc_u32_e32 v23, s29, v1
	v_and_b32_e32 v19, 31, v0
	v_cmp_gt_u32_e64 s0, 32, v0
	v_mbcnt_lo_u32_b32 v21, -1, 0
	v_cmp_gt_u32_e64 s1, 8, v0
	v_add_co_u32 v17, vcc_lo, s2, v2
	s_waitcnt lgkmcnt(0)
	v_mul_lo_u32 v5, v1, s17
	v_add_co_ci_u32_e32 v18, vcc_lo, s3, v3, vcc_lo
	v_lshrrev_b32_e32 v20, 3, v0
	v_cmp_eq_u32_e64 s2, 0, v0
	s_cmp_lt_i32 s15, 1
	s_cbranch_scc1 .LBB210_58
; %bb.11:
	v_cmp_gt_u32_e32 vcc_lo, 16, v21
	v_mul_lo_u32 v6, v1, s17
	s_cmp_gt_i32 s29, 0
	s_mov_b32 s9, 0
	v_cmp_ge_i32_e64 s3, s10, v22
	v_cndmask_b32_e64 v2, 0, 1, vcc_lo
	v_cmp_gt_u32_e32 vcc_lo, 24, v21
	v_cmp_ge_i32_e64 s4, s10, v23
	v_cmp_eq_u32_e64 s5, 0, v19
	v_lshlrev_b32_e32 v29, 2, v19
	v_dual_mov_b32 v31, 0 :: v_dual_lshlrev_b32 v2, 4, v2
	v_cndmask_b32_e64 v3, 0, 1, vcc_lo
	v_cmp_gt_u32_e32 vcc_lo, 28, v21
	v_and_b32_e32 v30, 28, v20
	s_delay_alu instid0(VALU_DEP_4)
	v_add_lshl_u32 v24, v2, v21, 2
	s_cselect_b32 s33, -1, 0
	v_lshlrev_b32_e32 v2, 3, v3
	v_cndmask_b32_e64 v4, 0, 1, vcc_lo
	v_cmp_gt_u32_e32 vcc_lo, 30, v21
	s_mov_b32 s19, s9
	s_lshl_b32 s8, s18, 1
	v_add_lshl_u32 v25, v2, v21, 2
	v_lshlrev_b32_e32 v1, 2, v4
	v_cndmask_b32_e64 v7, 0, 1, vcc_lo
	v_cmp_ne_u32_e32 vcc_lo, 31, v21
	s_lshl_b32 s34, s18, 2
	s_mul_i32 s35, s18, 3
	v_add_lshl_u32 v26, v1, v21, 2
	v_lshlrev_b32_e32 v3, 1, v7
	v_add_nc_u32_e32 v1, s17, v6
	v_ashrrev_i32_e32 v7, 31, v6
	v_add_co_ci_u32_e32 v4, vcc_lo, 0, v21, vcc_lo
	s_delay_alu instid0(VALU_DEP_4) | instskip(NEXT) | instid1(VALU_DEP_4)
	v_add_lshl_u32 v27, v3, v21, 2
	v_add_nc_u32_e32 v3, s17, v1
	v_ashrrev_i32_e32 v2, 31, v1
	v_lshlrev_b64 v[7:8], 2, v[6:7]
	v_lshlrev_b32_e32 v28, 2, v4
	s_mov_b32 s36, s9
	v_add_nc_u32_e32 v11, s17, v3
	v_lshlrev_b64 v[1:2], 2, v[1:2]
	v_ashrrev_i32_e32 v4, 31, v3
	v_add_co_u32 v7, vcc_lo, s12, v7
	s_delay_alu instid0(VALU_DEP_4) | instskip(SKIP_1) | instid1(VALU_DEP_4)
	v_ashrrev_i32_e32 v12, 31, v11
	v_add_co_ci_u32_e32 v8, vcc_lo, s13, v8, vcc_lo
	v_lshlrev_b64 v[3:4], 2, v[3:4]
	v_add_co_u32 v9, vcc_lo, s12, v1
	v_add_co_ci_u32_e32 v10, vcc_lo, s13, v2, vcc_lo
	v_lshlrev_b64 v[1:2], 2, v[11:12]
	s_delay_alu instid0(VALU_DEP_4) | instskip(SKIP_2) | instid1(VALU_DEP_3)
	v_add_co_u32 v11, vcc_lo, s12, v3
	v_add_co_ci_u32_e32 v12, vcc_lo, s13, v4, vcc_lo
	s_mov_b32 s20, s9
	v_add_co_u32 v13, vcc_lo, s12, v1
	s_delay_alu instid0(VALU_DEP_4)
	v_add_co_ci_u32_e32 v14, vcc_lo, s13, v2, vcc_lo
	s_mov_b64 s[22:23], s[8:9]
	s_mov_b64 s[24:25], s[18:19]
	s_mov_b32 s19, 0
                                        ; implicit-def: $vgpr1_vgpr2_vgpr3_vgpr4
	s_branch .LBB210_13
.LBB210_12:                             ;   in Loop: Header=BB210_13 Depth=1
	s_or_b32 exec_lo, exec_lo, s6
	s_add_i32 s19, s19, 4
	s_add_u32 s24, s24, s34
	s_addc_u32 s25, s25, 0
	s_add_u32 s22, s22, s34
	s_addc_u32 s23, s23, 0
	;; [unrolled: 2-line block ×3, first 2 shown]
	s_add_i32 s20, s20, s34
	s_cmp_ge_i32 s19, s15
	s_cbranch_scc1 .LBB210_59
.LBB210_13:                             ; =>This Loop Header: Depth=1
                                        ;     Child Loop BB210_44 Depth 2
                                        ;     Child Loop BB210_47 Depth 2
                                        ; implicit-def: $vgpr32
                                        ; implicit-def: $vgpr33
                                        ; implicit-def: $vgpr34
                                        ; implicit-def: $vgpr35
	s_and_saveexec_b32 s6, s3
	s_delay_alu instid0(SALU_CYCLE_1)
	s_xor_b32 s6, exec_lo, s6
	s_cbranch_execnz .LBB210_40
; %bb.14:                               ;   in Loop: Header=BB210_13 Depth=1
	s_and_not1_saveexec_b32 s37, s6
	s_cbranch_execnz .LBB210_41
.LBB210_15:                             ;   in Loop: Header=BB210_13 Depth=1
	s_or_b32 exec_lo, exec_lo, s37
	s_and_saveexec_b32 s6, s0
	s_cbranch_execz .LBB210_17
.LBB210_16:                             ;   in Loop: Header=BB210_13 Depth=1
	ds_store_b32 v29, v31
.LBB210_17:                             ;   in Loop: Header=BB210_13 Depth=1
	s_or_b32 exec_lo, exec_lo, s6
	ds_bpermute_b32 v15, v24, v35
	s_waitcnt lgkmcnt(0)
	s_waitcnt_vscnt null, 0x0
	s_barrier
	buffer_gl0_inv
	v_add_f32_e32 v15, v35, v15
	ds_bpermute_b32 v16, v25, v15
	s_waitcnt lgkmcnt(0)
	v_add_f32_e32 v15, v15, v16
	ds_bpermute_b32 v16, v26, v15
	s_waitcnt lgkmcnt(0)
	;; [unrolled: 3-line block ×3, first 2 shown]
	v_add_f32_e32 v15, v15, v16
	ds_bpermute_b32 v16, v28, v15
	s_and_saveexec_b32 s6, s5
	s_cbranch_execz .LBB210_19
; %bb.18:                               ;   in Loop: Header=BB210_13 Depth=1
	s_waitcnt lgkmcnt(0)
	v_add_f32_e32 v15, v15, v16
	ds_store_b32 v30, v15
.LBB210_19:                             ;   in Loop: Header=BB210_13 Depth=1
	s_or_b32 exec_lo, exec_lo, s6
	v_mov_b32_e32 v15, 0
	s_waitcnt lgkmcnt(0)
	s_barrier
	buffer_gl0_inv
	s_and_saveexec_b32 s6, s1
	s_cbranch_execnz .LBB210_49
; %bb.20:                               ;   in Loop: Header=BB210_13 Depth=1
	s_or_b32 exec_lo, exec_lo, s6
	s_and_saveexec_b32 s6, s0
	s_cbranch_execnz .LBB210_50
.LBB210_21:                             ;   in Loop: Header=BB210_13 Depth=1
	s_or_b32 exec_lo, exec_lo, s6
	s_and_saveexec_b32 s6, s0
	s_cbranch_execz .LBB210_23
.LBB210_22:                             ;   in Loop: Header=BB210_13 Depth=1
	ds_store_b32 v29, v31
.LBB210_23:                             ;   in Loop: Header=BB210_13 Depth=1
	s_or_b32 exec_lo, exec_lo, s6
	ds_bpermute_b32 v16, v24, v34
	s_waitcnt lgkmcnt(0)
	s_barrier
	buffer_gl0_inv
	v_add_f32_e32 v16, v34, v16
	ds_bpermute_b32 v34, v25, v16
	s_waitcnt lgkmcnt(0)
	v_add_f32_e32 v16, v16, v34
	ds_bpermute_b32 v34, v26, v16
	s_waitcnt lgkmcnt(0)
	;; [unrolled: 3-line block ×3, first 2 shown]
	v_add_f32_e32 v16, v16, v34
	ds_bpermute_b32 v34, v28, v16
	s_and_saveexec_b32 s6, s5
	s_cbranch_execz .LBB210_25
; %bb.24:                               ;   in Loop: Header=BB210_13 Depth=1
	s_waitcnt lgkmcnt(0)
	v_add_f32_e32 v16, v16, v34
	ds_store_b32 v30, v16
.LBB210_25:                             ;   in Loop: Header=BB210_13 Depth=1
	s_or_b32 exec_lo, exec_lo, s6
	v_mov_b32_e32 v16, 0
	s_waitcnt lgkmcnt(0)
	s_barrier
	buffer_gl0_inv
	s_and_saveexec_b32 s6, s1
	s_cbranch_execnz .LBB210_51
; %bb.26:                               ;   in Loop: Header=BB210_13 Depth=1
	s_or_b32 exec_lo, exec_lo, s6
	s_and_saveexec_b32 s6, s0
	s_cbranch_execnz .LBB210_52
.LBB210_27:                             ;   in Loop: Header=BB210_13 Depth=1
	s_or_b32 exec_lo, exec_lo, s6
	s_and_saveexec_b32 s6, s0
	s_cbranch_execz .LBB210_29
.LBB210_28:                             ;   in Loop: Header=BB210_13 Depth=1
	ds_store_b32 v29, v31
.LBB210_29:                             ;   in Loop: Header=BB210_13 Depth=1
	s_or_b32 exec_lo, exec_lo, s6
	ds_bpermute_b32 v34, v24, v33
	s_waitcnt lgkmcnt(0)
	s_barrier
	buffer_gl0_inv
	v_add_f32_e32 v33, v33, v34
	ds_bpermute_b32 v34, v25, v33
	s_waitcnt lgkmcnt(0)
	v_add_f32_e32 v33, v33, v34
	ds_bpermute_b32 v34, v26, v33
	s_waitcnt lgkmcnt(0)
	;; [unrolled: 3-line block ×3, first 2 shown]
	v_add_f32_e32 v33, v33, v34
	ds_bpermute_b32 v34, v28, v33
	s_and_saveexec_b32 s6, s5
	s_cbranch_execz .LBB210_31
; %bb.30:                               ;   in Loop: Header=BB210_13 Depth=1
	s_waitcnt lgkmcnt(0)
	v_add_f32_e32 v33, v33, v34
	ds_store_b32 v30, v33
.LBB210_31:                             ;   in Loop: Header=BB210_13 Depth=1
	s_or_b32 exec_lo, exec_lo, s6
	v_mov_b32_e32 v33, 0
	s_waitcnt lgkmcnt(0)
	s_barrier
	buffer_gl0_inv
	s_and_saveexec_b32 s6, s1
	s_cbranch_execnz .LBB210_53
; %bb.32:                               ;   in Loop: Header=BB210_13 Depth=1
	s_or_b32 exec_lo, exec_lo, s6
	s_and_saveexec_b32 s6, s0
	s_cbranch_execnz .LBB210_54
.LBB210_33:                             ;   in Loop: Header=BB210_13 Depth=1
	s_or_b32 exec_lo, exec_lo, s6
	s_and_saveexec_b32 s6, s0
	s_cbranch_execz .LBB210_35
.LBB210_34:                             ;   in Loop: Header=BB210_13 Depth=1
	ds_store_b32 v29, v31
.LBB210_35:                             ;   in Loop: Header=BB210_13 Depth=1
	s_or_b32 exec_lo, exec_lo, s6
	ds_bpermute_b32 v34, v24, v32
	s_waitcnt lgkmcnt(0)
	s_barrier
	buffer_gl0_inv
	v_add_f32_e32 v32, v32, v34
	ds_bpermute_b32 v34, v25, v32
	s_waitcnt lgkmcnt(0)
	v_add_f32_e32 v32, v32, v34
	ds_bpermute_b32 v34, v26, v32
	s_waitcnt lgkmcnt(0)
	;; [unrolled: 3-line block ×3, first 2 shown]
	v_add_f32_e32 v32, v32, v34
	ds_bpermute_b32 v34, v28, v32
	s_and_saveexec_b32 s6, s5
	s_cbranch_execz .LBB210_37
; %bb.36:                               ;   in Loop: Header=BB210_13 Depth=1
	s_waitcnt lgkmcnt(0)
	v_add_f32_e32 v32, v32, v34
	ds_store_b32 v30, v32
.LBB210_37:                             ;   in Loop: Header=BB210_13 Depth=1
	s_or_b32 exec_lo, exec_lo, s6
	v_mov_b32_e32 v32, 0
	s_waitcnt lgkmcnt(0)
	s_barrier
	buffer_gl0_inv
	s_and_saveexec_b32 s6, s1
	s_cbranch_execnz .LBB210_55
; %bb.38:                               ;   in Loop: Header=BB210_13 Depth=1
	s_or_b32 exec_lo, exec_lo, s6
	s_and_saveexec_b32 s6, s0
	s_cbranch_execnz .LBB210_56
.LBB210_39:                             ;   in Loop: Header=BB210_13 Depth=1
	s_or_b32 exec_lo, exec_lo, s6
	s_and_saveexec_b32 s6, s2
	s_cbranch_execz .LBB210_12
	s_branch .LBB210_57
.LBB210_40:                             ;   in Loop: Header=BB210_13 Depth=1
	s_mul_i32 s26, s19, s18
	s_delay_alu instid0(SALU_CYCLE_1)
	s_ashr_i32 s27, s26, 31
	s_add_i32 s38, s26, s18
	s_lshl_b64 s[26:27], s[26:27], 2
	s_ashr_i32 s39, s38, 31
	v_add_co_u32 v2, vcc_lo, v17, s26
	v_add_co_ci_u32_e32 v3, vcc_lo, s27, v18, vcc_lo
	s_lshl_b64 s[26:27], s[38:39], 2
	s_add_i32 s38, s38, s18
	v_add_co_u32 v15, vcc_lo, v17, s26
	s_ashr_i32 s39, s38, 31
	s_add_i32 s26, s38, s18
	s_lshl_b64 s[38:39], s[38:39], 2
	v_add_co_ci_u32_e32 v16, vcc_lo, s27, v18, vcc_lo
	s_ashr_i32 s27, s26, 31
	s_waitcnt lgkmcnt(0)
	v_add_co_u32 v32, vcc_lo, v17, s38
	s_lshl_b64 s[26:27], s[26:27], 2
	v_add_co_ci_u32_e32 v33, vcc_lo, s39, v18, vcc_lo
	v_add_co_u32 v47, vcc_lo, v17, s26
	v_add_co_ci_u32_e32 v48, vcc_lo, s27, v18, vcc_lo
	flat_load_b32 v1, v[7:8]
	s_clause 0x3
	flat_load_b128 v[35:38], v[2:3]
	flat_load_b128 v[39:42], v[15:16]
	;; [unrolled: 1-line block ×4, first 2 shown]
	s_clause 0x2
	flat_load_b32 v2, v[9:10]
	flat_load_b32 v3, v[11:12]
	;; [unrolled: 1-line block ×3, first 2 shown]
	s_waitcnt vmcnt(6) lgkmcnt(6)
	v_fma_f32 v35, v1, v35, 0
	s_waitcnt vmcnt(5) lgkmcnt(5)
	v_fma_f32 v34, v1, v39, 0
	;; [unrolled: 2-line block ×4, first 2 shown]
	s_waitcnt vmcnt(2) lgkmcnt(2)
	v_fmac_f32_e32 v34, v2, v40
	v_fmac_f32_e32 v35, v2, v36
	s_delay_alu instid0(VALU_DEP_3) | instskip(SKIP_1) | instid1(VALU_DEP_3)
	v_fmac_f32_e32 v32, v2, v48
	s_waitcnt vmcnt(1) lgkmcnt(1)
	v_dual_fmac_f32 v33, v2, v44 :: v_dual_fmac_f32 v34, v3, v41
	s_delay_alu instid0(VALU_DEP_3) | instskip(NEXT) | instid1(VALU_DEP_3)
	v_fmac_f32_e32 v35, v3, v37
	v_fmac_f32_e32 v32, v3, v49
	s_waitcnt vmcnt(0) lgkmcnt(0)
	s_delay_alu instid0(VALU_DEP_3) | instskip(NEXT) | instid1(VALU_DEP_3)
	v_dual_fmac_f32 v33, v3, v45 :: v_dual_fmac_f32 v34, v4, v42
	v_fmac_f32_e32 v35, v4, v38
	s_delay_alu instid0(VALU_DEP_3) | instskip(NEXT) | instid1(VALU_DEP_3)
	v_fmac_f32_e32 v32, v4, v50
	v_fmac_f32_e32 v33, v4, v46
	s_and_not1_saveexec_b32 s37, s6
	s_cbranch_execz .LBB210_15
.LBB210_41:                             ;   in Loop: Header=BB210_13 Depth=1
	s_waitcnt lgkmcnt(0)
	v_dual_mov_b32 v32, 0 :: v_dual_mov_b32 v33, 0
	v_dual_mov_b32 v34, 0 :: v_dual_mov_b32 v35, 0
	s_and_saveexec_b32 s38, s4
	s_cbranch_execz .LBB210_48
; %bb.42:                               ;   in Loop: Header=BB210_13 Depth=1
	s_and_not1_b32 vcc_lo, exec_lo, s33
	s_cbranch_vccnz .LBB210_45
; %bb.43:                               ;   in Loop: Header=BB210_13 Depth=1
	v_mov_b32_e32 v15, v6
	s_mov_b64 s[26:27], 0
	.p2align	6
.LBB210_44:                             ;   Parent Loop BB210_13 Depth=1
                                        ; =>  This Inner Loop Header: Depth=2
	s_delay_alu instid0(VALU_DEP_1) | instskip(SKIP_1) | instid1(VALU_DEP_1)
	v_ashrrev_i32_e32 v16, 31, v15
	s_cmp_eq_u32 s26, 3
	v_lshlrev_b64 v[32:33], 2, v[15:16]
	s_delay_alu instid0(VALU_DEP_1) | instskip(NEXT) | instid1(VALU_DEP_2)
	v_add_co_u32 v32, vcc_lo, s12, v32
	v_add_co_ci_u32_e32 v33, vcc_lo, s13, v33, vcc_lo
	s_cselect_b32 vcc_lo, -1, 0
	s_cmp_eq_u32 s26, 2
	s_cselect_b32 s6, -1, 0
	flat_load_b32 v16, v[32:33]
	s_cmp_eq_u32 s26, 1
	v_add_nc_u32_e32 v15, s17, v15
	s_cselect_b32 s7, -1, 0
	s_cmp_eq_u32 s26, 0
	s_cselect_b32 s8, -1, 0
	s_add_u32 s26, s26, 1
	s_addc_u32 s27, s27, 0
	s_cmp_eq_u32 s29, s26
	s_waitcnt vmcnt(0) lgkmcnt(0)
	v_cndmask_b32_e32 v4, v4, v16, vcc_lo
	v_cndmask_b32_e64 v3, v3, v16, s6
	v_cndmask_b32_e64 v2, v2, v16, s7
	;; [unrolled: 1-line block ×3, first 2 shown]
	s_cbranch_scc0 .LBB210_44
.LBB210_45:                             ;   in Loop: Header=BB210_13 Depth=1
	v_dual_mov_b32 v32, 0 :: v_dual_mov_b32 v33, 0
	v_dual_mov_b32 v34, 0 :: v_dual_mov_b32 v35, 0
	s_and_not1_b32 vcc_lo, exec_lo, s33
	s_cbranch_vccnz .LBB210_48
; %bb.46:                               ;   in Loop: Header=BB210_13 Depth=1
	s_ashr_i32 s21, s20, 31
	v_dual_mov_b32 v35, 0 :: v_dual_mov_b32 v34, 0
	s_lshl_b64 s[6:7], s[20:21], 2
	v_dual_mov_b32 v33, 0 :: v_dual_mov_b32 v32, 0
	v_add_co_u32 v15, vcc_lo, v17, s6
	v_add_co_ci_u32_e32 v16, vcc_lo, s7, v18, vcc_lo
	s_mov_b64 s[26:27], 0
.LBB210_47:                             ;   Parent Loop BB210_13 Depth=1
                                        ; =>  This Inner Loop Header: Depth=2
	s_delay_alu instid0(SALU_CYCLE_1)
	s_cmp_eq_u32 s26, 1
	s_cselect_b32 vcc_lo, -1, 0
	s_cmp_eq_u32 s26, 2
	v_cndmask_b32_e32 v36, v1, v2, vcc_lo
	s_cselect_b32 vcc_lo, -1, 0
	s_cmp_eq_u32 s26, 3
	s_delay_alu instid0(VALU_DEP_1)
	v_cndmask_b32_e32 v42, v36, v3, vcc_lo
	s_cselect_b32 vcc_lo, -1, 0
	s_add_i32 s6, s24, s26
	s_add_i32 s40, s22, s26
	s_ashr_i32 s7, s6, 31
	s_ashr_i32 s41, s40, 31
	s_lshl_b64 s[6:7], s[6:7], 2
	s_add_i32 s42, s35, s26
	v_add_co_u32 v36, s6, v17, s6
	s_lshl_b64 s[40:41], s[40:41], 2
	s_ashr_i32 s43, s42, 31
	v_add_co_ci_u32_e64 v37, s6, s7, v18, s6
	v_add_co_u32 v38, s6, v17, s40
	s_lshl_b64 s[42:43], s[42:43], 2
	v_add_co_ci_u32_e64 v39, s6, s41, v18, s6
	v_add_co_u32 v40, s6, v17, s42
	s_delay_alu instid0(VALU_DEP_1)
	v_add_co_ci_u32_e64 v41, s6, s43, v18, s6
	flat_load_b32 v43, v[15:16]
	s_clause 0x2
	flat_load_b32 v36, v[36:37]
	flat_load_b32 v37, v[38:39]
	;; [unrolled: 1-line block ×3, first 2 shown]
	v_cndmask_b32_e32 v39, v42, v4, vcc_lo
	v_add_co_u32 v15, s6, v15, 4
	s_delay_alu instid0(VALU_DEP_1)
	v_add_co_ci_u32_e64 v16, s6, 0, v16, s6
	s_add_u32 s26, s26, 1
	s_addc_u32 s27, s27, 0
	s_cmp_lg_u32 s29, s26
	s_waitcnt vmcnt(3) lgkmcnt(3)
	v_fmac_f32_e32 v35, v39, v43
	s_waitcnt vmcnt(2) lgkmcnt(2)
	v_fmac_f32_e32 v34, v39, v36
	;; [unrolled: 2-line block ×4, first 2 shown]
	s_cbranch_scc1 .LBB210_47
.LBB210_48:                             ;   in Loop: Header=BB210_13 Depth=1
	s_or_b32 exec_lo, exec_lo, s38
	s_delay_alu instid0(SALU_CYCLE_1)
	s_or_b32 exec_lo, exec_lo, s37
	s_and_saveexec_b32 s6, s0
	s_cbranch_execnz .LBB210_16
	s_branch .LBB210_17
.LBB210_49:                             ;   in Loop: Header=BB210_13 Depth=1
	ds_load_b32 v15, v29
	s_or_b32 exec_lo, exec_lo, s6
	s_and_saveexec_b32 s6, s0
	s_cbranch_execz .LBB210_21
.LBB210_50:                             ;   in Loop: Header=BB210_13 Depth=1
	s_waitcnt lgkmcnt(0)
	ds_bpermute_b32 v16, v26, v15
	s_waitcnt lgkmcnt(0)
	v_add_f32_e32 v15, v15, v16
	ds_bpermute_b32 v16, v27, v15
	s_waitcnt lgkmcnt(0)
	v_add_f32_e32 v15, v15, v16
	;; [unrolled: 3-line block ×3, first 2 shown]
	s_or_b32 exec_lo, exec_lo, s6
	s_and_saveexec_b32 s6, s0
	s_cbranch_execnz .LBB210_22
	s_branch .LBB210_23
.LBB210_51:                             ;   in Loop: Header=BB210_13 Depth=1
	ds_load_b32 v16, v29
	s_or_b32 exec_lo, exec_lo, s6
	s_and_saveexec_b32 s6, s0
	s_cbranch_execz .LBB210_27
.LBB210_52:                             ;   in Loop: Header=BB210_13 Depth=1
	s_waitcnt lgkmcnt(0)
	ds_bpermute_b32 v34, v26, v16
	s_waitcnt lgkmcnt(0)
	v_add_f32_e32 v16, v16, v34
	ds_bpermute_b32 v34, v27, v16
	s_waitcnt lgkmcnt(0)
	v_add_f32_e32 v16, v16, v34
	;; [unrolled: 3-line block ×3, first 2 shown]
	s_or_b32 exec_lo, exec_lo, s6
	s_and_saveexec_b32 s6, s0
	s_cbranch_execnz .LBB210_28
	s_branch .LBB210_29
.LBB210_53:                             ;   in Loop: Header=BB210_13 Depth=1
	ds_load_b32 v33, v29
	s_or_b32 exec_lo, exec_lo, s6
	s_and_saveexec_b32 s6, s0
	s_cbranch_execz .LBB210_33
.LBB210_54:                             ;   in Loop: Header=BB210_13 Depth=1
	s_waitcnt lgkmcnt(0)
	ds_bpermute_b32 v34, v26, v33
	s_waitcnt lgkmcnt(0)
	v_add_f32_e32 v33, v33, v34
	ds_bpermute_b32 v34, v27, v33
	s_waitcnt lgkmcnt(0)
	v_add_f32_e32 v33, v33, v34
	;; [unrolled: 3-line block ×3, first 2 shown]
	s_or_b32 exec_lo, exec_lo, s6
	s_and_saveexec_b32 s6, s0
	s_cbranch_execnz .LBB210_34
	s_branch .LBB210_35
.LBB210_55:                             ;   in Loop: Header=BB210_13 Depth=1
	ds_load_b32 v32, v29
	s_or_b32 exec_lo, exec_lo, s6
	s_and_saveexec_b32 s6, s0
	s_cbranch_execz .LBB210_39
.LBB210_56:                             ;   in Loop: Header=BB210_13 Depth=1
	s_waitcnt lgkmcnt(0)
	ds_bpermute_b32 v34, v26, v32
	s_waitcnt lgkmcnt(0)
	v_add_f32_e32 v32, v32, v34
	ds_bpermute_b32 v34, v27, v32
	s_waitcnt lgkmcnt(0)
	v_add_f32_e32 v32, v32, v34
	;; [unrolled: 3-line block ×3, first 2 shown]
	s_or_b32 exec_lo, exec_lo, s6
	s_and_saveexec_b32 s6, s2
	s_cbranch_execz .LBB210_12
.LBB210_57:                             ;   in Loop: Header=BB210_13 Depth=1
	s_mul_i32 s7, s19, s16
	v_dual_mul_f32 v15, s28, v15 :: v_dual_mul_f32 v16, s28, v16
	s_add_i32 s8, s7, s14
	v_mul_f32_e32 v33, s28, v33
	s_lshl_b64 s[26:27], s[8:9], 2
	s_delay_alu instid0(SALU_CYCLE_1)
	s_add_u32 s26, s30, s26
	s_addc_u32 s27, s31, s27
	s_add_i32 s8, s8, s16
	global_store_b32 v31, v15, s[26:27]
	s_lshl_b64 s[38:39], s[8:9], 2
	s_waitcnt lgkmcnt(0)
	v_mul_f32_e32 v15, s28, v32
	s_add_u32 s38, s30, s38
	s_addc_u32 s39, s31, s39
	s_add_i32 s8, s8, s16
	global_store_b32 v31, v16, s[38:39]
	s_lshl_b64 s[40:41], s[8:9], 2
	s_delay_alu instid0(SALU_CYCLE_1) | instskip(SKIP_2) | instid1(SALU_CYCLE_1)
	s_add_u32 s26, s30, s40
	s_addc_u32 s27, s31, s41
	s_add_i32 s8, s8, s16
	s_lshl_b64 s[40:41], s[8:9], 2
	s_delay_alu instid0(SALU_CYCLE_1)
	s_add_u32 s38, s30, s40
	s_addc_u32 s39, s31, s41
	s_clause 0x1
	global_store_b32 v31, v33, s[26:27]
	global_store_b32 v31, v15, s[38:39]
	s_branch .LBB210_12
.LBB210_58:
	s_mov_b32 s19, 0
                                        ; implicit-def: $vgpr1_vgpr2_vgpr3_vgpr4
.LBB210_59:
	s_delay_alu instid0(SALU_CYCLE_1)
	s_cmp_ge_i32 s19, s11
	s_cbranch_scc1 .LBB210_83
; %bb.60:
	v_cmp_gt_u32_e32 vcc_lo, 16, v21
	v_cmp_ge_i32_e64 s1, s10, v23
	v_cmp_gt_u32_e64 s2, 32, v0
	v_cmp_gt_u32_e64 s4, 8, v0
	v_cmp_eq_u32_e64 s5, 0, v0
	v_cndmask_b32_e64 v6, 0, 1, vcc_lo
	v_cmp_gt_u32_e32 vcc_lo, 24, v21
	v_cmp_ge_i32_e64 s0, s10, v22
	s_cmp_gt_i32 s29, 0
	s_mov_b32 s15, 0
	v_lshlrev_b32_e32 v6, 4, v6
	v_cndmask_b32_e64 v7, 0, 1, vcc_lo
	v_cmp_gt_u32_e32 vcc_lo, 28, v21
	s_cselect_b32 s9, -1, 0
	v_lshlrev_b32_e32 v16, 2, v19
	s_delay_alu instid0(VALU_DEP_3)
	v_dual_mov_b32 v0, 0 :: v_dual_lshlrev_b32 v7, 3, v7
	v_cndmask_b32_e64 v8, 0, 1, vcc_lo
	v_cmp_gt_u32_e32 vcc_lo, 30, v21
	v_add_lshl_u32 v22, v6, v21, 2
	v_ashrrev_i32_e32 v6, 31, v5
	v_add_lshl_u32 v23, v7, v21, 2
	v_lshlrev_b32_e32 v8, 2, v8
	v_cndmask_b32_e64 v9, 0, 1, vcc_lo
	v_cmp_ne_u32_e32 vcc_lo, 31, v21
	v_add_nc_u32_e32 v7, s17, v5
	v_lshlrev_b64 v[11:12], 2, v[5:6]
	v_add_lshl_u32 v24, v8, v21, 2
	v_lshlrev_b32_e32 v9, 1, v9
	v_add_co_ci_u32_e32 v10, vcc_lo, 0, v21, vcc_lo
	v_ashrrev_i32_e32 v8, 31, v7
	v_add_co_u32 v6, vcc_lo, s12, v11
	s_delay_alu instid0(VALU_DEP_4) | instskip(SKIP_4) | instid1(VALU_DEP_4)
	v_add_lshl_u32 v21, v9, v21, 2
	v_add_nc_u32_e32 v9, s17, v7
	v_lshlrev_b32_e32 v25, 2, v10
	v_lshlrev_b64 v[13:14], 2, v[7:8]
	v_add_co_ci_u32_e32 v7, vcc_lo, s13, v12, vcc_lo
	v_add_nc_u32_e32 v26, s17, v9
	v_ashrrev_i32_e32 v10, 31, v9
	v_cmp_eq_u32_e64 s3, 0, v19
	v_add_co_u32 v8, vcc_lo, s12, v13
	s_delay_alu instid0(VALU_DEP_4) | instskip(NEXT) | instid1(VALU_DEP_4)
	v_ashrrev_i32_e32 v27, 31, v26
	v_lshlrev_b64 v[10:11], 2, v[9:10]
	v_add_co_ci_u32_e32 v9, vcc_lo, s13, v14, vcc_lo
	v_and_b32_e32 v19, 28, v20
	s_delay_alu instid0(VALU_DEP_4) | instskip(SKIP_1) | instid1(VALU_DEP_4)
	v_lshlrev_b64 v[12:13], 2, v[26:27]
	s_lshl_b64 s[6:7], s[14:15], 2
	v_add_co_u32 v10, vcc_lo, s12, v10
	v_add_co_ci_u32_e32 v11, vcc_lo, s13, v11, vcc_lo
	s_delay_alu instid0(VALU_DEP_3) | instskip(NEXT) | instid1(VALU_DEP_4)
	v_add_co_u32 v12, vcc_lo, s12, v12
	v_add_co_ci_u32_e32 v13, vcc_lo, s13, v13, vcc_lo
	s_add_u32 s10, s30, s6
	s_addc_u32 s14, s31, s7
	s_mul_i32 s20, s19, s18
	s_branch .LBB210_62
.LBB210_61:                             ;   in Loop: Header=BB210_62 Depth=1
	s_or_b32 exec_lo, exec_lo, s6
	s_add_i32 s19, s19, 1
	s_add_i32 s20, s20, s18
	s_cmp_ge_i32 s19, s11
	s_cbranch_scc1 .LBB210_83
.LBB210_62:                             ; =>This Loop Header: Depth=1
                                        ;     Child Loop BB210_75 Depth 2
                                        ;     Child Loop BB210_78 Depth 2
	v_mov_b32_e32 v20, s15
	s_and_saveexec_b32 s6, s0
	s_delay_alu instid0(SALU_CYCLE_1)
	s_xor_b32 s6, exec_lo, s6
	s_cbranch_execnz .LBB210_71
; %bb.63:                               ;   in Loop: Header=BB210_62 Depth=1
	s_and_not1_saveexec_b32 s24, s6
	s_cbranch_execnz .LBB210_72
.LBB210_64:                             ;   in Loop: Header=BB210_62 Depth=1
	s_or_b32 exec_lo, exec_lo, s24
	s_and_saveexec_b32 s6, s2
	s_cbranch_execz .LBB210_66
.LBB210_65:                             ;   in Loop: Header=BB210_62 Depth=1
	ds_store_b32 v16, v0
.LBB210_66:                             ;   in Loop: Header=BB210_62 Depth=1
	s_or_b32 exec_lo, exec_lo, s6
	s_waitcnt lgkmcnt(0)
	ds_bpermute_b32 v14, v22, v20
	s_waitcnt lgkmcnt(0)
	s_waitcnt_vscnt null, 0x0
	s_barrier
	buffer_gl0_inv
	v_add_f32_e32 v14, v20, v14
	ds_bpermute_b32 v15, v23, v14
	s_waitcnt lgkmcnt(0)
	v_add_f32_e32 v14, v14, v15
	ds_bpermute_b32 v15, v24, v14
	s_waitcnt lgkmcnt(0)
	;; [unrolled: 3-line block ×3, first 2 shown]
	v_add_f32_e32 v14, v14, v15
	ds_bpermute_b32 v15, v25, v14
	s_and_saveexec_b32 s6, s3
	s_cbranch_execz .LBB210_68
; %bb.67:                               ;   in Loop: Header=BB210_62 Depth=1
	s_waitcnt lgkmcnt(0)
	v_add_f32_e32 v14, v14, v15
	ds_store_b32 v19, v14
.LBB210_68:                             ;   in Loop: Header=BB210_62 Depth=1
	s_or_b32 exec_lo, exec_lo, s6
	v_mov_b32_e32 v14, 0
	s_waitcnt lgkmcnt(0)
	s_barrier
	buffer_gl0_inv
	s_and_saveexec_b32 s6, s4
	s_cbranch_execnz .LBB210_80
; %bb.69:                               ;   in Loop: Header=BB210_62 Depth=1
	s_or_b32 exec_lo, exec_lo, s6
	s_and_saveexec_b32 s6, s2
	s_cbranch_execnz .LBB210_81
.LBB210_70:                             ;   in Loop: Header=BB210_62 Depth=1
	s_or_b32 exec_lo, exec_lo, s6
	s_and_saveexec_b32 s6, s5
	s_cbranch_execz .LBB210_61
	s_branch .LBB210_82
.LBB210_71:                             ;   in Loop: Header=BB210_62 Depth=1
	s_mul_i32 s22, s19, s18
	s_delay_alu instid0(SALU_CYCLE_1) | instskip(NEXT) | instid1(SALU_CYCLE_1)
	s_ashr_i32 s23, s22, 31
	s_lshl_b64 s[22:23], s[22:23], 2
	s_delay_alu instid0(SALU_CYCLE_1)
	v_add_co_u32 v1, vcc_lo, v17, s22
	v_add_co_ci_u32_e32 v2, vcc_lo, s23, v18, vcc_lo
	flat_load_b128 v[26:29], v[1:2]
	s_clause 0x3
	flat_load_b32 v1, v[6:7]
	flat_load_b32 v2, v[8:9]
	;; [unrolled: 1-line block ×4, first 2 shown]
	s_waitcnt vmcnt(3) lgkmcnt(3)
	v_fma_f32 v20, v1, v26, 0
	s_waitcnt vmcnt(2) lgkmcnt(2)
	s_delay_alu instid0(VALU_DEP_1) | instskip(SKIP_1) | instid1(VALU_DEP_1)
	v_fmac_f32_e32 v20, v2, v27
	s_waitcnt vmcnt(1) lgkmcnt(1)
	v_fmac_f32_e32 v20, v3, v28
	s_waitcnt vmcnt(0) lgkmcnt(0)
	s_delay_alu instid0(VALU_DEP_1)
	v_fmac_f32_e32 v20, v4, v29
	s_and_not1_saveexec_b32 s24, s6
	s_cbranch_execz .LBB210_64
.LBB210_72:                             ;   in Loop: Header=BB210_62 Depth=1
	s_and_saveexec_b32 s25, s1
	s_cbranch_execz .LBB210_79
; %bb.73:                               ;   in Loop: Header=BB210_62 Depth=1
	s_and_not1_b32 vcc_lo, exec_lo, s9
	s_cbranch_vccnz .LBB210_76
; %bb.74:                               ;   in Loop: Header=BB210_62 Depth=1
	s_waitcnt lgkmcnt(0)
	v_mov_b32_e32 v14, v5
	s_mov_b64 s[22:23], 0
	.p2align	6
.LBB210_75:                             ;   Parent Loop BB210_62 Depth=1
                                        ; =>  This Inner Loop Header: Depth=2
	s_delay_alu instid0(VALU_DEP_1) | instskip(SKIP_1) | instid1(VALU_DEP_1)
	v_ashrrev_i32_e32 v15, 31, v14
	s_cmp_eq_u32 s22, 3
	v_lshlrev_b64 v[26:27], 2, v[14:15]
	v_add_nc_u32_e32 v14, s17, v14
	s_delay_alu instid0(VALU_DEP_2) | instskip(NEXT) | instid1(VALU_DEP_3)
	v_add_co_u32 v26, vcc_lo, s12, v26
	v_add_co_ci_u32_e32 v27, vcc_lo, s13, v27, vcc_lo
	s_cselect_b32 vcc_lo, -1, 0
	s_cmp_eq_u32 s22, 2
	s_cselect_b32 s6, -1, 0
	flat_load_b32 v15, v[26:27]
	s_cmp_eq_u32 s22, 1
	s_cselect_b32 s7, -1, 0
	s_cmp_eq_u32 s22, 0
	s_cselect_b32 s8, -1, 0
	s_add_u32 s22, s22, 1
	s_addc_u32 s23, s23, 0
	s_cmp_eq_u32 s29, s22
	s_waitcnt vmcnt(0) lgkmcnt(0)
	v_cndmask_b32_e32 v4, v4, v15, vcc_lo
	v_cndmask_b32_e64 v3, v3, v15, s6
	v_cndmask_b32_e64 v2, v2, v15, s7
	;; [unrolled: 1-line block ×3, first 2 shown]
	s_cbranch_scc0 .LBB210_75
.LBB210_76:                             ;   in Loop: Header=BB210_62 Depth=1
	s_and_not1_b32 vcc_lo, exec_lo, s9
	s_cbranch_vccnz .LBB210_79
; %bb.77:                               ;   in Loop: Header=BB210_62 Depth=1
	s_ashr_i32 s21, s20, 31
	s_delay_alu instid0(SALU_CYCLE_1)
	s_lshl_b64 s[6:7], s[20:21], 2
	s_waitcnt lgkmcnt(0)
	v_add_co_u32 v14, vcc_lo, v17, s6
	v_add_co_ci_u32_e32 v15, vcc_lo, s7, v18, vcc_lo
	s_mov_b64 s[6:7], 0
	.p2align	6
.LBB210_78:                             ;   Parent Loop BB210_62 Depth=1
                                        ; =>  This Inner Loop Header: Depth=2
	flat_load_b32 v26, v[14:15]
	s_cmp_eq_u32 s6, 1
	s_cselect_b32 vcc_lo, -1, 0
	s_cmp_eq_u32 s6, 2
	v_cndmask_b32_e32 v27, v1, v2, vcc_lo
	s_cselect_b32 vcc_lo, -1, 0
	s_cmp_eq_u32 s6, 3
	s_delay_alu instid0(VALU_DEP_1)
	v_cndmask_b32_e32 v27, v27, v3, vcc_lo
	s_cselect_b32 vcc_lo, -1, 0
	s_add_u32 s6, s6, 1
	s_addc_u32 s7, s7, 0
	s_cmp_lg_u32 s29, s6
	v_cndmask_b32_e32 v27, v27, v4, vcc_lo
	v_add_co_u32 v14, vcc_lo, v14, 4
	v_add_co_ci_u32_e32 v15, vcc_lo, 0, v15, vcc_lo
	s_waitcnt vmcnt(0) lgkmcnt(0)
	s_delay_alu instid0(VALU_DEP_3)
	v_fmac_f32_e32 v20, v27, v26
	s_cbranch_scc1 .LBB210_78
.LBB210_79:                             ;   in Loop: Header=BB210_62 Depth=1
	s_or_b32 exec_lo, exec_lo, s25
	s_delay_alu instid0(SALU_CYCLE_1)
	s_or_b32 exec_lo, exec_lo, s24
	s_and_saveexec_b32 s6, s2
	s_cbranch_execnz .LBB210_65
	s_branch .LBB210_66
.LBB210_80:                             ;   in Loop: Header=BB210_62 Depth=1
	ds_load_b32 v14, v16
	s_or_b32 exec_lo, exec_lo, s6
	s_and_saveexec_b32 s6, s2
	s_cbranch_execz .LBB210_70
.LBB210_81:                             ;   in Loop: Header=BB210_62 Depth=1
	s_waitcnt lgkmcnt(0)
	ds_bpermute_b32 v15, v24, v14
	s_waitcnt lgkmcnt(0)
	v_add_f32_e32 v14, v14, v15
	ds_bpermute_b32 v15, v21, v14
	s_waitcnt lgkmcnt(0)
	v_add_f32_e32 v14, v14, v15
	;; [unrolled: 3-line block ×3, first 2 shown]
	s_or_b32 exec_lo, exec_lo, s6
	s_and_saveexec_b32 s6, s5
	s_cbranch_execz .LBB210_61
.LBB210_82:                             ;   in Loop: Header=BB210_62 Depth=1
	s_mul_hi_u32 s23, s19, s16
	s_mul_i32 s22, s19, s16
	s_waitcnt lgkmcnt(0)
	v_mul_f32_e32 v14, s28, v14
	s_lshl_b64 s[22:23], s[22:23], 2
	s_delay_alu instid0(SALU_CYCLE_1)
	s_add_u32 s22, s10, s22
	s_addc_u32 s23, s14, s23
	global_store_b32 v0, v14, s[22:23]
	s_branch .LBB210_61
.LBB210_83:
	s_nop 0
	s_sendmsg sendmsg(MSG_DEALLOC_VGPRS)
	s_endpgm
	.section	.rodata,"a",@progbits
	.p2align	6, 0x0
	.amdhsa_kernel _ZL23rocblas_gemvt_sn_kernelILb0ELi256ELi4EiPKfS1_fEviiT4_lPKT3_lilS5_lilPT5_i
		.amdhsa_group_segment_fixed_size 128
		.amdhsa_private_segment_fixed_size 0
		.amdhsa_kernarg_size 360
		.amdhsa_user_sgpr_count 14
		.amdhsa_user_sgpr_dispatch_ptr 0
		.amdhsa_user_sgpr_queue_ptr 0
		.amdhsa_user_sgpr_kernarg_segment_ptr 1
		.amdhsa_user_sgpr_dispatch_id 0
		.amdhsa_user_sgpr_private_segment_size 0
		.amdhsa_wavefront_size32 1
		.amdhsa_uses_dynamic_stack 0
		.amdhsa_enable_private_segment 0
		.amdhsa_system_sgpr_workgroup_id_x 1
		.amdhsa_system_sgpr_workgroup_id_y 0
		.amdhsa_system_sgpr_workgroup_id_z 1
		.amdhsa_system_sgpr_workgroup_info 0
		.amdhsa_system_vgpr_workitem_id 0
		.amdhsa_next_free_vgpr 51
		.amdhsa_next_free_sgpr 44
		.amdhsa_reserve_vcc 1
		.amdhsa_float_round_mode_32 0
		.amdhsa_float_round_mode_16_64 0
		.amdhsa_float_denorm_mode_32 3
		.amdhsa_float_denorm_mode_16_64 3
		.amdhsa_dx10_clamp 1
		.amdhsa_ieee_mode 1
		.amdhsa_fp16_overflow 0
		.amdhsa_workgroup_processor_mode 1
		.amdhsa_memory_ordered 1
		.amdhsa_forward_progress 0
		.amdhsa_shared_vgpr_count 0
		.amdhsa_exception_fp_ieee_invalid_op 0
		.amdhsa_exception_fp_denorm_src 0
		.amdhsa_exception_fp_ieee_div_zero 0
		.amdhsa_exception_fp_ieee_overflow 0
		.amdhsa_exception_fp_ieee_underflow 0
		.amdhsa_exception_fp_ieee_inexact 0
		.amdhsa_exception_int_div_zero 0
	.end_amdhsa_kernel
	.section	.text._ZL23rocblas_gemvt_sn_kernelILb0ELi256ELi4EiPKfS1_fEviiT4_lPKT3_lilS5_lilPT5_i,"axG",@progbits,_ZL23rocblas_gemvt_sn_kernelILb0ELi256ELi4EiPKfS1_fEviiT4_lPKT3_lilS5_lilPT5_i,comdat
.Lfunc_end210:
	.size	_ZL23rocblas_gemvt_sn_kernelILb0ELi256ELi4EiPKfS1_fEviiT4_lPKT3_lilS5_lilPT5_i, .Lfunc_end210-_ZL23rocblas_gemvt_sn_kernelILb0ELi256ELi4EiPKfS1_fEviiT4_lPKT3_lilS5_lilPT5_i
                                        ; -- End function
	.section	.AMDGPU.csdata,"",@progbits
; Kernel info:
; codeLenInByte = 4140
; NumSgprs: 46
; NumVgprs: 51
; ScratchSize: 0
; MemoryBound: 0
; FloatMode: 240
; IeeeMode: 1
; LDSByteSize: 128 bytes/workgroup (compile time only)
; SGPRBlocks: 5
; VGPRBlocks: 6
; NumSGPRsForWavesPerEU: 46
; NumVGPRsForWavesPerEU: 51
; Occupancy: 16
; WaveLimiterHint : 0
; COMPUTE_PGM_RSRC2:SCRATCH_EN: 0
; COMPUTE_PGM_RSRC2:USER_SGPR: 14
; COMPUTE_PGM_RSRC2:TRAP_HANDLER: 0
; COMPUTE_PGM_RSRC2:TGID_X_EN: 1
; COMPUTE_PGM_RSRC2:TGID_Y_EN: 0
; COMPUTE_PGM_RSRC2:TGID_Z_EN: 1
; COMPUTE_PGM_RSRC2:TIDIG_COMP_CNT: 0
	.section	.text._ZL23rocblas_gemvt_sn_kernelILb0ELi256ELi4ElPKfS1_fEviiT4_lPKT3_lilS5_lilPT5_i,"axG",@progbits,_ZL23rocblas_gemvt_sn_kernelILb0ELi256ELi4ElPKfS1_fEviiT4_lPKT3_lilS5_lilPT5_i,comdat
	.globl	_ZL23rocblas_gemvt_sn_kernelILb0ELi256ELi4ElPKfS1_fEviiT4_lPKT3_lilS5_lilPT5_i ; -- Begin function _ZL23rocblas_gemvt_sn_kernelILb0ELi256ELi4ElPKfS1_fEviiT4_lPKT3_lilS5_lilPT5_i
	.p2align	8
	.type	_ZL23rocblas_gemvt_sn_kernelILb0ELi256ELi4ElPKfS1_fEviiT4_lPKT3_lilS5_lilPT5_i,@function
_ZL23rocblas_gemvt_sn_kernelILb0ELi256ELi4ElPKfS1_fEviiT4_lPKT3_lilS5_lilPT5_i: ; @_ZL23rocblas_gemvt_sn_kernelILb0ELi256ELi4ElPKfS1_fEviiT4_lPKT3_lilS5_lilPT5_i
; %bb.0:
	s_load_b256 s[4:11], s[0:1], 0x8
	s_mov_b32 s2, s15
	s_mov_b64 s[20:21], 0
	s_mov_b64 s[18:19], 0
	s_waitcnt lgkmcnt(0)
	s_mul_i32 s3, s15, s7
	s_mul_hi_u32 s7, s15, s6
	s_mul_i32 s6, s15, s6
	s_add_i32 s7, s7, s3
	s_mov_b32 s3, 0
	s_lshl_b64 s[6:7], s[6:7], 2
	s_delay_alu instid0(SALU_CYCLE_1)
	s_add_u32 s4, s4, s6
	s_addc_u32 s5, s5, s7
	s_load_b32 s33, s[4:5], 0x0
	s_waitcnt lgkmcnt(0)
	v_cmp_eq_f32_e64 s4, s33, 0
	v_cmp_neq_f32_e64 s5, s33, 0
	s_delay_alu instid0(VALU_DEP_2)
	s_and_b32 vcc_lo, exec_lo, s4
	s_cbranch_vccnz .LBB211_2
; %bb.1:
	s_lshl_b64 s[6:7], s[2:3], 3
	s_delay_alu instid0(SALU_CYCLE_1)
	s_add_u32 s6, s8, s6
	s_addc_u32 s7, s9, s7
	s_lshl_b64 s[8:9], s[10:11], 2
	s_load_b64 s[6:7], s[6:7], 0x0
	s_waitcnt lgkmcnt(0)
	s_add_u32 s18, s6, s8
	s_addc_u32 s19, s7, s9
.LBB211_2:
	s_delay_alu instid0(VALU_DEP_1)
	s_and_not1_b32 vcc_lo, exec_lo, s5
	s_cbranch_vccnz .LBB211_4
; %bb.3:
	s_load_b128 s[8:11], s[0:1], 0x38
	s_lshl_b64 s[6:7], s[2:3], 3
	s_waitcnt lgkmcnt(0)
	s_add_u32 s6, s8, s6
	s_addc_u32 s7, s9, s7
	s_lshl_b64 s[8:9], s[10:11], 2
	s_load_b64 s[6:7], s[6:7], 0x0
	s_waitcnt lgkmcnt(0)
	s_add_u32 s20, s6, s8
	s_addc_u32 s21, s7, s9
.LBB211_4:
	s_clause 0x2
	s_load_b64 s[10:11], s[0:1], 0x0
	s_load_b32 s12, s[0:1], 0x68
	s_load_b64 s[8:9], s[0:1], 0x58
	s_mov_b32 s13, 0
	s_waitcnt lgkmcnt(0)
	s_ashr_i32 s6, s11, 31
	s_mul_hi_u32 s3, s11, s2
	s_mul_i32 s5, s6, s2
	s_mul_i32 s2, s11, s2
	s_add_i32 s3, s3, s5
	s_mul_hi_u32 s5, s2, s12
	s_mul_i32 s3, s3, s12
	s_mul_i32 s2, s2, s12
	s_add_i32 s3, s5, s3
	s_delay_alu instid0(SALU_CYCLE_1) | instskip(NEXT) | instid1(SALU_CYCLE_1)
	s_lshl_b64 s[2:3], s[2:3], 2
	s_add_u32 s36, s8, s2
	s_addc_u32 s37, s9, s3
	s_and_not1_b32 vcc_lo, exec_lo, s4
	s_mov_b32 s2, -1
	s_cbranch_vccnz .LBB211_9
; %bb.5:
	v_cmp_eq_u32_e32 vcc_lo, 0, v0
	s_cmp_gt_i32 s11, 0
	s_cselect_b32 s2, -1, 0
	s_delay_alu instid0(SALU_CYCLE_1) | instskip(NEXT) | instid1(SALU_CYCLE_1)
	s_and_b32 s2, vcc_lo, s2
	s_and_saveexec_b32 s7, s2
	s_cbranch_execz .LBB211_8
; %bb.6:
	s_mov_b32 s15, 0
	v_mov_b32_e32 v1, 0
	s_lshl_b64 s[2:3], s[14:15], 2
	s_mov_b32 s8, s11
	s_add_u32 s2, s36, s2
	s_addc_u32 s3, s37, s3
	s_lshl_b64 s[4:5], s[12:13], 2
.LBB211_7:                              ; =>This Inner Loop Header: Depth=1
	s_add_i32 s8, s8, -1
	global_store_b32 v1, v1, s[2:3]
	s_add_u32 s2, s2, s4
	s_addc_u32 s3, s3, s5
	s_cmp_eq_u32 s8, 0
	s_cbranch_scc0 .LBB211_7
.LBB211_8:
	s_or_b32 exec_lo, exec_lo, s7
	s_mov_b32 s2, 0
.LBB211_9:
	s_delay_alu instid0(SALU_CYCLE_1)
	s_and_not1_b32 vcc_lo, exec_lo, s2
	s_cbranch_vccnz .LBB211_83
; %bb.10:
	s_lshl_b32 s2, s14, 10
	s_clause 0x1
	s_load_b32 s16, s[0:1], 0x28
	s_load_b32 s22, s[0:1], 0x48
	v_lshl_or_b32 v9, v0, 2, s2
	s_ashr_i32 s2, s10, 31
	s_lshr_b32 s1, s6, 30
	s_lshr_b32 s0, s2, 30
	s_add_i32 s1, s11, s1
	v_ashrrev_i32_e32 v10, 31, v9
	s_add_i32 s0, s10, s0
	s_and_b32 s38, s1, -4
	s_and_b32 s0, s0, -4
	v_add_nc_u32_e32 v28, 4, v9
	v_lshlrev_b64 v[7:8], 2, v[9:10]
	s_sub_i32 s13, s10, s0
	v_and_b32_e32 v25, 31, v0
	v_add_nc_u32_e32 v29, s13, v9
	v_cmp_gt_u32_e64 s0, 32, v0
	v_mbcnt_lo_u32_b32 v27, -1, 0
	v_add_co_u32 v5, vcc_lo, s18, v7
	v_add_co_ci_u32_e32 v6, vcc_lo, s19, v8, vcc_lo
	v_cmp_gt_u32_e64 s1, 8, v0
	v_lshrrev_b32_e32 v26, 3, v0
	v_cmp_eq_u32_e64 s2, 0, v0
	v_or_b32_e32 v24, 1, v9
	v_or_b32_e32 v23, 2, v9
	;; [unrolled: 1-line block ×3, first 2 shown]
	s_waitcnt lgkmcnt(0)
	s_ashr_i32 s17, s16, 31
	s_ashr_i32 s23, s22, 31
	s_cmp_lt_i32 s38, 1
	s_cbranch_scc1 .LBB211_58
; %bb.11:
	v_cmp_gt_u32_e32 vcc_lo, 16, v27
	v_mad_i64_i32 v[12:13], null, s22, v23, 0
	v_mad_i64_i32 v[14:15], null, s22, v22, 0
	v_cndmask_b32_e64 v1, 0, 1, vcc_lo
	v_cmp_gt_u32_e32 vcc_lo, 24, v27
	s_mov_b32 s15, 0
	s_cmp_gt_i32 s13, 0
	v_cmp_ge_i32_e64 s3, s10, v28
	v_lshlrev_b32_e32 v1, 4, v1
	v_cndmask_b32_e64 v2, 0, 1, vcc_lo
	v_cmp_gt_u32_e32 vcc_lo, 28, v27
	v_cmp_ge_i32_e64 s4, s10, v29
	s_cselect_b32 s39, -1, 0
	s_delay_alu instid0(VALU_DEP_3)
	v_dual_mov_b32 v37, 0 :: v_dual_lshlrev_b32 v2, 3, v2
	v_cndmask_b32_e64 v3, 0, 1, vcc_lo
	v_cmp_gt_u32_e32 vcc_lo, 30, v27
	v_cmp_eq_u32_e64 s5, 0, v25
	v_lshlrev_b32_e32 v35, 2, v25
	v_add_lshl_u32 v31, v2, v27, 2
	v_lshlrev_b32_e32 v3, 2, v3
	v_cndmask_b32_e64 v4, 0, 1, vcc_lo
	v_cmp_ne_u32_e32 vcc_lo, 31, v27
	v_dual_mov_b32 v19, v6 :: v_dual_mov_b32 v18, v5
	v_add_lshl_u32 v30, v1, v27, 2
	s_delay_alu instid0(VALU_DEP_4) | instskip(SKIP_3) | instid1(VALU_DEP_4)
	v_lshlrev_b32_e32 v4, 1, v4
	v_mad_i64_i32 v[1:2], null, s22, v9, 0
	v_add_lshl_u32 v32, v3, v27, 2
	v_add_co_ci_u32_e32 v10, vcc_lo, 0, v27, vcc_lo
	v_add_lshl_u32 v33, v4, v27, 2
	v_mad_i64_i32 v[3:4], null, s22, v24, 0
	v_lshlrev_b64 v[1:2], 2, v[1:2]
	s_delay_alu instid0(VALU_DEP_4) | instskip(SKIP_4) | instid1(VALU_DEP_4)
	v_lshlrev_b32_e32 v34, 2, v10
	s_lshl_b64 s[6:7], s[14:15], 2
	v_and_b32_e32 v36, 28, v26
	s_add_u32 s40, s36, s6
	s_addc_u32 s41, s37, s7
	v_lshlrev_b64 v[3:4], 2, v[3:4]
	v_add_co_u32 v10, vcc_lo, s20, v1
	v_add_co_ci_u32_e32 v11, vcc_lo, s21, v2, vcc_lo
	v_lshlrev_b64 v[1:2], 2, v[12:13]
	s_delay_alu instid0(VALU_DEP_4) | instskip(SKIP_2) | instid1(VALU_DEP_4)
	v_add_co_u32 v12, vcc_lo, s20, v3
	v_add_co_ci_u32_e32 v13, vcc_lo, s21, v4, vcc_lo
	v_lshlrev_b64 v[3:4], 2, v[14:15]
	v_add_co_u32 v14, vcc_lo, s20, v1
	v_add_co_ci_u32_e32 v15, vcc_lo, s21, v2, vcc_lo
	s_lshl_b64 s[24:25], s[22:23], 2
	s_delay_alu instid0(VALU_DEP_3) | instskip(NEXT) | instid1(VALU_DEP_4)
	v_add_co_u32 v16, vcc_lo, s20, v3
	v_add_co_ci_u32_e32 v17, vcc_lo, s21, v4, vcc_lo
	s_mul_hi_i32 s42, s16, 12
	s_mul_i32 s43, s16, 12
	s_lshl_b64 s[26:27], s[16:17], 4
	s_lshl_b64 s[28:29], s[16:17], 3
	s_lshl_b64 s[30:31], s[16:17], 2
                                        ; implicit-def: $vgpr1_vgpr2_vgpr3_vgpr4
	s_branch .LBB211_13
.LBB211_12:                             ;   in Loop: Header=BB211_13 Depth=1
	s_or_b32 exec_lo, exec_lo, s6
	v_add_co_u32 v18, vcc_lo, v18, s26
	v_add_co_ci_u32_e32 v19, vcc_lo, s27, v19, vcc_lo
	s_add_i32 s15, s15, 4
	s_delay_alu instid0(SALU_CYCLE_1)
	s_cmp_ge_i32 s15, s38
	s_cbranch_scc1 .LBB211_59
.LBB211_13:                             ; =>This Loop Header: Depth=1
                                        ;     Child Loop BB211_44 Depth 2
                                        ;     Child Loop BB211_47 Depth 2
                                        ; implicit-def: $vgpr38
                                        ; implicit-def: $vgpr39
                                        ; implicit-def: $vgpr40
                                        ; implicit-def: $vgpr41
	s_and_saveexec_b32 s6, s3
	s_delay_alu instid0(SALU_CYCLE_1)
	s_xor_b32 s6, exec_lo, s6
	s_cbranch_execnz .LBB211_40
; %bb.14:                               ;   in Loop: Header=BB211_13 Depth=1
	s_and_not1_saveexec_b32 s44, s6
	s_cbranch_execnz .LBB211_41
.LBB211_15:                             ;   in Loop: Header=BB211_13 Depth=1
	s_or_b32 exec_lo, exec_lo, s44
	s_and_saveexec_b32 s6, s0
	s_cbranch_execz .LBB211_17
.LBB211_16:                             ;   in Loop: Header=BB211_13 Depth=1
	ds_store_b32 v35, v37
.LBB211_17:                             ;   in Loop: Header=BB211_13 Depth=1
	s_or_b32 exec_lo, exec_lo, s6
	ds_bpermute_b32 v20, v30, v41
	s_waitcnt lgkmcnt(0)
	s_waitcnt_vscnt null, 0x0
	s_barrier
	buffer_gl0_inv
	v_add_f32_e32 v20, v41, v20
	ds_bpermute_b32 v21, v31, v20
	s_waitcnt lgkmcnt(0)
	v_add_f32_e32 v20, v20, v21
	ds_bpermute_b32 v21, v32, v20
	s_waitcnt lgkmcnt(0)
	;; [unrolled: 3-line block ×3, first 2 shown]
	v_add_f32_e32 v20, v20, v21
	ds_bpermute_b32 v21, v34, v20
	s_and_saveexec_b32 s6, s5
	s_cbranch_execz .LBB211_19
; %bb.18:                               ;   in Loop: Header=BB211_13 Depth=1
	s_waitcnt lgkmcnt(0)
	v_add_f32_e32 v20, v20, v21
	ds_store_b32 v36, v20
.LBB211_19:                             ;   in Loop: Header=BB211_13 Depth=1
	s_or_b32 exec_lo, exec_lo, s6
	v_mov_b32_e32 v20, 0
	s_waitcnt lgkmcnt(0)
	s_barrier
	buffer_gl0_inv
	s_and_saveexec_b32 s6, s1
	s_cbranch_execnz .LBB211_49
; %bb.20:                               ;   in Loop: Header=BB211_13 Depth=1
	s_or_b32 exec_lo, exec_lo, s6
	s_and_saveexec_b32 s6, s0
	s_cbranch_execnz .LBB211_50
.LBB211_21:                             ;   in Loop: Header=BB211_13 Depth=1
	s_or_b32 exec_lo, exec_lo, s6
	s_and_saveexec_b32 s6, s0
	s_cbranch_execz .LBB211_23
.LBB211_22:                             ;   in Loop: Header=BB211_13 Depth=1
	ds_store_b32 v35, v37
.LBB211_23:                             ;   in Loop: Header=BB211_13 Depth=1
	s_or_b32 exec_lo, exec_lo, s6
	ds_bpermute_b32 v21, v30, v40
	s_waitcnt lgkmcnt(0)
	s_barrier
	buffer_gl0_inv
	v_add_f32_e32 v21, v40, v21
	ds_bpermute_b32 v40, v31, v21
	s_waitcnt lgkmcnt(0)
	v_add_f32_e32 v21, v21, v40
	ds_bpermute_b32 v40, v32, v21
	s_waitcnt lgkmcnt(0)
	;; [unrolled: 3-line block ×3, first 2 shown]
	v_add_f32_e32 v21, v21, v40
	ds_bpermute_b32 v40, v34, v21
	s_and_saveexec_b32 s6, s5
	s_cbranch_execz .LBB211_25
; %bb.24:                               ;   in Loop: Header=BB211_13 Depth=1
	s_waitcnt lgkmcnt(0)
	v_add_f32_e32 v21, v21, v40
	ds_store_b32 v36, v21
.LBB211_25:                             ;   in Loop: Header=BB211_13 Depth=1
	s_or_b32 exec_lo, exec_lo, s6
	v_mov_b32_e32 v21, 0
	s_waitcnt lgkmcnt(0)
	s_barrier
	buffer_gl0_inv
	s_and_saveexec_b32 s6, s1
	s_cbranch_execnz .LBB211_51
; %bb.26:                               ;   in Loop: Header=BB211_13 Depth=1
	s_or_b32 exec_lo, exec_lo, s6
	s_and_saveexec_b32 s6, s0
	s_cbranch_execnz .LBB211_52
.LBB211_27:                             ;   in Loop: Header=BB211_13 Depth=1
	s_or_b32 exec_lo, exec_lo, s6
	s_and_saveexec_b32 s6, s0
	s_cbranch_execz .LBB211_29
.LBB211_28:                             ;   in Loop: Header=BB211_13 Depth=1
	ds_store_b32 v35, v37
.LBB211_29:                             ;   in Loop: Header=BB211_13 Depth=1
	s_or_b32 exec_lo, exec_lo, s6
	ds_bpermute_b32 v40, v30, v39
	s_waitcnt lgkmcnt(0)
	s_barrier
	buffer_gl0_inv
	v_add_f32_e32 v39, v39, v40
	ds_bpermute_b32 v40, v31, v39
	s_waitcnt lgkmcnt(0)
	v_add_f32_e32 v39, v39, v40
	ds_bpermute_b32 v40, v32, v39
	s_waitcnt lgkmcnt(0)
	;; [unrolled: 3-line block ×3, first 2 shown]
	v_add_f32_e32 v39, v39, v40
	ds_bpermute_b32 v40, v34, v39
	s_and_saveexec_b32 s6, s5
	s_cbranch_execz .LBB211_31
; %bb.30:                               ;   in Loop: Header=BB211_13 Depth=1
	s_waitcnt lgkmcnt(0)
	v_add_f32_e32 v39, v39, v40
	ds_store_b32 v36, v39
.LBB211_31:                             ;   in Loop: Header=BB211_13 Depth=1
	s_or_b32 exec_lo, exec_lo, s6
	v_mov_b32_e32 v39, 0
	s_waitcnt lgkmcnt(0)
	s_barrier
	buffer_gl0_inv
	s_and_saveexec_b32 s6, s1
	s_cbranch_execnz .LBB211_53
; %bb.32:                               ;   in Loop: Header=BB211_13 Depth=1
	s_or_b32 exec_lo, exec_lo, s6
	s_and_saveexec_b32 s6, s0
	s_cbranch_execnz .LBB211_54
.LBB211_33:                             ;   in Loop: Header=BB211_13 Depth=1
	s_or_b32 exec_lo, exec_lo, s6
	s_and_saveexec_b32 s6, s0
	s_cbranch_execz .LBB211_35
.LBB211_34:                             ;   in Loop: Header=BB211_13 Depth=1
	ds_store_b32 v35, v37
.LBB211_35:                             ;   in Loop: Header=BB211_13 Depth=1
	s_or_b32 exec_lo, exec_lo, s6
	ds_bpermute_b32 v40, v30, v38
	s_waitcnt lgkmcnt(0)
	s_barrier
	buffer_gl0_inv
	v_add_f32_e32 v38, v38, v40
	ds_bpermute_b32 v40, v31, v38
	s_waitcnt lgkmcnt(0)
	v_add_f32_e32 v38, v38, v40
	ds_bpermute_b32 v40, v32, v38
	s_waitcnt lgkmcnt(0)
	;; [unrolled: 3-line block ×3, first 2 shown]
	v_add_f32_e32 v38, v38, v40
	ds_bpermute_b32 v40, v34, v38
	s_and_saveexec_b32 s6, s5
	s_cbranch_execz .LBB211_37
; %bb.36:                               ;   in Loop: Header=BB211_13 Depth=1
	s_waitcnt lgkmcnt(0)
	v_add_f32_e32 v38, v38, v40
	ds_store_b32 v36, v38
.LBB211_37:                             ;   in Loop: Header=BB211_13 Depth=1
	s_or_b32 exec_lo, exec_lo, s6
	v_mov_b32_e32 v38, 0
	s_waitcnt lgkmcnt(0)
	s_barrier
	buffer_gl0_inv
	s_and_saveexec_b32 s6, s1
	s_cbranch_execnz .LBB211_55
; %bb.38:                               ;   in Loop: Header=BB211_13 Depth=1
	s_or_b32 exec_lo, exec_lo, s6
	s_and_saveexec_b32 s6, s0
	s_cbranch_execnz .LBB211_56
.LBB211_39:                             ;   in Loop: Header=BB211_13 Depth=1
	s_or_b32 exec_lo, exec_lo, s6
	s_and_saveexec_b32 s6, s2
	s_cbranch_execz .LBB211_12
	s_branch .LBB211_57
.LBB211_40:                             ;   in Loop: Header=BB211_13 Depth=1
	s_mul_i32 s7, s15, s17
	s_mul_hi_u32 s8, s15, s16
	s_delay_alu instid0(SALU_CYCLE_1)
	s_add_i32 s9, s8, s7
	s_mul_i32 s8, s15, s16
	s_or_b32 s7, s15, 1
	s_lshl_b64 s[8:9], s[8:9], 2
	s_mul_i32 s34, s7, s17
	s_mul_hi_u32 s35, s7, s16
	v_add_co_u32 v2, vcc_lo, v5, s8
	v_add_co_ci_u32_e32 v3, vcc_lo, s9, v6, vcc_lo
	s_add_i32 s9, s35, s34
	s_mul_i32 s8, s7, s16
	s_or_b32 s7, s15, 2
	s_lshl_b64 s[8:9], s[8:9], 2
	s_mul_i32 s34, s7, s17
	s_mul_hi_u32 s35, s7, s16
	v_add_co_u32 v20, vcc_lo, v5, s8
	v_add_co_ci_u32_e32 v21, vcc_lo, s9, v6, vcc_lo
	s_add_i32 s9, s35, s34
	s_or_b32 s34, s15, 3
	s_mul_i32 s8, s7, s16
	s_mul_i32 s7, s34, s17
	s_mul_hi_u32 s35, s34, s16
	s_lshl_b64 s[8:9], s[8:9], 2
	s_add_i32 s35, s35, s7
	s_mul_i32 s34, s34, s16
	s_waitcnt lgkmcnt(0)
	v_add_co_u32 v38, vcc_lo, v5, s8
	v_add_co_ci_u32_e32 v39, vcc_lo, s9, v6, vcc_lo
	s_lshl_b64 s[8:9], s[34:35], 2
	s_delay_alu instid0(SALU_CYCLE_1)
	v_add_co_u32 v53, vcc_lo, v5, s8
	v_add_co_ci_u32_e32 v54, vcc_lo, s9, v6, vcc_lo
	flat_load_b32 v1, v[10:11]
	s_clause 0x3
	flat_load_b128 v[41:44], v[2:3]
	flat_load_b128 v[45:48], v[20:21]
	;; [unrolled: 1-line block ×4, first 2 shown]
	s_clause 0x2
	flat_load_b32 v2, v[12:13]
	flat_load_b32 v3, v[14:15]
	;; [unrolled: 1-line block ×3, first 2 shown]
	s_waitcnt vmcnt(6) lgkmcnt(6)
	v_fma_f32 v41, v1, v41, 0
	s_waitcnt vmcnt(5) lgkmcnt(5)
	v_fma_f32 v40, v1, v45, 0
	;; [unrolled: 2-line block ×4, first 2 shown]
	s_waitcnt vmcnt(2) lgkmcnt(2)
	v_fmac_f32_e32 v40, v2, v46
	v_fmac_f32_e32 v41, v2, v42
	s_delay_alu instid0(VALU_DEP_3) | instskip(SKIP_1) | instid1(VALU_DEP_3)
	v_fmac_f32_e32 v38, v2, v54
	s_waitcnt vmcnt(1) lgkmcnt(1)
	v_dual_fmac_f32 v39, v2, v50 :: v_dual_fmac_f32 v40, v3, v47
	s_delay_alu instid0(VALU_DEP_3) | instskip(NEXT) | instid1(VALU_DEP_3)
	v_fmac_f32_e32 v41, v3, v43
	v_fmac_f32_e32 v38, v3, v55
	s_waitcnt vmcnt(0) lgkmcnt(0)
	s_delay_alu instid0(VALU_DEP_3) | instskip(NEXT) | instid1(VALU_DEP_3)
	v_dual_fmac_f32 v39, v3, v51 :: v_dual_fmac_f32 v40, v4, v48
	v_fmac_f32_e32 v41, v4, v44
	s_delay_alu instid0(VALU_DEP_3) | instskip(NEXT) | instid1(VALU_DEP_3)
	v_fmac_f32_e32 v38, v4, v56
	v_fmac_f32_e32 v39, v4, v52
	s_and_not1_saveexec_b32 s44, s6
	s_cbranch_execz .LBB211_15
.LBB211_41:                             ;   in Loop: Header=BB211_13 Depth=1
	s_waitcnt lgkmcnt(0)
	v_dual_mov_b32 v38, 0 :: v_dual_mov_b32 v39, 0
	v_dual_mov_b32 v40, 0 :: v_dual_mov_b32 v41, 0
	s_and_saveexec_b32 s45, s4
	s_cbranch_execz .LBB211_48
; %bb.42:                               ;   in Loop: Header=BB211_13 Depth=1
	s_and_not1_b32 vcc_lo, exec_lo, s39
	s_cbranch_vccnz .LBB211_45
; %bb.43:                               ;   in Loop: Header=BB211_13 Depth=1
	v_dual_mov_b32 v21, v11 :: v_dual_mov_b32 v20, v10
	s_mov_b64 s[34:35], 0
	.p2align	6
.LBB211_44:                             ;   Parent Loop BB211_13 Depth=1
                                        ; =>  This Inner Loop Header: Depth=2
	flat_load_b32 v38, v[20:21]
	v_add_co_u32 v20, vcc_lo, v20, s24
	s_cmp_eq_u32 s34, 3
	v_add_co_ci_u32_e32 v21, vcc_lo, s25, v21, vcc_lo
	s_cselect_b32 vcc_lo, -1, 0
	s_cmp_eq_u32 s34, 2
	s_cselect_b32 s6, -1, 0
	s_cmp_eq_u32 s34, 1
	s_cselect_b32 s7, -1, 0
	;; [unrolled: 2-line block ×3, first 2 shown]
	s_add_u32 s34, s34, 1
	s_addc_u32 s35, s35, 0
	s_cmp_eq_u32 s13, s34
	s_waitcnt vmcnt(0) lgkmcnt(0)
	v_cndmask_b32_e32 v4, v4, v38, vcc_lo
	v_cndmask_b32_e64 v3, v3, v38, s6
	v_cndmask_b32_e64 v2, v2, v38, s7
	;; [unrolled: 1-line block ×3, first 2 shown]
	s_cbranch_scc0 .LBB211_44
.LBB211_45:                             ;   in Loop: Header=BB211_13 Depth=1
	v_dual_mov_b32 v38, 0 :: v_dual_mov_b32 v39, 0
	v_dual_mov_b32 v40, 0 :: v_dual_mov_b32 v41, 0
	s_and_not1_b32 vcc_lo, exec_lo, s39
	s_cbranch_vccnz .LBB211_48
; %bb.46:                               ;   in Loop: Header=BB211_13 Depth=1
	v_dual_mov_b32 v21, v19 :: v_dual_mov_b32 v40, 0
	v_dual_mov_b32 v41, 0 :: v_dual_mov_b32 v20, v18
	;; [unrolled: 1-line block ×3, first 2 shown]
	s_mov_b64 s[8:9], 0
	s_set_inst_prefetch_distance 0x1
	.p2align	6
.LBB211_47:                             ;   Parent Loop BB211_13 Depth=1
                                        ; =>  This Inner Loop Header: Depth=2
	s_delay_alu instid0(VALU_DEP_2)
	v_add_co_u32 v42, vcc_lo, v20, s30
	v_add_co_ci_u32_e32 v43, vcc_lo, s31, v21, vcc_lo
	v_add_co_u32 v44, vcc_lo, v20, s28
	v_add_co_ci_u32_e32 v45, vcc_lo, s29, v21, vcc_lo
	;; [unrolled: 2-line block ×3, first 2 shown]
	s_clause 0x3
	flat_load_b32 v48, v[20:21]
	flat_load_b32 v42, v[42:43]
	;; [unrolled: 1-line block ×4, first 2 shown]
	s_cmp_eq_u32 s8, 1
	v_add_co_u32 v20, s6, v20, 4
	s_cselect_b32 vcc_lo, -1, 0
	s_cmp_eq_u32 s8, 2
	v_cndmask_b32_e32 v45, v1, v2, vcc_lo
	s_cselect_b32 vcc_lo, -1, 0
	s_cmp_eq_u32 s8, 3
	v_add_co_ci_u32_e64 v21, s6, 0, v21, s6
	s_delay_alu instid0(VALU_DEP_2)
	v_cndmask_b32_e32 v45, v45, v3, vcc_lo
	s_cselect_b32 vcc_lo, -1, 0
	s_add_u32 s8, s8, 1
	s_addc_u32 s9, s9, 0
	s_cmp_lg_u32 s13, s8
	v_cndmask_b32_e32 v45, v45, v4, vcc_lo
	s_waitcnt vmcnt(3) lgkmcnt(3)
	s_delay_alu instid0(VALU_DEP_1)
	v_fmac_f32_e32 v41, v45, v48
	s_waitcnt vmcnt(2) lgkmcnt(2)
	v_fmac_f32_e32 v40, v45, v42
	s_waitcnt vmcnt(1) lgkmcnt(1)
	;; [unrolled: 2-line block ×3, first 2 shown]
	v_fmac_f32_e32 v38, v45, v44
	s_cbranch_scc1 .LBB211_47
.LBB211_48:                             ;   in Loop: Header=BB211_13 Depth=1
	s_set_inst_prefetch_distance 0x2
	s_or_b32 exec_lo, exec_lo, s45
	s_delay_alu instid0(SALU_CYCLE_1)
	s_or_b32 exec_lo, exec_lo, s44
	s_and_saveexec_b32 s6, s0
	s_cbranch_execnz .LBB211_16
	s_branch .LBB211_17
.LBB211_49:                             ;   in Loop: Header=BB211_13 Depth=1
	ds_load_b32 v20, v35
	s_or_b32 exec_lo, exec_lo, s6
	s_and_saveexec_b32 s6, s0
	s_cbranch_execz .LBB211_21
.LBB211_50:                             ;   in Loop: Header=BB211_13 Depth=1
	s_waitcnt lgkmcnt(0)
	ds_bpermute_b32 v21, v32, v20
	s_waitcnt lgkmcnt(0)
	v_add_f32_e32 v20, v20, v21
	ds_bpermute_b32 v21, v33, v20
	s_waitcnt lgkmcnt(0)
	v_add_f32_e32 v20, v20, v21
	;; [unrolled: 3-line block ×3, first 2 shown]
	s_or_b32 exec_lo, exec_lo, s6
	s_and_saveexec_b32 s6, s0
	s_cbranch_execnz .LBB211_22
	s_branch .LBB211_23
.LBB211_51:                             ;   in Loop: Header=BB211_13 Depth=1
	ds_load_b32 v21, v35
	s_or_b32 exec_lo, exec_lo, s6
	s_and_saveexec_b32 s6, s0
	s_cbranch_execz .LBB211_27
.LBB211_52:                             ;   in Loop: Header=BB211_13 Depth=1
	s_waitcnt lgkmcnt(0)
	ds_bpermute_b32 v40, v32, v21
	s_waitcnt lgkmcnt(0)
	v_add_f32_e32 v21, v21, v40
	ds_bpermute_b32 v40, v33, v21
	s_waitcnt lgkmcnt(0)
	v_add_f32_e32 v21, v21, v40
	;; [unrolled: 3-line block ×3, first 2 shown]
	s_or_b32 exec_lo, exec_lo, s6
	s_and_saveexec_b32 s6, s0
	s_cbranch_execnz .LBB211_28
	s_branch .LBB211_29
.LBB211_53:                             ;   in Loop: Header=BB211_13 Depth=1
	ds_load_b32 v39, v35
	s_or_b32 exec_lo, exec_lo, s6
	s_and_saveexec_b32 s6, s0
	s_cbranch_execz .LBB211_33
.LBB211_54:                             ;   in Loop: Header=BB211_13 Depth=1
	s_waitcnt lgkmcnt(0)
	ds_bpermute_b32 v40, v32, v39
	s_waitcnt lgkmcnt(0)
	v_add_f32_e32 v39, v39, v40
	ds_bpermute_b32 v40, v33, v39
	s_waitcnt lgkmcnt(0)
	v_add_f32_e32 v39, v39, v40
	;; [unrolled: 3-line block ×3, first 2 shown]
	s_or_b32 exec_lo, exec_lo, s6
	s_and_saveexec_b32 s6, s0
	s_cbranch_execnz .LBB211_34
	s_branch .LBB211_35
.LBB211_55:                             ;   in Loop: Header=BB211_13 Depth=1
	ds_load_b32 v38, v35
	s_or_b32 exec_lo, exec_lo, s6
	s_and_saveexec_b32 s6, s0
	s_cbranch_execz .LBB211_39
.LBB211_56:                             ;   in Loop: Header=BB211_13 Depth=1
	s_waitcnt lgkmcnt(0)
	ds_bpermute_b32 v40, v32, v38
	s_waitcnt lgkmcnt(0)
	v_add_f32_e32 v38, v38, v40
	ds_bpermute_b32 v40, v33, v38
	s_waitcnt lgkmcnt(0)
	v_add_f32_e32 v38, v38, v40
	;; [unrolled: 3-line block ×3, first 2 shown]
	s_or_b32 exec_lo, exec_lo, s6
	s_and_saveexec_b32 s6, s2
	s_cbranch_execz .LBB211_12
.LBB211_57:                             ;   in Loop: Header=BB211_13 Depth=1
	s_mul_hi_u32 s9, s15, s12
	s_mul_i32 s8, s15, s12
	v_dual_mul_f32 v20, s33, v20 :: v_dual_mul_f32 v21, s33, v21
	s_lshl_b64 s[8:9], s[8:9], 2
	s_waitcnt lgkmcnt(0)
	v_mul_f32_e32 v38, s33, v38
	s_add_u32 s8, s40, s8
	s_addc_u32 s9, s41, s9
	s_or_b32 s7, s15, 1
	global_store_b32 v37, v20, s[8:9]
	s_mul_hi_u32 s35, s7, s12
	s_mul_i32 s34, s7, s12
	v_mul_f32_e32 v20, s33, v39
	s_lshl_b64 s[34:35], s[34:35], 2
	s_delay_alu instid0(SALU_CYCLE_1)
	s_add_u32 s34, s40, s34
	s_addc_u32 s35, s41, s35
	s_or_b32 s7, s15, 2
	global_store_b32 v37, v21, s[34:35]
	s_mul_hi_u32 s45, s7, s12
	s_mul_i32 s44, s7, s12
	s_delay_alu instid0(SALU_CYCLE_1) | instskip(NEXT) | instid1(SALU_CYCLE_1)
	s_lshl_b64 s[44:45], s[44:45], 2
	s_add_u32 s8, s40, s44
	s_addc_u32 s9, s41, s45
	s_or_b32 s7, s15, 3
	s_delay_alu instid0(SALU_CYCLE_1) | instskip(SKIP_1) | instid1(SALU_CYCLE_1)
	s_mul_hi_u32 s45, s7, s12
	s_mul_i32 s44, s7, s12
	s_lshl_b64 s[44:45], s[44:45], 2
	s_delay_alu instid0(SALU_CYCLE_1)
	s_add_u32 s34, s40, s44
	s_addc_u32 s35, s41, s45
	s_clause 0x1
	global_store_b32 v37, v20, s[8:9]
	global_store_b32 v37, v38, s[34:35]
	s_branch .LBB211_12
.LBB211_58:
	s_mov_b32 s15, 0
                                        ; implicit-def: $vgpr1_vgpr2_vgpr3_vgpr4
.LBB211_59:
	s_delay_alu instid0(SALU_CYCLE_1)
	s_cmp_ge_i32 s15, s11
	s_cbranch_scc1 .LBB211_83
; %bb.60:
	v_cmp_gt_u32_e32 vcc_lo, 16, v27
	v_cmp_ge_i32_e64 s0, s10, v28
	v_cmp_ge_i32_e64 s1, s10, v29
	v_mad_i64_i32 v[16:17], null, s22, v22, 0
	v_cndmask_b32_e64 v10, 0, 1, vcc_lo
	v_cmp_gt_u32_e32 vcc_lo, 24, v27
	s_cmp_gt_i32 s13, 0
	s_mov_b32 s9, 0
	s_mov_b32 s8, s14
	v_lshlrev_b32_e32 v10, 4, v10
	v_cndmask_b32_e64 v11, 0, 1, vcc_lo
	v_cmp_gt_u32_e32 vcc_lo, 28, v27
	s_cselect_b32 s10, -1, 0
	s_lshl_b64 s[6:7], s[8:9], 2
	v_add_lshl_u32 v20, v10, v27, 2
	v_lshlrev_b32_e32 v11, 3, v11
	v_cndmask_b32_e64 v12, 0, 1, vcc_lo
	v_cmp_gt_u32_e32 vcc_lo, 30, v27
	s_add_u32 s14, s36, s6
	s_addc_u32 s24, s37, s7
	v_add_lshl_u32 v21, v11, v27, 2
	v_lshlrev_b32_e32 v12, 2, v12
	v_cndmask_b32_e64 v13, 0, 1, vcc_lo
	v_cmp_ne_u32_e32 vcc_lo, 31, v27
	v_mad_i64_i32 v[10:11], null, s22, v9, 0
	s_delay_alu instid0(VALU_DEP_4) | instskip(NEXT) | instid1(VALU_DEP_4)
	v_add_lshl_u32 v28, v12, v27, 2
	v_lshlrev_b32_e32 v13, 1, v13
	v_add_co_ci_u32_e32 v14, vcc_lo, 0, v27, vcc_lo
	s_mul_i32 s6, s17, s15
	s_mul_hi_u32 s7, s16, s15
	s_delay_alu instid0(VALU_DEP_2)
	v_add_lshl_u32 v27, v13, v27, 2
	v_mad_i64_i32 v[12:13], null, s22, v24, 0
	v_lshlrev_b32_e32 v29, 2, v14
	v_mad_i64_i32 v[14:15], null, s22, v23, 0
	v_lshlrev_b64 v[9:10], 2, v[10:11]
	s_add_i32 s7, s7, s6
	s_mul_i32 s6, s16, s15
	s_delay_alu instid0(VALU_DEP_4)
	v_lshlrev_b64 v[11:12], 2, v[12:13]
	s_lshl_b64 s[6:7], s[6:7], 2
	v_cmp_gt_u32_e64 s2, 32, v0
	v_add_co_u32 v9, vcc_lo, s20, v9
	v_lshlrev_b64 v[13:14], 2, v[14:15]
	v_add_co_ci_u32_e32 v10, vcc_lo, s21, v10, vcc_lo
	v_add_co_u32 v11, vcc_lo, s20, v11
	v_lshlrev_b64 v[15:16], 2, v[16:17]
	v_add_co_ci_u32_e32 v12, vcc_lo, s21, v12, vcc_lo
	v_add_co_u32 v13, vcc_lo, s20, v13
	v_add_co_ci_u32_e32 v14, vcc_lo, s21, v14, vcc_lo
	s_delay_alu instid0(VALU_DEP_4)
	v_add_co_u32 v15, vcc_lo, s20, v15
	v_add_co_ci_u32_e32 v16, vcc_lo, s21, v16, vcc_lo
	s_lshl_b64 s[20:21], s[22:23], 2
	s_add_u32 s6, s18, s6
	s_addc_u32 s7, s19, s7
	v_add_co_u32 v7, vcc_lo, s6, v7
	v_lshlrev_b32_e32 v19, 2, v25
	v_cmp_eq_u32_e64 s3, 0, v25
	v_and_b32_e32 v25, 28, v26
	v_cmp_gt_u32_e64 s4, 8, v0
	v_cmp_eq_u32_e64 s5, 0, v0
	v_mov_b32_e32 v0, 0
	v_add_co_ci_u32_e32 v8, vcc_lo, s7, v8, vcc_lo
	s_lshl_b64 s[18:19], s[16:17], 2
	s_branch .LBB211_62
.LBB211_61:                             ;   in Loop: Header=BB211_62 Depth=1
	s_or_b32 exec_lo, exec_lo, s6
	v_add_co_u32 v7, vcc_lo, v7, s18
	v_add_co_ci_u32_e32 v8, vcc_lo, s19, v8, vcc_lo
	s_add_i32 s15, s15, 1
	s_delay_alu instid0(SALU_CYCLE_1)
	s_cmp_ge_i32 s15, s11
	s_cbranch_scc1 .LBB211_83
.LBB211_62:                             ; =>This Loop Header: Depth=1
                                        ;     Child Loop BB211_75 Depth 2
                                        ;     Child Loop BB211_78 Depth 2
	v_mov_b32_e32 v22, s9
	s_and_saveexec_b32 s6, s0
	s_delay_alu instid0(SALU_CYCLE_1)
	s_xor_b32 s6, exec_lo, s6
	s_cbranch_execnz .LBB211_71
; %bb.63:                               ;   in Loop: Header=BB211_62 Depth=1
	s_and_not1_saveexec_b32 s25, s6
	s_cbranch_execnz .LBB211_72
.LBB211_64:                             ;   in Loop: Header=BB211_62 Depth=1
	s_or_b32 exec_lo, exec_lo, s25
	s_and_saveexec_b32 s6, s2
	s_cbranch_execz .LBB211_66
.LBB211_65:                             ;   in Loop: Header=BB211_62 Depth=1
	ds_store_b32 v19, v0
.LBB211_66:                             ;   in Loop: Header=BB211_62 Depth=1
	s_or_b32 exec_lo, exec_lo, s6
	s_waitcnt lgkmcnt(0)
	ds_bpermute_b32 v17, v20, v22
	s_waitcnt lgkmcnt(0)
	s_waitcnt_vscnt null, 0x0
	s_barrier
	buffer_gl0_inv
	v_add_f32_e32 v17, v22, v17
	ds_bpermute_b32 v18, v21, v17
	s_waitcnt lgkmcnt(0)
	v_add_f32_e32 v17, v17, v18
	ds_bpermute_b32 v18, v28, v17
	s_waitcnt lgkmcnt(0)
	;; [unrolled: 3-line block ×3, first 2 shown]
	v_add_f32_e32 v17, v17, v18
	ds_bpermute_b32 v18, v29, v17
	s_and_saveexec_b32 s6, s3
	s_cbranch_execz .LBB211_68
; %bb.67:                               ;   in Loop: Header=BB211_62 Depth=1
	s_waitcnt lgkmcnt(0)
	v_add_f32_e32 v17, v17, v18
	ds_store_b32 v25, v17
.LBB211_68:                             ;   in Loop: Header=BB211_62 Depth=1
	s_or_b32 exec_lo, exec_lo, s6
	v_mov_b32_e32 v17, 0
	s_waitcnt lgkmcnt(0)
	s_barrier
	buffer_gl0_inv
	s_and_saveexec_b32 s6, s4
	s_cbranch_execnz .LBB211_80
; %bb.69:                               ;   in Loop: Header=BB211_62 Depth=1
	s_or_b32 exec_lo, exec_lo, s6
	s_and_saveexec_b32 s6, s2
	s_cbranch_execnz .LBB211_81
.LBB211_70:                             ;   in Loop: Header=BB211_62 Depth=1
	s_or_b32 exec_lo, exec_lo, s6
	s_and_saveexec_b32 s6, s5
	s_cbranch_execz .LBB211_61
	s_branch .LBB211_82
.LBB211_71:                             ;   in Loop: Header=BB211_62 Depth=1
	s_mul_i32 s7, s15, s17
	s_mul_hi_u32 s8, s15, s16
	s_mul_i32 s22, s15, s16
	s_add_i32 s23, s8, s7
	s_delay_alu instid0(SALU_CYCLE_1) | instskip(NEXT) | instid1(SALU_CYCLE_1)
	s_lshl_b64 s[22:23], s[22:23], 2
	v_add_co_u32 v1, vcc_lo, v5, s22
	v_add_co_ci_u32_e32 v2, vcc_lo, s23, v6, vcc_lo
	flat_load_b128 v[30:33], v[1:2]
	s_clause 0x3
	flat_load_b32 v1, v[9:10]
	flat_load_b32 v2, v[11:12]
	;; [unrolled: 1-line block ×4, first 2 shown]
	s_waitcnt vmcnt(3) lgkmcnt(3)
	v_fma_f32 v22, v1, v30, 0
	s_waitcnt vmcnt(2) lgkmcnt(2)
	s_delay_alu instid0(VALU_DEP_1) | instskip(SKIP_1) | instid1(VALU_DEP_1)
	v_fmac_f32_e32 v22, v2, v31
	s_waitcnt vmcnt(1) lgkmcnt(1)
	v_fmac_f32_e32 v22, v3, v32
	s_waitcnt vmcnt(0) lgkmcnt(0)
	s_delay_alu instid0(VALU_DEP_1)
	v_fmac_f32_e32 v22, v4, v33
	s_and_not1_saveexec_b32 s25, s6
	s_cbranch_execz .LBB211_64
.LBB211_72:                             ;   in Loop: Header=BB211_62 Depth=1
	s_and_saveexec_b32 s26, s1
	s_cbranch_execz .LBB211_79
; %bb.73:                               ;   in Loop: Header=BB211_62 Depth=1
	s_and_not1_b32 vcc_lo, exec_lo, s10
	s_cbranch_vccnz .LBB211_76
; %bb.74:                               ;   in Loop: Header=BB211_62 Depth=1
	s_waitcnt lgkmcnt(0)
	v_dual_mov_b32 v18, v10 :: v_dual_mov_b32 v17, v9
	s_mov_b64 s[22:23], 0
	.p2align	6
.LBB211_75:                             ;   Parent Loop BB211_62 Depth=1
                                        ; =>  This Inner Loop Header: Depth=2
	flat_load_b32 v23, v[17:18]
	v_add_co_u32 v17, vcc_lo, v17, s20
	s_cmp_eq_u32 s22, 3
	v_add_co_ci_u32_e32 v18, vcc_lo, s21, v18, vcc_lo
	s_cselect_b32 vcc_lo, -1, 0
	s_cmp_eq_u32 s22, 2
	s_cselect_b32 s6, -1, 0
	s_cmp_eq_u32 s22, 1
	s_cselect_b32 s7, -1, 0
	;; [unrolled: 2-line block ×3, first 2 shown]
	s_add_u32 s22, s22, 1
	s_addc_u32 s23, s23, 0
	s_cmp_eq_u32 s13, s22
	s_waitcnt vmcnt(0) lgkmcnt(0)
	v_cndmask_b32_e32 v4, v4, v23, vcc_lo
	v_cndmask_b32_e64 v3, v3, v23, s6
	v_cndmask_b32_e64 v2, v2, v23, s7
	;; [unrolled: 1-line block ×3, first 2 shown]
	s_cbranch_scc0 .LBB211_75
.LBB211_76:                             ;   in Loop: Header=BB211_62 Depth=1
	s_and_not1_b32 vcc_lo, exec_lo, s10
	s_cbranch_vccnz .LBB211_79
; %bb.77:                               ;   in Loop: Header=BB211_62 Depth=1
	s_waitcnt lgkmcnt(0)
	v_dual_mov_b32 v18, v8 :: v_dual_mov_b32 v17, v7
	s_mov_b64 s[6:7], 0
	.p2align	6
.LBB211_78:                             ;   Parent Loop BB211_62 Depth=1
                                        ; =>  This Inner Loop Header: Depth=2
	flat_load_b32 v23, v[17:18]
	s_cmp_eq_u32 s6, 1
	s_cselect_b32 vcc_lo, -1, 0
	s_cmp_eq_u32 s6, 2
	v_cndmask_b32_e32 v24, v1, v2, vcc_lo
	s_cselect_b32 vcc_lo, -1, 0
	s_cmp_eq_u32 s6, 3
	s_delay_alu instid0(VALU_DEP_1)
	v_cndmask_b32_e32 v24, v24, v3, vcc_lo
	s_cselect_b32 vcc_lo, -1, 0
	s_add_u32 s6, s6, 1
	s_addc_u32 s7, s7, 0
	s_cmp_lg_u32 s13, s6
	v_cndmask_b32_e32 v24, v24, v4, vcc_lo
	v_add_co_u32 v17, vcc_lo, v17, 4
	v_add_co_ci_u32_e32 v18, vcc_lo, 0, v18, vcc_lo
	s_waitcnt vmcnt(0) lgkmcnt(0)
	s_delay_alu instid0(VALU_DEP_3)
	v_fmac_f32_e32 v22, v24, v23
	s_cbranch_scc1 .LBB211_78
.LBB211_79:                             ;   in Loop: Header=BB211_62 Depth=1
	s_or_b32 exec_lo, exec_lo, s26
	s_delay_alu instid0(SALU_CYCLE_1)
	s_or_b32 exec_lo, exec_lo, s25
	s_and_saveexec_b32 s6, s2
	s_cbranch_execnz .LBB211_65
	s_branch .LBB211_66
.LBB211_80:                             ;   in Loop: Header=BB211_62 Depth=1
	ds_load_b32 v17, v19
	s_or_b32 exec_lo, exec_lo, s6
	s_and_saveexec_b32 s6, s2
	s_cbranch_execz .LBB211_70
.LBB211_81:                             ;   in Loop: Header=BB211_62 Depth=1
	s_waitcnt lgkmcnt(0)
	ds_bpermute_b32 v18, v28, v17
	s_waitcnt lgkmcnt(0)
	v_add_f32_e32 v17, v17, v18
	ds_bpermute_b32 v18, v27, v17
	s_waitcnt lgkmcnt(0)
	v_add_f32_e32 v17, v17, v18
	;; [unrolled: 3-line block ×3, first 2 shown]
	s_or_b32 exec_lo, exec_lo, s6
	s_and_saveexec_b32 s6, s5
	s_cbranch_execz .LBB211_61
.LBB211_82:                             ;   in Loop: Header=BB211_62 Depth=1
	s_mul_hi_u32 s23, s15, s12
	s_mul_i32 s22, s15, s12
	s_waitcnt lgkmcnt(0)
	v_mul_f32_e32 v17, s33, v17
	s_lshl_b64 s[22:23], s[22:23], 2
	s_delay_alu instid0(SALU_CYCLE_1)
	s_add_u32 s22, s14, s22
	s_addc_u32 s23, s24, s23
	global_store_b32 v0, v17, s[22:23]
	s_branch .LBB211_61
.LBB211_83:
	s_nop 0
	s_sendmsg sendmsg(MSG_DEALLOC_VGPRS)
	s_endpgm
	.section	.rodata,"a",@progbits
	.p2align	6, 0x0
	.amdhsa_kernel _ZL23rocblas_gemvt_sn_kernelILb0ELi256ELi4ElPKfS1_fEviiT4_lPKT3_lilS5_lilPT5_i
		.amdhsa_group_segment_fixed_size 128
		.amdhsa_private_segment_fixed_size 0
		.amdhsa_kernarg_size 360
		.amdhsa_user_sgpr_count 14
		.amdhsa_user_sgpr_dispatch_ptr 0
		.amdhsa_user_sgpr_queue_ptr 0
		.amdhsa_user_sgpr_kernarg_segment_ptr 1
		.amdhsa_user_sgpr_dispatch_id 0
		.amdhsa_user_sgpr_private_segment_size 0
		.amdhsa_wavefront_size32 1
		.amdhsa_uses_dynamic_stack 0
		.amdhsa_enable_private_segment 0
		.amdhsa_system_sgpr_workgroup_id_x 1
		.amdhsa_system_sgpr_workgroup_id_y 0
		.amdhsa_system_sgpr_workgroup_id_z 1
		.amdhsa_system_sgpr_workgroup_info 0
		.amdhsa_system_vgpr_workitem_id 0
		.amdhsa_next_free_vgpr 57
		.amdhsa_next_free_sgpr 46
		.amdhsa_reserve_vcc 1
		.amdhsa_float_round_mode_32 0
		.amdhsa_float_round_mode_16_64 0
		.amdhsa_float_denorm_mode_32 3
		.amdhsa_float_denorm_mode_16_64 3
		.amdhsa_dx10_clamp 1
		.amdhsa_ieee_mode 1
		.amdhsa_fp16_overflow 0
		.amdhsa_workgroup_processor_mode 1
		.amdhsa_memory_ordered 1
		.amdhsa_forward_progress 0
		.amdhsa_shared_vgpr_count 0
		.amdhsa_exception_fp_ieee_invalid_op 0
		.amdhsa_exception_fp_denorm_src 0
		.amdhsa_exception_fp_ieee_div_zero 0
		.amdhsa_exception_fp_ieee_overflow 0
		.amdhsa_exception_fp_ieee_underflow 0
		.amdhsa_exception_fp_ieee_inexact 0
		.amdhsa_exception_int_div_zero 0
	.end_amdhsa_kernel
	.section	.text._ZL23rocblas_gemvt_sn_kernelILb0ELi256ELi4ElPKfS1_fEviiT4_lPKT3_lilS5_lilPT5_i,"axG",@progbits,_ZL23rocblas_gemvt_sn_kernelILb0ELi256ELi4ElPKfS1_fEviiT4_lPKT3_lilS5_lilPT5_i,comdat
.Lfunc_end211:
	.size	_ZL23rocblas_gemvt_sn_kernelILb0ELi256ELi4ElPKfS1_fEviiT4_lPKT3_lilS5_lilPT5_i, .Lfunc_end211-_ZL23rocblas_gemvt_sn_kernelILb0ELi256ELi4ElPKfS1_fEviiT4_lPKT3_lilS5_lilPT5_i
                                        ; -- End function
	.section	.AMDGPU.csdata,"",@progbits
; Kernel info:
; codeLenInByte = 4168
; NumSgprs: 48
; NumVgprs: 57
; ScratchSize: 0
; MemoryBound: 0
; FloatMode: 240
; IeeeMode: 1
; LDSByteSize: 128 bytes/workgroup (compile time only)
; SGPRBlocks: 5
; VGPRBlocks: 7
; NumSGPRsForWavesPerEU: 48
; NumVGPRsForWavesPerEU: 57
; Occupancy: 16
; WaveLimiterHint : 0
; COMPUTE_PGM_RSRC2:SCRATCH_EN: 0
; COMPUTE_PGM_RSRC2:USER_SGPR: 14
; COMPUTE_PGM_RSRC2:TRAP_HANDLER: 0
; COMPUTE_PGM_RSRC2:TGID_X_EN: 1
; COMPUTE_PGM_RSRC2:TGID_Y_EN: 0
; COMPUTE_PGM_RSRC2:TGID_Z_EN: 1
; COMPUTE_PGM_RSRC2:TIDIG_COMP_CNT: 0
	.section	.text._ZL23rocblas_gemvt_sn_kernelILb0ELi256ELi4EiPKfffEviiT4_lPKT3_lilS5_lilPT5_i,"axG",@progbits,_ZL23rocblas_gemvt_sn_kernelILb0ELi256ELi4EiPKfffEviiT4_lPKT3_lilS5_lilPT5_i,comdat
	.globl	_ZL23rocblas_gemvt_sn_kernelILb0ELi256ELi4EiPKfffEviiT4_lPKT3_lilS5_lilPT5_i ; -- Begin function _ZL23rocblas_gemvt_sn_kernelILb0ELi256ELi4EiPKfffEviiT4_lPKT3_lilS5_lilPT5_i
	.p2align	8
	.type	_ZL23rocblas_gemvt_sn_kernelILb0ELi256ELi4EiPKfffEviiT4_lPKT3_lilS5_lilPT5_i,@function
_ZL23rocblas_gemvt_sn_kernelILb0ELi256ELi4EiPKfffEviiT4_lPKT3_lilS5_lilPT5_i: ; @_ZL23rocblas_gemvt_sn_kernelILb0ELi256ELi4EiPKfffEviiT4_lPKT3_lilS5_lilPT5_i
; %bb.0:
	s_load_b128 s[16:19], s[0:1], 0x0
	s_mov_b32 s4, s15
	s_mov_b32 s5, 0
	s_waitcnt lgkmcnt(0)
	v_cmp_neq_f32_e64 s7, s18, 0
	v_cmp_eq_f32_e64 s6, s18, 0
	s_delay_alu instid0(VALU_DEP_2)
	s_and_b32 vcc_lo, exec_lo, s7
	s_cbranch_vccnz .LBB212_2
; %bb.1:
	s_mov_b64 s[2:3], 0
	s_and_not1_b32 vcc_lo, exec_lo, s5
	s_cbranch_vccz .LBB212_3
	s_branch .LBB212_4
.LBB212_2:
	s_mov_b32 s5, -1
                                        ; implicit-def: $sgpr2_sgpr3
.LBB212_3:
	s_load_b128 s[8:11], s[0:1], 0x18
	s_mov_b32 s5, 0
	s_delay_alu instid0(SALU_CYCLE_1)
	s_lshl_b64 s[2:3], s[4:5], 3
	s_waitcnt lgkmcnt(0)
	s_add_u32 s2, s8, s2
	s_addc_u32 s3, s9, s3
	s_lshl_b64 s[8:9], s[10:11], 2
	s_load_b64 s[2:3], s[2:3], 0x0
	s_waitcnt lgkmcnt(0)
	s_add_u32 s2, s2, s8
	s_addc_u32 s3, s3, s9
.LBB212_4:
	s_and_not1_b32 vcc_lo, exec_lo, s7
	s_cbranch_vccnz .LBB212_6
; %bb.5:
	s_load_b128 s[8:11], s[0:1], 0x38
	s_lshl_b64 s[12:13], s[4:5], 3
	s_waitcnt lgkmcnt(0)
	s_add_u32 s8, s8, s12
	s_addc_u32 s9, s9, s13
	s_lshl_b64 s[10:11], s[10:11], 2
	s_load_b64 s[8:9], s[8:9], 0x0
	s_waitcnt lgkmcnt(0)
	s_add_u32 s10, s8, s10
	s_addc_u32 s11, s9, s11
	s_branch .LBB212_7
.LBB212_6:
	s_mov_b64 s[10:11], 0
.LBB212_7:
	s_clause 0x1
	s_load_b32 s12, s[0:1], 0x68
	s_load_b64 s[20:21], s[0:1], 0x58
	s_ashr_i32 s8, s17, 31
	s_mul_hi_u32 s7, s4, s17
	s_mul_i32 s9, s4, s8
	s_mul_i32 s5, s5, s17
	s_add_i32 s7, s7, s9
	s_mul_i32 s4, s4, s17
	s_add_i32 s5, s7, s5
	s_mov_b32 s13, 0
	s_waitcnt lgkmcnt(0)
	s_mul_i32 s5, s5, s12
	s_mul_hi_u32 s7, s4, s12
	s_mul_i32 s4, s4, s12
	s_add_i32 s5, s7, s5
	s_delay_alu instid0(SALU_CYCLE_1) | instskip(NEXT) | instid1(SALU_CYCLE_1)
	s_lshl_b64 s[4:5], s[4:5], 2
	s_add_u32 s30, s20, s4
	s_addc_u32 s31, s21, s5
	s_and_not1_b32 vcc_lo, exec_lo, s6
	s_mov_b32 s4, -1
	s_cbranch_vccnz .LBB212_12
; %bb.8:
	v_cmp_eq_u32_e32 vcc_lo, 0, v0
	s_cmp_gt_i32 s17, 0
	s_cselect_b32 s4, -1, 0
	s_delay_alu instid0(SALU_CYCLE_1) | instskip(NEXT) | instid1(SALU_CYCLE_1)
	s_and_b32 s4, vcc_lo, s4
	s_and_saveexec_b32 s9, s4
	s_cbranch_execz .LBB212_11
; %bb.9:
	s_mov_b32 s15, 0
	v_mov_b32_e32 v1, 0
	s_lshl_b64 s[4:5], s[14:15], 2
	s_delay_alu instid0(SALU_CYCLE_1)
	s_add_u32 s4, s30, s4
	s_addc_u32 s5, s31, s5
	s_lshl_b64 s[6:7], s[12:13], 2
	s_mov_b32 s13, s17
.LBB212_10:                             ; =>This Inner Loop Header: Depth=1
	s_delay_alu instid0(SALU_CYCLE_1)
	s_add_i32 s13, s13, -1
	global_store_b32 v1, v1, s[4:5]
	s_add_u32 s4, s4, s6
	s_addc_u32 s5, s5, s7
	s_cmp_eq_u32 s13, 0
	s_cbranch_scc0 .LBB212_10
.LBB212_11:
	s_or_b32 exec_lo, exec_lo, s9
	s_mov_b32 s4, 0
.LBB212_12:
	s_delay_alu instid0(SALU_CYCLE_1)
	s_and_not1_b32 vcc_lo, exec_lo, s4
	s_cbranch_vccnz .LBB212_86
; %bb.13:
	s_clause 0x1
	s_load_b32 s20, s[0:1], 0x28
	s_load_b32 s13, s[0:1], 0x48
	s_lshl_b32 s4, s14, 10
	s_ashr_i32 s0, s16, 31
	v_lshl_or_b32 v1, v0, 2, s4
	s_lshr_b32 s0, s0, 30
	s_lshr_b32 s1, s8, 30
	s_add_i32 s0, s16, s0
	s_add_i32 s1, s17, s1
	v_ashrrev_i32_e32 v2, 31, v1
	s_and_b32 s0, s0, -4
	s_and_b32 s15, s1, -4
	s_sub_i32 s19, s16, s0
	v_add_nc_u32_e32 v22, 4, v1
	v_lshlrev_b64 v[2:3], 2, v[1:2]
	v_add_nc_u32_e32 v23, s19, v1
	v_and_b32_e32 v19, 31, v0
	v_cmp_gt_u32_e64 s0, 32, v0
	v_mbcnt_lo_u32_b32 v21, -1, 0
	v_cmp_gt_u32_e64 s1, 8, v0
	v_add_co_u32 v17, vcc_lo, s2, v2
	s_waitcnt lgkmcnt(0)
	v_mul_lo_u32 v5, v1, s13
	v_add_co_ci_u32_e32 v18, vcc_lo, s3, v3, vcc_lo
	v_lshrrev_b32_e32 v20, 3, v0
	v_cmp_eq_u32_e64 s2, 0, v0
	s_cmp_lt_i32 s15, 1
	s_cbranch_scc1 .LBB212_61
; %bb.14:
	v_cmp_gt_u32_e32 vcc_lo, 16, v21
	v_mul_lo_u32 v6, v1, s13
	s_cmp_gt_i32 s19, 0
	s_mov_b32 s9, 0
	v_cmp_ge_i32_e64 s3, s16, v22
	v_cndmask_b32_e64 v2, 0, 1, vcc_lo
	v_cmp_gt_u32_e32 vcc_lo, 24, v21
	v_cmp_ge_i32_e64 s4, s16, v23
	v_cmp_eq_u32_e64 s5, 0, v19
	v_lshlrev_b32_e32 v29, 2, v19
	v_dual_mov_b32 v31, 0 :: v_dual_lshlrev_b32 v2, 4, v2
	v_cndmask_b32_e64 v3, 0, 1, vcc_lo
	v_cmp_gt_u32_e32 vcc_lo, 28, v21
	v_and_b32_e32 v30, 28, v20
	s_delay_alu instid0(VALU_DEP_4)
	v_add_lshl_u32 v24, v2, v21, 2
	s_cselect_b32 s33, -1, 0
	v_lshlrev_b32_e32 v2, 3, v3
	v_cndmask_b32_e64 v4, 0, 1, vcc_lo
	v_cmp_gt_u32_e32 vcc_lo, 30, v21
	s_mov_b32 s21, s9
	s_lshl_b32 s8, s20, 1
	v_add_lshl_u32 v25, v2, v21, 2
	v_lshlrev_b32_e32 v1, 2, v4
	v_cndmask_b32_e64 v7, 0, 1, vcc_lo
	v_cmp_ne_u32_e32 vcc_lo, 31, v21
	s_lshl_b32 s34, s20, 2
	s_mul_i32 s35, s20, 3
	v_add_lshl_u32 v26, v1, v21, 2
	v_lshlrev_b32_e32 v3, 1, v7
	v_add_nc_u32_e32 v1, s13, v6
	v_ashrrev_i32_e32 v7, 31, v6
	v_add_co_ci_u32_e32 v4, vcc_lo, 0, v21, vcc_lo
	s_delay_alu instid0(VALU_DEP_4) | instskip(NEXT) | instid1(VALU_DEP_4)
	v_add_lshl_u32 v27, v3, v21, 2
	v_add_nc_u32_e32 v3, s13, v1
	v_ashrrev_i32_e32 v2, 31, v1
	v_lshlrev_b64 v[7:8], 2, v[6:7]
	v_lshlrev_b32_e32 v28, 2, v4
	s_mov_b32 s36, s9
	v_add_nc_u32_e32 v11, s13, v3
	v_lshlrev_b64 v[1:2], 2, v[1:2]
	v_ashrrev_i32_e32 v4, 31, v3
	v_add_co_u32 v7, vcc_lo, s10, v7
	s_delay_alu instid0(VALU_DEP_4) | instskip(SKIP_1) | instid1(VALU_DEP_4)
	v_ashrrev_i32_e32 v12, 31, v11
	v_add_co_ci_u32_e32 v8, vcc_lo, s11, v8, vcc_lo
	v_lshlrev_b64 v[3:4], 2, v[3:4]
	v_add_co_u32 v9, vcc_lo, s10, v1
	v_add_co_ci_u32_e32 v10, vcc_lo, s11, v2, vcc_lo
	v_lshlrev_b64 v[1:2], 2, v[11:12]
	s_delay_alu instid0(VALU_DEP_4) | instskip(SKIP_2) | instid1(VALU_DEP_3)
	v_add_co_u32 v11, vcc_lo, s10, v3
	v_add_co_ci_u32_e32 v12, vcc_lo, s11, v4, vcc_lo
	s_mov_b32 s22, s9
	v_add_co_u32 v13, vcc_lo, s10, v1
	s_delay_alu instid0(VALU_DEP_4)
	v_add_co_ci_u32_e32 v14, vcc_lo, s11, v2, vcc_lo
	s_mov_b64 s[24:25], s[8:9]
	s_mov_b64 s[26:27], s[20:21]
	s_mov_b32 s21, 0
                                        ; implicit-def: $vgpr1_vgpr2_vgpr3_vgpr4
	s_branch .LBB212_16
.LBB212_15:                             ;   in Loop: Header=BB212_16 Depth=1
	s_or_b32 exec_lo, exec_lo, s6
	s_add_i32 s21, s21, 4
	s_add_u32 s26, s26, s34
	s_addc_u32 s27, s27, 0
	s_add_u32 s24, s24, s34
	s_addc_u32 s25, s25, 0
	;; [unrolled: 2-line block ×3, first 2 shown]
	s_add_i32 s22, s22, s34
	s_cmp_ge_i32 s21, s15
	s_cbranch_scc1 .LBB212_62
.LBB212_16:                             ; =>This Loop Header: Depth=1
                                        ;     Child Loop BB212_47 Depth 2
                                        ;     Child Loop BB212_50 Depth 2
                                        ; implicit-def: $vgpr32
                                        ; implicit-def: $vgpr33
                                        ; implicit-def: $vgpr34
                                        ; implicit-def: $vgpr35
	s_and_saveexec_b32 s6, s3
	s_delay_alu instid0(SALU_CYCLE_1)
	s_xor_b32 s6, exec_lo, s6
	s_cbranch_execnz .LBB212_43
; %bb.17:                               ;   in Loop: Header=BB212_16 Depth=1
	s_and_not1_saveexec_b32 s37, s6
	s_cbranch_execnz .LBB212_44
.LBB212_18:                             ;   in Loop: Header=BB212_16 Depth=1
	s_or_b32 exec_lo, exec_lo, s37
	s_and_saveexec_b32 s6, s0
	s_cbranch_execz .LBB212_20
.LBB212_19:                             ;   in Loop: Header=BB212_16 Depth=1
	ds_store_b32 v29, v31
.LBB212_20:                             ;   in Loop: Header=BB212_16 Depth=1
	s_or_b32 exec_lo, exec_lo, s6
	ds_bpermute_b32 v15, v24, v35
	s_waitcnt lgkmcnt(0)
	s_waitcnt_vscnt null, 0x0
	s_barrier
	buffer_gl0_inv
	v_add_f32_e32 v15, v35, v15
	ds_bpermute_b32 v16, v25, v15
	s_waitcnt lgkmcnt(0)
	v_add_f32_e32 v15, v15, v16
	ds_bpermute_b32 v16, v26, v15
	s_waitcnt lgkmcnt(0)
	;; [unrolled: 3-line block ×3, first 2 shown]
	v_add_f32_e32 v15, v15, v16
	ds_bpermute_b32 v16, v28, v15
	s_and_saveexec_b32 s6, s5
	s_cbranch_execz .LBB212_22
; %bb.21:                               ;   in Loop: Header=BB212_16 Depth=1
	s_waitcnt lgkmcnt(0)
	v_add_f32_e32 v15, v15, v16
	ds_store_b32 v30, v15
.LBB212_22:                             ;   in Loop: Header=BB212_16 Depth=1
	s_or_b32 exec_lo, exec_lo, s6
	v_mov_b32_e32 v15, 0
	s_waitcnt lgkmcnt(0)
	s_barrier
	buffer_gl0_inv
	s_and_saveexec_b32 s6, s1
	s_cbranch_execnz .LBB212_52
; %bb.23:                               ;   in Loop: Header=BB212_16 Depth=1
	s_or_b32 exec_lo, exec_lo, s6
	s_and_saveexec_b32 s6, s0
	s_cbranch_execnz .LBB212_53
.LBB212_24:                             ;   in Loop: Header=BB212_16 Depth=1
	s_or_b32 exec_lo, exec_lo, s6
	s_and_saveexec_b32 s6, s0
	s_cbranch_execz .LBB212_26
.LBB212_25:                             ;   in Loop: Header=BB212_16 Depth=1
	ds_store_b32 v29, v31
.LBB212_26:                             ;   in Loop: Header=BB212_16 Depth=1
	s_or_b32 exec_lo, exec_lo, s6
	ds_bpermute_b32 v16, v24, v34
	s_waitcnt lgkmcnt(0)
	s_barrier
	buffer_gl0_inv
	v_add_f32_e32 v16, v34, v16
	ds_bpermute_b32 v34, v25, v16
	s_waitcnt lgkmcnt(0)
	v_add_f32_e32 v16, v16, v34
	ds_bpermute_b32 v34, v26, v16
	s_waitcnt lgkmcnt(0)
	;; [unrolled: 3-line block ×3, first 2 shown]
	v_add_f32_e32 v16, v16, v34
	ds_bpermute_b32 v34, v28, v16
	s_and_saveexec_b32 s6, s5
	s_cbranch_execz .LBB212_28
; %bb.27:                               ;   in Loop: Header=BB212_16 Depth=1
	s_waitcnt lgkmcnt(0)
	v_add_f32_e32 v16, v16, v34
	ds_store_b32 v30, v16
.LBB212_28:                             ;   in Loop: Header=BB212_16 Depth=1
	s_or_b32 exec_lo, exec_lo, s6
	v_mov_b32_e32 v16, 0
	s_waitcnt lgkmcnt(0)
	s_barrier
	buffer_gl0_inv
	s_and_saveexec_b32 s6, s1
	s_cbranch_execnz .LBB212_54
; %bb.29:                               ;   in Loop: Header=BB212_16 Depth=1
	s_or_b32 exec_lo, exec_lo, s6
	s_and_saveexec_b32 s6, s0
	s_cbranch_execnz .LBB212_55
.LBB212_30:                             ;   in Loop: Header=BB212_16 Depth=1
	s_or_b32 exec_lo, exec_lo, s6
	s_and_saveexec_b32 s6, s0
	s_cbranch_execz .LBB212_32
.LBB212_31:                             ;   in Loop: Header=BB212_16 Depth=1
	ds_store_b32 v29, v31
.LBB212_32:                             ;   in Loop: Header=BB212_16 Depth=1
	s_or_b32 exec_lo, exec_lo, s6
	ds_bpermute_b32 v34, v24, v33
	s_waitcnt lgkmcnt(0)
	s_barrier
	buffer_gl0_inv
	v_add_f32_e32 v33, v33, v34
	ds_bpermute_b32 v34, v25, v33
	s_waitcnt lgkmcnt(0)
	v_add_f32_e32 v33, v33, v34
	ds_bpermute_b32 v34, v26, v33
	s_waitcnt lgkmcnt(0)
	;; [unrolled: 3-line block ×3, first 2 shown]
	v_add_f32_e32 v33, v33, v34
	ds_bpermute_b32 v34, v28, v33
	s_and_saveexec_b32 s6, s5
	s_cbranch_execz .LBB212_34
; %bb.33:                               ;   in Loop: Header=BB212_16 Depth=1
	s_waitcnt lgkmcnt(0)
	v_add_f32_e32 v33, v33, v34
	ds_store_b32 v30, v33
.LBB212_34:                             ;   in Loop: Header=BB212_16 Depth=1
	s_or_b32 exec_lo, exec_lo, s6
	v_mov_b32_e32 v33, 0
	s_waitcnt lgkmcnt(0)
	s_barrier
	buffer_gl0_inv
	s_and_saveexec_b32 s6, s1
	s_cbranch_execnz .LBB212_56
; %bb.35:                               ;   in Loop: Header=BB212_16 Depth=1
	s_or_b32 exec_lo, exec_lo, s6
	s_and_saveexec_b32 s6, s0
	s_cbranch_execnz .LBB212_57
.LBB212_36:                             ;   in Loop: Header=BB212_16 Depth=1
	s_or_b32 exec_lo, exec_lo, s6
	s_and_saveexec_b32 s6, s0
	s_cbranch_execz .LBB212_38
.LBB212_37:                             ;   in Loop: Header=BB212_16 Depth=1
	ds_store_b32 v29, v31
.LBB212_38:                             ;   in Loop: Header=BB212_16 Depth=1
	s_or_b32 exec_lo, exec_lo, s6
	ds_bpermute_b32 v34, v24, v32
	s_waitcnt lgkmcnt(0)
	s_barrier
	buffer_gl0_inv
	v_add_f32_e32 v32, v32, v34
	ds_bpermute_b32 v34, v25, v32
	s_waitcnt lgkmcnt(0)
	v_add_f32_e32 v32, v32, v34
	ds_bpermute_b32 v34, v26, v32
	s_waitcnt lgkmcnt(0)
	;; [unrolled: 3-line block ×3, first 2 shown]
	v_add_f32_e32 v32, v32, v34
	ds_bpermute_b32 v34, v28, v32
	s_and_saveexec_b32 s6, s5
	s_cbranch_execz .LBB212_40
; %bb.39:                               ;   in Loop: Header=BB212_16 Depth=1
	s_waitcnt lgkmcnt(0)
	v_add_f32_e32 v32, v32, v34
	ds_store_b32 v30, v32
.LBB212_40:                             ;   in Loop: Header=BB212_16 Depth=1
	s_or_b32 exec_lo, exec_lo, s6
	v_mov_b32_e32 v32, 0
	s_waitcnt lgkmcnt(0)
	s_barrier
	buffer_gl0_inv
	s_and_saveexec_b32 s6, s1
	s_cbranch_execnz .LBB212_58
; %bb.41:                               ;   in Loop: Header=BB212_16 Depth=1
	s_or_b32 exec_lo, exec_lo, s6
	s_and_saveexec_b32 s6, s0
	s_cbranch_execnz .LBB212_59
.LBB212_42:                             ;   in Loop: Header=BB212_16 Depth=1
	s_or_b32 exec_lo, exec_lo, s6
	s_and_saveexec_b32 s6, s2
	s_cbranch_execz .LBB212_15
	s_branch .LBB212_60
.LBB212_43:                             ;   in Loop: Header=BB212_16 Depth=1
	s_mul_i32 s28, s21, s20
	s_delay_alu instid0(SALU_CYCLE_1)
	s_ashr_i32 s29, s28, 31
	s_add_i32 s38, s28, s20
	s_lshl_b64 s[28:29], s[28:29], 2
	s_ashr_i32 s39, s38, 31
	v_add_co_u32 v2, vcc_lo, v17, s28
	v_add_co_ci_u32_e32 v3, vcc_lo, s29, v18, vcc_lo
	s_lshl_b64 s[28:29], s[38:39], 2
	s_add_i32 s38, s38, s20
	v_add_co_u32 v15, vcc_lo, v17, s28
	s_ashr_i32 s39, s38, 31
	s_add_i32 s28, s38, s20
	s_lshl_b64 s[38:39], s[38:39], 2
	v_add_co_ci_u32_e32 v16, vcc_lo, s29, v18, vcc_lo
	s_ashr_i32 s29, s28, 31
	s_waitcnt lgkmcnt(0)
	v_add_co_u32 v32, vcc_lo, v17, s38
	s_lshl_b64 s[28:29], s[28:29], 2
	v_add_co_ci_u32_e32 v33, vcc_lo, s39, v18, vcc_lo
	v_add_co_u32 v47, vcc_lo, v17, s28
	v_add_co_ci_u32_e32 v48, vcc_lo, s29, v18, vcc_lo
	flat_load_b32 v1, v[7:8]
	s_clause 0x3
	flat_load_b128 v[35:38], v[2:3]
	flat_load_b128 v[39:42], v[15:16]
	;; [unrolled: 1-line block ×4, first 2 shown]
	s_clause 0x2
	flat_load_b32 v2, v[9:10]
	flat_load_b32 v3, v[11:12]
	;; [unrolled: 1-line block ×3, first 2 shown]
	s_waitcnt vmcnt(6) lgkmcnt(6)
	v_fma_f32 v35, v1, v35, 0
	s_waitcnt vmcnt(5) lgkmcnt(5)
	v_fma_f32 v34, v1, v39, 0
	;; [unrolled: 2-line block ×4, first 2 shown]
	s_waitcnt vmcnt(2) lgkmcnt(2)
	v_fmac_f32_e32 v34, v2, v40
	v_fmac_f32_e32 v35, v2, v36
	s_delay_alu instid0(VALU_DEP_3) | instskip(SKIP_1) | instid1(VALU_DEP_3)
	v_fmac_f32_e32 v32, v2, v48
	s_waitcnt vmcnt(1) lgkmcnt(1)
	v_dual_fmac_f32 v33, v2, v44 :: v_dual_fmac_f32 v34, v3, v41
	s_delay_alu instid0(VALU_DEP_3) | instskip(NEXT) | instid1(VALU_DEP_3)
	v_fmac_f32_e32 v35, v3, v37
	v_fmac_f32_e32 v32, v3, v49
	s_waitcnt vmcnt(0) lgkmcnt(0)
	s_delay_alu instid0(VALU_DEP_3) | instskip(NEXT) | instid1(VALU_DEP_3)
	v_dual_fmac_f32 v33, v3, v45 :: v_dual_fmac_f32 v34, v4, v42
	v_fmac_f32_e32 v35, v4, v38
	s_delay_alu instid0(VALU_DEP_3) | instskip(NEXT) | instid1(VALU_DEP_3)
	v_fmac_f32_e32 v32, v4, v50
	v_fmac_f32_e32 v33, v4, v46
	s_and_not1_saveexec_b32 s37, s6
	s_cbranch_execz .LBB212_18
.LBB212_44:                             ;   in Loop: Header=BB212_16 Depth=1
	s_waitcnt lgkmcnt(0)
	v_dual_mov_b32 v32, 0 :: v_dual_mov_b32 v33, 0
	v_dual_mov_b32 v34, 0 :: v_dual_mov_b32 v35, 0
	s_and_saveexec_b32 s38, s4
	s_cbranch_execz .LBB212_51
; %bb.45:                               ;   in Loop: Header=BB212_16 Depth=1
	s_and_not1_b32 vcc_lo, exec_lo, s33
	s_cbranch_vccnz .LBB212_48
; %bb.46:                               ;   in Loop: Header=BB212_16 Depth=1
	v_mov_b32_e32 v15, v6
	s_mov_b64 s[28:29], 0
	.p2align	6
.LBB212_47:                             ;   Parent Loop BB212_16 Depth=1
                                        ; =>  This Inner Loop Header: Depth=2
	s_delay_alu instid0(VALU_DEP_1) | instskip(SKIP_1) | instid1(VALU_DEP_1)
	v_ashrrev_i32_e32 v16, 31, v15
	s_cmp_eq_u32 s28, 3
	v_lshlrev_b64 v[32:33], 2, v[15:16]
	s_delay_alu instid0(VALU_DEP_1) | instskip(NEXT) | instid1(VALU_DEP_2)
	v_add_co_u32 v32, vcc_lo, s10, v32
	v_add_co_ci_u32_e32 v33, vcc_lo, s11, v33, vcc_lo
	s_cselect_b32 vcc_lo, -1, 0
	s_cmp_eq_u32 s28, 2
	s_cselect_b32 s6, -1, 0
	flat_load_b32 v16, v[32:33]
	s_cmp_eq_u32 s28, 1
	v_add_nc_u32_e32 v15, s13, v15
	s_cselect_b32 s7, -1, 0
	s_cmp_eq_u32 s28, 0
	s_cselect_b32 s8, -1, 0
	s_add_u32 s28, s28, 1
	s_addc_u32 s29, s29, 0
	s_cmp_eq_u32 s19, s28
	s_waitcnt vmcnt(0) lgkmcnt(0)
	v_cndmask_b32_e32 v4, v4, v16, vcc_lo
	v_cndmask_b32_e64 v3, v3, v16, s6
	v_cndmask_b32_e64 v2, v2, v16, s7
	;; [unrolled: 1-line block ×3, first 2 shown]
	s_cbranch_scc0 .LBB212_47
.LBB212_48:                             ;   in Loop: Header=BB212_16 Depth=1
	v_dual_mov_b32 v32, 0 :: v_dual_mov_b32 v33, 0
	v_dual_mov_b32 v34, 0 :: v_dual_mov_b32 v35, 0
	s_and_not1_b32 vcc_lo, exec_lo, s33
	s_cbranch_vccnz .LBB212_51
; %bb.49:                               ;   in Loop: Header=BB212_16 Depth=1
	s_ashr_i32 s23, s22, 31
	v_dual_mov_b32 v35, 0 :: v_dual_mov_b32 v34, 0
	s_lshl_b64 s[6:7], s[22:23], 2
	v_dual_mov_b32 v33, 0 :: v_dual_mov_b32 v32, 0
	v_add_co_u32 v15, vcc_lo, v17, s6
	v_add_co_ci_u32_e32 v16, vcc_lo, s7, v18, vcc_lo
	s_mov_b64 s[28:29], 0
.LBB212_50:                             ;   Parent Loop BB212_16 Depth=1
                                        ; =>  This Inner Loop Header: Depth=2
	s_delay_alu instid0(SALU_CYCLE_1)
	s_cmp_eq_u32 s28, 1
	s_cselect_b32 vcc_lo, -1, 0
	s_cmp_eq_u32 s28, 2
	v_cndmask_b32_e32 v36, v1, v2, vcc_lo
	s_cselect_b32 vcc_lo, -1, 0
	s_cmp_eq_u32 s28, 3
	s_delay_alu instid0(VALU_DEP_1)
	v_cndmask_b32_e32 v42, v36, v3, vcc_lo
	s_cselect_b32 vcc_lo, -1, 0
	s_add_i32 s6, s26, s28
	s_add_i32 s40, s24, s28
	s_ashr_i32 s7, s6, 31
	s_ashr_i32 s41, s40, 31
	s_lshl_b64 s[6:7], s[6:7], 2
	s_add_i32 s42, s35, s28
	v_add_co_u32 v36, s6, v17, s6
	s_lshl_b64 s[40:41], s[40:41], 2
	s_ashr_i32 s43, s42, 31
	v_add_co_ci_u32_e64 v37, s6, s7, v18, s6
	v_add_co_u32 v38, s6, v17, s40
	s_lshl_b64 s[42:43], s[42:43], 2
	v_add_co_ci_u32_e64 v39, s6, s41, v18, s6
	v_add_co_u32 v40, s6, v17, s42
	s_delay_alu instid0(VALU_DEP_1)
	v_add_co_ci_u32_e64 v41, s6, s43, v18, s6
	flat_load_b32 v43, v[15:16]
	s_clause 0x2
	flat_load_b32 v36, v[36:37]
	flat_load_b32 v37, v[38:39]
	;; [unrolled: 1-line block ×3, first 2 shown]
	v_cndmask_b32_e32 v39, v42, v4, vcc_lo
	v_add_co_u32 v15, s6, v15, 4
	s_delay_alu instid0(VALU_DEP_1)
	v_add_co_ci_u32_e64 v16, s6, 0, v16, s6
	s_add_u32 s28, s28, 1
	s_addc_u32 s29, s29, 0
	s_cmp_lg_u32 s19, s28
	s_waitcnt vmcnt(3) lgkmcnt(3)
	v_fmac_f32_e32 v35, v39, v43
	s_waitcnt vmcnt(2) lgkmcnt(2)
	v_fmac_f32_e32 v34, v39, v36
	;; [unrolled: 2-line block ×4, first 2 shown]
	s_cbranch_scc1 .LBB212_50
.LBB212_51:                             ;   in Loop: Header=BB212_16 Depth=1
	s_or_b32 exec_lo, exec_lo, s38
	s_delay_alu instid0(SALU_CYCLE_1)
	s_or_b32 exec_lo, exec_lo, s37
	s_and_saveexec_b32 s6, s0
	s_cbranch_execnz .LBB212_19
	s_branch .LBB212_20
.LBB212_52:                             ;   in Loop: Header=BB212_16 Depth=1
	ds_load_b32 v15, v29
	s_or_b32 exec_lo, exec_lo, s6
	s_and_saveexec_b32 s6, s0
	s_cbranch_execz .LBB212_24
.LBB212_53:                             ;   in Loop: Header=BB212_16 Depth=1
	s_waitcnt lgkmcnt(0)
	ds_bpermute_b32 v16, v26, v15
	s_waitcnt lgkmcnt(0)
	v_add_f32_e32 v15, v15, v16
	ds_bpermute_b32 v16, v27, v15
	s_waitcnt lgkmcnt(0)
	v_add_f32_e32 v15, v15, v16
	;; [unrolled: 3-line block ×3, first 2 shown]
	s_or_b32 exec_lo, exec_lo, s6
	s_and_saveexec_b32 s6, s0
	s_cbranch_execnz .LBB212_25
	s_branch .LBB212_26
.LBB212_54:                             ;   in Loop: Header=BB212_16 Depth=1
	ds_load_b32 v16, v29
	s_or_b32 exec_lo, exec_lo, s6
	s_and_saveexec_b32 s6, s0
	s_cbranch_execz .LBB212_30
.LBB212_55:                             ;   in Loop: Header=BB212_16 Depth=1
	s_waitcnt lgkmcnt(0)
	ds_bpermute_b32 v34, v26, v16
	s_waitcnt lgkmcnt(0)
	v_add_f32_e32 v16, v16, v34
	ds_bpermute_b32 v34, v27, v16
	s_waitcnt lgkmcnt(0)
	v_add_f32_e32 v16, v16, v34
	;; [unrolled: 3-line block ×3, first 2 shown]
	s_or_b32 exec_lo, exec_lo, s6
	s_and_saveexec_b32 s6, s0
	s_cbranch_execnz .LBB212_31
	s_branch .LBB212_32
.LBB212_56:                             ;   in Loop: Header=BB212_16 Depth=1
	ds_load_b32 v33, v29
	s_or_b32 exec_lo, exec_lo, s6
	s_and_saveexec_b32 s6, s0
	s_cbranch_execz .LBB212_36
.LBB212_57:                             ;   in Loop: Header=BB212_16 Depth=1
	s_waitcnt lgkmcnt(0)
	ds_bpermute_b32 v34, v26, v33
	s_waitcnt lgkmcnt(0)
	v_add_f32_e32 v33, v33, v34
	ds_bpermute_b32 v34, v27, v33
	s_waitcnt lgkmcnt(0)
	v_add_f32_e32 v33, v33, v34
	;; [unrolled: 3-line block ×3, first 2 shown]
	s_or_b32 exec_lo, exec_lo, s6
	s_and_saveexec_b32 s6, s0
	s_cbranch_execnz .LBB212_37
	s_branch .LBB212_38
.LBB212_58:                             ;   in Loop: Header=BB212_16 Depth=1
	ds_load_b32 v32, v29
	s_or_b32 exec_lo, exec_lo, s6
	s_and_saveexec_b32 s6, s0
	s_cbranch_execz .LBB212_42
.LBB212_59:                             ;   in Loop: Header=BB212_16 Depth=1
	s_waitcnt lgkmcnt(0)
	ds_bpermute_b32 v34, v26, v32
	s_waitcnt lgkmcnt(0)
	v_add_f32_e32 v32, v32, v34
	ds_bpermute_b32 v34, v27, v32
	s_waitcnt lgkmcnt(0)
	v_add_f32_e32 v32, v32, v34
	;; [unrolled: 3-line block ×3, first 2 shown]
	s_or_b32 exec_lo, exec_lo, s6
	s_and_saveexec_b32 s6, s2
	s_cbranch_execz .LBB212_15
.LBB212_60:                             ;   in Loop: Header=BB212_16 Depth=1
	s_mul_i32 s7, s21, s12
	v_dual_mul_f32 v15, s18, v15 :: v_dual_mul_f32 v16, s18, v16
	s_add_i32 s8, s7, s14
	v_mul_f32_e32 v33, s18, v33
	s_lshl_b64 s[28:29], s[8:9], 2
	s_delay_alu instid0(SALU_CYCLE_1)
	s_add_u32 s28, s30, s28
	s_addc_u32 s29, s31, s29
	s_add_i32 s8, s8, s12
	global_store_b32 v31, v15, s[28:29]
	s_lshl_b64 s[38:39], s[8:9], 2
	s_waitcnt lgkmcnt(0)
	v_mul_f32_e32 v15, s18, v32
	s_add_u32 s38, s30, s38
	s_addc_u32 s39, s31, s39
	s_add_i32 s8, s8, s12
	global_store_b32 v31, v16, s[38:39]
	s_lshl_b64 s[40:41], s[8:9], 2
	s_delay_alu instid0(SALU_CYCLE_1) | instskip(SKIP_2) | instid1(SALU_CYCLE_1)
	s_add_u32 s28, s30, s40
	s_addc_u32 s29, s31, s41
	s_add_i32 s8, s8, s12
	s_lshl_b64 s[40:41], s[8:9], 2
	s_delay_alu instid0(SALU_CYCLE_1)
	s_add_u32 s38, s30, s40
	s_addc_u32 s39, s31, s41
	s_clause 0x1
	global_store_b32 v31, v33, s[28:29]
	global_store_b32 v31, v15, s[38:39]
	s_branch .LBB212_15
.LBB212_61:
	s_mov_b32 s21, 0
                                        ; implicit-def: $vgpr1_vgpr2_vgpr3_vgpr4
.LBB212_62:
	s_delay_alu instid0(SALU_CYCLE_1)
	s_cmp_ge_i32 s21, s17
	s_cbranch_scc1 .LBB212_86
; %bb.63:
	v_cmp_gt_u32_e32 vcc_lo, 16, v21
	v_cmp_ge_i32_e64 s1, s16, v23
	v_cmp_gt_u32_e64 s2, 32, v0
	v_cmp_gt_u32_e64 s4, 8, v0
	v_cmp_eq_u32_e64 s5, 0, v0
	v_cndmask_b32_e64 v6, 0, 1, vcc_lo
	v_cmp_gt_u32_e32 vcc_lo, 24, v21
	v_cmp_ge_i32_e64 s0, s16, v22
	s_cmp_gt_i32 s19, 0
	s_mov_b32 s15, 0
	v_lshlrev_b32_e32 v6, 4, v6
	v_cndmask_b32_e64 v7, 0, 1, vcc_lo
	v_cmp_gt_u32_e32 vcc_lo, 28, v21
	s_cselect_b32 s9, -1, 0
	v_lshlrev_b32_e32 v16, 2, v19
	s_delay_alu instid0(VALU_DEP_3)
	v_dual_mov_b32 v0, 0 :: v_dual_lshlrev_b32 v7, 3, v7
	v_cndmask_b32_e64 v8, 0, 1, vcc_lo
	v_cmp_gt_u32_e32 vcc_lo, 30, v21
	v_add_lshl_u32 v22, v6, v21, 2
	v_ashrrev_i32_e32 v6, 31, v5
	v_add_lshl_u32 v23, v7, v21, 2
	v_lshlrev_b32_e32 v8, 2, v8
	v_cndmask_b32_e64 v9, 0, 1, vcc_lo
	v_cmp_ne_u32_e32 vcc_lo, 31, v21
	v_add_nc_u32_e32 v7, s13, v5
	v_lshlrev_b64 v[11:12], 2, v[5:6]
	v_add_lshl_u32 v24, v8, v21, 2
	v_lshlrev_b32_e32 v9, 1, v9
	v_add_co_ci_u32_e32 v10, vcc_lo, 0, v21, vcc_lo
	v_ashrrev_i32_e32 v8, 31, v7
	v_add_co_u32 v6, vcc_lo, s10, v11
	s_delay_alu instid0(VALU_DEP_4) | instskip(SKIP_4) | instid1(VALU_DEP_4)
	v_add_lshl_u32 v21, v9, v21, 2
	v_add_nc_u32_e32 v9, s13, v7
	v_lshlrev_b32_e32 v25, 2, v10
	v_lshlrev_b64 v[13:14], 2, v[7:8]
	v_add_co_ci_u32_e32 v7, vcc_lo, s11, v12, vcc_lo
	v_add_nc_u32_e32 v26, s13, v9
	v_ashrrev_i32_e32 v10, 31, v9
	v_cmp_eq_u32_e64 s3, 0, v19
	v_add_co_u32 v8, vcc_lo, s10, v13
	s_delay_alu instid0(VALU_DEP_4) | instskip(NEXT) | instid1(VALU_DEP_4)
	v_ashrrev_i32_e32 v27, 31, v26
	v_lshlrev_b64 v[10:11], 2, v[9:10]
	v_add_co_ci_u32_e32 v9, vcc_lo, s11, v14, vcc_lo
	v_and_b32_e32 v19, 28, v20
	s_delay_alu instid0(VALU_DEP_4) | instskip(SKIP_1) | instid1(VALU_DEP_4)
	v_lshlrev_b64 v[12:13], 2, v[26:27]
	s_lshl_b64 s[6:7], s[14:15], 2
	v_add_co_u32 v10, vcc_lo, s10, v10
	v_add_co_ci_u32_e32 v11, vcc_lo, s11, v11, vcc_lo
	s_delay_alu instid0(VALU_DEP_3) | instskip(NEXT) | instid1(VALU_DEP_4)
	v_add_co_u32 v12, vcc_lo, s10, v12
	v_add_co_ci_u32_e32 v13, vcc_lo, s11, v13, vcc_lo
	s_add_u32 s14, s30, s6
	s_addc_u32 s16, s31, s7
	s_mul_i32 s22, s21, s20
	s_branch .LBB212_65
.LBB212_64:                             ;   in Loop: Header=BB212_65 Depth=1
	s_or_b32 exec_lo, exec_lo, s6
	s_add_i32 s21, s21, 1
	s_add_i32 s22, s22, s20
	s_cmp_ge_i32 s21, s17
	s_cbranch_scc1 .LBB212_86
.LBB212_65:                             ; =>This Loop Header: Depth=1
                                        ;     Child Loop BB212_78 Depth 2
                                        ;     Child Loop BB212_81 Depth 2
	v_mov_b32_e32 v20, s15
	s_and_saveexec_b32 s6, s0
	s_delay_alu instid0(SALU_CYCLE_1)
	s_xor_b32 s6, exec_lo, s6
	s_cbranch_execnz .LBB212_74
; %bb.66:                               ;   in Loop: Header=BB212_65 Depth=1
	s_and_not1_saveexec_b32 s26, s6
	s_cbranch_execnz .LBB212_75
.LBB212_67:                             ;   in Loop: Header=BB212_65 Depth=1
	s_or_b32 exec_lo, exec_lo, s26
	s_and_saveexec_b32 s6, s2
	s_cbranch_execz .LBB212_69
.LBB212_68:                             ;   in Loop: Header=BB212_65 Depth=1
	ds_store_b32 v16, v0
.LBB212_69:                             ;   in Loop: Header=BB212_65 Depth=1
	s_or_b32 exec_lo, exec_lo, s6
	s_waitcnt lgkmcnt(0)
	ds_bpermute_b32 v14, v22, v20
	s_waitcnt lgkmcnt(0)
	s_waitcnt_vscnt null, 0x0
	s_barrier
	buffer_gl0_inv
	v_add_f32_e32 v14, v20, v14
	ds_bpermute_b32 v15, v23, v14
	s_waitcnt lgkmcnt(0)
	v_add_f32_e32 v14, v14, v15
	ds_bpermute_b32 v15, v24, v14
	s_waitcnt lgkmcnt(0)
	;; [unrolled: 3-line block ×3, first 2 shown]
	v_add_f32_e32 v14, v14, v15
	ds_bpermute_b32 v15, v25, v14
	s_and_saveexec_b32 s6, s3
	s_cbranch_execz .LBB212_71
; %bb.70:                               ;   in Loop: Header=BB212_65 Depth=1
	s_waitcnt lgkmcnt(0)
	v_add_f32_e32 v14, v14, v15
	ds_store_b32 v19, v14
.LBB212_71:                             ;   in Loop: Header=BB212_65 Depth=1
	s_or_b32 exec_lo, exec_lo, s6
	v_mov_b32_e32 v14, 0
	s_waitcnt lgkmcnt(0)
	s_barrier
	buffer_gl0_inv
	s_and_saveexec_b32 s6, s4
	s_cbranch_execnz .LBB212_83
; %bb.72:                               ;   in Loop: Header=BB212_65 Depth=1
	s_or_b32 exec_lo, exec_lo, s6
	s_and_saveexec_b32 s6, s2
	s_cbranch_execnz .LBB212_84
.LBB212_73:                             ;   in Loop: Header=BB212_65 Depth=1
	s_or_b32 exec_lo, exec_lo, s6
	s_and_saveexec_b32 s6, s5
	s_cbranch_execz .LBB212_64
	s_branch .LBB212_85
.LBB212_74:                             ;   in Loop: Header=BB212_65 Depth=1
	s_mul_i32 s24, s21, s20
	s_delay_alu instid0(SALU_CYCLE_1) | instskip(NEXT) | instid1(SALU_CYCLE_1)
	s_ashr_i32 s25, s24, 31
	s_lshl_b64 s[24:25], s[24:25], 2
	s_delay_alu instid0(SALU_CYCLE_1)
	v_add_co_u32 v1, vcc_lo, v17, s24
	v_add_co_ci_u32_e32 v2, vcc_lo, s25, v18, vcc_lo
	flat_load_b128 v[26:29], v[1:2]
	s_clause 0x3
	flat_load_b32 v1, v[6:7]
	flat_load_b32 v2, v[8:9]
	;; [unrolled: 1-line block ×4, first 2 shown]
	s_waitcnt vmcnt(3) lgkmcnt(3)
	v_fma_f32 v20, v1, v26, 0
	s_waitcnt vmcnt(2) lgkmcnt(2)
	s_delay_alu instid0(VALU_DEP_1) | instskip(SKIP_1) | instid1(VALU_DEP_1)
	v_fmac_f32_e32 v20, v2, v27
	s_waitcnt vmcnt(1) lgkmcnt(1)
	v_fmac_f32_e32 v20, v3, v28
	s_waitcnt vmcnt(0) lgkmcnt(0)
	s_delay_alu instid0(VALU_DEP_1)
	v_fmac_f32_e32 v20, v4, v29
	s_and_not1_saveexec_b32 s26, s6
	s_cbranch_execz .LBB212_67
.LBB212_75:                             ;   in Loop: Header=BB212_65 Depth=1
	s_and_saveexec_b32 s27, s1
	s_cbranch_execz .LBB212_82
; %bb.76:                               ;   in Loop: Header=BB212_65 Depth=1
	s_and_not1_b32 vcc_lo, exec_lo, s9
	s_cbranch_vccnz .LBB212_79
; %bb.77:                               ;   in Loop: Header=BB212_65 Depth=1
	s_waitcnt lgkmcnt(0)
	v_mov_b32_e32 v14, v5
	s_mov_b64 s[24:25], 0
	.p2align	6
.LBB212_78:                             ;   Parent Loop BB212_65 Depth=1
                                        ; =>  This Inner Loop Header: Depth=2
	s_delay_alu instid0(VALU_DEP_1) | instskip(SKIP_1) | instid1(VALU_DEP_1)
	v_ashrrev_i32_e32 v15, 31, v14
	s_cmp_eq_u32 s24, 3
	v_lshlrev_b64 v[26:27], 2, v[14:15]
	v_add_nc_u32_e32 v14, s13, v14
	s_delay_alu instid0(VALU_DEP_2) | instskip(NEXT) | instid1(VALU_DEP_3)
	v_add_co_u32 v26, vcc_lo, s10, v26
	v_add_co_ci_u32_e32 v27, vcc_lo, s11, v27, vcc_lo
	s_cselect_b32 vcc_lo, -1, 0
	s_cmp_eq_u32 s24, 2
	s_cselect_b32 s6, -1, 0
	flat_load_b32 v15, v[26:27]
	s_cmp_eq_u32 s24, 1
	s_cselect_b32 s7, -1, 0
	s_cmp_eq_u32 s24, 0
	s_cselect_b32 s8, -1, 0
	s_add_u32 s24, s24, 1
	s_addc_u32 s25, s25, 0
	s_cmp_eq_u32 s19, s24
	s_waitcnt vmcnt(0) lgkmcnt(0)
	v_cndmask_b32_e32 v4, v4, v15, vcc_lo
	v_cndmask_b32_e64 v3, v3, v15, s6
	v_cndmask_b32_e64 v2, v2, v15, s7
	;; [unrolled: 1-line block ×3, first 2 shown]
	s_cbranch_scc0 .LBB212_78
.LBB212_79:                             ;   in Loop: Header=BB212_65 Depth=1
	s_and_not1_b32 vcc_lo, exec_lo, s9
	s_cbranch_vccnz .LBB212_82
; %bb.80:                               ;   in Loop: Header=BB212_65 Depth=1
	s_ashr_i32 s23, s22, 31
	s_delay_alu instid0(SALU_CYCLE_1)
	s_lshl_b64 s[6:7], s[22:23], 2
	s_waitcnt lgkmcnt(0)
	v_add_co_u32 v14, vcc_lo, v17, s6
	v_add_co_ci_u32_e32 v15, vcc_lo, s7, v18, vcc_lo
	s_mov_b64 s[6:7], 0
	.p2align	6
.LBB212_81:                             ;   Parent Loop BB212_65 Depth=1
                                        ; =>  This Inner Loop Header: Depth=2
	flat_load_b32 v26, v[14:15]
	s_cmp_eq_u32 s6, 1
	s_cselect_b32 vcc_lo, -1, 0
	s_cmp_eq_u32 s6, 2
	v_cndmask_b32_e32 v27, v1, v2, vcc_lo
	s_cselect_b32 vcc_lo, -1, 0
	s_cmp_eq_u32 s6, 3
	s_delay_alu instid0(VALU_DEP_1)
	v_cndmask_b32_e32 v27, v27, v3, vcc_lo
	s_cselect_b32 vcc_lo, -1, 0
	s_add_u32 s6, s6, 1
	s_addc_u32 s7, s7, 0
	s_cmp_lg_u32 s19, s6
	v_cndmask_b32_e32 v27, v27, v4, vcc_lo
	v_add_co_u32 v14, vcc_lo, v14, 4
	v_add_co_ci_u32_e32 v15, vcc_lo, 0, v15, vcc_lo
	s_waitcnt vmcnt(0) lgkmcnt(0)
	s_delay_alu instid0(VALU_DEP_3)
	v_fmac_f32_e32 v20, v27, v26
	s_cbranch_scc1 .LBB212_81
.LBB212_82:                             ;   in Loop: Header=BB212_65 Depth=1
	s_or_b32 exec_lo, exec_lo, s27
	s_delay_alu instid0(SALU_CYCLE_1)
	s_or_b32 exec_lo, exec_lo, s26
	s_and_saveexec_b32 s6, s2
	s_cbranch_execnz .LBB212_68
	s_branch .LBB212_69
.LBB212_83:                             ;   in Loop: Header=BB212_65 Depth=1
	ds_load_b32 v14, v16
	s_or_b32 exec_lo, exec_lo, s6
	s_and_saveexec_b32 s6, s2
	s_cbranch_execz .LBB212_73
.LBB212_84:                             ;   in Loop: Header=BB212_65 Depth=1
	s_waitcnt lgkmcnt(0)
	ds_bpermute_b32 v15, v24, v14
	s_waitcnt lgkmcnt(0)
	v_add_f32_e32 v14, v14, v15
	ds_bpermute_b32 v15, v21, v14
	s_waitcnt lgkmcnt(0)
	v_add_f32_e32 v14, v14, v15
	;; [unrolled: 3-line block ×3, first 2 shown]
	s_or_b32 exec_lo, exec_lo, s6
	s_and_saveexec_b32 s6, s5
	s_cbranch_execz .LBB212_64
.LBB212_85:                             ;   in Loop: Header=BB212_65 Depth=1
	s_mul_hi_u32 s25, s21, s12
	s_mul_i32 s24, s21, s12
	s_waitcnt lgkmcnt(0)
	v_mul_f32_e32 v14, s18, v14
	s_lshl_b64 s[24:25], s[24:25], 2
	s_delay_alu instid0(SALU_CYCLE_1)
	s_add_u32 s24, s14, s24
	s_addc_u32 s25, s16, s25
	global_store_b32 v0, v14, s[24:25]
	s_branch .LBB212_64
.LBB212_86:
	s_nop 0
	s_sendmsg sendmsg(MSG_DEALLOC_VGPRS)
	s_endpgm
	.section	.rodata,"a",@progbits
	.p2align	6, 0x0
	.amdhsa_kernel _ZL23rocblas_gemvt_sn_kernelILb0ELi256ELi4EiPKfffEviiT4_lPKT3_lilS5_lilPT5_i
		.amdhsa_group_segment_fixed_size 128
		.amdhsa_private_segment_fixed_size 0
		.amdhsa_kernarg_size 360
		.amdhsa_user_sgpr_count 14
		.amdhsa_user_sgpr_dispatch_ptr 0
		.amdhsa_user_sgpr_queue_ptr 0
		.amdhsa_user_sgpr_kernarg_segment_ptr 1
		.amdhsa_user_sgpr_dispatch_id 0
		.amdhsa_user_sgpr_private_segment_size 0
		.amdhsa_wavefront_size32 1
		.amdhsa_uses_dynamic_stack 0
		.amdhsa_enable_private_segment 0
		.amdhsa_system_sgpr_workgroup_id_x 1
		.amdhsa_system_sgpr_workgroup_id_y 0
		.amdhsa_system_sgpr_workgroup_id_z 1
		.amdhsa_system_sgpr_workgroup_info 0
		.amdhsa_system_vgpr_workitem_id 0
		.amdhsa_next_free_vgpr 51
		.amdhsa_next_free_sgpr 44
		.amdhsa_reserve_vcc 1
		.amdhsa_float_round_mode_32 0
		.amdhsa_float_round_mode_16_64 0
		.amdhsa_float_denorm_mode_32 3
		.amdhsa_float_denorm_mode_16_64 3
		.amdhsa_dx10_clamp 1
		.amdhsa_ieee_mode 1
		.amdhsa_fp16_overflow 0
		.amdhsa_workgroup_processor_mode 1
		.amdhsa_memory_ordered 1
		.amdhsa_forward_progress 0
		.amdhsa_shared_vgpr_count 0
		.amdhsa_exception_fp_ieee_invalid_op 0
		.amdhsa_exception_fp_denorm_src 0
		.amdhsa_exception_fp_ieee_div_zero 0
		.amdhsa_exception_fp_ieee_overflow 0
		.amdhsa_exception_fp_ieee_underflow 0
		.amdhsa_exception_fp_ieee_inexact 0
		.amdhsa_exception_int_div_zero 0
	.end_amdhsa_kernel
	.section	.text._ZL23rocblas_gemvt_sn_kernelILb0ELi256ELi4EiPKfffEviiT4_lPKT3_lilS5_lilPT5_i,"axG",@progbits,_ZL23rocblas_gemvt_sn_kernelILb0ELi256ELi4EiPKfffEviiT4_lPKT3_lilS5_lilPT5_i,comdat
.Lfunc_end212:
	.size	_ZL23rocblas_gemvt_sn_kernelILb0ELi256ELi4EiPKfffEviiT4_lPKT3_lilS5_lilPT5_i, .Lfunc_end212-_ZL23rocblas_gemvt_sn_kernelILb0ELi256ELi4EiPKfffEviiT4_lPKT3_lilS5_lilPT5_i
                                        ; -- End function
	.section	.AMDGPU.csdata,"",@progbits
; Kernel info:
; codeLenInByte = 4132
; NumSgprs: 46
; NumVgprs: 51
; ScratchSize: 0
; MemoryBound: 0
; FloatMode: 240
; IeeeMode: 1
; LDSByteSize: 128 bytes/workgroup (compile time only)
; SGPRBlocks: 5
; VGPRBlocks: 6
; NumSGPRsForWavesPerEU: 46
; NumVGPRsForWavesPerEU: 51
; Occupancy: 16
; WaveLimiterHint : 0
; COMPUTE_PGM_RSRC2:SCRATCH_EN: 0
; COMPUTE_PGM_RSRC2:USER_SGPR: 14
; COMPUTE_PGM_RSRC2:TRAP_HANDLER: 0
; COMPUTE_PGM_RSRC2:TGID_X_EN: 1
; COMPUTE_PGM_RSRC2:TGID_Y_EN: 0
; COMPUTE_PGM_RSRC2:TGID_Z_EN: 1
; COMPUTE_PGM_RSRC2:TIDIG_COMP_CNT: 0
	.section	.text._ZL23rocblas_gemvt_sn_kernelILb0ELi256ELi4ElPKfffEviiT4_lPKT3_lilS5_lilPT5_i,"axG",@progbits,_ZL23rocblas_gemvt_sn_kernelILb0ELi256ELi4ElPKfffEviiT4_lPKT3_lilS5_lilPT5_i,comdat
	.globl	_ZL23rocblas_gemvt_sn_kernelILb0ELi256ELi4ElPKfffEviiT4_lPKT3_lilS5_lilPT5_i ; -- Begin function _ZL23rocblas_gemvt_sn_kernelILb0ELi256ELi4ElPKfffEviiT4_lPKT3_lilS5_lilPT5_i
	.p2align	8
	.type	_ZL23rocblas_gemvt_sn_kernelILb0ELi256ELi4ElPKfffEviiT4_lPKT3_lilS5_lilPT5_i,@function
_ZL23rocblas_gemvt_sn_kernelILb0ELi256ELi4ElPKfffEviiT4_lPKT3_lilS5_lilPT5_i: ; @_ZL23rocblas_gemvt_sn_kernelILb0ELi256ELi4ElPKfffEviiT4_lPKT3_lilS5_lilPT5_i
; %bb.0:
	s_load_b128 s[16:19], s[0:1], 0x0
	s_mov_b32 s2, s15
	s_mov_b32 s3, 0
	s_waitcnt lgkmcnt(0)
	v_cmp_neq_f32_e64 s5, s18, 0
	v_cmp_eq_f32_e64 s4, s18, 0
	s_delay_alu instid0(VALU_DEP_2)
	s_and_b32 vcc_lo, exec_lo, s5
	s_cbranch_vccnz .LBB213_2
; %bb.1:
	s_mov_b64 s[20:21], 0
	s_and_not1_b32 vcc_lo, exec_lo, s3
	s_cbranch_vccz .LBB213_3
	s_branch .LBB213_4
.LBB213_2:
	s_mov_b32 s3, -1
                                        ; implicit-def: $sgpr20_sgpr21
.LBB213_3:
	s_load_b128 s[8:11], s[0:1], 0x18
	s_mov_b32 s3, 0
	s_delay_alu instid0(SALU_CYCLE_1)
	s_lshl_b64 s[6:7], s[2:3], 3
	s_waitcnt lgkmcnt(0)
	s_add_u32 s6, s8, s6
	s_addc_u32 s7, s9, s7
	s_lshl_b64 s[8:9], s[10:11], 2
	s_load_b64 s[6:7], s[6:7], 0x0
	s_waitcnt lgkmcnt(0)
	s_add_u32 s20, s6, s8
	s_addc_u32 s21, s7, s9
.LBB213_4:
	s_and_not1_b32 vcc_lo, exec_lo, s5
	s_cbranch_vccnz .LBB213_6
; %bb.5:
	s_load_b128 s[8:11], s[0:1], 0x38
	s_lshl_b64 s[6:7], s[2:3], 3
	s_waitcnt lgkmcnt(0)
	s_add_u32 s6, s8, s6
	s_addc_u32 s7, s9, s7
	s_lshl_b64 s[8:9], s[10:11], 2
	s_load_b64 s[6:7], s[6:7], 0x0
	s_waitcnt lgkmcnt(0)
	s_add_u32 s22, s6, s8
	s_addc_u32 s23, s7, s9
	s_branch .LBB213_7
.LBB213_6:
	s_mov_b64 s[22:23], 0
.LBB213_7:
	s_clause 0x1
	s_load_b32 s10, s[0:1], 0x68
	s_load_b64 s[8:9], s[0:1], 0x58
	s_ashr_i32 s6, s17, 31
	s_mul_hi_u32 s5, s2, s17
	s_mul_i32 s7, s2, s6
	s_mul_i32 s3, s3, s17
	s_add_i32 s5, s5, s7
	s_mul_i32 s2, s2, s17
	s_add_i32 s3, s5, s3
	s_mov_b32 s11, 0
	s_waitcnt lgkmcnt(0)
	s_mul_i32 s3, s3, s10
	s_mul_hi_u32 s5, s2, s10
	s_mul_i32 s2, s2, s10
	s_add_i32 s3, s5, s3
	s_delay_alu instid0(SALU_CYCLE_1) | instskip(NEXT) | instid1(SALU_CYCLE_1)
	s_lshl_b64 s[2:3], s[2:3], 2
	s_add_u32 s19, s8, s2
	s_addc_u32 s33, s9, s3
	s_and_not1_b32 vcc_lo, exec_lo, s4
	s_mov_b32 s2, -1
	s_cbranch_vccnz .LBB213_12
; %bb.8:
	v_cmp_eq_u32_e32 vcc_lo, 0, v0
	s_cmp_gt_i32 s17, 0
	s_cselect_b32 s2, -1, 0
	s_delay_alu instid0(SALU_CYCLE_1) | instskip(NEXT) | instid1(SALU_CYCLE_1)
	s_and_b32 s2, vcc_lo, s2
	s_and_saveexec_b32 s7, s2
	s_cbranch_execz .LBB213_11
; %bb.9:
	s_mov_b32 s15, 0
	v_mov_b32_e32 v1, 0
	s_lshl_b64 s[2:3], s[14:15], 2
	s_mov_b32 s8, s17
	s_add_u32 s2, s19, s2
	s_addc_u32 s3, s33, s3
	s_lshl_b64 s[4:5], s[10:11], 2
.LBB213_10:                             ; =>This Inner Loop Header: Depth=1
	s_add_i32 s8, s8, -1
	global_store_b32 v1, v1, s[2:3]
	s_add_u32 s2, s2, s4
	s_addc_u32 s3, s3, s5
	s_cmp_eq_u32 s8, 0
	s_cbranch_scc0 .LBB213_10
.LBB213_11:
	s_or_b32 exec_lo, exec_lo, s7
	s_mov_b32 s2, 0
.LBB213_12:
	s_delay_alu instid0(SALU_CYCLE_1)
	s_and_not1_b32 vcc_lo, exec_lo, s2
	s_cbranch_vccnz .LBB213_86
; %bb.13:
	s_lshl_b32 s2, s14, 10
	s_clause 0x1
	s_load_b32 s12, s[0:1], 0x28
	s_load_b32 s24, s[0:1], 0x48
	v_lshl_or_b32 v9, v0, 2, s2
	s_ashr_i32 s2, s16, 31
	s_lshr_b32 s1, s6, 30
	s_lshr_b32 s0, s2, 30
	s_add_i32 s1, s17, s1
	v_ashrrev_i32_e32 v10, 31, v9
	s_add_i32 s0, s16, s0
	s_and_b32 s38, s1, -4
	s_and_b32 s0, s0, -4
	v_add_nc_u32_e32 v28, 4, v9
	v_lshlrev_b64 v[7:8], 2, v[9:10]
	s_sub_i32 s11, s16, s0
	v_and_b32_e32 v25, 31, v0
	v_add_nc_u32_e32 v29, s11, v9
	v_cmp_gt_u32_e64 s0, 32, v0
	v_mbcnt_lo_u32_b32 v27, -1, 0
	v_add_co_u32 v5, vcc_lo, s20, v7
	v_add_co_ci_u32_e32 v6, vcc_lo, s21, v8, vcc_lo
	v_cmp_gt_u32_e64 s1, 8, v0
	v_lshrrev_b32_e32 v26, 3, v0
	v_cmp_eq_u32_e64 s2, 0, v0
	v_or_b32_e32 v24, 1, v9
	v_or_b32_e32 v23, 2, v9
	v_or_b32_e32 v22, 3, v9
	s_waitcnt lgkmcnt(0)
	s_ashr_i32 s13, s12, 31
	s_ashr_i32 s25, s24, 31
	s_cmp_lt_i32 s38, 1
	s_cbranch_scc1 .LBB213_61
; %bb.14:
	v_cmp_gt_u32_e32 vcc_lo, 16, v27
	v_mad_i64_i32 v[12:13], null, s24, v23, 0
	v_mad_i64_i32 v[14:15], null, s24, v22, 0
	v_cndmask_b32_e64 v1, 0, 1, vcc_lo
	v_cmp_gt_u32_e32 vcc_lo, 24, v27
	s_mov_b32 s15, 0
	s_cmp_gt_i32 s11, 0
	v_cmp_ge_i32_e64 s3, s16, v28
	v_lshlrev_b32_e32 v1, 4, v1
	v_cndmask_b32_e64 v2, 0, 1, vcc_lo
	v_cmp_gt_u32_e32 vcc_lo, 28, v27
	v_cmp_ge_i32_e64 s4, s16, v29
	s_cselect_b32 s39, -1, 0
	s_delay_alu instid0(VALU_DEP_3)
	v_dual_mov_b32 v37, 0 :: v_dual_lshlrev_b32 v2, 3, v2
	v_cndmask_b32_e64 v3, 0, 1, vcc_lo
	v_cmp_gt_u32_e32 vcc_lo, 30, v27
	v_cmp_eq_u32_e64 s5, 0, v25
	v_lshlrev_b32_e32 v35, 2, v25
	v_add_lshl_u32 v31, v2, v27, 2
	v_lshlrev_b32_e32 v3, 2, v3
	v_cndmask_b32_e64 v4, 0, 1, vcc_lo
	v_cmp_ne_u32_e32 vcc_lo, 31, v27
	v_dual_mov_b32 v19, v6 :: v_dual_mov_b32 v18, v5
	v_add_lshl_u32 v30, v1, v27, 2
	s_delay_alu instid0(VALU_DEP_4) | instskip(SKIP_3) | instid1(VALU_DEP_4)
	v_lshlrev_b32_e32 v4, 1, v4
	v_mad_i64_i32 v[1:2], null, s24, v9, 0
	v_add_lshl_u32 v32, v3, v27, 2
	v_add_co_ci_u32_e32 v10, vcc_lo, 0, v27, vcc_lo
	v_add_lshl_u32 v33, v4, v27, 2
	v_mad_i64_i32 v[3:4], null, s24, v24, 0
	v_lshlrev_b64 v[1:2], 2, v[1:2]
	s_delay_alu instid0(VALU_DEP_4) | instskip(SKIP_4) | instid1(VALU_DEP_4)
	v_lshlrev_b32_e32 v34, 2, v10
	s_lshl_b64 s[6:7], s[14:15], 2
	v_and_b32_e32 v36, 28, v26
	s_add_u32 s40, s19, s6
	s_addc_u32 s41, s33, s7
	v_lshlrev_b64 v[3:4], 2, v[3:4]
	v_add_co_u32 v10, vcc_lo, s22, v1
	v_add_co_ci_u32_e32 v11, vcc_lo, s23, v2, vcc_lo
	v_lshlrev_b64 v[1:2], 2, v[12:13]
	s_delay_alu instid0(VALU_DEP_4) | instskip(SKIP_2) | instid1(VALU_DEP_4)
	v_add_co_u32 v12, vcc_lo, s22, v3
	v_add_co_ci_u32_e32 v13, vcc_lo, s23, v4, vcc_lo
	v_lshlrev_b64 v[3:4], 2, v[14:15]
	v_add_co_u32 v14, vcc_lo, s22, v1
	v_add_co_ci_u32_e32 v15, vcc_lo, s23, v2, vcc_lo
	s_lshl_b64 s[26:27], s[24:25], 2
	s_delay_alu instid0(VALU_DEP_3) | instskip(NEXT) | instid1(VALU_DEP_4)
	v_add_co_u32 v16, vcc_lo, s22, v3
	v_add_co_ci_u32_e32 v17, vcc_lo, s23, v4, vcc_lo
	s_mul_hi_i32 s42, s12, 12
	s_mul_i32 s43, s12, 12
	s_lshl_b64 s[28:29], s[12:13], 4
	s_lshl_b64 s[30:31], s[12:13], 3
	;; [unrolled: 1-line block ×3, first 2 shown]
                                        ; implicit-def: $vgpr1_vgpr2_vgpr3_vgpr4
	s_branch .LBB213_16
.LBB213_15:                             ;   in Loop: Header=BB213_16 Depth=1
	s_or_b32 exec_lo, exec_lo, s6
	v_add_co_u32 v18, vcc_lo, v18, s28
	v_add_co_ci_u32_e32 v19, vcc_lo, s29, v19, vcc_lo
	s_add_i32 s15, s15, 4
	s_delay_alu instid0(SALU_CYCLE_1)
	s_cmp_ge_i32 s15, s38
	s_cbranch_scc1 .LBB213_62
.LBB213_16:                             ; =>This Loop Header: Depth=1
                                        ;     Child Loop BB213_47 Depth 2
                                        ;     Child Loop BB213_50 Depth 2
                                        ; implicit-def: $vgpr38
                                        ; implicit-def: $vgpr39
                                        ; implicit-def: $vgpr40
                                        ; implicit-def: $vgpr41
	s_and_saveexec_b32 s6, s3
	s_delay_alu instid0(SALU_CYCLE_1)
	s_xor_b32 s6, exec_lo, s6
	s_cbranch_execnz .LBB213_43
; %bb.17:                               ;   in Loop: Header=BB213_16 Depth=1
	s_and_not1_saveexec_b32 s44, s6
	s_cbranch_execnz .LBB213_44
.LBB213_18:                             ;   in Loop: Header=BB213_16 Depth=1
	s_or_b32 exec_lo, exec_lo, s44
	s_and_saveexec_b32 s6, s0
	s_cbranch_execz .LBB213_20
.LBB213_19:                             ;   in Loop: Header=BB213_16 Depth=1
	ds_store_b32 v35, v37
.LBB213_20:                             ;   in Loop: Header=BB213_16 Depth=1
	s_or_b32 exec_lo, exec_lo, s6
	ds_bpermute_b32 v20, v30, v41
	s_waitcnt lgkmcnt(0)
	s_waitcnt_vscnt null, 0x0
	s_barrier
	buffer_gl0_inv
	v_add_f32_e32 v20, v41, v20
	ds_bpermute_b32 v21, v31, v20
	s_waitcnt lgkmcnt(0)
	v_add_f32_e32 v20, v20, v21
	ds_bpermute_b32 v21, v32, v20
	s_waitcnt lgkmcnt(0)
	;; [unrolled: 3-line block ×3, first 2 shown]
	v_add_f32_e32 v20, v20, v21
	ds_bpermute_b32 v21, v34, v20
	s_and_saveexec_b32 s6, s5
	s_cbranch_execz .LBB213_22
; %bb.21:                               ;   in Loop: Header=BB213_16 Depth=1
	s_waitcnt lgkmcnt(0)
	v_add_f32_e32 v20, v20, v21
	ds_store_b32 v36, v20
.LBB213_22:                             ;   in Loop: Header=BB213_16 Depth=1
	s_or_b32 exec_lo, exec_lo, s6
	v_mov_b32_e32 v20, 0
	s_waitcnt lgkmcnt(0)
	s_barrier
	buffer_gl0_inv
	s_and_saveexec_b32 s6, s1
	s_cbranch_execnz .LBB213_52
; %bb.23:                               ;   in Loop: Header=BB213_16 Depth=1
	s_or_b32 exec_lo, exec_lo, s6
	s_and_saveexec_b32 s6, s0
	s_cbranch_execnz .LBB213_53
.LBB213_24:                             ;   in Loop: Header=BB213_16 Depth=1
	s_or_b32 exec_lo, exec_lo, s6
	s_and_saveexec_b32 s6, s0
	s_cbranch_execz .LBB213_26
.LBB213_25:                             ;   in Loop: Header=BB213_16 Depth=1
	ds_store_b32 v35, v37
.LBB213_26:                             ;   in Loop: Header=BB213_16 Depth=1
	s_or_b32 exec_lo, exec_lo, s6
	ds_bpermute_b32 v21, v30, v40
	s_waitcnt lgkmcnt(0)
	s_barrier
	buffer_gl0_inv
	v_add_f32_e32 v21, v40, v21
	ds_bpermute_b32 v40, v31, v21
	s_waitcnt lgkmcnt(0)
	v_add_f32_e32 v21, v21, v40
	ds_bpermute_b32 v40, v32, v21
	s_waitcnt lgkmcnt(0)
	;; [unrolled: 3-line block ×3, first 2 shown]
	v_add_f32_e32 v21, v21, v40
	ds_bpermute_b32 v40, v34, v21
	s_and_saveexec_b32 s6, s5
	s_cbranch_execz .LBB213_28
; %bb.27:                               ;   in Loop: Header=BB213_16 Depth=1
	s_waitcnt lgkmcnt(0)
	v_add_f32_e32 v21, v21, v40
	ds_store_b32 v36, v21
.LBB213_28:                             ;   in Loop: Header=BB213_16 Depth=1
	s_or_b32 exec_lo, exec_lo, s6
	v_mov_b32_e32 v21, 0
	s_waitcnt lgkmcnt(0)
	s_barrier
	buffer_gl0_inv
	s_and_saveexec_b32 s6, s1
	s_cbranch_execnz .LBB213_54
; %bb.29:                               ;   in Loop: Header=BB213_16 Depth=1
	s_or_b32 exec_lo, exec_lo, s6
	s_and_saveexec_b32 s6, s0
	s_cbranch_execnz .LBB213_55
.LBB213_30:                             ;   in Loop: Header=BB213_16 Depth=1
	s_or_b32 exec_lo, exec_lo, s6
	s_and_saveexec_b32 s6, s0
	s_cbranch_execz .LBB213_32
.LBB213_31:                             ;   in Loop: Header=BB213_16 Depth=1
	ds_store_b32 v35, v37
.LBB213_32:                             ;   in Loop: Header=BB213_16 Depth=1
	s_or_b32 exec_lo, exec_lo, s6
	ds_bpermute_b32 v40, v30, v39
	s_waitcnt lgkmcnt(0)
	s_barrier
	buffer_gl0_inv
	v_add_f32_e32 v39, v39, v40
	ds_bpermute_b32 v40, v31, v39
	s_waitcnt lgkmcnt(0)
	v_add_f32_e32 v39, v39, v40
	ds_bpermute_b32 v40, v32, v39
	s_waitcnt lgkmcnt(0)
	;; [unrolled: 3-line block ×3, first 2 shown]
	v_add_f32_e32 v39, v39, v40
	ds_bpermute_b32 v40, v34, v39
	s_and_saveexec_b32 s6, s5
	s_cbranch_execz .LBB213_34
; %bb.33:                               ;   in Loop: Header=BB213_16 Depth=1
	s_waitcnt lgkmcnt(0)
	v_add_f32_e32 v39, v39, v40
	ds_store_b32 v36, v39
.LBB213_34:                             ;   in Loop: Header=BB213_16 Depth=1
	s_or_b32 exec_lo, exec_lo, s6
	v_mov_b32_e32 v39, 0
	s_waitcnt lgkmcnt(0)
	s_barrier
	buffer_gl0_inv
	s_and_saveexec_b32 s6, s1
	s_cbranch_execnz .LBB213_56
; %bb.35:                               ;   in Loop: Header=BB213_16 Depth=1
	s_or_b32 exec_lo, exec_lo, s6
	s_and_saveexec_b32 s6, s0
	s_cbranch_execnz .LBB213_57
.LBB213_36:                             ;   in Loop: Header=BB213_16 Depth=1
	s_or_b32 exec_lo, exec_lo, s6
	s_and_saveexec_b32 s6, s0
	s_cbranch_execz .LBB213_38
.LBB213_37:                             ;   in Loop: Header=BB213_16 Depth=1
	ds_store_b32 v35, v37
.LBB213_38:                             ;   in Loop: Header=BB213_16 Depth=1
	s_or_b32 exec_lo, exec_lo, s6
	ds_bpermute_b32 v40, v30, v38
	s_waitcnt lgkmcnt(0)
	s_barrier
	buffer_gl0_inv
	v_add_f32_e32 v38, v38, v40
	ds_bpermute_b32 v40, v31, v38
	s_waitcnt lgkmcnt(0)
	v_add_f32_e32 v38, v38, v40
	ds_bpermute_b32 v40, v32, v38
	s_waitcnt lgkmcnt(0)
	;; [unrolled: 3-line block ×3, first 2 shown]
	v_add_f32_e32 v38, v38, v40
	ds_bpermute_b32 v40, v34, v38
	s_and_saveexec_b32 s6, s5
	s_cbranch_execz .LBB213_40
; %bb.39:                               ;   in Loop: Header=BB213_16 Depth=1
	s_waitcnt lgkmcnt(0)
	v_add_f32_e32 v38, v38, v40
	ds_store_b32 v36, v38
.LBB213_40:                             ;   in Loop: Header=BB213_16 Depth=1
	s_or_b32 exec_lo, exec_lo, s6
	v_mov_b32_e32 v38, 0
	s_waitcnt lgkmcnt(0)
	s_barrier
	buffer_gl0_inv
	s_and_saveexec_b32 s6, s1
	s_cbranch_execnz .LBB213_58
; %bb.41:                               ;   in Loop: Header=BB213_16 Depth=1
	s_or_b32 exec_lo, exec_lo, s6
	s_and_saveexec_b32 s6, s0
	s_cbranch_execnz .LBB213_59
.LBB213_42:                             ;   in Loop: Header=BB213_16 Depth=1
	s_or_b32 exec_lo, exec_lo, s6
	s_and_saveexec_b32 s6, s2
	s_cbranch_execz .LBB213_15
	s_branch .LBB213_60
.LBB213_43:                             ;   in Loop: Header=BB213_16 Depth=1
	s_mul_i32 s7, s15, s13
	s_mul_hi_u32 s8, s15, s12
	s_delay_alu instid0(SALU_CYCLE_1)
	s_add_i32 s9, s8, s7
	s_mul_i32 s8, s15, s12
	s_or_b32 s7, s15, 1
	s_lshl_b64 s[8:9], s[8:9], 2
	s_mul_i32 s36, s7, s13
	s_mul_hi_u32 s37, s7, s12
	v_add_co_u32 v2, vcc_lo, v5, s8
	v_add_co_ci_u32_e32 v3, vcc_lo, s9, v6, vcc_lo
	s_add_i32 s9, s37, s36
	s_mul_i32 s8, s7, s12
	s_or_b32 s7, s15, 2
	s_lshl_b64 s[8:9], s[8:9], 2
	s_mul_i32 s36, s7, s13
	s_mul_hi_u32 s37, s7, s12
	v_add_co_u32 v20, vcc_lo, v5, s8
	v_add_co_ci_u32_e32 v21, vcc_lo, s9, v6, vcc_lo
	s_add_i32 s9, s37, s36
	s_or_b32 s36, s15, 3
	s_mul_i32 s8, s7, s12
	s_mul_i32 s7, s36, s13
	s_mul_hi_u32 s37, s36, s12
	s_lshl_b64 s[8:9], s[8:9], 2
	s_add_i32 s37, s37, s7
	s_mul_i32 s36, s36, s12
	s_waitcnt lgkmcnt(0)
	v_add_co_u32 v38, vcc_lo, v5, s8
	v_add_co_ci_u32_e32 v39, vcc_lo, s9, v6, vcc_lo
	s_lshl_b64 s[8:9], s[36:37], 2
	s_delay_alu instid0(SALU_CYCLE_1)
	v_add_co_u32 v53, vcc_lo, v5, s8
	v_add_co_ci_u32_e32 v54, vcc_lo, s9, v6, vcc_lo
	flat_load_b32 v1, v[10:11]
	s_clause 0x3
	flat_load_b128 v[41:44], v[2:3]
	flat_load_b128 v[45:48], v[20:21]
	flat_load_b128 v[49:52], v[38:39]
	flat_load_b128 v[53:56], v[53:54]
	s_clause 0x2
	flat_load_b32 v2, v[12:13]
	flat_load_b32 v3, v[14:15]
	;; [unrolled: 1-line block ×3, first 2 shown]
	s_waitcnt vmcnt(6) lgkmcnt(6)
	v_fma_f32 v41, v1, v41, 0
	s_waitcnt vmcnt(5) lgkmcnt(5)
	v_fma_f32 v40, v1, v45, 0
	;; [unrolled: 2-line block ×4, first 2 shown]
	s_waitcnt vmcnt(2) lgkmcnt(2)
	v_fmac_f32_e32 v40, v2, v46
	v_fmac_f32_e32 v41, v2, v42
	s_delay_alu instid0(VALU_DEP_3) | instskip(SKIP_1) | instid1(VALU_DEP_3)
	v_fmac_f32_e32 v38, v2, v54
	s_waitcnt vmcnt(1) lgkmcnt(1)
	v_dual_fmac_f32 v39, v2, v50 :: v_dual_fmac_f32 v40, v3, v47
	s_delay_alu instid0(VALU_DEP_3) | instskip(NEXT) | instid1(VALU_DEP_3)
	v_fmac_f32_e32 v41, v3, v43
	v_fmac_f32_e32 v38, v3, v55
	s_waitcnt vmcnt(0) lgkmcnt(0)
	s_delay_alu instid0(VALU_DEP_3) | instskip(NEXT) | instid1(VALU_DEP_3)
	v_dual_fmac_f32 v39, v3, v51 :: v_dual_fmac_f32 v40, v4, v48
	v_fmac_f32_e32 v41, v4, v44
	s_delay_alu instid0(VALU_DEP_3) | instskip(NEXT) | instid1(VALU_DEP_3)
	v_fmac_f32_e32 v38, v4, v56
	v_fmac_f32_e32 v39, v4, v52
	s_and_not1_saveexec_b32 s44, s6
	s_cbranch_execz .LBB213_18
.LBB213_44:                             ;   in Loop: Header=BB213_16 Depth=1
	s_waitcnt lgkmcnt(0)
	v_dual_mov_b32 v38, 0 :: v_dual_mov_b32 v39, 0
	v_dual_mov_b32 v40, 0 :: v_dual_mov_b32 v41, 0
	s_and_saveexec_b32 s45, s4
	s_cbranch_execz .LBB213_51
; %bb.45:                               ;   in Loop: Header=BB213_16 Depth=1
	s_and_not1_b32 vcc_lo, exec_lo, s39
	s_cbranch_vccnz .LBB213_48
; %bb.46:                               ;   in Loop: Header=BB213_16 Depth=1
	v_dual_mov_b32 v21, v11 :: v_dual_mov_b32 v20, v10
	s_mov_b64 s[36:37], 0
	.p2align	6
.LBB213_47:                             ;   Parent Loop BB213_16 Depth=1
                                        ; =>  This Inner Loop Header: Depth=2
	flat_load_b32 v38, v[20:21]
	v_add_co_u32 v20, vcc_lo, v20, s26
	s_cmp_eq_u32 s36, 3
	v_add_co_ci_u32_e32 v21, vcc_lo, s27, v21, vcc_lo
	s_cselect_b32 vcc_lo, -1, 0
	s_cmp_eq_u32 s36, 2
	s_cselect_b32 s6, -1, 0
	s_cmp_eq_u32 s36, 1
	s_cselect_b32 s7, -1, 0
	;; [unrolled: 2-line block ×3, first 2 shown]
	s_add_u32 s36, s36, 1
	s_addc_u32 s37, s37, 0
	s_cmp_eq_u32 s11, s36
	s_waitcnt vmcnt(0) lgkmcnt(0)
	v_cndmask_b32_e32 v4, v4, v38, vcc_lo
	v_cndmask_b32_e64 v3, v3, v38, s6
	v_cndmask_b32_e64 v2, v2, v38, s7
	;; [unrolled: 1-line block ×3, first 2 shown]
	s_cbranch_scc0 .LBB213_47
.LBB213_48:                             ;   in Loop: Header=BB213_16 Depth=1
	v_dual_mov_b32 v38, 0 :: v_dual_mov_b32 v39, 0
	v_dual_mov_b32 v40, 0 :: v_dual_mov_b32 v41, 0
	s_and_not1_b32 vcc_lo, exec_lo, s39
	s_cbranch_vccnz .LBB213_51
; %bb.49:                               ;   in Loop: Header=BB213_16 Depth=1
	v_dual_mov_b32 v21, v19 :: v_dual_mov_b32 v40, 0
	v_dual_mov_b32 v41, 0 :: v_dual_mov_b32 v20, v18
	;; [unrolled: 1-line block ×3, first 2 shown]
	s_mov_b64 s[8:9], 0
	s_set_inst_prefetch_distance 0x1
	.p2align	6
.LBB213_50:                             ;   Parent Loop BB213_16 Depth=1
                                        ; =>  This Inner Loop Header: Depth=2
	s_delay_alu instid0(VALU_DEP_2)
	v_add_co_u32 v42, vcc_lo, v20, s34
	v_add_co_ci_u32_e32 v43, vcc_lo, s35, v21, vcc_lo
	v_add_co_u32 v44, vcc_lo, v20, s30
	v_add_co_ci_u32_e32 v45, vcc_lo, s31, v21, vcc_lo
	;; [unrolled: 2-line block ×3, first 2 shown]
	s_clause 0x3
	flat_load_b32 v48, v[20:21]
	flat_load_b32 v42, v[42:43]
	;; [unrolled: 1-line block ×4, first 2 shown]
	s_cmp_eq_u32 s8, 1
	v_add_co_u32 v20, s6, v20, 4
	s_cselect_b32 vcc_lo, -1, 0
	s_cmp_eq_u32 s8, 2
	v_cndmask_b32_e32 v45, v1, v2, vcc_lo
	s_cselect_b32 vcc_lo, -1, 0
	s_cmp_eq_u32 s8, 3
	v_add_co_ci_u32_e64 v21, s6, 0, v21, s6
	s_delay_alu instid0(VALU_DEP_2)
	v_cndmask_b32_e32 v45, v45, v3, vcc_lo
	s_cselect_b32 vcc_lo, -1, 0
	s_add_u32 s8, s8, 1
	s_addc_u32 s9, s9, 0
	s_cmp_lg_u32 s11, s8
	v_cndmask_b32_e32 v45, v45, v4, vcc_lo
	s_waitcnt vmcnt(3) lgkmcnt(3)
	s_delay_alu instid0(VALU_DEP_1)
	v_fmac_f32_e32 v41, v45, v48
	s_waitcnt vmcnt(2) lgkmcnt(2)
	v_fmac_f32_e32 v40, v45, v42
	s_waitcnt vmcnt(1) lgkmcnt(1)
	;; [unrolled: 2-line block ×3, first 2 shown]
	v_fmac_f32_e32 v38, v45, v44
	s_cbranch_scc1 .LBB213_50
.LBB213_51:                             ;   in Loop: Header=BB213_16 Depth=1
	s_set_inst_prefetch_distance 0x2
	s_or_b32 exec_lo, exec_lo, s45
	s_delay_alu instid0(SALU_CYCLE_1)
	s_or_b32 exec_lo, exec_lo, s44
	s_and_saveexec_b32 s6, s0
	s_cbranch_execnz .LBB213_19
	s_branch .LBB213_20
.LBB213_52:                             ;   in Loop: Header=BB213_16 Depth=1
	ds_load_b32 v20, v35
	s_or_b32 exec_lo, exec_lo, s6
	s_and_saveexec_b32 s6, s0
	s_cbranch_execz .LBB213_24
.LBB213_53:                             ;   in Loop: Header=BB213_16 Depth=1
	s_waitcnt lgkmcnt(0)
	ds_bpermute_b32 v21, v32, v20
	s_waitcnt lgkmcnt(0)
	v_add_f32_e32 v20, v20, v21
	ds_bpermute_b32 v21, v33, v20
	s_waitcnt lgkmcnt(0)
	v_add_f32_e32 v20, v20, v21
	;; [unrolled: 3-line block ×3, first 2 shown]
	s_or_b32 exec_lo, exec_lo, s6
	s_and_saveexec_b32 s6, s0
	s_cbranch_execnz .LBB213_25
	s_branch .LBB213_26
.LBB213_54:                             ;   in Loop: Header=BB213_16 Depth=1
	ds_load_b32 v21, v35
	s_or_b32 exec_lo, exec_lo, s6
	s_and_saveexec_b32 s6, s0
	s_cbranch_execz .LBB213_30
.LBB213_55:                             ;   in Loop: Header=BB213_16 Depth=1
	s_waitcnt lgkmcnt(0)
	ds_bpermute_b32 v40, v32, v21
	s_waitcnt lgkmcnt(0)
	v_add_f32_e32 v21, v21, v40
	ds_bpermute_b32 v40, v33, v21
	s_waitcnt lgkmcnt(0)
	v_add_f32_e32 v21, v21, v40
	;; [unrolled: 3-line block ×3, first 2 shown]
	s_or_b32 exec_lo, exec_lo, s6
	s_and_saveexec_b32 s6, s0
	s_cbranch_execnz .LBB213_31
	s_branch .LBB213_32
.LBB213_56:                             ;   in Loop: Header=BB213_16 Depth=1
	ds_load_b32 v39, v35
	s_or_b32 exec_lo, exec_lo, s6
	s_and_saveexec_b32 s6, s0
	s_cbranch_execz .LBB213_36
.LBB213_57:                             ;   in Loop: Header=BB213_16 Depth=1
	s_waitcnt lgkmcnt(0)
	ds_bpermute_b32 v40, v32, v39
	s_waitcnt lgkmcnt(0)
	v_add_f32_e32 v39, v39, v40
	ds_bpermute_b32 v40, v33, v39
	s_waitcnt lgkmcnt(0)
	v_add_f32_e32 v39, v39, v40
	;; [unrolled: 3-line block ×3, first 2 shown]
	s_or_b32 exec_lo, exec_lo, s6
	s_and_saveexec_b32 s6, s0
	s_cbranch_execnz .LBB213_37
	s_branch .LBB213_38
.LBB213_58:                             ;   in Loop: Header=BB213_16 Depth=1
	ds_load_b32 v38, v35
	s_or_b32 exec_lo, exec_lo, s6
	s_and_saveexec_b32 s6, s0
	s_cbranch_execz .LBB213_42
.LBB213_59:                             ;   in Loop: Header=BB213_16 Depth=1
	s_waitcnt lgkmcnt(0)
	ds_bpermute_b32 v40, v32, v38
	s_waitcnt lgkmcnt(0)
	v_add_f32_e32 v38, v38, v40
	ds_bpermute_b32 v40, v33, v38
	s_waitcnt lgkmcnt(0)
	v_add_f32_e32 v38, v38, v40
	;; [unrolled: 3-line block ×3, first 2 shown]
	s_or_b32 exec_lo, exec_lo, s6
	s_and_saveexec_b32 s6, s2
	s_cbranch_execz .LBB213_15
.LBB213_60:                             ;   in Loop: Header=BB213_16 Depth=1
	s_mul_hi_u32 s9, s15, s10
	s_mul_i32 s8, s15, s10
	v_dual_mul_f32 v20, s18, v20 :: v_dual_mul_f32 v21, s18, v21
	s_lshl_b64 s[8:9], s[8:9], 2
	s_waitcnt lgkmcnt(0)
	v_mul_f32_e32 v38, s18, v38
	s_add_u32 s8, s40, s8
	s_addc_u32 s9, s41, s9
	s_or_b32 s7, s15, 1
	global_store_b32 v37, v20, s[8:9]
	s_mul_hi_u32 s37, s7, s10
	s_mul_i32 s36, s7, s10
	v_mul_f32_e32 v20, s18, v39
	s_lshl_b64 s[36:37], s[36:37], 2
	s_delay_alu instid0(SALU_CYCLE_1)
	s_add_u32 s36, s40, s36
	s_addc_u32 s37, s41, s37
	s_or_b32 s7, s15, 2
	global_store_b32 v37, v21, s[36:37]
	s_mul_hi_u32 s45, s7, s10
	s_mul_i32 s44, s7, s10
	s_delay_alu instid0(SALU_CYCLE_1) | instskip(NEXT) | instid1(SALU_CYCLE_1)
	s_lshl_b64 s[44:45], s[44:45], 2
	s_add_u32 s8, s40, s44
	s_addc_u32 s9, s41, s45
	s_or_b32 s7, s15, 3
	s_delay_alu instid0(SALU_CYCLE_1) | instskip(SKIP_1) | instid1(SALU_CYCLE_1)
	s_mul_hi_u32 s45, s7, s10
	s_mul_i32 s44, s7, s10
	s_lshl_b64 s[44:45], s[44:45], 2
	s_delay_alu instid0(SALU_CYCLE_1)
	s_add_u32 s36, s40, s44
	s_addc_u32 s37, s41, s45
	s_clause 0x1
	global_store_b32 v37, v20, s[8:9]
	global_store_b32 v37, v38, s[36:37]
	s_branch .LBB213_15
.LBB213_61:
	s_mov_b32 s15, 0
                                        ; implicit-def: $vgpr1_vgpr2_vgpr3_vgpr4
.LBB213_62:
	s_delay_alu instid0(SALU_CYCLE_1)
	s_cmp_ge_i32 s15, s17
	s_cbranch_scc1 .LBB213_86
; %bb.63:
	v_cmp_gt_u32_e32 vcc_lo, 16, v27
	v_cmp_ge_i32_e64 s0, s16, v28
	v_cmp_ge_i32_e64 s1, s16, v29
	v_mad_i64_i32 v[16:17], null, s24, v22, 0
	v_cndmask_b32_e64 v10, 0, 1, vcc_lo
	v_cmp_gt_u32_e32 vcc_lo, 24, v27
	s_cmp_gt_i32 s11, 0
	s_mov_b32 s9, 0
	s_mov_b32 s8, s14
	v_lshlrev_b32_e32 v10, 4, v10
	v_cndmask_b32_e64 v11, 0, 1, vcc_lo
	v_cmp_gt_u32_e32 vcc_lo, 28, v27
	s_cselect_b32 s16, -1, 0
	s_lshl_b64 s[6:7], s[8:9], 2
	v_add_lshl_u32 v20, v10, v27, 2
	v_lshlrev_b32_e32 v11, 3, v11
	v_cndmask_b32_e64 v12, 0, 1, vcc_lo
	v_cmp_gt_u32_e32 vcc_lo, 30, v27
	s_add_u32 s14, s19, s6
	s_addc_u32 s19, s33, s7
	v_add_lshl_u32 v21, v11, v27, 2
	v_lshlrev_b32_e32 v12, 2, v12
	v_cndmask_b32_e64 v13, 0, 1, vcc_lo
	v_cmp_ne_u32_e32 vcc_lo, 31, v27
	v_mad_i64_i32 v[10:11], null, s24, v9, 0
	s_delay_alu instid0(VALU_DEP_4) | instskip(NEXT) | instid1(VALU_DEP_4)
	v_add_lshl_u32 v28, v12, v27, 2
	v_lshlrev_b32_e32 v13, 1, v13
	v_add_co_ci_u32_e32 v14, vcc_lo, 0, v27, vcc_lo
	s_mul_i32 s6, s13, s15
	s_mul_hi_u32 s7, s12, s15
	s_delay_alu instid0(VALU_DEP_2)
	v_add_lshl_u32 v27, v13, v27, 2
	v_mad_i64_i32 v[12:13], null, s24, v24, 0
	v_lshlrev_b32_e32 v29, 2, v14
	v_mad_i64_i32 v[14:15], null, s24, v23, 0
	v_lshlrev_b64 v[9:10], 2, v[10:11]
	s_add_i32 s7, s7, s6
	s_mul_i32 s6, s12, s15
	s_delay_alu instid0(VALU_DEP_4)
	v_lshlrev_b64 v[11:12], 2, v[12:13]
	s_lshl_b64 s[6:7], s[6:7], 2
	v_cmp_gt_u32_e64 s2, 32, v0
	v_add_co_u32 v9, vcc_lo, s22, v9
	v_lshlrev_b64 v[13:14], 2, v[14:15]
	v_add_co_ci_u32_e32 v10, vcc_lo, s23, v10, vcc_lo
	v_add_co_u32 v11, vcc_lo, s22, v11
	v_lshlrev_b64 v[15:16], 2, v[16:17]
	v_add_co_ci_u32_e32 v12, vcc_lo, s23, v12, vcc_lo
	v_add_co_u32 v13, vcc_lo, s22, v13
	v_add_co_ci_u32_e32 v14, vcc_lo, s23, v14, vcc_lo
	s_delay_alu instid0(VALU_DEP_4)
	v_add_co_u32 v15, vcc_lo, s22, v15
	v_add_co_ci_u32_e32 v16, vcc_lo, s23, v16, vcc_lo
	s_lshl_b64 s[22:23], s[24:25], 2
	s_add_u32 s6, s20, s6
	s_addc_u32 s7, s21, s7
	v_add_co_u32 v7, vcc_lo, s6, v7
	v_lshlrev_b32_e32 v19, 2, v25
	v_cmp_eq_u32_e64 s3, 0, v25
	v_and_b32_e32 v25, 28, v26
	v_cmp_gt_u32_e64 s4, 8, v0
	v_cmp_eq_u32_e64 s5, 0, v0
	v_mov_b32_e32 v0, 0
	v_add_co_ci_u32_e32 v8, vcc_lo, s7, v8, vcc_lo
	s_lshl_b64 s[20:21], s[12:13], 2
	s_branch .LBB213_65
.LBB213_64:                             ;   in Loop: Header=BB213_65 Depth=1
	s_or_b32 exec_lo, exec_lo, s6
	v_add_co_u32 v7, vcc_lo, v7, s20
	v_add_co_ci_u32_e32 v8, vcc_lo, s21, v8, vcc_lo
	s_add_i32 s15, s15, 1
	s_delay_alu instid0(SALU_CYCLE_1)
	s_cmp_ge_i32 s15, s17
	s_cbranch_scc1 .LBB213_86
.LBB213_65:                             ; =>This Loop Header: Depth=1
                                        ;     Child Loop BB213_78 Depth 2
                                        ;     Child Loop BB213_81 Depth 2
	v_mov_b32_e32 v22, s9
	s_and_saveexec_b32 s6, s0
	s_delay_alu instid0(SALU_CYCLE_1)
	s_xor_b32 s6, exec_lo, s6
	s_cbranch_execnz .LBB213_74
; %bb.66:                               ;   in Loop: Header=BB213_65 Depth=1
	s_and_not1_saveexec_b32 s26, s6
	s_cbranch_execnz .LBB213_75
.LBB213_67:                             ;   in Loop: Header=BB213_65 Depth=1
	s_or_b32 exec_lo, exec_lo, s26
	s_and_saveexec_b32 s6, s2
	s_cbranch_execz .LBB213_69
.LBB213_68:                             ;   in Loop: Header=BB213_65 Depth=1
	ds_store_b32 v19, v0
.LBB213_69:                             ;   in Loop: Header=BB213_65 Depth=1
	s_or_b32 exec_lo, exec_lo, s6
	s_waitcnt lgkmcnt(0)
	ds_bpermute_b32 v17, v20, v22
	s_waitcnt lgkmcnt(0)
	s_waitcnt_vscnt null, 0x0
	s_barrier
	buffer_gl0_inv
	v_add_f32_e32 v17, v22, v17
	ds_bpermute_b32 v18, v21, v17
	s_waitcnt lgkmcnt(0)
	v_add_f32_e32 v17, v17, v18
	ds_bpermute_b32 v18, v28, v17
	s_waitcnt lgkmcnt(0)
	;; [unrolled: 3-line block ×3, first 2 shown]
	v_add_f32_e32 v17, v17, v18
	ds_bpermute_b32 v18, v29, v17
	s_and_saveexec_b32 s6, s3
	s_cbranch_execz .LBB213_71
; %bb.70:                               ;   in Loop: Header=BB213_65 Depth=1
	s_waitcnt lgkmcnt(0)
	v_add_f32_e32 v17, v17, v18
	ds_store_b32 v25, v17
.LBB213_71:                             ;   in Loop: Header=BB213_65 Depth=1
	s_or_b32 exec_lo, exec_lo, s6
	v_mov_b32_e32 v17, 0
	s_waitcnt lgkmcnt(0)
	s_barrier
	buffer_gl0_inv
	s_and_saveexec_b32 s6, s4
	s_cbranch_execnz .LBB213_83
; %bb.72:                               ;   in Loop: Header=BB213_65 Depth=1
	s_or_b32 exec_lo, exec_lo, s6
	s_and_saveexec_b32 s6, s2
	s_cbranch_execnz .LBB213_84
.LBB213_73:                             ;   in Loop: Header=BB213_65 Depth=1
	s_or_b32 exec_lo, exec_lo, s6
	s_and_saveexec_b32 s6, s5
	s_cbranch_execz .LBB213_64
	s_branch .LBB213_85
.LBB213_74:                             ;   in Loop: Header=BB213_65 Depth=1
	s_mul_i32 s7, s15, s13
	s_mul_hi_u32 s8, s15, s12
	s_mul_i32 s24, s15, s12
	s_add_i32 s25, s8, s7
	s_delay_alu instid0(SALU_CYCLE_1) | instskip(NEXT) | instid1(SALU_CYCLE_1)
	s_lshl_b64 s[24:25], s[24:25], 2
	v_add_co_u32 v1, vcc_lo, v5, s24
	v_add_co_ci_u32_e32 v2, vcc_lo, s25, v6, vcc_lo
	flat_load_b128 v[30:33], v[1:2]
	s_clause 0x3
	flat_load_b32 v1, v[9:10]
	flat_load_b32 v2, v[11:12]
	;; [unrolled: 1-line block ×4, first 2 shown]
	s_waitcnt vmcnt(3) lgkmcnt(3)
	v_fma_f32 v22, v1, v30, 0
	s_waitcnt vmcnt(2) lgkmcnt(2)
	s_delay_alu instid0(VALU_DEP_1) | instskip(SKIP_1) | instid1(VALU_DEP_1)
	v_fmac_f32_e32 v22, v2, v31
	s_waitcnt vmcnt(1) lgkmcnt(1)
	v_fmac_f32_e32 v22, v3, v32
	s_waitcnt vmcnt(0) lgkmcnt(0)
	s_delay_alu instid0(VALU_DEP_1)
	v_fmac_f32_e32 v22, v4, v33
	s_and_not1_saveexec_b32 s26, s6
	s_cbranch_execz .LBB213_67
.LBB213_75:                             ;   in Loop: Header=BB213_65 Depth=1
	s_and_saveexec_b32 s27, s1
	s_cbranch_execz .LBB213_82
; %bb.76:                               ;   in Loop: Header=BB213_65 Depth=1
	s_and_not1_b32 vcc_lo, exec_lo, s16
	s_cbranch_vccnz .LBB213_79
; %bb.77:                               ;   in Loop: Header=BB213_65 Depth=1
	s_waitcnt lgkmcnt(0)
	v_dual_mov_b32 v18, v10 :: v_dual_mov_b32 v17, v9
	s_mov_b64 s[24:25], 0
	.p2align	6
.LBB213_78:                             ;   Parent Loop BB213_65 Depth=1
                                        ; =>  This Inner Loop Header: Depth=2
	flat_load_b32 v23, v[17:18]
	v_add_co_u32 v17, vcc_lo, v17, s22
	s_cmp_eq_u32 s24, 3
	v_add_co_ci_u32_e32 v18, vcc_lo, s23, v18, vcc_lo
	s_cselect_b32 vcc_lo, -1, 0
	s_cmp_eq_u32 s24, 2
	s_cselect_b32 s6, -1, 0
	s_cmp_eq_u32 s24, 1
	s_cselect_b32 s7, -1, 0
	;; [unrolled: 2-line block ×3, first 2 shown]
	s_add_u32 s24, s24, 1
	s_addc_u32 s25, s25, 0
	s_cmp_eq_u32 s11, s24
	s_waitcnt vmcnt(0) lgkmcnt(0)
	v_cndmask_b32_e32 v4, v4, v23, vcc_lo
	v_cndmask_b32_e64 v3, v3, v23, s6
	v_cndmask_b32_e64 v2, v2, v23, s7
	;; [unrolled: 1-line block ×3, first 2 shown]
	s_cbranch_scc0 .LBB213_78
.LBB213_79:                             ;   in Loop: Header=BB213_65 Depth=1
	s_and_not1_b32 vcc_lo, exec_lo, s16
	s_cbranch_vccnz .LBB213_82
; %bb.80:                               ;   in Loop: Header=BB213_65 Depth=1
	s_waitcnt lgkmcnt(0)
	v_dual_mov_b32 v18, v8 :: v_dual_mov_b32 v17, v7
	s_mov_b64 s[6:7], 0
	.p2align	6
.LBB213_81:                             ;   Parent Loop BB213_65 Depth=1
                                        ; =>  This Inner Loop Header: Depth=2
	flat_load_b32 v23, v[17:18]
	s_cmp_eq_u32 s6, 1
	s_cselect_b32 vcc_lo, -1, 0
	s_cmp_eq_u32 s6, 2
	v_cndmask_b32_e32 v24, v1, v2, vcc_lo
	s_cselect_b32 vcc_lo, -1, 0
	s_cmp_eq_u32 s6, 3
	s_delay_alu instid0(VALU_DEP_1)
	v_cndmask_b32_e32 v24, v24, v3, vcc_lo
	s_cselect_b32 vcc_lo, -1, 0
	s_add_u32 s6, s6, 1
	s_addc_u32 s7, s7, 0
	s_cmp_lg_u32 s11, s6
	v_cndmask_b32_e32 v24, v24, v4, vcc_lo
	v_add_co_u32 v17, vcc_lo, v17, 4
	v_add_co_ci_u32_e32 v18, vcc_lo, 0, v18, vcc_lo
	s_waitcnt vmcnt(0) lgkmcnt(0)
	s_delay_alu instid0(VALU_DEP_3)
	v_fmac_f32_e32 v22, v24, v23
	s_cbranch_scc1 .LBB213_81
.LBB213_82:                             ;   in Loop: Header=BB213_65 Depth=1
	s_or_b32 exec_lo, exec_lo, s27
	s_delay_alu instid0(SALU_CYCLE_1)
	s_or_b32 exec_lo, exec_lo, s26
	s_and_saveexec_b32 s6, s2
	s_cbranch_execnz .LBB213_68
	s_branch .LBB213_69
.LBB213_83:                             ;   in Loop: Header=BB213_65 Depth=1
	ds_load_b32 v17, v19
	s_or_b32 exec_lo, exec_lo, s6
	s_and_saveexec_b32 s6, s2
	s_cbranch_execz .LBB213_73
.LBB213_84:                             ;   in Loop: Header=BB213_65 Depth=1
	s_waitcnt lgkmcnt(0)
	ds_bpermute_b32 v18, v28, v17
	s_waitcnt lgkmcnt(0)
	v_add_f32_e32 v17, v17, v18
	ds_bpermute_b32 v18, v27, v17
	s_waitcnt lgkmcnt(0)
	v_add_f32_e32 v17, v17, v18
	;; [unrolled: 3-line block ×3, first 2 shown]
	s_or_b32 exec_lo, exec_lo, s6
	s_and_saveexec_b32 s6, s5
	s_cbranch_execz .LBB213_64
.LBB213_85:                             ;   in Loop: Header=BB213_65 Depth=1
	s_mul_hi_u32 s25, s15, s10
	s_mul_i32 s24, s15, s10
	s_waitcnt lgkmcnt(0)
	v_mul_f32_e32 v17, s18, v17
	s_lshl_b64 s[24:25], s[24:25], 2
	s_delay_alu instid0(SALU_CYCLE_1)
	s_add_u32 s24, s14, s24
	s_addc_u32 s25, s19, s25
	global_store_b32 v0, v17, s[24:25]
	s_branch .LBB213_64
.LBB213_86:
	s_nop 0
	s_sendmsg sendmsg(MSG_DEALLOC_VGPRS)
	s_endpgm
	.section	.rodata,"a",@progbits
	.p2align	6, 0x0
	.amdhsa_kernel _ZL23rocblas_gemvt_sn_kernelILb0ELi256ELi4ElPKfffEviiT4_lPKT3_lilS5_lilPT5_i
		.amdhsa_group_segment_fixed_size 128
		.amdhsa_private_segment_fixed_size 0
		.amdhsa_kernarg_size 360
		.amdhsa_user_sgpr_count 14
		.amdhsa_user_sgpr_dispatch_ptr 0
		.amdhsa_user_sgpr_queue_ptr 0
		.amdhsa_user_sgpr_kernarg_segment_ptr 1
		.amdhsa_user_sgpr_dispatch_id 0
		.amdhsa_user_sgpr_private_segment_size 0
		.amdhsa_wavefront_size32 1
		.amdhsa_uses_dynamic_stack 0
		.amdhsa_enable_private_segment 0
		.amdhsa_system_sgpr_workgroup_id_x 1
		.amdhsa_system_sgpr_workgroup_id_y 0
		.amdhsa_system_sgpr_workgroup_id_z 1
		.amdhsa_system_sgpr_workgroup_info 0
		.amdhsa_system_vgpr_workitem_id 0
		.amdhsa_next_free_vgpr 57
		.amdhsa_next_free_sgpr 46
		.amdhsa_reserve_vcc 1
		.amdhsa_float_round_mode_32 0
		.amdhsa_float_round_mode_16_64 0
		.amdhsa_float_denorm_mode_32 3
		.amdhsa_float_denorm_mode_16_64 3
		.amdhsa_dx10_clamp 1
		.amdhsa_ieee_mode 1
		.amdhsa_fp16_overflow 0
		.amdhsa_workgroup_processor_mode 1
		.amdhsa_memory_ordered 1
		.amdhsa_forward_progress 0
		.amdhsa_shared_vgpr_count 0
		.amdhsa_exception_fp_ieee_invalid_op 0
		.amdhsa_exception_fp_denorm_src 0
		.amdhsa_exception_fp_ieee_div_zero 0
		.amdhsa_exception_fp_ieee_overflow 0
		.amdhsa_exception_fp_ieee_underflow 0
		.amdhsa_exception_fp_ieee_inexact 0
		.amdhsa_exception_int_div_zero 0
	.end_amdhsa_kernel
	.section	.text._ZL23rocblas_gemvt_sn_kernelILb0ELi256ELi4ElPKfffEviiT4_lPKT3_lilS5_lilPT5_i,"axG",@progbits,_ZL23rocblas_gemvt_sn_kernelILb0ELi256ELi4ElPKfffEviiT4_lPKT3_lilS5_lilPT5_i,comdat
.Lfunc_end213:
	.size	_ZL23rocblas_gemvt_sn_kernelILb0ELi256ELi4ElPKfffEviiT4_lPKT3_lilS5_lilPT5_i, .Lfunc_end213-_ZL23rocblas_gemvt_sn_kernelILb0ELi256ELi4ElPKfffEviiT4_lPKT3_lilS5_lilPT5_i
                                        ; -- End function
	.section	.AMDGPU.csdata,"",@progbits
; Kernel info:
; codeLenInByte = 4156
; NumSgprs: 48
; NumVgprs: 57
; ScratchSize: 0
; MemoryBound: 0
; FloatMode: 240
; IeeeMode: 1
; LDSByteSize: 128 bytes/workgroup (compile time only)
; SGPRBlocks: 5
; VGPRBlocks: 7
; NumSGPRsForWavesPerEU: 48
; NumVGPRsForWavesPerEU: 57
; Occupancy: 16
; WaveLimiterHint : 0
; COMPUTE_PGM_RSRC2:SCRATCH_EN: 0
; COMPUTE_PGM_RSRC2:USER_SGPR: 14
; COMPUTE_PGM_RSRC2:TRAP_HANDLER: 0
; COMPUTE_PGM_RSRC2:TGID_X_EN: 1
; COMPUTE_PGM_RSRC2:TGID_Y_EN: 0
; COMPUTE_PGM_RSRC2:TGID_Z_EN: 1
; COMPUTE_PGM_RSRC2:TIDIG_COMP_CNT: 0
	.section	.text._ZL36rocblas_gemvt_double_buffered_kernelILb0ELi128ELi8ELi8EPKfS1_KPfEviiT4_lPKT3_lilS7_lilPT5_lili,"axG",@progbits,_ZL36rocblas_gemvt_double_buffered_kernelILb0ELi128ELi8ELi8EPKfS1_KPfEviiT4_lPKT3_lilS7_lilPT5_lili,comdat
	.globl	_ZL36rocblas_gemvt_double_buffered_kernelILb0ELi128ELi8ELi8EPKfS1_KPfEviiT4_lPKT3_lilS7_lilPT5_lili ; -- Begin function _ZL36rocblas_gemvt_double_buffered_kernelILb0ELi128ELi8ELi8EPKfS1_KPfEviiT4_lPKT3_lilS7_lilPT5_lili
	.p2align	8
	.type	_ZL36rocblas_gemvt_double_buffered_kernelILb0ELi128ELi8ELi8EPKfS1_KPfEviiT4_lPKT3_lilS7_lilPT5_lili,@function
_ZL36rocblas_gemvt_double_buffered_kernelILb0ELi128ELi8ELi8EPKfS1_KPfEviiT4_lPKT3_lilS7_lilPT5_lili: ; @_ZL36rocblas_gemvt_double_buffered_kernelILb0ELi128ELi8ELi8EPKfS1_KPfEviiT4_lPKT3_lilS7_lilPT5_lili
; %bb.0:
	s_load_b256 s[4:11], s[0:1], 0x8
	s_waitcnt lgkmcnt(0)
	s_mul_i32 s3, s15, s7
	s_mul_hi_u32 s7, s15, s6
	s_mul_i32 s6, s15, s6
	s_add_i32 s7, s7, s3
	s_delay_alu instid0(SALU_CYCLE_1) | instskip(NEXT) | instid1(SALU_CYCLE_1)
	s_lshl_b64 s[6:7], s[6:7], 2
	s_add_u32 s4, s4, s6
	s_addc_u32 s5, s5, s7
	s_load_b32 s18, s[4:5], 0x0
	s_waitcnt lgkmcnt(0)
	v_cmp_eq_f32_e64 s3, s18, 0
	s_delay_alu instid0(VALU_DEP_1)
	s_and_b32 vcc_lo, exec_lo, s3
	s_mov_b32 s3, 0
	s_cbranch_vccnz .LBB214_11
; %bb.1:
	s_clause 0x1
	s_load_b32 s4, s[0:1], 0x84
	s_load_b32 s5, s[0:1], 0x0
	s_mov_b32 s2, s15
	s_waitcnt lgkmcnt(0)
	v_cvt_f32_u32_e32 v1, s4
	s_ashr_i32 s7, s5, 31
	s_sub_i32 s12, 0, s4
	s_lshr_b32 s7, s7, 25
	s_delay_alu instid0(SALU_CYCLE_1) | instskip(SKIP_4) | instid1(VALU_DEP_1)
	s_add_i32 s5, s5, s7
	v_rcp_iflag_f32_e32 v1, v1
	s_ashr_i32 s5, s5, 7
	s_waitcnt_depctr 0xfff
	v_mul_f32_e32 v1, 0x4f7ffffe, v1
	v_cvt_u32_f32_e32 v1, v1
	s_delay_alu instid0(VALU_DEP_1) | instskip(NEXT) | instid1(VALU_DEP_1)
	v_readfirstlane_b32 s6, v1
	s_mul_i32 s12, s12, s6
	s_delay_alu instid0(SALU_CYCLE_1) | instskip(NEXT) | instid1(SALU_CYCLE_1)
	s_mul_hi_u32 s7, s6, s12
	s_add_i32 s6, s6, s7
	s_delay_alu instid0(SALU_CYCLE_1) | instskip(NEXT) | instid1(SALU_CYCLE_1)
	s_mul_hi_u32 s6, s5, s6
	s_mul_i32 s7, s6, s4
	s_add_i32 s12, s6, 1
	s_sub_i32 s7, s5, s7
	s_delay_alu instid0(SALU_CYCLE_1)
	s_sub_i32 s15, s7, s4
	s_cmp_ge_u32 s7, s4
	s_cselect_b32 s6, s12, s6
	s_cselect_b32 s7, s15, s7
	s_add_i32 s12, s6, 1
	s_cmp_ge_u32 s7, s4
	s_cselect_b32 s12, s12, s6
	s_delay_alu instid0(SALU_CYCLE_1) | instskip(NEXT) | instid1(SALU_CYCLE_1)
	s_mul_i32 s4, s12, s4
	s_sub_i32 s15, s5, s4
	s_delay_alu instid0(SALU_CYCLE_1) | instskip(SKIP_1) | instid1(SALU_CYCLE_1)
	s_cmp_lt_u32 s14, s15
	s_cselect_b32 s4, -1, 0
	s_cmp_lg_u32 s4, 0
	s_addc_u32 s19, s12, 0
	s_delay_alu instid0(SALU_CYCLE_1)
	s_cmp_eq_u32 s19, 0
	s_cbranch_scc1 .LBB214_11
; %bb.2:
	s_load_b128 s[4:7], s[0:1], 0x58
	s_lshl_b64 s[16:17], s[2:3], 3
	v_dual_mov_b32 v35, 0 :: v_dual_and_b32 v10, 0x3ff, v0
	v_bfe_u32 v11, v0, 10, 10
	v_dual_mov_b32 v36, 0 :: v_dual_mov_b32 v1, 0
	s_delay_alu instid0(VALU_DEP_3) | instskip(NEXT) | instid1(VALU_DEP_3)
	v_dual_mov_b32 v37, 0 :: v_dual_and_b32 v0, 63, v10
	v_lshl_add_u32 v2, v11, 7, v10
	v_mov_b32_e32 v38, 0
	v_mov_b32_e32 v40, 0
	s_delay_alu instid0(VALU_DEP_4) | instskip(NEXT) | instid1(VALU_DEP_4)
	v_dual_mov_b32 v41, 0 :: v_dual_lshlrev_b32 v12, 2, v0
	v_lshrrev_b32_e32 v13, 3, v2
	s_delay_alu instid0(VALU_DEP_1)
	v_dual_mov_b32 v39, 0 :: v_dual_and_b32 v14, 0x7ff8, v13
	s_waitcnt lgkmcnt(0)
	s_add_u32 s2, s4, s16
	s_addc_u32 s3, s5, s17
	s_load_b64 s[4:5], s[2:3], 0x0
	s_lshl_b32 s2, s13, 7
	s_delay_alu instid0(SALU_CYCLE_1)
	s_ashr_i32 s3, s2, 31
	s_cmp_lt_i32 s19, 1
	s_cbranch_scc1 .LBB214_8
; %bb.3:
	v_cvt_f64_i32_e32 v[3:4], s14
	v_cvt_f64_u32_e32 v[5:6], s15
	s_mul_i32 s12, s12, s14
	s_clause 0x1
	s_load_b32 s14, s[0:1], 0x28
	s_load_b128 s[20:23], s[0:1], 0x38
	v_cvt_f64_u32_e32 v[7:8], s12
	s_load_b32 s12, s[0:1], 0x48
	v_lshrrev_b32_e32 v2, 1, v2
	s_delay_alu instid0(VALU_DEP_1)
	v_dual_mov_b32 v1, 0 :: v_dual_and_b32 v2, 0x1ffe0, v2
	s_waitcnt lgkmcnt(0)
	s_ashr_i32 s15, s14, 31
	s_add_u32 s8, s8, s16
	s_addc_u32 s9, s9, s17
	s_add_u32 s16, s20, s16
	s_load_b64 s[8:9], s[8:9], 0x0
	s_addc_u32 s17, s21, s17
	s_lshl_b64 s[10:11], s[10:11], 2
	s_load_b64 s[16:17], s[16:17], 0x0
	s_ashr_i32 s13, s12, 31
	s_delay_alu instid0(VALU_DEP_4)
	v_min_f64 v[3:4], v[3:4], v[5:6]
	s_waitcnt lgkmcnt(0)
	s_add_u32 s24, s8, s10
	s_addc_u32 s25, s9, s11
	s_lshl_b64 s[8:9], s[22:23], 2
	s_mul_hi_i32 s23, s14, s2
	s_add_u32 s20, s16, s8
	s_addc_u32 s21, s17, s9
	s_mul_i32 s22, s14, s2
	s_delay_alu instid0(VALU_DEP_1) | instskip(NEXT) | instid1(VALU_DEP_1)
	v_add_f64 v[3:4], v[3:4], v[7:8]
	v_cvt_i32_f64_e32 v5, v[3:4]
	v_mad_i64_i32 v[3:4], null, s14, v14, v[0:1]
	s_delay_alu instid0(VALU_DEP_1) | instskip(NEXT) | instid1(VALU_DEP_3)
	v_lshlrev_b64 v[3:4], 2, v[3:4]
	v_readfirstlane_b32 s10, v5
	s_delay_alu instid0(VALU_DEP_1) | instskip(NEXT) | instid1(SALU_CYCLE_1)
	s_lshl_b32 s8, s10, 7
	s_ashr_i32 s9, s8, 31
	s_delay_alu instid0(SALU_CYCLE_1)
	s_lshl_b64 s[10:11], s[8:9], 2
	s_lshl_b64 s[8:9], s[22:23], 2
	s_add_u32 s16, s24, s10
	s_addc_u32 s17, s25, s11
	s_add_u32 s8, s16, s8
	s_addc_u32 s9, s17, s9
	v_add_co_u32 v3, vcc_lo, s8, v3
	v_add_co_ci_u32_e32 v4, vcc_lo, s9, v4, vcc_lo
	s_lshl_b64 s[8:9], s[14:15], 2
	s_lshl_b64 s[22:23], s[2:3], 2
	s_delay_alu instid0(VALU_DEP_2) | instskip(NEXT) | instid1(VALU_DEP_2)
	v_add_co_u32 v5, vcc_lo, v3, s8
	v_add_co_ci_u32_e32 v6, vcc_lo, s9, v4, vcc_lo
	s_clause 0x1
	global_load_b32 v21, v[3:4], off
	global_load_b32 v22, v[5:6], off
	v_add_co_u32 v7, vcc_lo, v5, s8
	v_add_co_ci_u32_e32 v8, vcc_lo, s9, v6, vcc_lo
	v_add_co_u32 v35, s3, v2, s22
	s_delay_alu instid0(VALU_DEP_3) | instskip(NEXT) | instid1(VALU_DEP_3)
	v_add_co_u32 v15, vcc_lo, v7, s8
	v_add_co_ci_u32_e32 v16, vcc_lo, s9, v8, vcc_lo
	global_load_b32 v23, v[7:8], off
	v_add_co_u32 v17, vcc_lo, v15, s8
	v_add_co_ci_u32_e32 v18, vcc_lo, s9, v16, vcc_lo
	v_add_co_ci_u32_e64 v36, null, 0, s23, s3
	s_delay_alu instid0(VALU_DEP_3) | instskip(NEXT) | instid1(VALU_DEP_3)
	v_add_co_u32 v19, vcc_lo, v17, s8
	v_add_co_ci_u32_e32 v20, vcc_lo, s9, v18, vcc_lo
	v_or_b32_e32 v37, s10, v12
	s_delay_alu instid0(VALU_DEP_3) | instskip(NEXT) | instid1(VALU_DEP_3)
	v_add_co_u32 v3, vcc_lo, v19, s8
	v_add_co_ci_u32_e32 v4, vcc_lo, s9, v20, vcc_lo
	s_delay_alu instid0(VALU_DEP_3) | instskip(NEXT) | instid1(VALU_DEP_3)
	v_or_b32_e32 v38, 0x100, v37
	v_add_co_u32 v5, vcc_lo, v3, s8
	s_delay_alu instid0(VALU_DEP_3)
	v_add_co_ci_u32_e32 v6, vcc_lo, s9, v4, vcc_lo
	global_load_b32 v26, v[15:16], off
	global_load_b32 v27, v[17:18], off
	;; [unrolled: 1-line block ×5, first 2 shown]
	v_add_co_u32 v4, vcc_lo, v35, 4
	v_add_co_ci_u32_e32 v5, vcc_lo, 0, v36, vcc_lo
	v_add_co_u32 v6, vcc_lo, v35, 8
	s_delay_alu instid0(VALU_DEP_3) | instskip(SKIP_1) | instid1(VALU_DEP_4)
	v_mad_u64_u32 v[2:3], null, v4, s14, s[16:17]
	v_mul_lo_u32 v4, v4, s15
	v_mul_lo_u32 v5, v5, s14
	s_delay_alu instid0(VALU_DEP_4)
	v_mul_lo_u32 v8, v6, s15
	v_mul_lo_u32 v39, v37, s13
	s_mul_i32 s3, s11, s12
	v_mov_b32_e32 v41, v1
	v_mov_b32_e32 v40, v1
	s_lshl_b64 s[10:11], s[12:13], 9
	v_add3_u32 v7, v5, v3, v4
	v_add_co_ci_u32_e32 v5, vcc_lo, 0, v36, vcc_lo
	v_add_co_u32 v9, vcc_lo, v35, 12
	v_mad_u64_u32 v[3:4], null, v6, s14, s[16:17]
	v_add_co_ci_u32_e32 v15, vcc_lo, 0, v36, vcc_lo
	s_delay_alu instid0(VALU_DEP_4) | instskip(NEXT) | instid1(VALU_DEP_4)
	v_mul_lo_u32 v17, v5, s14
	v_mad_u64_u32 v[5:6], null, v9, s14, s[16:17]
	s_delay_alu instid0(VALU_DEP_3)
	v_mul_lo_u32 v18, v15, s14
	v_add_co_u32 v15, vcc_lo, 0x200, v2
	v_mul_lo_u32 v9, v9, s15
	v_add_co_ci_u32_e32 v16, vcc_lo, 0, v7, vcc_lo
	v_add3_u32 v2, v17, v4, v8
	v_add_co_u32 v4, vcc_lo, v35, 16
	v_add_co_ci_u32_e32 v8, vcc_lo, 0, v36, vcc_lo
	v_add3_u32 v9, v18, v6, v9
	s_delay_alu instid0(VALU_DEP_3) | instskip(SKIP_1) | instid1(VALU_DEP_4)
	v_mad_u64_u32 v[6:7], null, v4, s14, s[16:17]
	v_mul_lo_u32 v4, v4, s15
	v_mul_lo_u32 v8, v8, s14
	v_add_co_u32 v17, vcc_lo, 0x200, v3
	v_add_co_ci_u32_e32 v18, vcc_lo, 0, v2, vcc_lo
	v_add_co_u32 v19, vcc_lo, 0x200, v5
	v_add_co_ci_u32_e32 v20, vcc_lo, 0, v9, vcc_lo
	v_add_co_u32 v5, vcc_lo, v35, 20
	v_add3_u32 v7, v8, v7, v4
	v_add_co_ci_u32_e32 v4, vcc_lo, 0, v36, vcc_lo
	v_add_co_u32 v9, vcc_lo, v35, 24
	v_add_co_ci_u32_e32 v24, vcc_lo, 0, v36, vcc_lo
	v_mad_u64_u32 v[2:3], null, v5, s14, s[16:17]
	v_mul_lo_u32 v8, v5, s15
	s_delay_alu instid0(VALU_DEP_3)
	v_mul_lo_u32 v32, v24, s14
	v_add_co_u32 v24, vcc_lo, 0x200, v6
	v_mul_lo_u32 v31, v4, s14
	v_mad_u64_u32 v[4:5], null, v9, s14, s[16:17]
	v_mul_lo_u32 v9, v9, s15
	v_add_co_ci_u32_e32 v25, vcc_lo, 0, v7, vcc_lo
	v_add_co_u32 v6, vcc_lo, v35, 28
	v_add_co_ci_u32_e32 v7, vcc_lo, 0, v36, vcc_lo
	v_add3_u32 v3, v31, v3, v8
	v_add3_u32 v5, v32, v5, v9
	s_delay_alu instid0(VALU_DEP_4)
	v_mad_u64_u32 v[8:9], null, v6, s14, s[16:17]
	v_mul_lo_u32 v6, v6, s15
	v_mul_lo_u32 v7, v7, s14
	v_add_co_u32 v31, vcc_lo, 0x200, v2
	v_add_co_ci_u32_e32 v32, vcc_lo, 0, v3, vcc_lo
	v_add_co_u32 v33, vcc_lo, 0x200, v4
	v_add_co_ci_u32_e32 v34, vcc_lo, 0, v5, vcc_lo
	v_add3_u32 v9, v7, v9, v6
	v_mad_u64_u32 v[2:3], null, v35, s14, s[16:17]
	v_mul_lo_u32 v35, v35, s15
	v_mul_lo_u32 v36, v36, s14
	v_mad_u64_u32 v[4:5], null, v37, s12, 0
	v_mul_lo_u32 v37, v38, s13
	v_mad_u64_u32 v[6:7], null, v38, s12, 0
	v_add_co_u32 v42, vcc_lo, 0x200, v8
	v_add_co_ci_u32_e32 v43, vcc_lo, 0, v9, vcc_lo
	v_add3_u32 v3, v36, v3, v35
	v_add3_u32 v5, v5, v39, s3
	;; [unrolled: 1-line block ×3, first 2 shown]
	v_mov_b32_e32 v39, v1
	v_mov_b32_e32 v37, v1
	v_mov_b32_e32 v38, v1
	v_mov_b32_e32 v36, v1
	v_mov_b32_e32 v35, v1
	s_add_i32 s3, s19, -1
	s_mov_b32 s12, 0
	s_waitcnt vmcnt(6)
	v_dual_mov_b32 v44, v21 :: v_dual_mov_b32 v45, v22
	s_waitcnt vmcnt(4)
	v_dual_mov_b32 v46, v23 :: v_dual_mov_b32 v47, v26
	;; [unrolled: 2-line block ×4, first 2 shown]
.LBB214_4:                              ; =>This Inner Loop Header: Depth=1
	v_add_co_u32 v8, vcc_lo, v2, v12
	v_add_co_ci_u32_e32 v9, vcc_lo, 0, v3, vcc_lo
	s_cmp_lg_u32 s3, s12
	s_delay_alu instid0(VALU_DEP_2) | instskip(NEXT) | instid1(VALU_DEP_2)
	v_add_co_u32 v52, vcc_lo, 0x100, v8
	v_add_co_ci_u32_e32 v54, vcc_lo, 0, v9, vcc_lo
	s_delay_alu instid0(VALU_DEP_2) | instskip(NEXT) | instid1(VALU_DEP_2)
	v_add_co_u32 v53, vcc_lo, v52, s8
	v_add_co_ci_u32_e32 v54, vcc_lo, s9, v54, vcc_lo
	;; [unrolled: 3-line block ×7, first 2 shown]
	v_add_co_u32 v65, vcc_lo, s20, v4
	v_add_co_ci_u32_e32 v66, vcc_lo, s21, v5, vcc_lo
	s_delay_alu instid0(VALU_DEP_4) | instskip(NEXT) | instid1(VALU_DEP_4)
	v_add_co_u32 v67, vcc_lo, v63, s8
	v_add_co_ci_u32_e32 v68, vcc_lo, s9, v64, vcc_lo
	s_clause 0x4
	global_load_b32 v52, v[8:9], off offset:256
	global_load_b32 v53, v[53:54], off
	global_load_b32 v54, v[55:56], off
	;; [unrolled: 1-line block ×8, first 2 shown]
	s_cbranch_scc0 .LBB214_6
; %bb.5:                                ;   in Loop: Header=BB214_4 Depth=1
	v_add_co_u32 v45, vcc_lo, v15, v12
	v_add_co_ci_u32_e32 v46, vcc_lo, 0, v16, vcc_lo
	v_add_co_u32 v47, vcc_lo, v17, v12
	v_add_co_ci_u32_e32 v48, vcc_lo, 0, v18, vcc_lo
	global_load_b32 v44, v[8:9], off offset:512
	global_load_b32 v45, v[45:46], off
	global_load_b32 v46, v[47:48], off
	v_add_co_u32 v8, vcc_lo, v19, v12
	v_add_co_ci_u32_e32 v9, vcc_lo, 0, v20, vcc_lo
	v_add_co_u32 v48, vcc_lo, v24, v12
	v_add_co_ci_u32_e32 v49, vcc_lo, 0, v25, vcc_lo
	;; [unrolled: 2-line block ×5, first 2 shown]
	global_load_b32 v47, v[8:9], off
	global_load_b32 v48, v[48:49], off
	;; [unrolled: 1-line block ×5, first 2 shown]
.LBB214_6:                              ;   in Loop: Header=BB214_4 Depth=1
	v_add_co_u32 v8, vcc_lo, s20, v6
	v_add_co_ci_u32_e32 v9, vcc_lo, s21, v7, vcc_lo
	v_add_co_u32 v15, vcc_lo, 0x200, v15
	v_add_co_ci_u32_e32 v16, vcc_lo, 0, v16, vcc_lo
	global_load_b32 v8, v[8:9], off
	v_add_co_u32 v17, vcc_lo, 0x200, v17
	v_add_co_ci_u32_e32 v18, vcc_lo, 0, v18, vcc_lo
	v_add_co_u32 v19, vcc_lo, 0x200, v19
	v_add_co_ci_u32_e32 v20, vcc_lo, 0, v20, vcc_lo
	;; [unrolled: 2-line block ×5, first 2 shown]
	s_waitcnt vmcnt(1)
	v_fmac_f32_e32 v1, v21, v60
	v_fmac_f32_e32 v41, v22, v60
	;; [unrolled: 1-line block ×8, first 2 shown]
	v_add_co_u32 v42, vcc_lo, 0x200, v42
	v_add_co_ci_u32_e32 v43, vcc_lo, 0, v43, vcc_lo
	v_add_co_u32 v2, vcc_lo, 0x200, v2
	s_add_i32 s12, s12, 1
	v_add_co_ci_u32_e32 v3, vcc_lo, 0, v3, vcc_lo
	s_add_u32 s20, s20, s10
	s_addc_u32 s21, s21, s11
	s_cmp_ge_i32 s12, s19
	s_waitcnt vmcnt(0)
	v_fmac_f32_e32 v1, v52, v8
	v_fmac_f32_e32 v41, v53, v8
	;; [unrolled: 1-line block ×8, first 2 shown]
	s_cbranch_scc1 .LBB214_8
; %bb.7:                                ;   in Loop: Header=BB214_4 Depth=1
	v_dual_mov_b32 v21, v44 :: v_dual_mov_b32 v22, v45
	v_dual_mov_b32 v23, v46 :: v_dual_mov_b32 v26, v47
	;; [unrolled: 1-line block ×4, first 2 shown]
	s_branch .LBB214_4
.LBB214_8:
	v_lshlrev_b32_e32 v2, 8, v13
	v_lshl_or_b32 v3, v14, 8, v12
	s_mov_b32 s3, 0
	s_mov_b32 s8, exec_lo
	s_delay_alu instid0(VALU_DEP_2)
	v_or3_b32 v2, v2, v12, 0x700
	ds_store_2addr_stride64_b32 v3, v1, v41 offset1:1
	ds_store_2addr_stride64_b32 v3, v39, v40 offset0:2 offset1:3
	ds_store_2addr_stride64_b32 v3, v37, v38 offset0:4 offset1:5
	ds_store_b32 v3, v36 offset:1536
	ds_store_b32 v2, v35
	s_waitcnt lgkmcnt(0)
	s_barrier
	buffer_gl0_inv
	v_cmpx_eq_u32_e32 0, v11
	s_cbranch_execz .LBB214_11
; %bb.9:
	v_lshlrev_b32_e32 v2, 6, v10
	v_add_nc_u32_e32 v1, 1, v10
	v_add_nc_u32_e32 v5, 4, v10
	;; [unrolled: 1-line block ×4, first 2 shown]
	v_or_b32_e32 v4, v0, v2
	v_add_nc_u32_e32 v0, 2, v10
	v_and_or_b32 v1, v1, 63, v2
	v_add_nc_u32_e32 v9, 7, v10
	v_add_nc_u32_e32 v11, 8, v10
	v_lshlrev_b32_e32 v6, 2, v4
	v_and_or_b32 v0, v0, 63, v2
	v_add_nc_u32_e32 v12, 9, v10
	v_add_nc_u32_e32 v13, 10, v10
	;; [unrolled: 1-line block ×3, first 2 shown]
	ds_load_b32 v6, v6
	v_lshlrev_b32_e32 v1, 2, v1
	v_lshlrev_b32_e32 v0, 2, v0
	v_add_nc_u32_e32 v15, 13, v10
	v_add_nc_u32_e32 v16, 14, v10
	v_add_nc_u32_e32 v17, 15, v10
	ds_load_b32 v1, v1
	ds_load_b32 v0, v0
	s_load_b32 s8, s[0:1], 0x68
	s_lshl_b64 s[0:1], s[6:7], 2
	v_xor_b32_e32 v4, 32, v4
	s_add_u32 s0, s4, s0
	s_addc_u32 s1, s5, s1
	s_delay_alu instid0(VALU_DEP_1) | instskip(SKIP_2) | instid1(VALU_DEP_1)
	v_lshlrev_b32_e32 v4, 2, v4
	s_waitcnt lgkmcnt(0)
	v_add_f32_e32 v6, 0, v6
	v_add_f32_e32 v1, v6, v1
	v_add_nc_u32_e32 v3, 3, v10
	v_and_or_b32 v5, v5, 63, v2
	v_and_or_b32 v7, v7, 63, v2
	;; [unrolled: 1-line block ×3, first 2 shown]
	v_add_f32_e32 v0, v1, v0
	v_and_or_b32 v3, v3, 63, v2
	v_and_or_b32 v9, v9, 63, v2
	v_lshlrev_b32_e32 v5, 2, v5
	v_lshlrev_b32_e32 v7, 2, v7
	;; [unrolled: 1-line block ×5, first 2 shown]
	v_and_or_b32 v1, v11, 63, v2
	ds_load_b32 v3, v3
	ds_load_b32 v5, v5
	;; [unrolled: 1-line block ×5, first 2 shown]
	v_and_or_b32 v12, v12, 63, v2
	v_lshlrev_b32_e32 v1, 2, v1
	v_and_or_b32 v13, v13, 63, v2
	v_add_nc_u32_e32 v6, 12, v10
	v_add_nc_u32_e32 v11, 16, v10
	v_lshlrev_b32_e32 v12, 2, v12
	ds_load_b32 v1, v1
	v_lshlrev_b32_e32 v13, 2, v13
	v_and_or_b32 v6, v6, 63, v2
	s_mul_hi_i32 s5, s8, s2
	s_mul_i32 s4, s8, s2
	s_delay_alu instid0(SALU_CYCLE_1) | instskip(NEXT) | instid1(VALU_DEP_1)
	s_lshl_b64 s[4:5], s[4:5], 2
	v_lshlrev_b32_e32 v6, 2, v6
	s_add_u32 s0, s0, s4
	s_waitcnt lgkmcnt(5)
	v_add_f32_e32 v0, v0, v3
	v_and_or_b32 v3, v14, 63, v2
	v_and_or_b32 v14, v16, 63, v2
	s_addc_u32 s1, s1, s5
	v_add_nc_u32_e32 v16, 22, v10
	s_waitcnt lgkmcnt(4)
	v_add_f32_e32 v0, v0, v5
	v_and_or_b32 v5, v15, 63, v2
	v_lshlrev_b32_e32 v3, 2, v3
	s_waitcnt lgkmcnt(3)
	s_delay_alu instid0(VALU_DEP_3)
	v_dual_add_f32 v0, v0, v7 :: v_dual_add_nc_u32 v15, 20, v10
	ds_load_b32 v7, v12
	s_waitcnt lgkmcnt(3)
	v_dual_add_f32 v0, v0, v8 :: v_dual_lshlrev_b32 v5, 2, v5
	ds_load_b32 v8, v13
	v_and_or_b32 v12, v17, 63, v2
	v_lshlrev_b32_e32 v13, 2, v14
	v_add_nc_u32_e32 v14, 19, v10
	s_waitcnt lgkmcnt(3)
	v_add_f32_e32 v0, v0, v9
	v_lshlrev_b32_e32 v12, 2, v12
	ds_load_b32 v3, v3
	ds_load_b32 v6, v6
	;; [unrolled: 1-line block ×5, first 2 shown]
	s_waitcnt lgkmcnt(7)
	v_dual_add_f32 v0, v0, v1 :: v_dual_add_nc_u32 v13, 18, v10
	s_waitcnt lgkmcnt(6)
	s_delay_alu instid0(VALU_DEP_1) | instskip(NEXT) | instid1(VALU_DEP_1)
	v_dual_add_f32 v0, v0, v7 :: v_dual_add_nc_u32 v1, 17, v10
	v_and_or_b32 v1, v1, 63, v2
	s_waitcnt lgkmcnt(5)
	s_delay_alu instid0(VALU_DEP_2)
	v_dual_add_f32 v0, v0, v8 :: v_dual_add_nc_u32 v7, 21, v10
	v_and_or_b32 v8, v11, 63, v2
	v_and_or_b32 v11, v13, 63, v2
	;; [unrolled: 1-line block ×3, first 2 shown]
	v_lshlrev_b32_e32 v14, 2, v1
	s_waitcnt lgkmcnt(4)
	v_add_f32_e32 v0, v0, v3
	v_and_or_b32 v3, v15, 63, v2
	v_lshlrev_b32_e32 v8, 2, v8
	v_lshlrev_b32_e32 v11, 2, v11
	v_and_or_b32 v7, v7, 63, v2
	s_waitcnt lgkmcnt(3)
	v_add_f32_e32 v6, v0, v6
	v_mad_i64_i32 v[0:1], null, s8, v10, 0
	v_lshlrev_b32_e32 v15, 2, v3
	v_lshlrev_b32_e32 v13, 2, v13
	s_waitcnt lgkmcnt(2)
	v_add_f32_e32 v3, v6, v5
	ds_load_b32 v5, v8
	ds_load_b32 v6, v14
	;; [unrolled: 1-line block ×3, first 2 shown]
	v_lshlrev_b32_e32 v7, 2, v7
	v_lshlrev_b64 v[0:1], 2, v[0:1]
	s_waitcnt lgkmcnt(4)
	v_add_f32_e32 v3, v3, v9
	v_and_or_b32 v9, v16, 63, v2
	s_delay_alu instid0(VALU_DEP_3) | instskip(SKIP_1) | instid1(VALU_DEP_3)
	v_add_co_u32 v0, vcc_lo, s0, v0
	s_waitcnt lgkmcnt(3)
	v_dual_add_f32 v8, v3, v12 :: v_dual_add_nc_u32 v3, 23, v10
	v_add_co_ci_u32_e32 v1, vcc_lo, s1, v1, vcc_lo
	v_lshlrev_b32_e32 v9, 2, v9
	s_delay_alu instid0(VALU_DEP_3)
	v_and_or_b32 v12, v3, 63, v2
	global_load_b32 v3, v[0:1], off
	s_waitcnt lgkmcnt(2)
	v_dual_add_f32 v5, v8, v5 :: v_dual_add_nc_u32 v8, 25, v10
	v_lshlrev_b32_e32 v12, 2, v12
	ds_load_b32 v13, v13
	ds_load_b32 v14, v15
	;; [unrolled: 1-line block ×5, first 2 shown]
	s_waitcnt lgkmcnt(6)
	v_add_f32_e32 v5, v5, v6
	s_waitcnt lgkmcnt(5)
	s_delay_alu instid0(VALU_DEP_1) | instskip(NEXT) | instid1(VALU_DEP_1)
	v_dual_add_f32 v5, v5, v11 :: v_dual_add_nc_u32 v6, 24, v10
	v_and_or_b32 v6, v6, 63, v2
	v_add_nc_u32_e32 v11, 26, v10
	s_waitcnt lgkmcnt(4)
	s_delay_alu instid0(VALU_DEP_2)
	v_dual_add_f32 v5, v5, v13 :: v_dual_lshlrev_b32 v6, 2, v6
	v_add_nc_u32_e32 v13, 27, v10
	ds_load_b32 v6, v6
	s_waitcnt lgkmcnt(4)
	v_add_f32_e32 v5, v5, v14
	s_waitcnt lgkmcnt(3)
	s_delay_alu instid0(VALU_DEP_1)
	v_dual_add_f32 v5, v5, v7 :: v_dual_add_nc_u32 v14, 28, v10
	v_and_or_b32 v7, v8, 63, v2
	v_and_or_b32 v8, v11, 63, v2
	;; [unrolled: 1-line block ×3, first 2 shown]
	v_add_nc_u32_e32 v13, 31, v10
	s_waitcnt lgkmcnt(2)
	v_add_f32_e32 v5, v5, v9
	v_lshlrev_b32_e32 v7, 2, v7
	v_lshlrev_b32_e32 v8, 2, v8
	;; [unrolled: 1-line block ×3, first 2 shown]
	v_add_nc_u32_e32 v11, 29, v10
	s_waitcnt lgkmcnt(1)
	v_add_f32_e32 v5, v5, v12
	ds_load_b32 v7, v7
	ds_load_b32 v8, v8
	v_add_nc_u32_e32 v12, 30, v10
	v_and_or_b32 v14, v14, 63, v2
	v_and_or_b32 v11, v11, 63, v2
	;; [unrolled: 1-line block ×3, first 2 shown]
	s_waitcnt lgkmcnt(2)
	v_add_f32_e32 v5, v5, v6
	v_and_or_b32 v12, v12, 63, v2
	v_lshlrev_b32_e32 v14, 2, v14
	v_lshlrev_b32_e32 v11, 2, v11
	;; [unrolled: 1-line block ×3, first 2 shown]
	v_add_nc_u32_e32 v6, 33, v10
	v_lshlrev_b32_e32 v12, 2, v12
	ds_load_b32 v9, v9
	ds_load_b32 v14, v14
	;; [unrolled: 1-line block ×6, first 2 shown]
	v_and_or_b32 v6, v6, 63, v2
	s_waitcnt lgkmcnt(7)
	v_add_f32_e32 v5, v5, v7
	v_add_nc_u32_e32 v7, 34, v10
	s_waitcnt lgkmcnt(6)
	s_delay_alu instid0(VALU_DEP_2) | instskip(NEXT) | instid1(VALU_DEP_2)
	v_dual_add_f32 v5, v5, v8 :: v_dual_lshlrev_b32 v6, 2, v6
	v_and_or_b32 v7, v7, 63, v2
	v_add_nc_u32_e32 v8, 35, v10
	ds_load_b32 v6, v6
	s_waitcnt lgkmcnt(6)
	v_add_f32_e32 v5, v5, v9
	v_add_nc_u32_e32 v9, 36, v10
	v_lshlrev_b32_e32 v7, 2, v7
	v_and_or_b32 v8, v8, 63, v2
	s_waitcnt lgkmcnt(5)
	v_add_f32_e32 v5, v5, v14
	v_add_nc_u32_e32 v14, 37, v10
	v_and_or_b32 v9, v9, 63, v2
	ds_load_b32 v7, v7
	s_waitcnt lgkmcnt(5)
	v_dual_add_f32 v5, v5, v11 :: v_dual_lshlrev_b32 v8, 2, v8
	v_add_nc_u32_e32 v11, 38, v10
	v_lshlrev_b32_e32 v9, 2, v9
	s_waitcnt lgkmcnt(4)
	s_delay_alu instid0(VALU_DEP_3) | instskip(NEXT) | instid1(VALU_DEP_3)
	v_dual_add_f32 v5, v5, v12 :: v_dual_add_nc_u32 v12, 39, v10
	v_and_or_b32 v11, v11, 63, v2
	s_waitcnt lgkmcnt(3)
	s_delay_alu instid0(VALU_DEP_2)
	v_add_f32_e32 v5, v5, v13
	v_and_or_b32 v13, v14, 63, v2
	v_and_or_b32 v12, v12, 63, v2
	v_lshlrev_b32_e32 v11, 2, v11
	v_add_nc_u32_e32 v14, 45, v10
	s_waitcnt lgkmcnt(2)
	v_dual_add_f32 v4, v5, v4 :: v_dual_lshlrev_b32 v13, 2, v13
	v_lshlrev_b32_e32 v12, 2, v12
	ds_load_b32 v8, v8
	ds_load_b32 v9, v9
	;; [unrolled: 1-line block ×5, first 2 shown]
	s_waitcnt lgkmcnt(6)
	v_add_f32_e32 v4, v4, v6
	v_add_nc_u32_e32 v5, 40, v10
	v_add_nc_u32_e32 v6, 41, v10
	s_waitcnt lgkmcnt(5)
	s_delay_alu instid0(VALU_DEP_3) | instskip(NEXT) | instid1(VALU_DEP_3)
	v_add_f32_e32 v4, v4, v7
	v_and_or_b32 v5, v5, 63, v2
	v_add_nc_u32_e32 v7, 42, v10
	v_and_or_b32 v6, v6, 63, v2
	s_delay_alu instid0(VALU_DEP_3) | instskip(NEXT) | instid1(VALU_DEP_3)
	v_lshlrev_b32_e32 v5, 2, v5
	v_and_or_b32 v7, v7, 63, v2
	s_delay_alu instid0(VALU_DEP_3)
	v_lshlrev_b32_e32 v6, 2, v6
	s_waitcnt lgkmcnt(4)
	v_add_f32_e32 v4, v4, v8
	ds_load_b32 v5, v5
	v_add_nc_u32_e32 v8, 43, v10
	ds_load_b32 v6, v6
	s_waitcnt lgkmcnt(5)
	v_dual_add_f32 v4, v4, v9 :: v_dual_lshlrev_b32 v7, 2, v7
	v_add_nc_u32_e32 v9, 44, v10
	v_and_or_b32 v8, v8, 63, v2
	ds_load_b32 v7, v7
	s_waitcnt lgkmcnt(5)
	v_add_f32_e32 v4, v4, v13
	v_and_or_b32 v9, v9, 63, v2
	v_and_or_b32 v13, v14, 63, v2
	v_lshlrev_b32_e32 v8, 2, v8
	v_add_nc_u32_e32 v14, 53, v10
	s_waitcnt lgkmcnt(4)
	v_dual_add_f32 v4, v4, v11 :: v_dual_add_nc_u32 v11, 46, v10
	v_lshlrev_b32_e32 v9, 2, v9
	s_waitcnt lgkmcnt(3)
	s_delay_alu instid0(VALU_DEP_2) | instskip(SKIP_3) | instid1(VALU_DEP_3)
	v_dual_add_f32 v4, v4, v12 :: v_dual_lshlrev_b32 v13, 2, v13
	v_add_nc_u32_e32 v12, 47, v10
	v_and_or_b32 v11, v11, 63, v2
	s_waitcnt lgkmcnt(2)
	v_add_f32_e32 v4, v4, v5
	s_delay_alu instid0(VALU_DEP_3) | instskip(NEXT) | instid1(VALU_DEP_3)
	v_and_or_b32 v12, v12, 63, v2
	v_lshlrev_b32_e32 v11, 2, v11
	v_add_nc_u32_e32 v5, 48, v10
	s_waitcnt lgkmcnt(1)
	v_add_f32_e32 v4, v4, v6
	v_lshlrev_b32_e32 v12, 2, v12
	ds_load_b32 v8, v8
	ds_load_b32 v9, v9
	;; [unrolled: 1-line block ×5, first 2 shown]
	v_add_nc_u32_e32 v6, 49, v10
	v_and_or_b32 v5, v5, 63, v2
	s_waitcnt lgkmcnt(5)
	v_dual_add_f32 v4, v4, v7 :: v_dual_add_nc_u32 v7, 50, v10
	s_delay_alu instid0(VALU_DEP_3) | instskip(NEXT) | instid1(VALU_DEP_3)
	v_and_or_b32 v6, v6, 63, v2
	v_lshlrev_b32_e32 v5, 2, v5
	s_delay_alu instid0(VALU_DEP_3) | instskip(NEXT) | instid1(VALU_DEP_3)
	v_and_or_b32 v7, v7, 63, v2
	v_lshlrev_b32_e32 v6, 2, v6
	ds_load_b32 v5, v5
	v_lshlrev_b32_e32 v7, 2, v7
	ds_load_b32 v6, v6
	s_waitcnt lgkmcnt(6)
	v_add_f32_e32 v4, v4, v8
	v_add_nc_u32_e32 v8, 51, v10
	ds_load_b32 v7, v7
	s_waitcnt lgkmcnt(6)
	v_dual_add_f32 v4, v4, v9 :: v_dual_add_nc_u32 v9, 52, v10
	v_and_or_b32 v8, v8, 63, v2
	s_waitcnt lgkmcnt(5)
	s_delay_alu instid0(VALU_DEP_2) | instskip(NEXT) | instid1(VALU_DEP_3)
	v_add_f32_e32 v4, v4, v13
	v_and_or_b32 v9, v9, 63, v2
	v_and_or_b32 v13, v14, 63, v2
	v_lshlrev_b32_e32 v8, 2, v8
	v_add_nc_u32_e32 v14, 61, v10
	s_waitcnt lgkmcnt(4)
	v_dual_add_f32 v4, v4, v11 :: v_dual_add_nc_u32 v11, 54, v10
	v_lshlrev_b32_e32 v9, 2, v9
	s_waitcnt lgkmcnt(3)
	s_delay_alu instid0(VALU_DEP_2) | instskip(SKIP_3) | instid1(VALU_DEP_3)
	v_dual_add_f32 v4, v4, v12 :: v_dual_lshlrev_b32 v13, 2, v13
	v_add_nc_u32_e32 v12, 55, v10
	v_and_or_b32 v11, v11, 63, v2
	s_waitcnt lgkmcnt(2)
	v_add_f32_e32 v4, v4, v5
	s_delay_alu instid0(VALU_DEP_3) | instskip(NEXT) | instid1(VALU_DEP_3)
	v_and_or_b32 v12, v12, 63, v2
	v_lshlrev_b32_e32 v11, 2, v11
	v_add_nc_u32_e32 v5, 56, v10
	s_waitcnt lgkmcnt(1)
	v_add_f32_e32 v4, v4, v6
	v_lshlrev_b32_e32 v12, 2, v12
	ds_load_b32 v8, v8
	ds_load_b32 v9, v9
	;; [unrolled: 1-line block ×5, first 2 shown]
	v_add_nc_u32_e32 v6, 57, v10
	v_and_or_b32 v5, v5, 63, v2
	s_waitcnt lgkmcnt(5)
	v_dual_add_f32 v4, v4, v7 :: v_dual_add_nc_u32 v7, 58, v10
	s_delay_alu instid0(VALU_DEP_3) | instskip(NEXT) | instid1(VALU_DEP_3)
	v_and_or_b32 v6, v6, 63, v2
	v_lshlrev_b32_e32 v5, 2, v5
	s_delay_alu instid0(VALU_DEP_3) | instskip(NEXT) | instid1(VALU_DEP_3)
	v_and_or_b32 v7, v7, 63, v2
	v_lshlrev_b32_e32 v6, 2, v6
	ds_load_b32 v5, v5
	v_lshlrev_b32_e32 v7, 2, v7
	ds_load_b32 v6, v6
	s_waitcnt lgkmcnt(6)
	v_add_f32_e32 v4, v4, v8
	v_add_nc_u32_e32 v8, 59, v10
	ds_load_b32 v7, v7
	s_waitcnt lgkmcnt(6)
	v_dual_add_f32 v4, v4, v9 :: v_dual_add_nc_u32 v9, 60, v10
	v_and_or_b32 v8, v8, 63, v2
	s_waitcnt lgkmcnt(5)
	s_delay_alu instid0(VALU_DEP_2) | instskip(NEXT) | instid1(VALU_DEP_3)
	v_add_f32_e32 v4, v4, v13
	v_and_or_b32 v9, v9, 63, v2
	s_delay_alu instid0(VALU_DEP_3) | instskip(SKIP_1) | instid1(VALU_DEP_3)
	v_lshlrev_b32_e32 v8, 2, v8
	s_waitcnt lgkmcnt(4)
	v_dual_add_f32 v4, v4, v11 :: v_dual_add_nc_u32 v11, 62, v10
	v_add_nc_u32_e32 v10, -1, v10
	s_waitcnt lgkmcnt(3)
	s_delay_alu instid0(VALU_DEP_2)
	v_dual_add_f32 v4, v4, v12 :: v_dual_lshlrev_b32 v9, 2, v9
	v_and_or_b32 v12, v14, 63, v2
	v_and_or_b32 v11, v11, 63, v2
	;; [unrolled: 1-line block ×3, first 2 shown]
	s_waitcnt lgkmcnt(2)
	v_add_f32_e32 v4, v4, v5
	v_lshlrev_b32_e32 v10, 2, v12
	v_lshlrev_b32_e32 v11, 2, v11
	;; [unrolled: 1-line block ×3, first 2 shown]
	ds_load_b32 v8, v8
	ds_load_b32 v9, v9
	;; [unrolled: 1-line block ×5, first 2 shown]
	s_waitcnt lgkmcnt(6)
	v_add_f32_e32 v4, v4, v6
	s_waitcnt lgkmcnt(5)
	s_delay_alu instid0(VALU_DEP_1) | instskip(SKIP_1) | instid1(VALU_DEP_1)
	v_add_f32_e32 v4, v4, v7
	s_waitcnt lgkmcnt(4)
	v_add_f32_e32 v4, v4, v8
	s_waitcnt lgkmcnt(3)
	s_delay_alu instid0(VALU_DEP_1) | instskip(SKIP_1) | instid1(VALU_DEP_1)
	v_add_f32_e32 v4, v4, v9
	;; [unrolled: 5-line block ×3, first 2 shown]
	s_waitcnt lgkmcnt(0)
	v_add_f32_e32 v2, v4, v2
	s_delay_alu instid0(VALU_DEP_1)
	v_mul_f32_e32 v4, s18, v2
.LBB214_10:                             ; =>This Inner Loop Header: Depth=1
	s_waitcnt vmcnt(0)
	s_delay_alu instid0(VALU_DEP_1)
	v_add_f32_e32 v2, v3, v4
	global_atomic_cmpswap_b32 v2, v[0:1], v[2:3], off glc
	s_waitcnt vmcnt(0)
	v_cmp_eq_u32_e32 vcc_lo, v2, v3
	v_mov_b32_e32 v3, v2
	s_or_b32 s3, vcc_lo, s3
	s_delay_alu instid0(SALU_CYCLE_1)
	s_and_not1_b32 exec_lo, exec_lo, s3
	s_cbranch_execnz .LBB214_10
.LBB214_11:
	s_endpgm
	.section	.rodata,"a",@progbits
	.p2align	6, 0x0
	.amdhsa_kernel _ZL36rocblas_gemvt_double_buffered_kernelILb0ELi128ELi8ELi8EPKfS1_KPfEviiT4_lPKT3_lilS7_lilPT5_lili
		.amdhsa_group_segment_fixed_size 32768
		.amdhsa_private_segment_fixed_size 0
		.amdhsa_kernarg_size 384
		.amdhsa_user_sgpr_count 13
		.amdhsa_user_sgpr_dispatch_ptr 0
		.amdhsa_user_sgpr_queue_ptr 0
		.amdhsa_user_sgpr_kernarg_segment_ptr 1
		.amdhsa_user_sgpr_dispatch_id 0
		.amdhsa_user_sgpr_private_segment_size 0
		.amdhsa_wavefront_size32 1
		.amdhsa_uses_dynamic_stack 0
		.amdhsa_enable_private_segment 0
		.amdhsa_system_sgpr_workgroup_id_x 1
		.amdhsa_system_sgpr_workgroup_id_y 1
		.amdhsa_system_sgpr_workgroup_id_z 1
		.amdhsa_system_sgpr_workgroup_info 0
		.amdhsa_system_vgpr_workitem_id 1
		.amdhsa_next_free_vgpr 69
		.amdhsa_next_free_sgpr 26
		.amdhsa_reserve_vcc 1
		.amdhsa_float_round_mode_32 0
		.amdhsa_float_round_mode_16_64 0
		.amdhsa_float_denorm_mode_32 3
		.amdhsa_float_denorm_mode_16_64 3
		.amdhsa_dx10_clamp 1
		.amdhsa_ieee_mode 1
		.amdhsa_fp16_overflow 0
		.amdhsa_workgroup_processor_mode 1
		.amdhsa_memory_ordered 1
		.amdhsa_forward_progress 0
		.amdhsa_shared_vgpr_count 0
		.amdhsa_exception_fp_ieee_invalid_op 0
		.amdhsa_exception_fp_denorm_src 0
		.amdhsa_exception_fp_ieee_div_zero 0
		.amdhsa_exception_fp_ieee_overflow 0
		.amdhsa_exception_fp_ieee_underflow 0
		.amdhsa_exception_fp_ieee_inexact 0
		.amdhsa_exception_int_div_zero 0
	.end_amdhsa_kernel
	.section	.text._ZL36rocblas_gemvt_double_buffered_kernelILb0ELi128ELi8ELi8EPKfS1_KPfEviiT4_lPKT3_lilS7_lilPT5_lili,"axG",@progbits,_ZL36rocblas_gemvt_double_buffered_kernelILb0ELi128ELi8ELi8EPKfS1_KPfEviiT4_lPKT3_lilS7_lilPT5_lili,comdat
.Lfunc_end214:
	.size	_ZL36rocblas_gemvt_double_buffered_kernelILb0ELi128ELi8ELi8EPKfS1_KPfEviiT4_lPKT3_lilS7_lilPT5_lili, .Lfunc_end214-_ZL36rocblas_gemvt_double_buffered_kernelILb0ELi128ELi8ELi8EPKfS1_KPfEviiT4_lPKT3_lilS7_lilPT5_lili
                                        ; -- End function
	.section	.AMDGPU.csdata,"",@progbits
; Kernel info:
; codeLenInByte = 4548
; NumSgprs: 28
; NumVgprs: 69
; ScratchSize: 0
; MemoryBound: 0
; FloatMode: 240
; IeeeMode: 1
; LDSByteSize: 32768 bytes/workgroup (compile time only)
; SGPRBlocks: 3
; VGPRBlocks: 8
; NumSGPRsForWavesPerEU: 28
; NumVGPRsForWavesPerEU: 69
; Occupancy: 16
; WaveLimiterHint : 1
; COMPUTE_PGM_RSRC2:SCRATCH_EN: 0
; COMPUTE_PGM_RSRC2:USER_SGPR: 13
; COMPUTE_PGM_RSRC2:TRAP_HANDLER: 0
; COMPUTE_PGM_RSRC2:TGID_X_EN: 1
; COMPUTE_PGM_RSRC2:TGID_Y_EN: 1
; COMPUTE_PGM_RSRC2:TGID_Z_EN: 1
; COMPUTE_PGM_RSRC2:TIDIG_COMP_CNT: 1
	.section	.text._ZL36rocblas_gemvt_double_buffered_kernelILb0ELi128ELi8ELi8EPKffKPfEviiT4_lPKT3_lilS7_lilPT5_lili,"axG",@progbits,_ZL36rocblas_gemvt_double_buffered_kernelILb0ELi128ELi8ELi8EPKffKPfEviiT4_lPKT3_lilS7_lilPT5_lili,comdat
	.globl	_ZL36rocblas_gemvt_double_buffered_kernelILb0ELi128ELi8ELi8EPKffKPfEviiT4_lPKT3_lilS7_lilPT5_lili ; -- Begin function _ZL36rocblas_gemvt_double_buffered_kernelILb0ELi128ELi8ELi8EPKffKPfEviiT4_lPKT3_lilS7_lilPT5_lili
	.p2align	8
	.type	_ZL36rocblas_gemvt_double_buffered_kernelILb0ELi128ELi8ELi8EPKffKPfEviiT4_lPKT3_lilS7_lilPT5_lili,@function
_ZL36rocblas_gemvt_double_buffered_kernelILb0ELi128ELi8ELi8EPKffKPfEviiT4_lPKT3_lilS7_lilPT5_lili: ; @_ZL36rocblas_gemvt_double_buffered_kernelILb0ELi128ELi8ELi8EPKffKPfEviiT4_lPKT3_lilS7_lilPT5_lili
; %bb.0:
	s_load_b32 s20, s[0:1], 0x8
	s_waitcnt lgkmcnt(0)
	v_cmp_eq_f32_e64 s2, s20, 0
	s_delay_alu instid0(VALU_DEP_1)
	s_and_b32 vcc_lo, exec_lo, s2
	s_cbranch_vccnz .LBB215_11
; %bb.1:
	s_clause 0x1
	s_load_b32 s2, s[0:1], 0x84
	s_load_b32 s3, s[0:1], 0x0
	s_mov_b32 s8, s15
	s_waitcnt lgkmcnt(0)
	v_cvt_f32_u32_e32 v1, s2
	s_ashr_i32 s5, s3, 31
	s_sub_i32 s6, 0, s2
	s_lshr_b32 s5, s5, 25
	s_delay_alu instid0(SALU_CYCLE_1) | instskip(SKIP_4) | instid1(VALU_DEP_1)
	s_add_i32 s3, s3, s5
	v_rcp_iflag_f32_e32 v1, v1
	s_ashr_i32 s3, s3, 7
	s_waitcnt_depctr 0xfff
	v_mul_f32_e32 v1, 0x4f7ffffe, v1
	v_cvt_u32_f32_e32 v1, v1
	s_delay_alu instid0(VALU_DEP_1) | instskip(NEXT) | instid1(VALU_DEP_1)
	v_readfirstlane_b32 s4, v1
	s_mul_i32 s6, s6, s4
	s_delay_alu instid0(SALU_CYCLE_1) | instskip(NEXT) | instid1(SALU_CYCLE_1)
	s_mul_hi_u32 s5, s4, s6
	s_add_i32 s4, s4, s5
	s_delay_alu instid0(SALU_CYCLE_1) | instskip(NEXT) | instid1(SALU_CYCLE_1)
	s_mul_hi_u32 s4, s3, s4
	s_mul_i32 s5, s4, s2
	s_add_i32 s6, s4, 1
	s_sub_i32 s5, s3, s5
	s_delay_alu instid0(SALU_CYCLE_1)
	s_sub_i32 s7, s5, s2
	s_cmp_ge_u32 s5, s2
	s_cselect_b32 s4, s6, s4
	s_cselect_b32 s5, s7, s5
	s_add_i32 s6, s4, 1
	s_cmp_ge_u32 s5, s2
	s_cselect_b32 s12, s6, s4
	s_delay_alu instid0(SALU_CYCLE_1) | instskip(NEXT) | instid1(SALU_CYCLE_1)
	s_mul_i32 s2, s12, s2
	s_sub_i32 s15, s3, s2
	s_delay_alu instid0(SALU_CYCLE_1) | instskip(SKIP_1) | instid1(SALU_CYCLE_1)
	s_cmp_lt_u32 s14, s15
	s_cselect_b32 s2, -1, 0
	s_cmp_lg_u32 s2, 0
	s_addc_u32 s21, s12, 0
	s_delay_alu instid0(SALU_CYCLE_1)
	s_cmp_eq_u32 s21, 0
	s_cbranch_scc1 .LBB215_11
; %bb.2:
	s_load_b128 s[4:7], s[0:1], 0x58
	s_mov_b32 s9, 0
	v_dual_mov_b32 v35, 0 :: v_dual_and_b32 v10, 0x3ff, v0
	s_lshl_b64 s[10:11], s[8:9], 3
	v_bfe_u32 v11, v0, 10, 10
	v_dual_mov_b32 v36, 0 :: v_dual_mov_b32 v1, 0
	s_delay_alu instid0(VALU_DEP_3) | instskip(NEXT) | instid1(VALU_DEP_3)
	v_dual_mov_b32 v37, 0 :: v_dual_and_b32 v0, 63, v10
	v_lshl_add_u32 v2, v11, 7, v10
	v_mov_b32_e32 v38, 0
	v_mov_b32_e32 v40, 0
	s_delay_alu instid0(VALU_DEP_4) | instskip(NEXT) | instid1(VALU_DEP_4)
	v_dual_mov_b32 v41, 0 :: v_dual_lshlrev_b32 v12, 2, v0
	v_lshrrev_b32_e32 v13, 3, v2
	s_delay_alu instid0(VALU_DEP_1)
	v_dual_mov_b32 v39, 0 :: v_dual_and_b32 v14, 0x7ff8, v13
	s_waitcnt lgkmcnt(0)
	s_add_u32 s2, s4, s10
	s_addc_u32 s3, s5, s11
	s_load_b64 s[4:5], s[2:3], 0x0
	s_lshl_b32 s2, s13, 7
	s_delay_alu instid0(SALU_CYCLE_1)
	s_ashr_i32 s3, s2, 31
	s_cmp_lt_i32 s21, 1
	s_cbranch_scc1 .LBB215_8
; %bb.3:
	v_cvt_f64_i32_e32 v[3:4], s14
	v_cvt_f64_u32_e32 v[5:6], s15
	s_mul_i32 s12, s12, s14
	s_clause 0x2
	s_load_b32 s14, s[0:1], 0x28
	s_load_b128 s[16:19], s[0:1], 0x18
	s_load_b128 s[24:27], s[0:1], 0x38
	v_cvt_f64_u32_e32 v[7:8], s12
	v_lshrrev_b32_e32 v2, 1, v2
	s_delay_alu instid0(VALU_DEP_1)
	v_dual_mov_b32 v1, 0 :: v_dual_and_b32 v2, 0x1ffe0, v2
	s_waitcnt lgkmcnt(0)
	s_ashr_i32 s15, s14, 31
	s_add_u32 s16, s16, s10
	s_addc_u32 s17, s17, s11
	s_load_b32 s12, s[0:1], 0x48
	s_load_b64 s[16:17], s[16:17], 0x0
	s_add_u32 s10, s24, s10
	s_addc_u32 s11, s25, s11
	s_lshl_b64 s[18:19], s[18:19], 2
	s_load_b64 s[10:11], s[10:11], 0x0
	s_delay_alu instid0(VALU_DEP_4)
	v_min_f64 v[3:4], v[3:4], v[5:6]
	s_waitcnt lgkmcnt(0)
	s_ashr_i32 s13, s12, 31
	s_add_u32 s23, s16, s18
	s_addc_u32 s24, s17, s19
	s_lshl_b64 s[16:17], s[26:27], 2
	s_mul_hi_i32 s19, s14, s2
	s_add_u32 s8, s10, s16
	s_addc_u32 s22, s11, s17
	s_delay_alu instid0(VALU_DEP_1) | instskip(NEXT) | instid1(VALU_DEP_1)
	v_add_f64 v[3:4], v[3:4], v[7:8]
	v_cvt_i32_f64_e32 v5, v[3:4]
	v_mad_i64_i32 v[3:4], null, s14, v14, v[0:1]
	s_delay_alu instid0(VALU_DEP_1) | instskip(NEXT) | instid1(VALU_DEP_3)
	v_lshlrev_b64 v[3:4], 2, v[3:4]
	v_readfirstlane_b32 s18, v5
	s_delay_alu instid0(VALU_DEP_1) | instskip(SKIP_2) | instid1(SALU_CYCLE_1)
	s_lshl_b32 s10, s18, 7
	s_mul_i32 s18, s14, s2
	s_ashr_i32 s11, s10, 31
	s_lshl_b64 s[16:17], s[10:11], 2
	s_lshl_b64 s[10:11], s[18:19], 2
	s_add_u32 s18, s23, s16
	s_addc_u32 s19, s24, s17
	s_add_u32 s10, s18, s10
	s_addc_u32 s11, s19, s11
	v_add_co_u32 v3, vcc_lo, s10, v3
	v_add_co_ci_u32_e32 v4, vcc_lo, s11, v4, vcc_lo
	s_lshl_b64 s[10:11], s[14:15], 2
	s_lshl_b64 s[24:25], s[2:3], 2
	s_delay_alu instid0(VALU_DEP_2) | instskip(NEXT) | instid1(VALU_DEP_2)
	v_add_co_u32 v5, vcc_lo, v3, s10
	v_add_co_ci_u32_e32 v6, vcc_lo, s11, v4, vcc_lo
	s_clause 0x1
	global_load_b32 v21, v[3:4], off
	global_load_b32 v22, v[5:6], off
	v_add_co_u32 v7, vcc_lo, v5, s10
	v_add_co_ci_u32_e32 v8, vcc_lo, s11, v6, vcc_lo
	v_add_co_u32 v35, s3, v2, s24
	s_delay_alu instid0(VALU_DEP_3) | instskip(NEXT) | instid1(VALU_DEP_3)
	v_add_co_u32 v15, vcc_lo, v7, s10
	v_add_co_ci_u32_e32 v16, vcc_lo, s11, v8, vcc_lo
	global_load_b32 v23, v[7:8], off
	v_add_co_u32 v17, vcc_lo, v15, s10
	v_add_co_ci_u32_e32 v18, vcc_lo, s11, v16, vcc_lo
	v_add_co_ci_u32_e64 v36, null, 0, s25, s3
	s_delay_alu instid0(VALU_DEP_3) | instskip(NEXT) | instid1(VALU_DEP_3)
	v_add_co_u32 v19, vcc_lo, v17, s10
	v_add_co_ci_u32_e32 v20, vcc_lo, s11, v18, vcc_lo
	v_or_b32_e32 v37, s16, v12
	s_delay_alu instid0(VALU_DEP_3) | instskip(NEXT) | instid1(VALU_DEP_3)
	v_add_co_u32 v3, vcc_lo, v19, s10
	v_add_co_ci_u32_e32 v4, vcc_lo, s11, v20, vcc_lo
	s_delay_alu instid0(VALU_DEP_3) | instskip(NEXT) | instid1(VALU_DEP_3)
	v_or_b32_e32 v38, 0x100, v37
	v_add_co_u32 v5, vcc_lo, v3, s10
	s_delay_alu instid0(VALU_DEP_3)
	v_add_co_ci_u32_e32 v6, vcc_lo, s11, v4, vcc_lo
	global_load_b32 v26, v[15:16], off
	global_load_b32 v27, v[17:18], off
	;; [unrolled: 1-line block ×5, first 2 shown]
	v_add_co_u32 v4, vcc_lo, v35, 4
	v_add_co_ci_u32_e32 v5, vcc_lo, 0, v36, vcc_lo
	v_add_co_u32 v6, vcc_lo, v35, 8
	s_delay_alu instid0(VALU_DEP_3) | instskip(SKIP_1) | instid1(VALU_DEP_4)
	v_mad_u64_u32 v[2:3], null, v4, s14, s[18:19]
	v_mul_lo_u32 v4, v4, s15
	v_mul_lo_u32 v5, v5, s14
	s_delay_alu instid0(VALU_DEP_4)
	v_mul_lo_u32 v8, v6, s15
	v_mul_lo_u32 v39, v37, s13
	s_mul_i32 s3, s17, s12
	v_mov_b32_e32 v41, v1
	v_mov_b32_e32 v40, v1
	v_add3_u32 v7, v5, v3, v4
	v_add_co_ci_u32_e32 v5, vcc_lo, 0, v36, vcc_lo
	v_add_co_u32 v9, vcc_lo, v35, 12
	v_mad_u64_u32 v[3:4], null, v6, s14, s[18:19]
	v_add_co_ci_u32_e32 v15, vcc_lo, 0, v36, vcc_lo
	s_delay_alu instid0(VALU_DEP_4) | instskip(NEXT) | instid1(VALU_DEP_4)
	v_mul_lo_u32 v17, v5, s14
	v_mad_u64_u32 v[5:6], null, v9, s14, s[18:19]
	s_delay_alu instid0(VALU_DEP_3)
	v_mul_lo_u32 v18, v15, s14
	v_add_co_u32 v15, vcc_lo, 0x200, v2
	v_mul_lo_u32 v9, v9, s15
	v_add_co_ci_u32_e32 v16, vcc_lo, 0, v7, vcc_lo
	v_add3_u32 v2, v17, v4, v8
	v_add_co_u32 v4, vcc_lo, v35, 16
	v_add_co_ci_u32_e32 v8, vcc_lo, 0, v36, vcc_lo
	v_add3_u32 v9, v18, v6, v9
	s_delay_alu instid0(VALU_DEP_3) | instskip(SKIP_1) | instid1(VALU_DEP_4)
	v_mad_u64_u32 v[6:7], null, v4, s14, s[18:19]
	v_mul_lo_u32 v4, v4, s15
	v_mul_lo_u32 v8, v8, s14
	v_add_co_u32 v17, vcc_lo, 0x200, v3
	v_add_co_ci_u32_e32 v18, vcc_lo, 0, v2, vcc_lo
	v_add_co_u32 v19, vcc_lo, 0x200, v5
	v_add_co_ci_u32_e32 v20, vcc_lo, 0, v9, vcc_lo
	v_add_co_u32 v5, vcc_lo, v35, 20
	v_add3_u32 v7, v8, v7, v4
	v_add_co_ci_u32_e32 v4, vcc_lo, 0, v36, vcc_lo
	v_add_co_u32 v9, vcc_lo, v35, 24
	v_add_co_ci_u32_e32 v24, vcc_lo, 0, v36, vcc_lo
	v_mad_u64_u32 v[2:3], null, v5, s14, s[18:19]
	v_mul_lo_u32 v8, v5, s15
	s_delay_alu instid0(VALU_DEP_3)
	v_mul_lo_u32 v32, v24, s14
	v_add_co_u32 v24, vcc_lo, 0x200, v6
	v_mul_lo_u32 v31, v4, s14
	v_mad_u64_u32 v[4:5], null, v9, s14, s[18:19]
	v_mul_lo_u32 v9, v9, s15
	v_add_co_ci_u32_e32 v25, vcc_lo, 0, v7, vcc_lo
	v_add_co_u32 v6, vcc_lo, v35, 28
	v_add_co_ci_u32_e32 v7, vcc_lo, 0, v36, vcc_lo
	v_add3_u32 v3, v31, v3, v8
	v_add3_u32 v5, v32, v5, v9
	s_delay_alu instid0(VALU_DEP_4)
	v_mad_u64_u32 v[8:9], null, v6, s14, s[18:19]
	v_mul_lo_u32 v6, v6, s15
	v_mul_lo_u32 v7, v7, s14
	v_add_co_u32 v31, vcc_lo, 0x200, v2
	v_add_co_ci_u32_e32 v32, vcc_lo, 0, v3, vcc_lo
	v_add_co_u32 v33, vcc_lo, 0x200, v4
	v_add_co_ci_u32_e32 v34, vcc_lo, 0, v5, vcc_lo
	v_add3_u32 v9, v7, v9, v6
	v_mad_u64_u32 v[2:3], null, v35, s14, s[18:19]
	v_mul_lo_u32 v35, v35, s15
	v_mul_lo_u32 v36, v36, s14
	v_mad_u64_u32 v[4:5], null, v37, s12, 0
	v_mul_lo_u32 v37, v38, s13
	v_mad_u64_u32 v[6:7], null, v38, s12, 0
	v_add_co_u32 v42, vcc_lo, 0x200, v8
	v_add_co_ci_u32_e32 v43, vcc_lo, 0, v9, vcc_lo
	v_add3_u32 v3, v36, v3, v35
	v_add3_u32 v5, v5, v39, s3
	;; [unrolled: 1-line block ×3, first 2 shown]
	v_mov_b32_e32 v39, v1
	v_mov_b32_e32 v37, v1
	;; [unrolled: 1-line block ×5, first 2 shown]
	s_add_i32 s3, s21, -1
	s_lshl_b64 s[12:13], s[12:13], 9
	s_waitcnt vmcnt(6)
	v_dual_mov_b32 v44, v21 :: v_dual_mov_b32 v45, v22
	s_waitcnt vmcnt(4)
	v_dual_mov_b32 v46, v23 :: v_dual_mov_b32 v47, v26
	s_waitcnt vmcnt(2)
	v_dual_mov_b32 v48, v27 :: v_dual_mov_b32 v49, v28
	s_waitcnt vmcnt(0)
	v_dual_mov_b32 v50, v29 :: v_dual_mov_b32 v51, v30
.LBB215_4:                              ; =>This Inner Loop Header: Depth=1
	v_add_co_u32 v8, vcc_lo, v2, v12
	v_add_co_ci_u32_e32 v9, vcc_lo, 0, v3, vcc_lo
	s_cmp_lg_u32 s3, s9
	s_delay_alu instid0(VALU_DEP_2) | instskip(NEXT) | instid1(VALU_DEP_2)
	v_add_co_u32 v52, vcc_lo, 0x100, v8
	v_add_co_ci_u32_e32 v54, vcc_lo, 0, v9, vcc_lo
	s_delay_alu instid0(VALU_DEP_2) | instskip(NEXT) | instid1(VALU_DEP_2)
	v_add_co_u32 v53, vcc_lo, v52, s10
	v_add_co_ci_u32_e32 v54, vcc_lo, s11, v54, vcc_lo
	;; [unrolled: 3-line block ×7, first 2 shown]
	v_add_co_u32 v65, vcc_lo, s8, v4
	v_add_co_ci_u32_e32 v66, vcc_lo, s22, v5, vcc_lo
	s_delay_alu instid0(VALU_DEP_4) | instskip(NEXT) | instid1(VALU_DEP_4)
	v_add_co_u32 v67, vcc_lo, v63, s10
	v_add_co_ci_u32_e32 v68, vcc_lo, s11, v64, vcc_lo
	s_clause 0x4
	global_load_b32 v52, v[8:9], off offset:256
	global_load_b32 v53, v[53:54], off
	global_load_b32 v54, v[55:56], off
	;; [unrolled: 1-line block ×8, first 2 shown]
	s_cbranch_scc0 .LBB215_6
; %bb.5:                                ;   in Loop: Header=BB215_4 Depth=1
	v_add_co_u32 v45, vcc_lo, v15, v12
	v_add_co_ci_u32_e32 v46, vcc_lo, 0, v16, vcc_lo
	v_add_co_u32 v47, vcc_lo, v17, v12
	v_add_co_ci_u32_e32 v48, vcc_lo, 0, v18, vcc_lo
	global_load_b32 v44, v[8:9], off offset:512
	global_load_b32 v45, v[45:46], off
	global_load_b32 v46, v[47:48], off
	v_add_co_u32 v8, vcc_lo, v19, v12
	v_add_co_ci_u32_e32 v9, vcc_lo, 0, v20, vcc_lo
	v_add_co_u32 v48, vcc_lo, v24, v12
	v_add_co_ci_u32_e32 v49, vcc_lo, 0, v25, vcc_lo
	;; [unrolled: 2-line block ×5, first 2 shown]
	global_load_b32 v47, v[8:9], off
	global_load_b32 v48, v[48:49], off
	;; [unrolled: 1-line block ×5, first 2 shown]
.LBB215_6:                              ;   in Loop: Header=BB215_4 Depth=1
	v_add_co_u32 v8, vcc_lo, s8, v6
	v_add_co_ci_u32_e32 v9, vcc_lo, s22, v7, vcc_lo
	v_add_co_u32 v15, vcc_lo, 0x200, v15
	v_add_co_ci_u32_e32 v16, vcc_lo, 0, v16, vcc_lo
	global_load_b32 v8, v[8:9], off
	v_add_co_u32 v17, vcc_lo, 0x200, v17
	v_add_co_ci_u32_e32 v18, vcc_lo, 0, v18, vcc_lo
	v_add_co_u32 v19, vcc_lo, 0x200, v19
	v_add_co_ci_u32_e32 v20, vcc_lo, 0, v20, vcc_lo
	v_add_co_u32 v24, vcc_lo, 0x200, v24
	v_add_co_ci_u32_e32 v25, vcc_lo, 0, v25, vcc_lo
	v_add_co_u32 v31, vcc_lo, 0x200, v31
	v_add_co_ci_u32_e32 v32, vcc_lo, 0, v32, vcc_lo
	v_add_co_u32 v33, vcc_lo, 0x200, v33
	v_add_co_ci_u32_e32 v34, vcc_lo, 0, v34, vcc_lo
	s_waitcnt vmcnt(1)
	v_fmac_f32_e32 v1, v21, v60
	v_fmac_f32_e32 v41, v22, v60
	;; [unrolled: 1-line block ×8, first 2 shown]
	v_add_co_u32 v42, vcc_lo, 0x200, v42
	v_add_co_ci_u32_e32 v43, vcc_lo, 0, v43, vcc_lo
	v_add_co_u32 v2, vcc_lo, 0x200, v2
	s_add_i32 s9, s9, 1
	v_add_co_ci_u32_e32 v3, vcc_lo, 0, v3, vcc_lo
	s_add_u32 s8, s8, s12
	s_addc_u32 s22, s22, s13
	s_cmp_ge_i32 s9, s21
	s_waitcnt vmcnt(0)
	v_fmac_f32_e32 v1, v52, v8
	v_fmac_f32_e32 v41, v53, v8
	;; [unrolled: 1-line block ×8, first 2 shown]
	s_cbranch_scc1 .LBB215_8
; %bb.7:                                ;   in Loop: Header=BB215_4 Depth=1
	v_dual_mov_b32 v21, v44 :: v_dual_mov_b32 v22, v45
	v_dual_mov_b32 v23, v46 :: v_dual_mov_b32 v26, v47
	v_dual_mov_b32 v27, v48 :: v_dual_mov_b32 v28, v49
	v_dual_mov_b32 v29, v50 :: v_dual_mov_b32 v30, v51
	s_branch .LBB215_4
.LBB215_8:
	v_lshlrev_b32_e32 v2, 8, v13
	v_lshl_or_b32 v3, v14, 8, v12
	s_mov_b32 s3, 0
	s_mov_b32 s8, exec_lo
	s_delay_alu instid0(VALU_DEP_2)
	v_or3_b32 v2, v2, v12, 0x700
	ds_store_2addr_stride64_b32 v3, v1, v41 offset1:1
	ds_store_2addr_stride64_b32 v3, v39, v40 offset0:2 offset1:3
	ds_store_2addr_stride64_b32 v3, v37, v38 offset0:4 offset1:5
	ds_store_b32 v3, v36 offset:1536
	ds_store_b32 v2, v35
	s_waitcnt lgkmcnt(0)
	s_barrier
	buffer_gl0_inv
	v_cmpx_eq_u32_e32 0, v11
	s_cbranch_execz .LBB215_11
; %bb.9:
	v_lshlrev_b32_e32 v2, 6, v10
	v_add_nc_u32_e32 v1, 1, v10
	v_add_nc_u32_e32 v5, 4, v10
	;; [unrolled: 1-line block ×4, first 2 shown]
	v_or_b32_e32 v4, v0, v2
	v_add_nc_u32_e32 v0, 2, v10
	v_and_or_b32 v1, v1, 63, v2
	v_add_nc_u32_e32 v9, 7, v10
	v_add_nc_u32_e32 v11, 8, v10
	v_lshlrev_b32_e32 v6, 2, v4
	v_and_or_b32 v0, v0, 63, v2
	v_add_nc_u32_e32 v12, 9, v10
	v_add_nc_u32_e32 v13, 10, v10
	;; [unrolled: 1-line block ×3, first 2 shown]
	ds_load_b32 v6, v6
	v_lshlrev_b32_e32 v1, 2, v1
	v_lshlrev_b32_e32 v0, 2, v0
	v_add_nc_u32_e32 v15, 13, v10
	v_add_nc_u32_e32 v16, 14, v10
	;; [unrolled: 1-line block ×3, first 2 shown]
	ds_load_b32 v1, v1
	ds_load_b32 v0, v0
	s_load_b32 s8, s[0:1], 0x68
	s_lshl_b64 s[0:1], s[6:7], 2
	v_xor_b32_e32 v4, 32, v4
	s_add_u32 s0, s4, s0
	s_addc_u32 s1, s5, s1
	s_delay_alu instid0(VALU_DEP_1) | instskip(SKIP_2) | instid1(VALU_DEP_1)
	v_lshlrev_b32_e32 v4, 2, v4
	s_waitcnt lgkmcnt(0)
	v_add_f32_e32 v6, 0, v6
	v_add_f32_e32 v1, v6, v1
	v_add_nc_u32_e32 v3, 3, v10
	v_and_or_b32 v5, v5, 63, v2
	v_and_or_b32 v7, v7, 63, v2
	;; [unrolled: 1-line block ×3, first 2 shown]
	v_add_f32_e32 v0, v1, v0
	v_and_or_b32 v3, v3, 63, v2
	v_and_or_b32 v9, v9, 63, v2
	v_lshlrev_b32_e32 v5, 2, v5
	v_lshlrev_b32_e32 v7, 2, v7
	;; [unrolled: 1-line block ×5, first 2 shown]
	v_and_or_b32 v1, v11, 63, v2
	ds_load_b32 v3, v3
	ds_load_b32 v5, v5
	;; [unrolled: 1-line block ×5, first 2 shown]
	v_and_or_b32 v12, v12, 63, v2
	v_lshlrev_b32_e32 v1, 2, v1
	v_and_or_b32 v13, v13, 63, v2
	v_add_nc_u32_e32 v6, 12, v10
	v_add_nc_u32_e32 v11, 16, v10
	v_lshlrev_b32_e32 v12, 2, v12
	ds_load_b32 v1, v1
	v_lshlrev_b32_e32 v13, 2, v13
	v_and_or_b32 v6, v6, 63, v2
	s_mul_hi_i32 s5, s8, s2
	s_mul_i32 s4, s8, s2
	s_delay_alu instid0(SALU_CYCLE_1) | instskip(NEXT) | instid1(VALU_DEP_1)
	s_lshl_b64 s[4:5], s[4:5], 2
	v_lshlrev_b32_e32 v6, 2, v6
	s_add_u32 s0, s0, s4
	s_waitcnt lgkmcnt(5)
	v_add_f32_e32 v0, v0, v3
	v_and_or_b32 v3, v14, 63, v2
	v_and_or_b32 v14, v16, 63, v2
	s_addc_u32 s1, s1, s5
	v_add_nc_u32_e32 v16, 22, v10
	s_waitcnt lgkmcnt(4)
	v_add_f32_e32 v0, v0, v5
	v_and_or_b32 v5, v15, 63, v2
	v_lshlrev_b32_e32 v3, 2, v3
	s_waitcnt lgkmcnt(3)
	s_delay_alu instid0(VALU_DEP_3)
	v_dual_add_f32 v0, v0, v7 :: v_dual_add_nc_u32 v15, 20, v10
	ds_load_b32 v7, v12
	s_waitcnt lgkmcnt(3)
	v_dual_add_f32 v0, v0, v8 :: v_dual_lshlrev_b32 v5, 2, v5
	ds_load_b32 v8, v13
	v_and_or_b32 v12, v17, 63, v2
	v_lshlrev_b32_e32 v13, 2, v14
	v_add_nc_u32_e32 v14, 19, v10
	s_waitcnt lgkmcnt(3)
	v_add_f32_e32 v0, v0, v9
	v_lshlrev_b32_e32 v12, 2, v12
	ds_load_b32 v3, v3
	ds_load_b32 v6, v6
	;; [unrolled: 1-line block ×5, first 2 shown]
	s_waitcnt lgkmcnt(7)
	v_dual_add_f32 v0, v0, v1 :: v_dual_add_nc_u32 v13, 18, v10
	s_waitcnt lgkmcnt(6)
	s_delay_alu instid0(VALU_DEP_1) | instskip(NEXT) | instid1(VALU_DEP_1)
	v_dual_add_f32 v0, v0, v7 :: v_dual_add_nc_u32 v1, 17, v10
	v_and_or_b32 v1, v1, 63, v2
	s_waitcnt lgkmcnt(5)
	s_delay_alu instid0(VALU_DEP_2)
	v_dual_add_f32 v0, v0, v8 :: v_dual_add_nc_u32 v7, 21, v10
	v_and_or_b32 v8, v11, 63, v2
	v_and_or_b32 v11, v13, 63, v2
	;; [unrolled: 1-line block ×3, first 2 shown]
	v_lshlrev_b32_e32 v14, 2, v1
	s_waitcnt lgkmcnt(4)
	v_add_f32_e32 v0, v0, v3
	v_and_or_b32 v3, v15, 63, v2
	v_lshlrev_b32_e32 v8, 2, v8
	v_lshlrev_b32_e32 v11, 2, v11
	v_and_or_b32 v7, v7, 63, v2
	s_waitcnt lgkmcnt(3)
	v_add_f32_e32 v6, v0, v6
	v_mad_i64_i32 v[0:1], null, s8, v10, 0
	v_lshlrev_b32_e32 v15, 2, v3
	v_lshlrev_b32_e32 v13, 2, v13
	s_waitcnt lgkmcnt(2)
	v_add_f32_e32 v3, v6, v5
	ds_load_b32 v5, v8
	ds_load_b32 v6, v14
	;; [unrolled: 1-line block ×3, first 2 shown]
	v_lshlrev_b32_e32 v7, 2, v7
	v_lshlrev_b64 v[0:1], 2, v[0:1]
	s_waitcnt lgkmcnt(4)
	v_add_f32_e32 v3, v3, v9
	v_and_or_b32 v9, v16, 63, v2
	s_delay_alu instid0(VALU_DEP_3) | instskip(SKIP_1) | instid1(VALU_DEP_3)
	v_add_co_u32 v0, vcc_lo, s0, v0
	s_waitcnt lgkmcnt(3)
	v_dual_add_f32 v8, v3, v12 :: v_dual_add_nc_u32 v3, 23, v10
	v_add_co_ci_u32_e32 v1, vcc_lo, s1, v1, vcc_lo
	v_lshlrev_b32_e32 v9, 2, v9
	s_delay_alu instid0(VALU_DEP_3)
	v_and_or_b32 v12, v3, 63, v2
	global_load_b32 v3, v[0:1], off
	s_waitcnt lgkmcnt(2)
	v_dual_add_f32 v5, v8, v5 :: v_dual_add_nc_u32 v8, 25, v10
	v_lshlrev_b32_e32 v12, 2, v12
	ds_load_b32 v13, v13
	ds_load_b32 v14, v15
	ds_load_b32 v7, v7
	ds_load_b32 v9, v9
	ds_load_b32 v12, v12
	s_waitcnt lgkmcnt(6)
	v_add_f32_e32 v5, v5, v6
	s_waitcnt lgkmcnt(5)
	s_delay_alu instid0(VALU_DEP_1) | instskip(NEXT) | instid1(VALU_DEP_1)
	v_dual_add_f32 v5, v5, v11 :: v_dual_add_nc_u32 v6, 24, v10
	v_and_or_b32 v6, v6, 63, v2
	v_add_nc_u32_e32 v11, 26, v10
	s_waitcnt lgkmcnt(4)
	s_delay_alu instid0(VALU_DEP_2)
	v_dual_add_f32 v5, v5, v13 :: v_dual_lshlrev_b32 v6, 2, v6
	v_add_nc_u32_e32 v13, 27, v10
	ds_load_b32 v6, v6
	s_waitcnt lgkmcnt(4)
	v_add_f32_e32 v5, v5, v14
	s_waitcnt lgkmcnt(3)
	s_delay_alu instid0(VALU_DEP_1)
	v_dual_add_f32 v5, v5, v7 :: v_dual_add_nc_u32 v14, 28, v10
	v_and_or_b32 v7, v8, 63, v2
	v_and_or_b32 v8, v11, 63, v2
	;; [unrolled: 1-line block ×3, first 2 shown]
	v_add_nc_u32_e32 v13, 31, v10
	s_waitcnt lgkmcnt(2)
	v_add_f32_e32 v5, v5, v9
	v_lshlrev_b32_e32 v7, 2, v7
	v_lshlrev_b32_e32 v8, 2, v8
	;; [unrolled: 1-line block ×3, first 2 shown]
	v_add_nc_u32_e32 v11, 29, v10
	s_waitcnt lgkmcnt(1)
	v_add_f32_e32 v5, v5, v12
	ds_load_b32 v7, v7
	ds_load_b32 v8, v8
	v_add_nc_u32_e32 v12, 30, v10
	v_and_or_b32 v14, v14, 63, v2
	v_and_or_b32 v11, v11, 63, v2
	;; [unrolled: 1-line block ×3, first 2 shown]
	s_waitcnt lgkmcnt(2)
	v_add_f32_e32 v5, v5, v6
	v_and_or_b32 v12, v12, 63, v2
	v_lshlrev_b32_e32 v14, 2, v14
	v_lshlrev_b32_e32 v11, 2, v11
	;; [unrolled: 1-line block ×3, first 2 shown]
	v_add_nc_u32_e32 v6, 33, v10
	v_lshlrev_b32_e32 v12, 2, v12
	ds_load_b32 v9, v9
	ds_load_b32 v14, v14
	;; [unrolled: 1-line block ×6, first 2 shown]
	v_and_or_b32 v6, v6, 63, v2
	s_waitcnt lgkmcnt(7)
	v_add_f32_e32 v5, v5, v7
	v_add_nc_u32_e32 v7, 34, v10
	s_waitcnt lgkmcnt(6)
	s_delay_alu instid0(VALU_DEP_2) | instskip(NEXT) | instid1(VALU_DEP_2)
	v_dual_add_f32 v5, v5, v8 :: v_dual_lshlrev_b32 v6, 2, v6
	v_and_or_b32 v7, v7, 63, v2
	v_add_nc_u32_e32 v8, 35, v10
	ds_load_b32 v6, v6
	s_waitcnt lgkmcnt(6)
	v_add_f32_e32 v5, v5, v9
	v_add_nc_u32_e32 v9, 36, v10
	v_lshlrev_b32_e32 v7, 2, v7
	v_and_or_b32 v8, v8, 63, v2
	s_waitcnt lgkmcnt(5)
	v_add_f32_e32 v5, v5, v14
	v_add_nc_u32_e32 v14, 37, v10
	v_and_or_b32 v9, v9, 63, v2
	ds_load_b32 v7, v7
	s_waitcnt lgkmcnt(5)
	v_dual_add_f32 v5, v5, v11 :: v_dual_lshlrev_b32 v8, 2, v8
	v_add_nc_u32_e32 v11, 38, v10
	v_lshlrev_b32_e32 v9, 2, v9
	s_waitcnt lgkmcnt(4)
	s_delay_alu instid0(VALU_DEP_3) | instskip(NEXT) | instid1(VALU_DEP_3)
	v_dual_add_f32 v5, v5, v12 :: v_dual_add_nc_u32 v12, 39, v10
	v_and_or_b32 v11, v11, 63, v2
	s_waitcnt lgkmcnt(3)
	s_delay_alu instid0(VALU_DEP_2)
	v_add_f32_e32 v5, v5, v13
	v_and_or_b32 v13, v14, 63, v2
	v_and_or_b32 v12, v12, 63, v2
	v_lshlrev_b32_e32 v11, 2, v11
	v_add_nc_u32_e32 v14, 45, v10
	s_waitcnt lgkmcnt(2)
	v_dual_add_f32 v4, v5, v4 :: v_dual_lshlrev_b32 v13, 2, v13
	v_lshlrev_b32_e32 v12, 2, v12
	ds_load_b32 v8, v8
	ds_load_b32 v9, v9
	;; [unrolled: 1-line block ×5, first 2 shown]
	s_waitcnt lgkmcnt(6)
	v_add_f32_e32 v4, v4, v6
	v_add_nc_u32_e32 v5, 40, v10
	v_add_nc_u32_e32 v6, 41, v10
	s_waitcnt lgkmcnt(5)
	s_delay_alu instid0(VALU_DEP_3) | instskip(NEXT) | instid1(VALU_DEP_3)
	v_add_f32_e32 v4, v4, v7
	v_and_or_b32 v5, v5, 63, v2
	v_add_nc_u32_e32 v7, 42, v10
	v_and_or_b32 v6, v6, 63, v2
	s_delay_alu instid0(VALU_DEP_3) | instskip(NEXT) | instid1(VALU_DEP_3)
	v_lshlrev_b32_e32 v5, 2, v5
	v_and_or_b32 v7, v7, 63, v2
	s_delay_alu instid0(VALU_DEP_3)
	v_lshlrev_b32_e32 v6, 2, v6
	s_waitcnt lgkmcnt(4)
	v_add_f32_e32 v4, v4, v8
	ds_load_b32 v5, v5
	v_add_nc_u32_e32 v8, 43, v10
	ds_load_b32 v6, v6
	s_waitcnt lgkmcnt(5)
	v_dual_add_f32 v4, v4, v9 :: v_dual_lshlrev_b32 v7, 2, v7
	v_add_nc_u32_e32 v9, 44, v10
	v_and_or_b32 v8, v8, 63, v2
	ds_load_b32 v7, v7
	s_waitcnt lgkmcnt(5)
	v_add_f32_e32 v4, v4, v13
	v_and_or_b32 v9, v9, 63, v2
	v_and_or_b32 v13, v14, 63, v2
	v_lshlrev_b32_e32 v8, 2, v8
	v_add_nc_u32_e32 v14, 53, v10
	s_waitcnt lgkmcnt(4)
	v_dual_add_f32 v4, v4, v11 :: v_dual_add_nc_u32 v11, 46, v10
	v_lshlrev_b32_e32 v9, 2, v9
	s_waitcnt lgkmcnt(3)
	s_delay_alu instid0(VALU_DEP_2) | instskip(SKIP_3) | instid1(VALU_DEP_3)
	v_dual_add_f32 v4, v4, v12 :: v_dual_lshlrev_b32 v13, 2, v13
	v_add_nc_u32_e32 v12, 47, v10
	v_and_or_b32 v11, v11, 63, v2
	s_waitcnt lgkmcnt(2)
	v_add_f32_e32 v4, v4, v5
	s_delay_alu instid0(VALU_DEP_3) | instskip(NEXT) | instid1(VALU_DEP_3)
	v_and_or_b32 v12, v12, 63, v2
	v_lshlrev_b32_e32 v11, 2, v11
	v_add_nc_u32_e32 v5, 48, v10
	s_waitcnt lgkmcnt(1)
	v_add_f32_e32 v4, v4, v6
	v_lshlrev_b32_e32 v12, 2, v12
	ds_load_b32 v8, v8
	ds_load_b32 v9, v9
	;; [unrolled: 1-line block ×5, first 2 shown]
	v_add_nc_u32_e32 v6, 49, v10
	v_and_or_b32 v5, v5, 63, v2
	s_waitcnt lgkmcnt(5)
	v_dual_add_f32 v4, v4, v7 :: v_dual_add_nc_u32 v7, 50, v10
	s_delay_alu instid0(VALU_DEP_3) | instskip(NEXT) | instid1(VALU_DEP_3)
	v_and_or_b32 v6, v6, 63, v2
	v_lshlrev_b32_e32 v5, 2, v5
	s_delay_alu instid0(VALU_DEP_3) | instskip(NEXT) | instid1(VALU_DEP_3)
	v_and_or_b32 v7, v7, 63, v2
	v_lshlrev_b32_e32 v6, 2, v6
	ds_load_b32 v5, v5
	v_lshlrev_b32_e32 v7, 2, v7
	ds_load_b32 v6, v6
	s_waitcnt lgkmcnt(6)
	v_add_f32_e32 v4, v4, v8
	v_add_nc_u32_e32 v8, 51, v10
	ds_load_b32 v7, v7
	s_waitcnt lgkmcnt(6)
	v_dual_add_f32 v4, v4, v9 :: v_dual_add_nc_u32 v9, 52, v10
	v_and_or_b32 v8, v8, 63, v2
	s_waitcnt lgkmcnt(5)
	s_delay_alu instid0(VALU_DEP_2) | instskip(NEXT) | instid1(VALU_DEP_3)
	v_add_f32_e32 v4, v4, v13
	v_and_or_b32 v9, v9, 63, v2
	v_and_or_b32 v13, v14, 63, v2
	v_lshlrev_b32_e32 v8, 2, v8
	v_add_nc_u32_e32 v14, 61, v10
	s_waitcnt lgkmcnt(4)
	v_dual_add_f32 v4, v4, v11 :: v_dual_add_nc_u32 v11, 54, v10
	v_lshlrev_b32_e32 v9, 2, v9
	s_waitcnt lgkmcnt(3)
	s_delay_alu instid0(VALU_DEP_2) | instskip(SKIP_3) | instid1(VALU_DEP_3)
	v_dual_add_f32 v4, v4, v12 :: v_dual_lshlrev_b32 v13, 2, v13
	v_add_nc_u32_e32 v12, 55, v10
	v_and_or_b32 v11, v11, 63, v2
	s_waitcnt lgkmcnt(2)
	v_add_f32_e32 v4, v4, v5
	s_delay_alu instid0(VALU_DEP_3) | instskip(NEXT) | instid1(VALU_DEP_3)
	v_and_or_b32 v12, v12, 63, v2
	v_lshlrev_b32_e32 v11, 2, v11
	v_add_nc_u32_e32 v5, 56, v10
	s_waitcnt lgkmcnt(1)
	v_add_f32_e32 v4, v4, v6
	v_lshlrev_b32_e32 v12, 2, v12
	ds_load_b32 v8, v8
	ds_load_b32 v9, v9
	;; [unrolled: 1-line block ×5, first 2 shown]
	v_add_nc_u32_e32 v6, 57, v10
	v_and_or_b32 v5, v5, 63, v2
	s_waitcnt lgkmcnt(5)
	v_dual_add_f32 v4, v4, v7 :: v_dual_add_nc_u32 v7, 58, v10
	s_delay_alu instid0(VALU_DEP_3) | instskip(NEXT) | instid1(VALU_DEP_3)
	v_and_or_b32 v6, v6, 63, v2
	v_lshlrev_b32_e32 v5, 2, v5
	s_delay_alu instid0(VALU_DEP_3) | instskip(NEXT) | instid1(VALU_DEP_3)
	v_and_or_b32 v7, v7, 63, v2
	v_lshlrev_b32_e32 v6, 2, v6
	ds_load_b32 v5, v5
	v_lshlrev_b32_e32 v7, 2, v7
	ds_load_b32 v6, v6
	s_waitcnt lgkmcnt(6)
	v_add_f32_e32 v4, v4, v8
	v_add_nc_u32_e32 v8, 59, v10
	ds_load_b32 v7, v7
	s_waitcnt lgkmcnt(6)
	v_dual_add_f32 v4, v4, v9 :: v_dual_add_nc_u32 v9, 60, v10
	v_and_or_b32 v8, v8, 63, v2
	s_waitcnt lgkmcnt(5)
	s_delay_alu instid0(VALU_DEP_2) | instskip(NEXT) | instid1(VALU_DEP_3)
	v_add_f32_e32 v4, v4, v13
	v_and_or_b32 v9, v9, 63, v2
	s_delay_alu instid0(VALU_DEP_3) | instskip(SKIP_1) | instid1(VALU_DEP_3)
	v_lshlrev_b32_e32 v8, 2, v8
	s_waitcnt lgkmcnt(4)
	v_dual_add_f32 v4, v4, v11 :: v_dual_add_nc_u32 v11, 62, v10
	v_add_nc_u32_e32 v10, -1, v10
	s_waitcnt lgkmcnt(3)
	s_delay_alu instid0(VALU_DEP_2)
	v_dual_add_f32 v4, v4, v12 :: v_dual_lshlrev_b32 v9, 2, v9
	v_and_or_b32 v12, v14, 63, v2
	v_and_or_b32 v11, v11, 63, v2
	;; [unrolled: 1-line block ×3, first 2 shown]
	s_waitcnt lgkmcnt(2)
	v_add_f32_e32 v4, v4, v5
	v_lshlrev_b32_e32 v10, 2, v12
	v_lshlrev_b32_e32 v11, 2, v11
	;; [unrolled: 1-line block ×3, first 2 shown]
	ds_load_b32 v8, v8
	ds_load_b32 v9, v9
	;; [unrolled: 1-line block ×5, first 2 shown]
	s_waitcnt lgkmcnt(6)
	v_add_f32_e32 v4, v4, v6
	s_waitcnt lgkmcnt(5)
	s_delay_alu instid0(VALU_DEP_1) | instskip(SKIP_1) | instid1(VALU_DEP_1)
	v_add_f32_e32 v4, v4, v7
	s_waitcnt lgkmcnt(4)
	v_add_f32_e32 v4, v4, v8
	s_waitcnt lgkmcnt(3)
	s_delay_alu instid0(VALU_DEP_1) | instskip(SKIP_1) | instid1(VALU_DEP_1)
	v_add_f32_e32 v4, v4, v9
	;; [unrolled: 5-line block ×3, first 2 shown]
	s_waitcnt lgkmcnt(0)
	v_add_f32_e32 v2, v4, v2
	s_delay_alu instid0(VALU_DEP_1)
	v_mul_f32_e32 v4, s20, v2
.LBB215_10:                             ; =>This Inner Loop Header: Depth=1
	s_waitcnt vmcnt(0)
	s_delay_alu instid0(VALU_DEP_1)
	v_add_f32_e32 v2, v3, v4
	global_atomic_cmpswap_b32 v2, v[0:1], v[2:3], off glc
	s_waitcnt vmcnt(0)
	v_cmp_eq_u32_e32 vcc_lo, v2, v3
	v_mov_b32_e32 v3, v2
	s_or_b32 s3, vcc_lo, s3
	s_delay_alu instid0(SALU_CYCLE_1)
	s_and_not1_b32 exec_lo, exec_lo, s3
	s_cbranch_execnz .LBB215_10
.LBB215_11:
	s_endpgm
	.section	.rodata,"a",@progbits
	.p2align	6, 0x0
	.amdhsa_kernel _ZL36rocblas_gemvt_double_buffered_kernelILb0ELi128ELi8ELi8EPKffKPfEviiT4_lPKT3_lilS7_lilPT5_lili
		.amdhsa_group_segment_fixed_size 32768
		.amdhsa_private_segment_fixed_size 0
		.amdhsa_kernarg_size 384
		.amdhsa_user_sgpr_count 13
		.amdhsa_user_sgpr_dispatch_ptr 0
		.amdhsa_user_sgpr_queue_ptr 0
		.amdhsa_user_sgpr_kernarg_segment_ptr 1
		.amdhsa_user_sgpr_dispatch_id 0
		.amdhsa_user_sgpr_private_segment_size 0
		.amdhsa_wavefront_size32 1
		.amdhsa_uses_dynamic_stack 0
		.amdhsa_enable_private_segment 0
		.amdhsa_system_sgpr_workgroup_id_x 1
		.amdhsa_system_sgpr_workgroup_id_y 1
		.amdhsa_system_sgpr_workgroup_id_z 1
		.amdhsa_system_sgpr_workgroup_info 0
		.amdhsa_system_vgpr_workitem_id 1
		.amdhsa_next_free_vgpr 69
		.amdhsa_next_free_sgpr 28
		.amdhsa_reserve_vcc 1
		.amdhsa_float_round_mode_32 0
		.amdhsa_float_round_mode_16_64 0
		.amdhsa_float_denorm_mode_32 3
		.amdhsa_float_denorm_mode_16_64 3
		.amdhsa_dx10_clamp 1
		.amdhsa_ieee_mode 1
		.amdhsa_fp16_overflow 0
		.amdhsa_workgroup_processor_mode 1
		.amdhsa_memory_ordered 1
		.amdhsa_forward_progress 0
		.amdhsa_shared_vgpr_count 0
		.amdhsa_exception_fp_ieee_invalid_op 0
		.amdhsa_exception_fp_denorm_src 0
		.amdhsa_exception_fp_ieee_div_zero 0
		.amdhsa_exception_fp_ieee_overflow 0
		.amdhsa_exception_fp_ieee_underflow 0
		.amdhsa_exception_fp_ieee_inexact 0
		.amdhsa_exception_int_div_zero 0
	.end_amdhsa_kernel
	.section	.text._ZL36rocblas_gemvt_double_buffered_kernelILb0ELi128ELi8ELi8EPKffKPfEviiT4_lPKT3_lilS7_lilPT5_lili,"axG",@progbits,_ZL36rocblas_gemvt_double_buffered_kernelILb0ELi128ELi8ELi8EPKffKPfEviiT4_lPKT3_lilS7_lilPT5_lili,comdat
.Lfunc_end215:
	.size	_ZL36rocblas_gemvt_double_buffered_kernelILb0ELi128ELi8ELi8EPKffKPfEviiT4_lPKT3_lilS7_lilPT5_lili, .Lfunc_end215-_ZL36rocblas_gemvt_double_buffered_kernelILb0ELi128ELi8ELi8EPKffKPfEviiT4_lPKT3_lilS7_lilPT5_lili
                                        ; -- End function
	.section	.AMDGPU.csdata,"",@progbits
; Kernel info:
; codeLenInByte = 4504
; NumSgprs: 30
; NumVgprs: 69
; ScratchSize: 0
; MemoryBound: 0
; FloatMode: 240
; IeeeMode: 1
; LDSByteSize: 32768 bytes/workgroup (compile time only)
; SGPRBlocks: 3
; VGPRBlocks: 8
; NumSGPRsForWavesPerEU: 30
; NumVGPRsForWavesPerEU: 69
; Occupancy: 16
; WaveLimiterHint : 1
; COMPUTE_PGM_RSRC2:SCRATCH_EN: 0
; COMPUTE_PGM_RSRC2:USER_SGPR: 13
; COMPUTE_PGM_RSRC2:TRAP_HANDLER: 0
; COMPUTE_PGM_RSRC2:TGID_X_EN: 1
; COMPUTE_PGM_RSRC2:TGID_Y_EN: 1
; COMPUTE_PGM_RSRC2:TGID_Z_EN: 1
; COMPUTE_PGM_RSRC2:TIDIG_COMP_CNT: 1
	.section	.text._ZL32rocblas_gemvt_warp_reduce_kernelILb0ELi256EiPKfS1_KPfEviiT3_lPKT2_lT1_lS7_lS8_lS4_lPT4_lS8_li,"axG",@progbits,_ZL32rocblas_gemvt_warp_reduce_kernelILb0ELi256EiPKfS1_KPfEviiT3_lPKT2_lT1_lS7_lS8_lS4_lPT4_lS8_li,comdat
	.globl	_ZL32rocblas_gemvt_warp_reduce_kernelILb0ELi256EiPKfS1_KPfEviiT3_lPKT2_lT1_lS7_lS8_lS4_lPT4_lS8_li ; -- Begin function _ZL32rocblas_gemvt_warp_reduce_kernelILb0ELi256EiPKfS1_KPfEviiT3_lPKT2_lT1_lS7_lS8_lS4_lPT4_lS8_li
	.p2align	8
	.type	_ZL32rocblas_gemvt_warp_reduce_kernelILb0ELi256EiPKfS1_KPfEviiT3_lPKT2_lT1_lS7_lS8_lS4_lPT4_lS8_li,@function
_ZL32rocblas_gemvt_warp_reduce_kernelILb0ELi256EiPKfS1_KPfEviiT3_lPKT2_lT1_lS7_lS8_lS4_lPT4_lS8_li: ; @_ZL32rocblas_gemvt_warp_reduce_kernelILb0ELi256EiPKfS1_KPfEviiT3_lPKT2_lT1_lS7_lS8_lS4_lPT4_lS8_li
; %bb.0:
	s_clause 0x1
	s_load_b256 s[16:23], s[0:1], 0x8
	s_load_b256 s[4:11], s[0:1], 0x58
	s_mov_b32 s2, s15
	s_waitcnt lgkmcnt(0)
	s_mul_i32 s3, s15, s19
	s_mul_hi_u32 s13, s15, s18
	s_mul_i32 s12, s15, s18
	s_add_i32 s13, s13, s3
	s_mul_i32 s3, s15, s7
	s_lshl_b64 s[12:13], s[12:13], 2
	s_mul_hi_u32 s7, s15, s6
	s_add_u32 s12, s16, s12
	s_addc_u32 s13, s17, s13
	s_add_i32 s7, s7, s3
	s_mul_i32 s6, s15, s6
	s_delay_alu instid0(SALU_CYCLE_1) | instskip(NEXT) | instid1(SALU_CYCLE_1)
	s_lshl_b64 s[6:7], s[6:7], 2
	s_add_u32 s4, s4, s6
	s_addc_u32 s5, s5, s7
	s_load_b32 s13, s[12:13], 0x0
	s_load_b32 s12, s[4:5], 0x0
	s_waitcnt lgkmcnt(0)
	v_cmp_eq_f32_e64 s15, s13, 0
	v_cmp_eq_f32_e64 s3, s12, 1.0
	s_delay_alu instid0(VALU_DEP_1) | instskip(NEXT) | instid1(SALU_CYCLE_1)
	s_and_b32 s3, s15, s3
	s_and_b32 vcc_lo, exec_lo, s3
	s_mov_b32 s3, 0
	s_cbranch_vccnz .LBB216_33
; %bb.1:
	v_cmp_neq_f32_e64 s16, s13, 0
	s_mov_b64 s[4:5], 0
	s_and_b32 vcc_lo, exec_lo, s15
	s_mov_b64 s[6:7], 0
	s_cbranch_vccnz .LBB216_3
; %bb.2:
	s_lshl_b64 s[6:7], s[2:3], 3
	s_delay_alu instid0(SALU_CYCLE_1)
	s_add_u32 s6, s20, s6
	s_addc_u32 s7, s21, s7
	s_lshl_b64 s[18:19], s[22:23], 2
	s_load_b64 s[6:7], s[6:7], 0x0
	s_waitcnt lgkmcnt(0)
	s_add_u32 s6, s6, s18
	s_addc_u32 s7, s7, s19
.LBB216_3:
	s_and_not1_b32 vcc_lo, exec_lo, s16
	s_cbranch_vccnz .LBB216_5
; %bb.4:
	s_load_b128 s[16:19], s[0:1], 0x38
	s_lshl_b64 s[4:5], s[2:3], 3
	s_waitcnt lgkmcnt(0)
	s_add_u32 s4, s16, s4
	s_addc_u32 s5, s17, s5
	s_lshl_b64 s[16:17], s[18:19], 2
	s_load_b64 s[4:5], s[4:5], 0x0
	s_waitcnt lgkmcnt(0)
	s_add_u32 s4, s4, s16
	s_addc_u32 s5, s5, s17
.LBB216_5:
	s_lshl_b64 s[2:3], s[2:3], 3
	s_delay_alu instid0(SALU_CYCLE_1)
	s_add_u32 s2, s8, s2
	s_addc_u32 s3, s9, s3
	s_lshl_b64 s[10:11], s[10:11], 2
	s_load_b64 s[8:9], s[2:3], 0x0
	s_load_b32 s16, s[0:1], 0x78
	v_cmp_eq_u32_e64 s2, 0, v0
	s_waitcnt lgkmcnt(0)
	s_add_u32 s10, s8, s10
	s_addc_u32 s11, s9, s11
	s_and_not1_b32 vcc_lo, exec_lo, s15
	s_cbranch_vccnz .LBB216_10
; %bb.6:
	s_mov_b32 s3, 0
	s_mov_b32 s15, 0
                                        ; implicit-def: $vgpr1
                                        ; implicit-def: $sgpr8_sgpr9
	s_and_saveexec_b32 s17, s2
	s_cbranch_execz .LBB216_11
; %bb.7:
	v_cmp_eq_f32_e64 s2, s12, 0
	v_mov_b32_e32 v1, 0
	s_mul_i32 s8, s14, s16
	s_delay_alu instid0(SALU_CYCLE_1) | instskip(NEXT) | instid1(VALU_DEP_2)
	s_ashr_i32 s9, s8, 31
	s_and_b32 vcc_lo, exec_lo, s2
	s_cbranch_vccnz .LBB216_9
; %bb.8:
	s_lshl_b64 s[18:19], s[8:9], 2
	s_delay_alu instid0(SALU_CYCLE_1)
	s_add_u32 s18, s10, s18
	s_addc_u32 s19, s11, s19
	s_load_b32 s2, s[18:19], 0x0
	s_waitcnt lgkmcnt(0)
	v_mul_f32_e64 v1, s12, s2
.LBB216_9:
	s_mov_b32 s15, exec_lo
	s_or_b32 exec_lo, exec_lo, s17
	s_delay_alu instid0(SALU_CYCLE_1)
	s_and_b32 vcc_lo, exec_lo, s3
	s_cbranch_vccnz .LBB216_12
	s_branch .LBB216_31
.LBB216_10:
	s_mov_b32 s15, 0
                                        ; implicit-def: $vgpr1
                                        ; implicit-def: $sgpr8_sgpr9
	s_cbranch_execnz .LBB216_12
	s_branch .LBB216_31
.LBB216_11:
	s_or_b32 exec_lo, exec_lo, s17
	s_delay_alu instid0(SALU_CYCLE_1)
	s_and_b32 vcc_lo, exec_lo, s3
	s_cbranch_vccz .LBB216_31
.LBB216_12:
	s_clause 0x2
	s_load_b32 s2, s[0:1], 0x28
	s_load_b32 s3, s[0:1], 0x0
	;; [unrolled: 1-line block ×3, first 2 shown]
	v_mov_b32_e32 v7, 0
	s_waitcnt lgkmcnt(0)
	s_mul_i32 s8, s14, s2
	v_cmp_gt_i32_e32 vcc_lo, s3, v0
	s_ashr_i32 s9, s8, 31
	s_delay_alu instid0(SALU_CYCLE_1)
	s_lshl_b64 s[8:9], s[8:9], 2
	v_cndmask_b32_e32 v1, 0, v0, vcc_lo
	s_add_u32 s0, s8, s6
	s_addc_u32 s6, s9, s7
	s_ashr_i32 s2, s3, 31
	s_mov_b32 s7, 0
	v_lshlrev_b32_e32 v1, 2, v1
	s_lshr_b32 s2, s2, 24
	s_delay_alu instid0(SALU_CYCLE_1) | instskip(NEXT) | instid1(SALU_CYCLE_1)
	s_add_i32 s2, s3, s2
	s_and_b32 s2, s2, 0xffffff00
	s_delay_alu instid0(VALU_DEP_1) | instskip(NEXT) | instid1(VALU_DEP_1)
	v_add_co_u32 v1, s0, s0, v1
	v_add_co_ci_u32_e64 v2, null, s6, 0, s0
	s_mov_b32 s6, exec_lo
	v_cmpx_gt_i32_e64 s2, v0
	s_cbranch_execz .LBB216_16
; %bb.13:
	v_mul_lo_u32 v3, v0, s1
	v_dual_mov_b32 v7, 0 :: v_dual_mov_b32 v6, v2
	v_dual_mov_b32 v5, v1 :: v_dual_mov_b32 v8, v0
	s_lshl_b32 s8, s1, 8
	.p2align	6
.LBB216_14:                             ; =>This Inner Loop Header: Depth=1
	s_delay_alu instid0(VALU_DEP_3) | instskip(NEXT) | instid1(VALU_DEP_1)
	v_ashrrev_i32_e32 v4, 31, v3
	v_lshlrev_b64 v[9:10], 2, v[3:4]
	v_add_nc_u32_e32 v3, s8, v3
	s_delay_alu instid0(VALU_DEP_2) | instskip(NEXT) | instid1(VALU_DEP_3)
	v_add_co_u32 v9, vcc_lo, s4, v9
	v_add_co_ci_u32_e32 v10, vcc_lo, s5, v10, vcc_lo
	flat_load_b32 v4, v[5:6]
	flat_load_b32 v9, v[9:10]
	v_add_nc_u32_e32 v8, 0x100, v8
	v_add_co_u32 v5, vcc_lo, 0x400, v5
	v_add_co_ci_u32_e32 v6, vcc_lo, 0, v6, vcc_lo
	s_waitcnt vmcnt(0) lgkmcnt(0)
	v_fmac_f32_e32 v7, v4, v9
	v_cmp_le_i32_e64 s0, s2, v8
	s_delay_alu instid0(VALU_DEP_1) | instskip(NEXT) | instid1(SALU_CYCLE_1)
	s_or_b32 s7, s0, s7
	s_and_not1_b32 exec_lo, exec_lo, s7
	s_cbranch_execnz .LBB216_14
; %bb.15:
	s_or_b32 exec_lo, exec_lo, s7
.LBB216_16:
	s_delay_alu instid0(SALU_CYCLE_1) | instskip(SKIP_2) | instid1(VALU_DEP_1)
	s_or_b32 exec_lo, exec_lo, s6
	v_add_nc_u32_e32 v3, s2, v0
	s_mov_b32 s0, exec_lo
	v_cmpx_gt_i32_e64 s3, v3
	s_cbranch_execz .LBB216_18
; %bb.17:
	v_mul_lo_u32 v3, v3, s1
	s_ashr_i32 s3, s2, 31
	s_delay_alu instid0(SALU_CYCLE_1) | instskip(NEXT) | instid1(SALU_CYCLE_1)
	s_lshl_b64 s[2:3], s[2:3], 2
	v_add_co_u32 v1, vcc_lo, v1, s2
	v_add_co_ci_u32_e32 v2, vcc_lo, s3, v2, vcc_lo
	s_delay_alu instid0(VALU_DEP_3) | instskip(NEXT) | instid1(VALU_DEP_1)
	v_ashrrev_i32_e32 v4, 31, v3
	v_lshlrev_b64 v[3:4], 2, v[3:4]
	s_delay_alu instid0(VALU_DEP_1) | instskip(NEXT) | instid1(VALU_DEP_2)
	v_add_co_u32 v3, vcc_lo, s4, v3
	v_add_co_ci_u32_e32 v4, vcc_lo, s5, v4, vcc_lo
	flat_load_b32 v1, v[1:2]
	flat_load_b32 v2, v[3:4]
	s_waitcnt vmcnt(0) lgkmcnt(0)
	v_fmac_f32_e32 v7, v1, v2
.LBB216_18:
	s_or_b32 exec_lo, exec_lo, s0
	v_and_b32_e32 v4, 31, v0
	v_cmp_gt_u32_e32 vcc_lo, 32, v0
	s_delay_alu instid0(VALU_DEP_2)
	v_lshlrev_b32_e32 v1, 2, v4
	s_and_saveexec_b32 s0, vcc_lo
	s_cbranch_execz .LBB216_20
; %bb.19:
	v_mov_b32_e32 v2, 0
	ds_store_b32 v1, v2
.LBB216_20:
	s_or_b32 exec_lo, exec_lo, s0
	v_mbcnt_lo_u32_b32 v5, -1, 0
	s_mov_b32 s1, exec_lo
	s_waitcnt lgkmcnt(0)
	s_barrier
	buffer_gl0_inv
	v_cmp_gt_u32_e64 s0, 16, v5
	s_delay_alu instid0(VALU_DEP_1) | instskip(SKIP_1) | instid1(VALU_DEP_2)
	v_cndmask_b32_e64 v2, 0, 1, s0
	v_cmp_gt_u32_e64 s0, 24, v5
	v_lshlrev_b32_e32 v2, 4, v2
	s_delay_alu instid0(VALU_DEP_2) | instskip(SKIP_1) | instid1(VALU_DEP_3)
	v_cndmask_b32_e64 v3, 0, 1, s0
	v_cmp_gt_u32_e64 s0, 28, v5
	v_add_lshl_u32 v2, v2, v5, 2
	ds_bpermute_b32 v2, v2, v7
	s_waitcnt lgkmcnt(0)
	v_dual_add_f32 v6, v7, v2 :: v_dual_lshlrev_b32 v3, 3, v3
	s_delay_alu instid0(VALU_DEP_1) | instskip(SKIP_4) | instid1(VALU_DEP_1)
	v_add_lshl_u32 v3, v3, v5, 2
	v_cndmask_b32_e64 v2, 0, 1, s0
	v_cmp_gt_u32_e64 s0, 30, v5
	ds_bpermute_b32 v3, v3, v6
	v_lshlrev_b32_e32 v2, 2, v2
	v_add_lshl_u32 v2, v2, v5, 2
	s_waitcnt lgkmcnt(0)
	v_add_f32_e32 v6, v6, v3
	v_cndmask_b32_e64 v3, 0, 1, s0
	v_cmp_ne_u32_e64 s0, 31, v5
	s_delay_alu instid0(VALU_DEP_2) | instskip(NEXT) | instid1(VALU_DEP_1)
	v_lshlrev_b32_e32 v3, 1, v3
	v_add_lshl_u32 v3, v3, v5, 2
	s_delay_alu instid0(VALU_DEP_3) | instskip(NEXT) | instid1(VALU_DEP_1)
	v_add_co_ci_u32_e64 v5, s0, 0, v5, s0
	v_lshlrev_b32_e32 v5, 2, v5
	ds_bpermute_b32 v7, v2, v6
	s_waitcnt lgkmcnt(0)
	v_add_f32_e32 v6, v6, v7
	ds_bpermute_b32 v7, v3, v6
	s_waitcnt lgkmcnt(0)
	v_add_f32_e32 v6, v6, v7
	ds_bpermute_b32 v7, v5, v6
	v_cmpx_eq_u32_e32 0, v4
	s_cbranch_execz .LBB216_22
; %bb.21:
	v_lshrrev_b32_e32 v4, 3, v0
	s_waitcnt lgkmcnt(0)
	v_add_f32_e32 v6, v6, v7
	s_delay_alu instid0(VALU_DEP_2)
	v_and_b32_e32 v4, 28, v4
	ds_store_b32 v4, v6
.LBB216_22:
	s_or_b32 exec_lo, exec_lo, s1
	v_mov_b32_e32 v4, 0
	s_mov_b32 s1, exec_lo
	s_waitcnt lgkmcnt(0)
	s_barrier
	buffer_gl0_inv
	v_cmpx_gt_u32_e32 8, v0
	s_cbranch_execz .LBB216_24
; %bb.23:
	ds_load_b32 v4, v1
.LBB216_24:
	s_or_b32 exec_lo, exec_lo, s1
	s_and_saveexec_b32 s0, vcc_lo
	s_cbranch_execz .LBB216_26
; %bb.25:
	s_waitcnt lgkmcnt(0)
	ds_bpermute_b32 v1, v2, v4
	s_waitcnt lgkmcnt(0)
	v_add_f32_e32 v1, v4, v1
	ds_bpermute_b32 v2, v3, v1
	s_waitcnt lgkmcnt(0)
	v_add_f32_e32 v1, v1, v2
	;; [unrolled: 3-line block ×3, first 2 shown]
.LBB216_26:
	s_or_b32 exec_lo, exec_lo, s0
	s_delay_alu instid0(SALU_CYCLE_1)
	s_mov_b32 s0, exec_lo
                                        ; implicit-def: $vgpr1
                                        ; implicit-def: $sgpr8_sgpr9
	v_cmpx_eq_u32_e32 0, v0
	s_cbranch_execz .LBB216_30
; %bb.27:
	v_cmp_eq_f32_e64 s1, s12, 0
	s_waitcnt lgkmcnt(0)
	v_mul_f32_e32 v1, s13, v4
	s_mul_i32 s8, s14, s16
	s_delay_alu instid0(SALU_CYCLE_1)
	s_ashr_i32 s9, s8, 31
	s_and_b32 vcc_lo, exec_lo, s1
	s_cbranch_vccnz .LBB216_29
; %bb.28:
	s_lshl_b64 s[2:3], s[8:9], 2
	s_delay_alu instid0(SALU_CYCLE_1)
	s_add_u32 s2, s10, s2
	s_addc_u32 s3, s11, s3
	s_load_b32 s1, s[2:3], 0x0
	s_waitcnt lgkmcnt(0)
	v_fmac_f32_e64 v1, s12, s1
.LBB216_29:
	s_or_b32 s15, s15, exec_lo
.LBB216_30:
	s_or_b32 exec_lo, exec_lo, s0
.LBB216_31:
	s_and_saveexec_b32 s0, s15
	s_cbranch_execz .LBB216_33
; %bb.32:
	s_lshl_b64 s[0:1], s[8:9], 2
	v_mov_b32_e32 v0, 0
	s_add_u32 s0, s10, s0
	s_addc_u32 s1, s11, s1
	global_store_b32 v0, v1, s[0:1]
.LBB216_33:
	s_nop 0
	s_sendmsg sendmsg(MSG_DEALLOC_VGPRS)
	s_endpgm
	.section	.rodata,"a",@progbits
	.p2align	6, 0x0
	.amdhsa_kernel _ZL32rocblas_gemvt_warp_reduce_kernelILb0ELi256EiPKfS1_KPfEviiT3_lPKT2_lT1_lS7_lS8_lS4_lPT4_lS8_li
		.amdhsa_group_segment_fixed_size 128
		.amdhsa_private_segment_fixed_size 0
		.amdhsa_kernarg_size 140
		.amdhsa_user_sgpr_count 14
		.amdhsa_user_sgpr_dispatch_ptr 0
		.amdhsa_user_sgpr_queue_ptr 0
		.amdhsa_user_sgpr_kernarg_segment_ptr 1
		.amdhsa_user_sgpr_dispatch_id 0
		.amdhsa_user_sgpr_private_segment_size 0
		.amdhsa_wavefront_size32 1
		.amdhsa_uses_dynamic_stack 0
		.amdhsa_enable_private_segment 0
		.amdhsa_system_sgpr_workgroup_id_x 1
		.amdhsa_system_sgpr_workgroup_id_y 0
		.amdhsa_system_sgpr_workgroup_id_z 1
		.amdhsa_system_sgpr_workgroup_info 0
		.amdhsa_system_vgpr_workitem_id 0
		.amdhsa_next_free_vgpr 11
		.amdhsa_next_free_sgpr 24
		.amdhsa_reserve_vcc 1
		.amdhsa_float_round_mode_32 0
		.amdhsa_float_round_mode_16_64 0
		.amdhsa_float_denorm_mode_32 3
		.amdhsa_float_denorm_mode_16_64 3
		.amdhsa_dx10_clamp 1
		.amdhsa_ieee_mode 1
		.amdhsa_fp16_overflow 0
		.amdhsa_workgroup_processor_mode 1
		.amdhsa_memory_ordered 1
		.amdhsa_forward_progress 0
		.amdhsa_shared_vgpr_count 0
		.amdhsa_exception_fp_ieee_invalid_op 0
		.amdhsa_exception_fp_denorm_src 0
		.amdhsa_exception_fp_ieee_div_zero 0
		.amdhsa_exception_fp_ieee_overflow 0
		.amdhsa_exception_fp_ieee_underflow 0
		.amdhsa_exception_fp_ieee_inexact 0
		.amdhsa_exception_int_div_zero 0
	.end_amdhsa_kernel
	.section	.text._ZL32rocblas_gemvt_warp_reduce_kernelILb0ELi256EiPKfS1_KPfEviiT3_lPKT2_lT1_lS7_lS8_lS4_lPT4_lS8_li,"axG",@progbits,_ZL32rocblas_gemvt_warp_reduce_kernelILb0ELi256EiPKfS1_KPfEviiT3_lPKT2_lT1_lS7_lS8_lS4_lPT4_lS8_li,comdat
.Lfunc_end216:
	.size	_ZL32rocblas_gemvt_warp_reduce_kernelILb0ELi256EiPKfS1_KPfEviiT3_lPKT2_lT1_lS7_lS8_lS4_lPT4_lS8_li, .Lfunc_end216-_ZL32rocblas_gemvt_warp_reduce_kernelILb0ELi256EiPKfS1_KPfEviiT3_lPKT2_lT1_lS7_lS8_lS4_lPT4_lS8_li
                                        ; -- End function
	.section	.AMDGPU.csdata,"",@progbits
; Kernel info:
; codeLenInByte = 1440
; NumSgprs: 26
; NumVgprs: 11
; ScratchSize: 0
; MemoryBound: 0
; FloatMode: 240
; IeeeMode: 1
; LDSByteSize: 128 bytes/workgroup (compile time only)
; SGPRBlocks: 3
; VGPRBlocks: 1
; NumSGPRsForWavesPerEU: 26
; NumVGPRsForWavesPerEU: 11
; Occupancy: 16
; WaveLimiterHint : 1
; COMPUTE_PGM_RSRC2:SCRATCH_EN: 0
; COMPUTE_PGM_RSRC2:USER_SGPR: 14
; COMPUTE_PGM_RSRC2:TRAP_HANDLER: 0
; COMPUTE_PGM_RSRC2:TGID_X_EN: 1
; COMPUTE_PGM_RSRC2:TGID_Y_EN: 0
; COMPUTE_PGM_RSRC2:TGID_Z_EN: 1
; COMPUTE_PGM_RSRC2:TIDIG_COMP_CNT: 0
	.section	.text._ZL32rocblas_gemvt_warp_reduce_kernelILb0ELi256ElPKfS1_KPfEviiT3_lPKT2_lT1_lS7_lS8_lS4_lPT4_lS8_li,"axG",@progbits,_ZL32rocblas_gemvt_warp_reduce_kernelILb0ELi256ElPKfS1_KPfEviiT3_lPKT2_lT1_lS7_lS8_lS4_lPT4_lS8_li,comdat
	.globl	_ZL32rocblas_gemvt_warp_reduce_kernelILb0ELi256ElPKfS1_KPfEviiT3_lPKT2_lT1_lS7_lS8_lS4_lPT4_lS8_li ; -- Begin function _ZL32rocblas_gemvt_warp_reduce_kernelILb0ELi256ElPKfS1_KPfEviiT3_lPKT2_lT1_lS7_lS8_lS4_lPT4_lS8_li
	.p2align	8
	.type	_ZL32rocblas_gemvt_warp_reduce_kernelILb0ELi256ElPKfS1_KPfEviiT3_lPKT2_lT1_lS7_lS8_lS4_lPT4_lS8_li,@function
_ZL32rocblas_gemvt_warp_reduce_kernelILb0ELi256ElPKfS1_KPfEviiT3_lPKT2_lT1_lS7_lS8_lS4_lPT4_lS8_li: ; @_ZL32rocblas_gemvt_warp_reduce_kernelILb0ELi256ElPKfS1_KPfEviiT3_lPKT2_lT1_lS7_lS8_lS4_lPT4_lS8_li
; %bb.0:
	s_clause 0x1
	s_load_b256 s[16:23], s[0:1], 0x8
	s_load_b256 s[4:11], s[0:1], 0x58
	s_mov_b32 s2, s15
	s_waitcnt lgkmcnt(0)
	s_mul_i32 s3, s15, s19
	s_mul_hi_u32 s13, s15, s18
	s_mul_i32 s12, s15, s18
	s_add_i32 s13, s13, s3
	s_mul_i32 s3, s15, s7
	s_lshl_b64 s[12:13], s[12:13], 2
	s_mul_hi_u32 s7, s15, s6
	s_add_u32 s12, s16, s12
	s_addc_u32 s13, s17, s13
	s_add_i32 s7, s7, s3
	s_mul_i32 s6, s15, s6
	s_delay_alu instid0(SALU_CYCLE_1) | instskip(NEXT) | instid1(SALU_CYCLE_1)
	s_lshl_b64 s[6:7], s[6:7], 2
	s_add_u32 s4, s4, s6
	s_addc_u32 s5, s5, s7
	s_load_b32 s28, s[12:13], 0x0
	s_load_b32 s15, s[4:5], 0x0
	s_waitcnt lgkmcnt(0)
	v_cmp_eq_f32_e64 s29, s28, 0
	v_cmp_eq_f32_e64 s3, s15, 1.0
	s_delay_alu instid0(VALU_DEP_1) | instskip(NEXT) | instid1(SALU_CYCLE_1)
	s_and_b32 s3, s29, s3
	s_and_b32 vcc_lo, exec_lo, s3
	s_mov_b32 s3, 0
	s_cbranch_vccnz .LBB217_33
; %bb.1:
	s_clause 0x1
	s_load_b64 s[24:25], s[0:1], 0x28
	s_load_b64 s[12:13], s[0:1], 0x78
	v_cmp_neq_f32_e64 s30, s28, 0
	s_mov_b64 s[16:17], 0
	s_and_b32 vcc_lo, exec_lo, s29
	s_mov_b64 s[26:27], 0
	s_cbranch_vccnz .LBB217_3
; %bb.2:
	s_lshl_b64 s[4:5], s[2:3], 3
	s_delay_alu instid0(SALU_CYCLE_1)
	s_add_u32 s4, s20, s4
	s_addc_u32 s5, s21, s5
	s_lshl_b64 s[6:7], s[22:23], 2
	s_load_b64 s[4:5], s[4:5], 0x0
	s_waitcnt lgkmcnt(0)
	s_add_u32 s26, s4, s6
	s_addc_u32 s27, s5, s7
.LBB217_3:
	s_clause 0x1
	s_load_b128 s[4:7], s[0:1], 0x38
	s_load_b64 s[18:19], s[0:1], 0x48
	s_and_not1_b32 vcc_lo, exec_lo, s30
	s_cbranch_vccnz .LBB217_5
; %bb.4:
	s_lshl_b64 s[16:17], s[2:3], 3
	s_waitcnt lgkmcnt(0)
	s_add_u32 s4, s4, s16
	s_addc_u32 s5, s5, s17
	s_lshl_b64 s[6:7], s[6:7], 2
	s_load_b64 s[4:5], s[4:5], 0x0
	s_waitcnt lgkmcnt(0)
	s_add_u32 s16, s4, s6
	s_addc_u32 s17, s5, s7
.LBB217_5:
	s_lshl_b64 s[2:3], s[2:3], 3
	s_delay_alu instid0(SALU_CYCLE_1)
	s_add_u32 s2, s8, s2
	s_addc_u32 s3, s9, s3
	s_waitcnt lgkmcnt(0)
	s_lshl_b64 s[6:7], s[10:11], 2
	s_load_b64 s[4:5], s[2:3], 0x0
	v_cmp_eq_u32_e64 s2, 0, v0
	s_waitcnt lgkmcnt(0)
	s_add_u32 s6, s4, s6
	s_addc_u32 s7, s5, s7
	s_and_not1_b32 vcc_lo, exec_lo, s29
	s_cbranch_vccnz .LBB217_10
; %bb.6:
	s_mov_b32 s3, 0
	s_mov_b32 s8, 0
                                        ; implicit-def: $vgpr1
                                        ; implicit-def: $sgpr4_sgpr5
	s_and_saveexec_b32 s9, s2
	s_cbranch_execz .LBB217_11
; %bb.7:
	v_cmp_eq_f32_e64 s2, s15, 0
	s_mul_i32 s4, s14, s13
	s_mul_hi_u32 s5, s14, s12
	s_ashr_i32 s8, s14, 31
	v_mov_b32_e32 v1, 0
	s_add_i32 s4, s5, s4
	s_mul_i32 s8, s8, s12
	s_and_b32 vcc_lo, exec_lo, s2
	s_add_i32 s5, s4, s8
	s_mul_i32 s4, s14, s12
	s_cbranch_vccnz .LBB217_9
; %bb.8:
	s_lshl_b64 s[10:11], s[4:5], 2
	s_delay_alu instid0(SALU_CYCLE_1)
	s_add_u32 s10, s6, s10
	s_addc_u32 s11, s7, s11
	s_load_b32 s2, s[10:11], 0x0
	s_waitcnt lgkmcnt(0)
	v_mul_f32_e64 v1, s15, s2
.LBB217_9:
	s_mov_b32 s8, exec_lo
	s_or_b32 exec_lo, exec_lo, s9
	s_delay_alu instid0(SALU_CYCLE_1)
	s_and_b32 vcc_lo, exec_lo, s3
	s_cbranch_vccnz .LBB217_12
	s_branch .LBB217_31
.LBB217_10:
	s_mov_b32 s8, 0
                                        ; implicit-def: $vgpr1
                                        ; implicit-def: $sgpr4_sgpr5
	s_cbranch_execnz .LBB217_12
	s_branch .LBB217_31
.LBB217_11:
	s_or_b32 exec_lo, exec_lo, s9
	s_delay_alu instid0(SALU_CYCLE_1)
	s_and_b32 vcc_lo, exec_lo, s3
	s_cbranch_vccz .LBB217_31
.LBB217_12:
	s_load_b32 s3, s[0:1], 0x0
	s_mul_i32 s0, s14, s25
	s_mul_hi_u32 s2, s14, s24
	s_ashr_i32 s1, s14, 31
	s_add_i32 s0, s2, s0
	s_mul_i32 s2, s1, s24
	s_mul_i32 s4, s14, s24
	s_add_i32 s5, s0, s2
	v_mov_b32_e32 v7, 0
	s_lshl_b64 s[4:5], s[4:5], 2
	s_mov_b32 s10, 0
	s_add_u32 s0, s4, s26
	s_addc_u32 s4, s5, s27
	s_mov_b32 s9, exec_lo
	s_waitcnt lgkmcnt(0)
	v_cmp_gt_i32_e32 vcc_lo, s3, v0
	s_ashr_i32 s2, s3, 31
	s_delay_alu instid0(SALU_CYCLE_1) | instskip(NEXT) | instid1(SALU_CYCLE_1)
	s_lshr_b32 s2, s2, 24
	s_add_i32 s2, s3, s2
	v_cndmask_b32_e32 v1, 0, v0, vcc_lo
	s_and_b32 s2, s2, 0xffffff00
	s_delay_alu instid0(VALU_DEP_1) | instskip(NEXT) | instid1(VALU_DEP_1)
	v_lshlrev_b32_e32 v1, 2, v1
	v_add_co_u32 v1, s0, s0, v1
	s_delay_alu instid0(VALU_DEP_1)
	v_add_co_ci_u32_e64 v2, null, s4, 0, s0
	v_cmpx_gt_i32_e64 s2, v0
	s_cbranch_execz .LBB217_16
; %bb.13:
	v_mad_u64_u32 v[3:4], null, s18, v0, 0
	v_mov_b32_e32 v8, v0
	s_lshl_b64 s[4:5], s[18:19], 10
	v_mov_b32_e32 v7, 0
	s_delay_alu instid0(VALU_DEP_3) | instskip(NEXT) | instid1(VALU_DEP_1)
	v_mad_u64_u32 v[5:6], null, s19, v0, v[4:5]
	v_mov_b32_e32 v4, v5
	s_delay_alu instid0(VALU_DEP_1) | instskip(SKIP_1) | instid1(VALU_DEP_2)
	v_lshlrev_b64 v[5:6], 2, v[3:4]
	v_dual_mov_b32 v4, v2 :: v_dual_mov_b32 v3, v1
	v_add_co_u32 v5, vcc_lo, s16, v5
	s_delay_alu instid0(VALU_DEP_3)
	v_add_co_ci_u32_e32 v6, vcc_lo, s17, v6, vcc_lo
	.p2align	6
.LBB217_14:                             ; =>This Inner Loop Header: Depth=1
	flat_load_b32 v9, v[3:4]
	flat_load_b32 v10, v[5:6]
	v_add_nc_u32_e32 v8, 0x100, v8
	v_add_co_u32 v3, vcc_lo, 0x400, v3
	v_add_co_ci_u32_e32 v4, vcc_lo, 0, v4, vcc_lo
	v_add_co_u32 v5, vcc_lo, v5, s4
	v_add_co_ci_u32_e32 v6, vcc_lo, s5, v6, vcc_lo
	s_waitcnt vmcnt(0) lgkmcnt(0)
	v_fmac_f32_e32 v7, v9, v10
	v_cmp_le_i32_e64 s0, s2, v8
	s_delay_alu instid0(VALU_DEP_1) | instskip(NEXT) | instid1(SALU_CYCLE_1)
	s_or_b32 s10, s0, s10
	s_and_not1_b32 exec_lo, exec_lo, s10
	s_cbranch_execnz .LBB217_14
; %bb.15:
	s_or_b32 exec_lo, exec_lo, s10
.LBB217_16:
	s_delay_alu instid0(SALU_CYCLE_1) | instskip(SKIP_2) | instid1(VALU_DEP_1)
	s_or_b32 exec_lo, exec_lo, s9
	v_add_nc_u32_e32 v3, s2, v0
	s_mov_b32 s0, exec_lo
	v_cmpx_gt_i32_e64 s3, v3
	s_cbranch_execz .LBB217_18
; %bb.17:
	v_ashrrev_i32_e32 v6, 31, v3
	v_mul_lo_u32 v8, v3, s19
	v_mad_u64_u32 v[4:5], null, v3, s18, 0
	s_ashr_i32 s3, s2, 31
	s_delay_alu instid0(VALU_DEP_3) | instskip(SKIP_1) | instid1(SALU_CYCLE_1)
	v_mul_lo_u32 v3, v6, s18
	s_lshl_b64 s[2:3], s[2:3], 2
	v_add_co_u32 v1, vcc_lo, v1, s2
	v_add_co_ci_u32_e32 v2, vcc_lo, s3, v2, vcc_lo
	s_delay_alu instid0(VALU_DEP_3) | instskip(NEXT) | instid1(VALU_DEP_1)
	v_add3_u32 v5, v5, v8, v3
	v_lshlrev_b64 v[3:4], 2, v[4:5]
	s_delay_alu instid0(VALU_DEP_1) | instskip(NEXT) | instid1(VALU_DEP_2)
	v_add_co_u32 v3, vcc_lo, s16, v3
	v_add_co_ci_u32_e32 v4, vcc_lo, s17, v4, vcc_lo
	flat_load_b32 v1, v[1:2]
	flat_load_b32 v2, v[3:4]
	s_waitcnt vmcnt(0) lgkmcnt(0)
	v_fmac_f32_e32 v7, v1, v2
.LBB217_18:
	s_or_b32 exec_lo, exec_lo, s0
	v_and_b32_e32 v4, 31, v0
	v_cmp_gt_u32_e32 vcc_lo, 32, v0
	s_delay_alu instid0(VALU_DEP_2)
	v_lshlrev_b32_e32 v1, 2, v4
	s_and_saveexec_b32 s0, vcc_lo
	s_cbranch_execz .LBB217_20
; %bb.19:
	v_mov_b32_e32 v2, 0
	ds_store_b32 v1, v2
.LBB217_20:
	s_or_b32 exec_lo, exec_lo, s0
	v_mbcnt_lo_u32_b32 v5, -1, 0
	s_mov_b32 s2, exec_lo
	s_waitcnt lgkmcnt(0)
	s_barrier
	buffer_gl0_inv
	v_cmp_gt_u32_e64 s0, 16, v5
	s_delay_alu instid0(VALU_DEP_1) | instskip(SKIP_1) | instid1(VALU_DEP_2)
	v_cndmask_b32_e64 v2, 0, 1, s0
	v_cmp_gt_u32_e64 s0, 24, v5
	v_lshlrev_b32_e32 v2, 4, v2
	s_delay_alu instid0(VALU_DEP_2) | instskip(SKIP_1) | instid1(VALU_DEP_3)
	v_cndmask_b32_e64 v3, 0, 1, s0
	v_cmp_gt_u32_e64 s0, 28, v5
	v_add_lshl_u32 v2, v2, v5, 2
	ds_bpermute_b32 v2, v2, v7
	s_waitcnt lgkmcnt(0)
	v_dual_add_f32 v6, v7, v2 :: v_dual_lshlrev_b32 v3, 3, v3
	s_delay_alu instid0(VALU_DEP_1) | instskip(SKIP_4) | instid1(VALU_DEP_1)
	v_add_lshl_u32 v3, v3, v5, 2
	v_cndmask_b32_e64 v2, 0, 1, s0
	v_cmp_gt_u32_e64 s0, 30, v5
	ds_bpermute_b32 v3, v3, v6
	v_lshlrev_b32_e32 v2, 2, v2
	v_add_lshl_u32 v2, v2, v5, 2
	s_waitcnt lgkmcnt(0)
	v_add_f32_e32 v6, v6, v3
	v_cndmask_b32_e64 v3, 0, 1, s0
	v_cmp_ne_u32_e64 s0, 31, v5
	s_delay_alu instid0(VALU_DEP_2) | instskip(NEXT) | instid1(VALU_DEP_1)
	v_lshlrev_b32_e32 v3, 1, v3
	v_add_lshl_u32 v3, v3, v5, 2
	s_delay_alu instid0(VALU_DEP_3) | instskip(NEXT) | instid1(VALU_DEP_1)
	v_add_co_ci_u32_e64 v5, s0, 0, v5, s0
	v_lshlrev_b32_e32 v5, 2, v5
	ds_bpermute_b32 v7, v2, v6
	s_waitcnt lgkmcnt(0)
	v_add_f32_e32 v6, v6, v7
	ds_bpermute_b32 v7, v3, v6
	s_waitcnt lgkmcnt(0)
	v_add_f32_e32 v6, v6, v7
	ds_bpermute_b32 v7, v5, v6
	v_cmpx_eq_u32_e32 0, v4
	s_cbranch_execz .LBB217_22
; %bb.21:
	v_lshrrev_b32_e32 v4, 3, v0
	s_waitcnt lgkmcnt(0)
	v_add_f32_e32 v6, v6, v7
	s_delay_alu instid0(VALU_DEP_2)
	v_and_b32_e32 v4, 28, v4
	ds_store_b32 v4, v6
.LBB217_22:
	s_or_b32 exec_lo, exec_lo, s2
	v_mov_b32_e32 v4, 0
	s_mov_b32 s2, exec_lo
	s_waitcnt lgkmcnt(0)
	s_barrier
	buffer_gl0_inv
	v_cmpx_gt_u32_e32 8, v0
	s_cbranch_execz .LBB217_24
; %bb.23:
	ds_load_b32 v4, v1
.LBB217_24:
	s_or_b32 exec_lo, exec_lo, s2
	s_and_saveexec_b32 s0, vcc_lo
	s_cbranch_execz .LBB217_26
; %bb.25:
	s_waitcnt lgkmcnt(0)
	ds_bpermute_b32 v1, v2, v4
	s_waitcnt lgkmcnt(0)
	v_add_f32_e32 v1, v4, v1
	ds_bpermute_b32 v2, v3, v1
	s_waitcnt lgkmcnt(0)
	v_add_f32_e32 v1, v1, v2
	;; [unrolled: 3-line block ×3, first 2 shown]
.LBB217_26:
	s_or_b32 exec_lo, exec_lo, s0
	s_delay_alu instid0(SALU_CYCLE_1)
	s_mov_b32 s0, exec_lo
                                        ; implicit-def: $vgpr1
                                        ; implicit-def: $sgpr4_sgpr5
	v_cmpx_eq_u32_e32 0, v0
	s_cbranch_execz .LBB217_30
; %bb.27:
	v_cmp_eq_f32_e64 s4, s15, 0
	s_mul_i32 s2, s14, s13
	s_mul_hi_u32 s3, s14, s12
	s_waitcnt lgkmcnt(0)
	v_mul_f32_e32 v1, s28, v4
	s_add_i32 s2, s3, s2
	s_mul_i32 s1, s1, s12
	s_and_b32 vcc_lo, exec_lo, s4
	s_add_i32 s5, s2, s1
	s_mul_i32 s4, s14, s12
	s_cbranch_vccnz .LBB217_29
; %bb.28:
	s_lshl_b64 s[2:3], s[4:5], 2
	s_delay_alu instid0(SALU_CYCLE_1)
	s_add_u32 s2, s6, s2
	s_addc_u32 s3, s7, s3
	s_load_b32 s1, s[2:3], 0x0
	s_waitcnt lgkmcnt(0)
	v_fmac_f32_e64 v1, s15, s1
.LBB217_29:
	s_or_b32 s8, s8, exec_lo
.LBB217_30:
	s_or_b32 exec_lo, exec_lo, s0
.LBB217_31:
	s_and_saveexec_b32 s0, s8
	s_cbranch_execz .LBB217_33
; %bb.32:
	s_lshl_b64 s[0:1], s[4:5], 2
	v_mov_b32_e32 v0, 0
	s_add_u32 s0, s6, s0
	s_addc_u32 s1, s7, s1
	global_store_b32 v0, v1, s[0:1]
.LBB217_33:
	s_nop 0
	s_sendmsg sendmsg(MSG_DEALLOC_VGPRS)
	s_endpgm
	.section	.rodata,"a",@progbits
	.p2align	6, 0x0
	.amdhsa_kernel _ZL32rocblas_gemvt_warp_reduce_kernelILb0ELi256ElPKfS1_KPfEviiT3_lPKT2_lT1_lS7_lS8_lS4_lPT4_lS8_li
		.amdhsa_group_segment_fixed_size 128
		.amdhsa_private_segment_fixed_size 0
		.amdhsa_kernarg_size 140
		.amdhsa_user_sgpr_count 14
		.amdhsa_user_sgpr_dispatch_ptr 0
		.amdhsa_user_sgpr_queue_ptr 0
		.amdhsa_user_sgpr_kernarg_segment_ptr 1
		.amdhsa_user_sgpr_dispatch_id 0
		.amdhsa_user_sgpr_private_segment_size 0
		.amdhsa_wavefront_size32 1
		.amdhsa_uses_dynamic_stack 0
		.amdhsa_enable_private_segment 0
		.amdhsa_system_sgpr_workgroup_id_x 1
		.amdhsa_system_sgpr_workgroup_id_y 0
		.amdhsa_system_sgpr_workgroup_id_z 1
		.amdhsa_system_sgpr_workgroup_info 0
		.amdhsa_system_vgpr_workitem_id 0
		.amdhsa_next_free_vgpr 11
		.amdhsa_next_free_sgpr 31
		.amdhsa_reserve_vcc 1
		.amdhsa_float_round_mode_32 0
		.amdhsa_float_round_mode_16_64 0
		.amdhsa_float_denorm_mode_32 3
		.amdhsa_float_denorm_mode_16_64 3
		.amdhsa_dx10_clamp 1
		.amdhsa_ieee_mode 1
		.amdhsa_fp16_overflow 0
		.amdhsa_workgroup_processor_mode 1
		.amdhsa_memory_ordered 1
		.amdhsa_forward_progress 0
		.amdhsa_shared_vgpr_count 0
		.amdhsa_exception_fp_ieee_invalid_op 0
		.amdhsa_exception_fp_denorm_src 0
		.amdhsa_exception_fp_ieee_div_zero 0
		.amdhsa_exception_fp_ieee_overflow 0
		.amdhsa_exception_fp_ieee_underflow 0
		.amdhsa_exception_fp_ieee_inexact 0
		.amdhsa_exception_int_div_zero 0
	.end_amdhsa_kernel
	.section	.text._ZL32rocblas_gemvt_warp_reduce_kernelILb0ELi256ElPKfS1_KPfEviiT3_lPKT2_lT1_lS7_lS8_lS4_lPT4_lS8_li,"axG",@progbits,_ZL32rocblas_gemvt_warp_reduce_kernelILb0ELi256ElPKfS1_KPfEviiT3_lPKT2_lT1_lS7_lS8_lS4_lPT4_lS8_li,comdat
.Lfunc_end217:
	.size	_ZL32rocblas_gemvt_warp_reduce_kernelILb0ELi256ElPKfS1_KPfEviiT3_lPKT2_lT1_lS7_lS8_lS4_lPT4_lS8_li, .Lfunc_end217-_ZL32rocblas_gemvt_warp_reduce_kernelILb0ELi256ElPKfS1_KPfEviiT3_lPKT2_lT1_lS7_lS8_lS4_lPT4_lS8_li
                                        ; -- End function
	.section	.AMDGPU.csdata,"",@progbits
; Kernel info:
; codeLenInByte = 1540
; NumSgprs: 33
; NumVgprs: 11
; ScratchSize: 0
; MemoryBound: 0
; FloatMode: 240
; IeeeMode: 1
; LDSByteSize: 128 bytes/workgroup (compile time only)
; SGPRBlocks: 4
; VGPRBlocks: 1
; NumSGPRsForWavesPerEU: 33
; NumVGPRsForWavesPerEU: 11
; Occupancy: 16
; WaveLimiterHint : 1
; COMPUTE_PGM_RSRC2:SCRATCH_EN: 0
; COMPUTE_PGM_RSRC2:USER_SGPR: 14
; COMPUTE_PGM_RSRC2:TRAP_HANDLER: 0
; COMPUTE_PGM_RSRC2:TGID_X_EN: 1
; COMPUTE_PGM_RSRC2:TGID_Y_EN: 0
; COMPUTE_PGM_RSRC2:TGID_Z_EN: 1
; COMPUTE_PGM_RSRC2:TIDIG_COMP_CNT: 0
	.section	.text._ZL32rocblas_gemvt_warp_reduce_kernelILb0ELi256EiPKffKPfEviiT3_lPKT2_lT1_lS7_lS8_lS4_lPT4_lS8_li,"axG",@progbits,_ZL32rocblas_gemvt_warp_reduce_kernelILb0ELi256EiPKffKPfEviiT3_lPKT2_lT1_lS7_lS8_lS4_lPT4_lS8_li,comdat
	.globl	_ZL32rocblas_gemvt_warp_reduce_kernelILb0ELi256EiPKffKPfEviiT3_lPKT2_lT1_lS7_lS8_lS4_lPT4_lS8_li ; -- Begin function _ZL32rocblas_gemvt_warp_reduce_kernelILb0ELi256EiPKffKPfEviiT3_lPKT2_lT1_lS7_lS8_lS4_lPT4_lS8_li
	.p2align	8
	.type	_ZL32rocblas_gemvt_warp_reduce_kernelILb0ELi256EiPKffKPfEviiT3_lPKT2_lT1_lS7_lS8_lS4_lPT4_lS8_li,@function
_ZL32rocblas_gemvt_warp_reduce_kernelILb0ELi256EiPKffKPfEviiT3_lPKT2_lT1_lS7_lS8_lS4_lPT4_lS8_li: ; @_ZL32rocblas_gemvt_warp_reduce_kernelILb0ELi256EiPKffKPfEviiT3_lPKT2_lT1_lS7_lS8_lS4_lPT4_lS8_li
; %bb.0:
	s_clause 0x1
	s_load_b32 s11, s[0:1], 0x8
	s_load_b32 s10, s[0:1], 0x58
	s_waitcnt lgkmcnt(0)
	v_cmp_eq_f32_e64 s8, s11, 0
	v_cmp_eq_f32_e64 s3, s10, 1.0
	s_delay_alu instid0(VALU_DEP_1) | instskip(NEXT) | instid1(SALU_CYCLE_1)
	s_and_b32 s3, s8, s3
	s_and_b32 vcc_lo, exec_lo, s3
	s_cbranch_vccnz .LBB218_36
; %bb.1:
	v_cmp_neq_f32_e64 s4, s11, 0
	s_mov_b32 s2, s15
	s_delay_alu instid0(VALU_DEP_1)
	s_and_b32 vcc_lo, exec_lo, s4
	s_cbranch_vccnz .LBB218_3
; %bb.2:
	s_mov_b32 s3, 0
	s_mov_b64 s[6:7], 0
	s_cbranch_execz .LBB218_4
	s_branch .LBB218_5
.LBB218_3:
	s_mov_b32 s3, -1
                                        ; implicit-def: $sgpr6_sgpr7
.LBB218_4:
	s_load_b128 s[16:19], s[0:1], 0x18
	s_mov_b32 s3, 0
	s_delay_alu instid0(SALU_CYCLE_1)
	s_lshl_b64 s[6:7], s[2:3], 3
	s_waitcnt lgkmcnt(0)
	s_add_u32 s6, s16, s6
	s_addc_u32 s7, s17, s7
	s_lshl_b64 s[12:13], s[18:19], 2
	s_load_b64 s[6:7], s[6:7], 0x0
	s_waitcnt lgkmcnt(0)
	s_add_u32 s6, s6, s12
	s_addc_u32 s7, s7, s13
.LBB218_5:
	s_and_not1_b32 vcc_lo, exec_lo, s4
	s_cbranch_vccnz .LBB218_7
; %bb.6:
	s_load_b128 s[16:19], s[0:1], 0x38
	s_lshl_b64 s[4:5], s[2:3], 3
	s_waitcnt lgkmcnt(0)
	s_add_u32 s4, s16, s4
	s_addc_u32 s5, s17, s5
	s_lshl_b64 s[12:13], s[18:19], 2
	s_load_b64 s[4:5], s[4:5], 0x0
	s_waitcnt lgkmcnt(0)
	s_add_u32 s4, s4, s12
	s_addc_u32 s5, s5, s13
	s_branch .LBB218_8
.LBB218_7:
	s_mov_b64 s[4:5], 0
.LBB218_8:
	s_clause 0x1
	s_load_b128 s[16:19], s[0:1], 0x68
	s_load_b32 s15, s[0:1], 0x78
	s_lshl_b64 s[2:3], s[2:3], 3
	s_waitcnt lgkmcnt(0)
	s_add_u32 s2, s16, s2
	s_addc_u32 s3, s17, s3
	s_lshl_b64 s[16:17], s[18:19], 2
	s_load_b64 s[12:13], s[2:3], 0x0
	v_cmp_eq_u32_e64 s2, 0, v0
	s_waitcnt lgkmcnt(0)
	s_add_u32 s12, s12, s16
	s_addc_u32 s13, s13, s17
	s_and_not1_b32 vcc_lo, exec_lo, s8
	s_cbranch_vccnz .LBB218_13
; %bb.9:
	s_mov_b32 s3, 0
	s_mov_b32 s16, 0
                                        ; implicit-def: $vgpr1
                                        ; implicit-def: $sgpr8_sgpr9
	s_and_saveexec_b32 s17, s2
	s_cbranch_execz .LBB218_14
; %bb.10:
	v_cmp_eq_f32_e64 s2, s10, 0
	v_mov_b32_e32 v1, 0
	s_mul_i32 s8, s14, s15
	s_delay_alu instid0(SALU_CYCLE_1) | instskip(NEXT) | instid1(VALU_DEP_2)
	s_ashr_i32 s9, s8, 31
	s_and_b32 vcc_lo, exec_lo, s2
	s_cbranch_vccnz .LBB218_12
; %bb.11:
	s_lshl_b64 s[18:19], s[8:9], 2
	s_delay_alu instid0(SALU_CYCLE_1)
	s_add_u32 s18, s12, s18
	s_addc_u32 s19, s13, s19
	s_load_b32 s2, s[18:19], 0x0
	s_waitcnt lgkmcnt(0)
	v_mul_f32_e64 v1, s2, s10
.LBB218_12:
	s_mov_b32 s16, exec_lo
	s_or_b32 exec_lo, exec_lo, s17
	s_delay_alu instid0(SALU_CYCLE_1)
	s_and_b32 vcc_lo, exec_lo, s3
	s_cbranch_vccnz .LBB218_15
	s_branch .LBB218_34
.LBB218_13:
	s_mov_b32 s16, 0
                                        ; implicit-def: $vgpr1
                                        ; implicit-def: $sgpr8_sgpr9
	s_cbranch_execnz .LBB218_15
	s_branch .LBB218_34
.LBB218_14:
	s_or_b32 exec_lo, exec_lo, s17
	s_delay_alu instid0(SALU_CYCLE_1)
	s_and_b32 vcc_lo, exec_lo, s3
	s_cbranch_vccz .LBB218_34
.LBB218_15:
	s_clause 0x2
	s_load_b32 s2, s[0:1], 0x28
	s_load_b32 s3, s[0:1], 0x0
	;; [unrolled: 1-line block ×3, first 2 shown]
	v_mov_b32_e32 v7, 0
	s_waitcnt lgkmcnt(0)
	s_mul_i32 s8, s14, s2
	v_cmp_gt_i32_e32 vcc_lo, s3, v0
	s_ashr_i32 s9, s8, 31
	s_delay_alu instid0(SALU_CYCLE_1)
	s_lshl_b64 s[8:9], s[8:9], 2
	v_cndmask_b32_e32 v1, 0, v0, vcc_lo
	s_add_u32 s0, s8, s6
	s_addc_u32 s6, s9, s7
	s_ashr_i32 s2, s3, 31
	s_mov_b32 s7, 0
	v_lshlrev_b32_e32 v1, 2, v1
	s_lshr_b32 s2, s2, 24
	s_delay_alu instid0(SALU_CYCLE_1) | instskip(NEXT) | instid1(SALU_CYCLE_1)
	s_add_i32 s2, s3, s2
	s_and_b32 s2, s2, 0xffffff00
	s_delay_alu instid0(VALU_DEP_1) | instskip(NEXT) | instid1(VALU_DEP_1)
	v_add_co_u32 v1, s0, s0, v1
	v_add_co_ci_u32_e64 v2, null, s6, 0, s0
	s_mov_b32 s6, exec_lo
	v_cmpx_gt_i32_e64 s2, v0
	s_cbranch_execz .LBB218_19
; %bb.16:
	v_mul_lo_u32 v3, v0, s1
	v_dual_mov_b32 v7, 0 :: v_dual_mov_b32 v6, v2
	v_dual_mov_b32 v5, v1 :: v_dual_mov_b32 v8, v0
	s_lshl_b32 s8, s1, 8
	.p2align	6
.LBB218_17:                             ; =>This Inner Loop Header: Depth=1
	s_delay_alu instid0(VALU_DEP_3) | instskip(NEXT) | instid1(VALU_DEP_1)
	v_ashrrev_i32_e32 v4, 31, v3
	v_lshlrev_b64 v[9:10], 2, v[3:4]
	v_add_nc_u32_e32 v3, s8, v3
	s_delay_alu instid0(VALU_DEP_2) | instskip(NEXT) | instid1(VALU_DEP_3)
	v_add_co_u32 v9, vcc_lo, s4, v9
	v_add_co_ci_u32_e32 v10, vcc_lo, s5, v10, vcc_lo
	flat_load_b32 v4, v[5:6]
	flat_load_b32 v9, v[9:10]
	v_add_nc_u32_e32 v8, 0x100, v8
	v_add_co_u32 v5, vcc_lo, 0x400, v5
	v_add_co_ci_u32_e32 v6, vcc_lo, 0, v6, vcc_lo
	s_waitcnt vmcnt(0) lgkmcnt(0)
	v_fmac_f32_e32 v7, v4, v9
	v_cmp_le_i32_e64 s0, s2, v8
	s_delay_alu instid0(VALU_DEP_1) | instskip(NEXT) | instid1(SALU_CYCLE_1)
	s_or_b32 s7, s0, s7
	s_and_not1_b32 exec_lo, exec_lo, s7
	s_cbranch_execnz .LBB218_17
; %bb.18:
	s_or_b32 exec_lo, exec_lo, s7
.LBB218_19:
	s_delay_alu instid0(SALU_CYCLE_1) | instskip(SKIP_2) | instid1(VALU_DEP_1)
	s_or_b32 exec_lo, exec_lo, s6
	v_add_nc_u32_e32 v3, s2, v0
	s_mov_b32 s0, exec_lo
	v_cmpx_gt_i32_e64 s3, v3
	s_cbranch_execz .LBB218_21
; %bb.20:
	v_mul_lo_u32 v3, v3, s1
	s_ashr_i32 s3, s2, 31
	s_delay_alu instid0(SALU_CYCLE_1) | instskip(NEXT) | instid1(SALU_CYCLE_1)
	s_lshl_b64 s[2:3], s[2:3], 2
	v_add_co_u32 v1, vcc_lo, v1, s2
	v_add_co_ci_u32_e32 v2, vcc_lo, s3, v2, vcc_lo
	s_delay_alu instid0(VALU_DEP_3) | instskip(NEXT) | instid1(VALU_DEP_1)
	v_ashrrev_i32_e32 v4, 31, v3
	v_lshlrev_b64 v[3:4], 2, v[3:4]
	s_delay_alu instid0(VALU_DEP_1) | instskip(NEXT) | instid1(VALU_DEP_2)
	v_add_co_u32 v3, vcc_lo, s4, v3
	v_add_co_ci_u32_e32 v4, vcc_lo, s5, v4, vcc_lo
	flat_load_b32 v1, v[1:2]
	flat_load_b32 v2, v[3:4]
	s_waitcnt vmcnt(0) lgkmcnt(0)
	v_fmac_f32_e32 v7, v1, v2
.LBB218_21:
	s_or_b32 exec_lo, exec_lo, s0
	v_and_b32_e32 v4, 31, v0
	v_cmp_gt_u32_e32 vcc_lo, 32, v0
	s_delay_alu instid0(VALU_DEP_2)
	v_lshlrev_b32_e32 v1, 2, v4
	s_and_saveexec_b32 s0, vcc_lo
	s_cbranch_execz .LBB218_23
; %bb.22:
	v_mov_b32_e32 v2, 0
	ds_store_b32 v1, v2
.LBB218_23:
	s_or_b32 exec_lo, exec_lo, s0
	v_mbcnt_lo_u32_b32 v5, -1, 0
	s_mov_b32 s1, exec_lo
	s_waitcnt lgkmcnt(0)
	s_barrier
	buffer_gl0_inv
	v_cmp_gt_u32_e64 s0, 16, v5
	s_delay_alu instid0(VALU_DEP_1) | instskip(SKIP_1) | instid1(VALU_DEP_2)
	v_cndmask_b32_e64 v2, 0, 1, s0
	v_cmp_gt_u32_e64 s0, 24, v5
	v_lshlrev_b32_e32 v2, 4, v2
	s_delay_alu instid0(VALU_DEP_2) | instskip(SKIP_1) | instid1(VALU_DEP_3)
	v_cndmask_b32_e64 v3, 0, 1, s0
	v_cmp_gt_u32_e64 s0, 28, v5
	v_add_lshl_u32 v2, v2, v5, 2
	ds_bpermute_b32 v2, v2, v7
	s_waitcnt lgkmcnt(0)
	v_dual_add_f32 v6, v7, v2 :: v_dual_lshlrev_b32 v3, 3, v3
	s_delay_alu instid0(VALU_DEP_1) | instskip(SKIP_4) | instid1(VALU_DEP_1)
	v_add_lshl_u32 v3, v3, v5, 2
	v_cndmask_b32_e64 v2, 0, 1, s0
	v_cmp_gt_u32_e64 s0, 30, v5
	ds_bpermute_b32 v3, v3, v6
	v_lshlrev_b32_e32 v2, 2, v2
	v_add_lshl_u32 v2, v2, v5, 2
	s_waitcnt lgkmcnt(0)
	v_add_f32_e32 v6, v6, v3
	v_cndmask_b32_e64 v3, 0, 1, s0
	v_cmp_ne_u32_e64 s0, 31, v5
	s_delay_alu instid0(VALU_DEP_2) | instskip(NEXT) | instid1(VALU_DEP_1)
	v_lshlrev_b32_e32 v3, 1, v3
	v_add_lshl_u32 v3, v3, v5, 2
	s_delay_alu instid0(VALU_DEP_3) | instskip(NEXT) | instid1(VALU_DEP_1)
	v_add_co_ci_u32_e64 v5, s0, 0, v5, s0
	v_lshlrev_b32_e32 v5, 2, v5
	ds_bpermute_b32 v7, v2, v6
	s_waitcnt lgkmcnt(0)
	v_add_f32_e32 v6, v6, v7
	ds_bpermute_b32 v7, v3, v6
	s_waitcnt lgkmcnt(0)
	v_add_f32_e32 v6, v6, v7
	ds_bpermute_b32 v7, v5, v6
	v_cmpx_eq_u32_e32 0, v4
	s_cbranch_execz .LBB218_25
; %bb.24:
	v_lshrrev_b32_e32 v4, 3, v0
	s_waitcnt lgkmcnt(0)
	v_add_f32_e32 v6, v6, v7
	s_delay_alu instid0(VALU_DEP_2)
	v_and_b32_e32 v4, 28, v4
	ds_store_b32 v4, v6
.LBB218_25:
	s_or_b32 exec_lo, exec_lo, s1
	v_mov_b32_e32 v4, 0
	s_mov_b32 s1, exec_lo
	s_waitcnt lgkmcnt(0)
	s_barrier
	buffer_gl0_inv
	v_cmpx_gt_u32_e32 8, v0
	s_cbranch_execz .LBB218_27
; %bb.26:
	ds_load_b32 v4, v1
.LBB218_27:
	s_or_b32 exec_lo, exec_lo, s1
	s_and_saveexec_b32 s0, vcc_lo
	s_cbranch_execz .LBB218_29
; %bb.28:
	s_waitcnt lgkmcnt(0)
	ds_bpermute_b32 v1, v2, v4
	s_waitcnt lgkmcnt(0)
	v_add_f32_e32 v1, v4, v1
	ds_bpermute_b32 v2, v3, v1
	s_waitcnt lgkmcnt(0)
	v_add_f32_e32 v1, v1, v2
	;; [unrolled: 3-line block ×3, first 2 shown]
.LBB218_29:
	s_or_b32 exec_lo, exec_lo, s0
	s_delay_alu instid0(SALU_CYCLE_1)
	s_mov_b32 s0, exec_lo
                                        ; implicit-def: $vgpr1
                                        ; implicit-def: $sgpr8_sgpr9
	v_cmpx_eq_u32_e32 0, v0
	s_cbranch_execz .LBB218_33
; %bb.30:
	v_cmp_eq_f32_e64 s1, s10, 0
	s_waitcnt lgkmcnt(0)
	v_mul_f32_e32 v1, s11, v4
	s_mul_i32 s8, s14, s15
	s_delay_alu instid0(SALU_CYCLE_1)
	s_ashr_i32 s9, s8, 31
	s_and_b32 vcc_lo, exec_lo, s1
	s_cbranch_vccnz .LBB218_32
; %bb.31:
	s_lshl_b64 s[2:3], s[8:9], 2
	s_delay_alu instid0(SALU_CYCLE_1)
	s_add_u32 s2, s12, s2
	s_addc_u32 s3, s13, s3
	s_load_b32 s1, s[2:3], 0x0
	s_waitcnt lgkmcnt(0)
	v_fmac_f32_e64 v1, s1, s10
.LBB218_32:
	s_or_b32 s16, s16, exec_lo
.LBB218_33:
	s_or_b32 exec_lo, exec_lo, s0
.LBB218_34:
	s_and_saveexec_b32 s0, s16
	s_cbranch_execz .LBB218_36
; %bb.35:
	s_lshl_b64 s[0:1], s[8:9], 2
	v_mov_b32_e32 v0, 0
	s_add_u32 s0, s12, s0
	s_addc_u32 s1, s13, s1
	global_store_b32 v0, v1, s[0:1]
.LBB218_36:
	s_nop 0
	s_sendmsg sendmsg(MSG_DEALLOC_VGPRS)
	s_endpgm
	.section	.rodata,"a",@progbits
	.p2align	6, 0x0
	.amdhsa_kernel _ZL32rocblas_gemvt_warp_reduce_kernelILb0ELi256EiPKffKPfEviiT3_lPKT2_lT1_lS7_lS8_lS4_lPT4_lS8_li
		.amdhsa_group_segment_fixed_size 128
		.amdhsa_private_segment_fixed_size 0
		.amdhsa_kernarg_size 140
		.amdhsa_user_sgpr_count 14
		.amdhsa_user_sgpr_dispatch_ptr 0
		.amdhsa_user_sgpr_queue_ptr 0
		.amdhsa_user_sgpr_kernarg_segment_ptr 1
		.amdhsa_user_sgpr_dispatch_id 0
		.amdhsa_user_sgpr_private_segment_size 0
		.amdhsa_wavefront_size32 1
		.amdhsa_uses_dynamic_stack 0
		.amdhsa_enable_private_segment 0
		.amdhsa_system_sgpr_workgroup_id_x 1
		.amdhsa_system_sgpr_workgroup_id_y 0
		.amdhsa_system_sgpr_workgroup_id_z 1
		.amdhsa_system_sgpr_workgroup_info 0
		.amdhsa_system_vgpr_workitem_id 0
		.amdhsa_next_free_vgpr 11
		.amdhsa_next_free_sgpr 20
		.amdhsa_reserve_vcc 1
		.amdhsa_float_round_mode_32 0
		.amdhsa_float_round_mode_16_64 0
		.amdhsa_float_denorm_mode_32 3
		.amdhsa_float_denorm_mode_16_64 3
		.amdhsa_dx10_clamp 1
		.amdhsa_ieee_mode 1
		.amdhsa_fp16_overflow 0
		.amdhsa_workgroup_processor_mode 1
		.amdhsa_memory_ordered 1
		.amdhsa_forward_progress 0
		.amdhsa_shared_vgpr_count 0
		.amdhsa_exception_fp_ieee_invalid_op 0
		.amdhsa_exception_fp_denorm_src 0
		.amdhsa_exception_fp_ieee_div_zero 0
		.amdhsa_exception_fp_ieee_overflow 0
		.amdhsa_exception_fp_ieee_underflow 0
		.amdhsa_exception_fp_ieee_inexact 0
		.amdhsa_exception_int_div_zero 0
	.end_amdhsa_kernel
	.section	.text._ZL32rocblas_gemvt_warp_reduce_kernelILb0ELi256EiPKffKPfEviiT3_lPKT2_lT1_lS7_lS8_lS4_lPT4_lS8_li,"axG",@progbits,_ZL32rocblas_gemvt_warp_reduce_kernelILb0ELi256EiPKffKPfEviiT3_lPKT2_lT1_lS7_lS8_lS4_lPT4_lS8_li,comdat
.Lfunc_end218:
	.size	_ZL32rocblas_gemvt_warp_reduce_kernelILb0ELi256EiPKffKPfEviiT3_lPKT2_lT1_lS7_lS8_lS4_lPT4_lS8_li, .Lfunc_end218-_ZL32rocblas_gemvt_warp_reduce_kernelILb0ELi256EiPKffKPfEviiT3_lPKT2_lT1_lS7_lS8_lS4_lPT4_lS8_li
                                        ; -- End function
	.section	.AMDGPU.csdata,"",@progbits
; Kernel info:
; codeLenInByte = 1408
; NumSgprs: 22
; NumVgprs: 11
; ScratchSize: 0
; MemoryBound: 0
; FloatMode: 240
; IeeeMode: 1
; LDSByteSize: 128 bytes/workgroup (compile time only)
; SGPRBlocks: 2
; VGPRBlocks: 1
; NumSGPRsForWavesPerEU: 22
; NumVGPRsForWavesPerEU: 11
; Occupancy: 16
; WaveLimiterHint : 1
; COMPUTE_PGM_RSRC2:SCRATCH_EN: 0
; COMPUTE_PGM_RSRC2:USER_SGPR: 14
; COMPUTE_PGM_RSRC2:TRAP_HANDLER: 0
; COMPUTE_PGM_RSRC2:TGID_X_EN: 1
; COMPUTE_PGM_RSRC2:TGID_Y_EN: 0
; COMPUTE_PGM_RSRC2:TGID_Z_EN: 1
; COMPUTE_PGM_RSRC2:TIDIG_COMP_CNT: 0
	.section	.text._ZL32rocblas_gemvt_warp_reduce_kernelILb0ELi256ElPKffKPfEviiT3_lPKT2_lT1_lS7_lS8_lS4_lPT4_lS8_li,"axG",@progbits,_ZL32rocblas_gemvt_warp_reduce_kernelILb0ELi256ElPKffKPfEviiT3_lPKT2_lT1_lS7_lS8_lS4_lPT4_lS8_li,comdat
	.globl	_ZL32rocblas_gemvt_warp_reduce_kernelILb0ELi256ElPKffKPfEviiT3_lPKT2_lT1_lS7_lS8_lS4_lPT4_lS8_li ; -- Begin function _ZL32rocblas_gemvt_warp_reduce_kernelILb0ELi256ElPKffKPfEviiT3_lPKT2_lT1_lS7_lS8_lS4_lPT4_lS8_li
	.p2align	8
	.type	_ZL32rocblas_gemvt_warp_reduce_kernelILb0ELi256ElPKffKPfEviiT3_lPKT2_lT1_lS7_lS8_lS4_lPT4_lS8_li,@function
_ZL32rocblas_gemvt_warp_reduce_kernelILb0ELi256ElPKffKPfEviiT3_lPKT2_lT1_lS7_lS8_lS4_lPT4_lS8_li: ; @_ZL32rocblas_gemvt_warp_reduce_kernelILb0ELi256ElPKffKPfEviiT3_lPKT2_lT1_lS7_lS8_lS4_lPT4_lS8_li
; %bb.0:
	s_mov_b32 s2, s15
	s_clause 0x1
	s_load_b32 s18, s[0:1], 0x8
	s_load_b32 s15, s[0:1], 0x58
	s_waitcnt lgkmcnt(0)
	v_cmp_eq_f32_e64 s16, s18, 0
	v_cmp_eq_f32_e64 s3, s15, 1.0
	s_delay_alu instid0(VALU_DEP_1) | instskip(NEXT) | instid1(SALU_CYCLE_1)
	s_and_b32 s3, s16, s3
	s_and_b32 vcc_lo, exec_lo, s3
	s_cbranch_vccnz .LBB219_36
; %bb.1:
	s_clause 0x1
	s_load_b128 s[4:7], s[0:1], 0x18
	s_load_b64 s[10:11], s[0:1], 0x28
	v_cmp_neq_f32_e64 s17, s18, 0
	s_delay_alu instid0(VALU_DEP_1)
	s_and_b32 vcc_lo, exec_lo, s17
	s_cbranch_vccnz .LBB219_3
; %bb.2:
	s_mov_b32 s3, 0
	s_mov_b64 s[12:13], 0
	s_cbranch_execz .LBB219_4
	s_branch .LBB219_5
.LBB219_3:
	s_mov_b32 s3, -1
                                        ; implicit-def: $sgpr12_sgpr13
.LBB219_4:
	s_mov_b32 s3, 0
	s_delay_alu instid0(SALU_CYCLE_1)
	s_lshl_b64 s[8:9], s[2:3], 3
	s_waitcnt lgkmcnt(0)
	s_add_u32 s4, s4, s8
	s_addc_u32 s5, s5, s9
	s_lshl_b64 s[6:7], s[6:7], 2
	s_load_b64 s[4:5], s[4:5], 0x0
	s_waitcnt lgkmcnt(0)
	s_add_u32 s12, s4, s6
	s_addc_u32 s13, s5, s7
.LBB219_5:
	s_waitcnt lgkmcnt(0)
	s_clause 0x1
	s_load_b128 s[4:7], s[0:1], 0x38
	s_load_b64 s[8:9], s[0:1], 0x48
	s_and_not1_b32 vcc_lo, exec_lo, s17
	s_cbranch_vccnz .LBB219_7
; %bb.6:
	s_lshl_b64 s[20:21], s[2:3], 3
	s_waitcnt lgkmcnt(0)
	s_add_u32 s4, s4, s20
	s_addc_u32 s5, s5, s21
	s_lshl_b64 s[6:7], s[6:7], 2
	s_load_b64 s[4:5], s[4:5], 0x0
	s_waitcnt lgkmcnt(0)
	s_add_u32 s6, s4, s6
	s_addc_u32 s7, s5, s7
	s_branch .LBB219_8
.LBB219_7:
	s_waitcnt lgkmcnt(0)
	s_mov_b64 s[6:7], 0
.LBB219_8:
	s_clause 0x1
	s_load_b128 s[20:23], s[0:1], 0x68
	s_load_b64 s[4:5], s[0:1], 0x78
	s_lshl_b64 s[2:3], s[2:3], 3
	s_waitcnt lgkmcnt(0)
	s_add_u32 s2, s20, s2
	s_addc_u32 s3, s21, s3
	s_lshl_b64 s[22:23], s[22:23], 2
	s_load_b64 s[20:21], s[2:3], 0x0
	v_cmp_eq_u32_e64 s2, 0, v0
	s_waitcnt lgkmcnt(0)
	s_add_u32 s19, s20, s22
	s_addc_u32 s20, s21, s23
	s_and_not1_b32 vcc_lo, exec_lo, s16
	s_cbranch_vccnz .LBB219_13
; %bb.9:
	s_mov_b32 s3, 0
	s_mov_b32 s21, 0
                                        ; implicit-def: $vgpr1
                                        ; implicit-def: $sgpr16_sgpr17
	s_and_saveexec_b32 s22, s2
	s_cbranch_execz .LBB219_14
; %bb.10:
	v_cmp_eq_f32_e64 s2, s15, 0
	s_mul_i32 s16, s14, s5
	s_mul_hi_u32 s17, s14, s4
	s_ashr_i32 s21, s14, 31
	v_mov_b32_e32 v1, 0
	s_add_i32 s16, s17, s16
	s_mul_i32 s21, s21, s4
	s_and_b32 vcc_lo, exec_lo, s2
	s_add_i32 s17, s16, s21
	s_mul_i32 s16, s14, s4
	s_cbranch_vccnz .LBB219_12
; %bb.11:
	s_lshl_b64 s[24:25], s[16:17], 2
	s_delay_alu instid0(SALU_CYCLE_1)
	s_add_u32 s24, s19, s24
	s_addc_u32 s25, s20, s25
	s_load_b32 s2, s[24:25], 0x0
	s_waitcnt lgkmcnt(0)
	v_mul_f32_e64 v1, s2, s15
.LBB219_12:
	s_mov_b32 s21, exec_lo
	s_or_b32 exec_lo, exec_lo, s22
	s_delay_alu instid0(SALU_CYCLE_1)
	s_and_b32 vcc_lo, exec_lo, s3
	s_cbranch_vccnz .LBB219_15
	s_branch .LBB219_34
.LBB219_13:
	s_mov_b32 s21, 0
                                        ; implicit-def: $vgpr1
                                        ; implicit-def: $sgpr16_sgpr17
	s_cbranch_execnz .LBB219_15
	s_branch .LBB219_34
.LBB219_14:
	s_or_b32 exec_lo, exec_lo, s22
	s_delay_alu instid0(SALU_CYCLE_1)
	s_and_b32 vcc_lo, exec_lo, s3
	s_cbranch_vccz .LBB219_34
.LBB219_15:
	s_load_b32 s3, s[0:1], 0x0
	s_mul_i32 s0, s14, s11
	s_mul_hi_u32 s2, s14, s10
	s_ashr_i32 s1, s14, 31
	s_add_i32 s0, s2, s0
	s_mul_i32 s2, s1, s10
	s_mul_i32 s10, s14, s10
	s_add_i32 s11, s0, s2
	v_mov_b32_e32 v7, 0
	s_lshl_b64 s[10:11], s[10:11], 2
	s_delay_alu instid0(SALU_CYCLE_1)
	s_add_u32 s0, s10, s12
	s_addc_u32 s10, s11, s13
	s_mov_b32 s13, 0
	s_mov_b32 s12, exec_lo
	s_waitcnt lgkmcnt(0)
	v_cmp_gt_i32_e32 vcc_lo, s3, v0
	s_ashr_i32 s2, s3, 31
	s_delay_alu instid0(SALU_CYCLE_1) | instskip(NEXT) | instid1(SALU_CYCLE_1)
	s_lshr_b32 s2, s2, 24
	s_add_i32 s2, s3, s2
	v_cndmask_b32_e32 v1, 0, v0, vcc_lo
	s_and_b32 s2, s2, 0xffffff00
	s_delay_alu instid0(VALU_DEP_1) | instskip(NEXT) | instid1(VALU_DEP_1)
	v_lshlrev_b32_e32 v1, 2, v1
	v_add_co_u32 v1, s0, s0, v1
	s_delay_alu instid0(VALU_DEP_1)
	v_add_co_ci_u32_e64 v2, null, s10, 0, s0
	v_cmpx_gt_i32_e64 s2, v0
	s_cbranch_execz .LBB219_19
; %bb.16:
	v_mad_u64_u32 v[3:4], null, s8, v0, 0
	v_mov_b32_e32 v8, v0
	s_lshl_b64 s[10:11], s[8:9], 10
	v_mov_b32_e32 v7, 0
	s_delay_alu instid0(VALU_DEP_3) | instskip(NEXT) | instid1(VALU_DEP_1)
	v_mad_u64_u32 v[5:6], null, s9, v0, v[4:5]
	v_mov_b32_e32 v4, v5
	s_delay_alu instid0(VALU_DEP_1) | instskip(SKIP_1) | instid1(VALU_DEP_2)
	v_lshlrev_b64 v[5:6], 2, v[3:4]
	v_dual_mov_b32 v4, v2 :: v_dual_mov_b32 v3, v1
	v_add_co_u32 v5, vcc_lo, s6, v5
	s_delay_alu instid0(VALU_DEP_3)
	v_add_co_ci_u32_e32 v6, vcc_lo, s7, v6, vcc_lo
	.p2align	6
.LBB219_17:                             ; =>This Inner Loop Header: Depth=1
	flat_load_b32 v9, v[3:4]
	flat_load_b32 v10, v[5:6]
	v_add_nc_u32_e32 v8, 0x100, v8
	v_add_co_u32 v3, vcc_lo, 0x400, v3
	v_add_co_ci_u32_e32 v4, vcc_lo, 0, v4, vcc_lo
	v_add_co_u32 v5, vcc_lo, v5, s10
	v_add_co_ci_u32_e32 v6, vcc_lo, s11, v6, vcc_lo
	s_waitcnt vmcnt(0) lgkmcnt(0)
	v_fmac_f32_e32 v7, v9, v10
	v_cmp_le_i32_e64 s0, s2, v8
	s_delay_alu instid0(VALU_DEP_1) | instskip(NEXT) | instid1(SALU_CYCLE_1)
	s_or_b32 s13, s0, s13
	s_and_not1_b32 exec_lo, exec_lo, s13
	s_cbranch_execnz .LBB219_17
; %bb.18:
	s_or_b32 exec_lo, exec_lo, s13
.LBB219_19:
	s_delay_alu instid0(SALU_CYCLE_1) | instskip(SKIP_2) | instid1(VALU_DEP_1)
	s_or_b32 exec_lo, exec_lo, s12
	v_add_nc_u32_e32 v3, s2, v0
	s_mov_b32 s0, exec_lo
	v_cmpx_gt_i32_e64 s3, v3
	s_cbranch_execz .LBB219_21
; %bb.20:
	v_ashrrev_i32_e32 v6, 31, v3
	v_mul_lo_u32 v8, v3, s9
	v_mad_u64_u32 v[4:5], null, v3, s8, 0
	s_ashr_i32 s3, s2, 31
	s_delay_alu instid0(VALU_DEP_3) | instskip(SKIP_1) | instid1(SALU_CYCLE_1)
	v_mul_lo_u32 v3, v6, s8
	s_lshl_b64 s[2:3], s[2:3], 2
	v_add_co_u32 v1, vcc_lo, v1, s2
	v_add_co_ci_u32_e32 v2, vcc_lo, s3, v2, vcc_lo
	s_delay_alu instid0(VALU_DEP_3) | instskip(NEXT) | instid1(VALU_DEP_1)
	v_add3_u32 v5, v5, v8, v3
	v_lshlrev_b64 v[3:4], 2, v[4:5]
	s_delay_alu instid0(VALU_DEP_1) | instskip(NEXT) | instid1(VALU_DEP_2)
	v_add_co_u32 v3, vcc_lo, s6, v3
	v_add_co_ci_u32_e32 v4, vcc_lo, s7, v4, vcc_lo
	flat_load_b32 v1, v[1:2]
	flat_load_b32 v2, v[3:4]
	s_waitcnt vmcnt(0) lgkmcnt(0)
	v_fmac_f32_e32 v7, v1, v2
.LBB219_21:
	s_or_b32 exec_lo, exec_lo, s0
	v_and_b32_e32 v4, 31, v0
	v_cmp_gt_u32_e32 vcc_lo, 32, v0
	s_delay_alu instid0(VALU_DEP_2)
	v_lshlrev_b32_e32 v1, 2, v4
	s_and_saveexec_b32 s0, vcc_lo
	s_cbranch_execz .LBB219_23
; %bb.22:
	v_mov_b32_e32 v2, 0
	ds_store_b32 v1, v2
.LBB219_23:
	s_or_b32 exec_lo, exec_lo, s0
	v_mbcnt_lo_u32_b32 v5, -1, 0
	s_mov_b32 s2, exec_lo
	s_waitcnt lgkmcnt(0)
	s_barrier
	buffer_gl0_inv
	v_cmp_gt_u32_e64 s0, 16, v5
	s_delay_alu instid0(VALU_DEP_1) | instskip(SKIP_1) | instid1(VALU_DEP_2)
	v_cndmask_b32_e64 v2, 0, 1, s0
	v_cmp_gt_u32_e64 s0, 24, v5
	v_lshlrev_b32_e32 v2, 4, v2
	s_delay_alu instid0(VALU_DEP_2) | instskip(SKIP_1) | instid1(VALU_DEP_3)
	v_cndmask_b32_e64 v3, 0, 1, s0
	v_cmp_gt_u32_e64 s0, 28, v5
	v_add_lshl_u32 v2, v2, v5, 2
	ds_bpermute_b32 v2, v2, v7
	s_waitcnt lgkmcnt(0)
	v_dual_add_f32 v6, v7, v2 :: v_dual_lshlrev_b32 v3, 3, v3
	s_delay_alu instid0(VALU_DEP_1) | instskip(SKIP_4) | instid1(VALU_DEP_1)
	v_add_lshl_u32 v3, v3, v5, 2
	v_cndmask_b32_e64 v2, 0, 1, s0
	v_cmp_gt_u32_e64 s0, 30, v5
	ds_bpermute_b32 v3, v3, v6
	v_lshlrev_b32_e32 v2, 2, v2
	v_add_lshl_u32 v2, v2, v5, 2
	s_waitcnt lgkmcnt(0)
	v_add_f32_e32 v6, v6, v3
	v_cndmask_b32_e64 v3, 0, 1, s0
	v_cmp_ne_u32_e64 s0, 31, v5
	s_delay_alu instid0(VALU_DEP_2) | instskip(NEXT) | instid1(VALU_DEP_1)
	v_lshlrev_b32_e32 v3, 1, v3
	v_add_lshl_u32 v3, v3, v5, 2
	s_delay_alu instid0(VALU_DEP_3) | instskip(NEXT) | instid1(VALU_DEP_1)
	v_add_co_ci_u32_e64 v5, s0, 0, v5, s0
	v_lshlrev_b32_e32 v5, 2, v5
	ds_bpermute_b32 v7, v2, v6
	s_waitcnt lgkmcnt(0)
	v_add_f32_e32 v6, v6, v7
	ds_bpermute_b32 v7, v3, v6
	s_waitcnt lgkmcnt(0)
	v_add_f32_e32 v6, v6, v7
	ds_bpermute_b32 v7, v5, v6
	v_cmpx_eq_u32_e32 0, v4
	s_cbranch_execz .LBB219_25
; %bb.24:
	v_lshrrev_b32_e32 v4, 3, v0
	s_waitcnt lgkmcnt(0)
	v_add_f32_e32 v6, v6, v7
	s_delay_alu instid0(VALU_DEP_2)
	v_and_b32_e32 v4, 28, v4
	ds_store_b32 v4, v6
.LBB219_25:
	s_or_b32 exec_lo, exec_lo, s2
	v_mov_b32_e32 v4, 0
	s_mov_b32 s2, exec_lo
	s_waitcnt lgkmcnt(0)
	s_barrier
	buffer_gl0_inv
	v_cmpx_gt_u32_e32 8, v0
	s_cbranch_execz .LBB219_27
; %bb.26:
	ds_load_b32 v4, v1
.LBB219_27:
	s_or_b32 exec_lo, exec_lo, s2
	s_and_saveexec_b32 s0, vcc_lo
	s_cbranch_execz .LBB219_29
; %bb.28:
	s_waitcnt lgkmcnt(0)
	ds_bpermute_b32 v1, v2, v4
	s_waitcnt lgkmcnt(0)
	v_add_f32_e32 v1, v4, v1
	ds_bpermute_b32 v2, v3, v1
	s_waitcnt lgkmcnt(0)
	v_add_f32_e32 v1, v1, v2
	;; [unrolled: 3-line block ×3, first 2 shown]
.LBB219_29:
	s_or_b32 exec_lo, exec_lo, s0
	s_delay_alu instid0(SALU_CYCLE_1)
	s_mov_b32 s0, exec_lo
                                        ; implicit-def: $vgpr1
                                        ; implicit-def: $sgpr16_sgpr17
	v_cmpx_eq_u32_e32 0, v0
	s_cbranch_execz .LBB219_33
; %bb.30:
	s_mul_i32 s2, s14, s5
	v_cmp_eq_f32_e64 s5, s15, 0
	s_mul_hi_u32 s3, s14, s4
	s_waitcnt lgkmcnt(0)
	v_mul_f32_e32 v1, s18, v4
	s_add_i32 s2, s3, s2
	s_mul_i32 s1, s1, s4
	s_and_b32 vcc_lo, exec_lo, s5
	s_add_i32 s17, s2, s1
	s_mul_i32 s16, s14, s4
	s_cbranch_vccnz .LBB219_32
; %bb.31:
	s_lshl_b64 s[2:3], s[16:17], 2
	s_delay_alu instid0(SALU_CYCLE_1)
	s_add_u32 s2, s19, s2
	s_addc_u32 s3, s20, s3
	s_load_b32 s1, s[2:3], 0x0
	s_waitcnt lgkmcnt(0)
	v_fmac_f32_e64 v1, s1, s15
.LBB219_32:
	s_or_b32 s21, s21, exec_lo
.LBB219_33:
	s_or_b32 exec_lo, exec_lo, s0
.LBB219_34:
	s_and_saveexec_b32 s0, s21
	s_cbranch_execz .LBB219_36
; %bb.35:
	s_lshl_b64 s[0:1], s[16:17], 2
	v_mov_b32_e32 v0, 0
	s_add_u32 s0, s19, s0
	s_addc_u32 s1, s20, s1
	global_store_b32 v0, v1, s[0:1]
.LBB219_36:
	s_nop 0
	s_sendmsg sendmsg(MSG_DEALLOC_VGPRS)
	s_endpgm
	.section	.rodata,"a",@progbits
	.p2align	6, 0x0
	.amdhsa_kernel _ZL32rocblas_gemvt_warp_reduce_kernelILb0ELi256ElPKffKPfEviiT3_lPKT2_lT1_lS7_lS8_lS4_lPT4_lS8_li
		.amdhsa_group_segment_fixed_size 128
		.amdhsa_private_segment_fixed_size 0
		.amdhsa_kernarg_size 140
		.amdhsa_user_sgpr_count 14
		.amdhsa_user_sgpr_dispatch_ptr 0
		.amdhsa_user_sgpr_queue_ptr 0
		.amdhsa_user_sgpr_kernarg_segment_ptr 1
		.amdhsa_user_sgpr_dispatch_id 0
		.amdhsa_user_sgpr_private_segment_size 0
		.amdhsa_wavefront_size32 1
		.amdhsa_uses_dynamic_stack 0
		.amdhsa_enable_private_segment 0
		.amdhsa_system_sgpr_workgroup_id_x 1
		.amdhsa_system_sgpr_workgroup_id_y 0
		.amdhsa_system_sgpr_workgroup_id_z 1
		.amdhsa_system_sgpr_workgroup_info 0
		.amdhsa_system_vgpr_workitem_id 0
		.amdhsa_next_free_vgpr 11
		.amdhsa_next_free_sgpr 26
		.amdhsa_reserve_vcc 1
		.amdhsa_float_round_mode_32 0
		.amdhsa_float_round_mode_16_64 0
		.amdhsa_float_denorm_mode_32 3
		.amdhsa_float_denorm_mode_16_64 3
		.amdhsa_dx10_clamp 1
		.amdhsa_ieee_mode 1
		.amdhsa_fp16_overflow 0
		.amdhsa_workgroup_processor_mode 1
		.amdhsa_memory_ordered 1
		.amdhsa_forward_progress 0
		.amdhsa_shared_vgpr_count 0
		.amdhsa_exception_fp_ieee_invalid_op 0
		.amdhsa_exception_fp_denorm_src 0
		.amdhsa_exception_fp_ieee_div_zero 0
		.amdhsa_exception_fp_ieee_overflow 0
		.amdhsa_exception_fp_ieee_underflow 0
		.amdhsa_exception_fp_ieee_inexact 0
		.amdhsa_exception_int_div_zero 0
	.end_amdhsa_kernel
	.section	.text._ZL32rocblas_gemvt_warp_reduce_kernelILb0ELi256ElPKffKPfEviiT3_lPKT2_lT1_lS7_lS8_lS4_lPT4_lS8_li,"axG",@progbits,_ZL32rocblas_gemvt_warp_reduce_kernelILb0ELi256ElPKffKPfEviiT3_lPKT2_lT1_lS7_lS8_lS4_lPT4_lS8_li,comdat
.Lfunc_end219:
	.size	_ZL32rocblas_gemvt_warp_reduce_kernelILb0ELi256ElPKffKPfEviiT3_lPKT2_lT1_lS7_lS8_lS4_lPT4_lS8_li, .Lfunc_end219-_ZL32rocblas_gemvt_warp_reduce_kernelILb0ELi256ElPKffKPfEviiT3_lPKT2_lT1_lS7_lS8_lS4_lPT4_lS8_li
                                        ; -- End function
	.section	.AMDGPU.csdata,"",@progbits
; Kernel info:
; codeLenInByte = 1516
; NumSgprs: 28
; NumVgprs: 11
; ScratchSize: 0
; MemoryBound: 0
; FloatMode: 240
; IeeeMode: 1
; LDSByteSize: 128 bytes/workgroup (compile time only)
; SGPRBlocks: 3
; VGPRBlocks: 1
; NumSGPRsForWavesPerEU: 28
; NumVGPRsForWavesPerEU: 11
; Occupancy: 16
; WaveLimiterHint : 1
; COMPUTE_PGM_RSRC2:SCRATCH_EN: 0
; COMPUTE_PGM_RSRC2:USER_SGPR: 14
; COMPUTE_PGM_RSRC2:TRAP_HANDLER: 0
; COMPUTE_PGM_RSRC2:TGID_X_EN: 1
; COMPUTE_PGM_RSRC2:TGID_Y_EN: 0
; COMPUTE_PGM_RSRC2:TGID_Z_EN: 1
; COMPUTE_PGM_RSRC2:TIDIG_COMP_CNT: 0
	.section	.text._ZL20rocblas_gemvt_kernelILb0ELi256EPKfS1_KPfEviiT2_lPKT1_lilS7_lilS4_lPT3_lili,"axG",@progbits,_ZL20rocblas_gemvt_kernelILb0ELi256EPKfS1_KPfEviiT2_lPKT1_lilS7_lilS4_lPT3_lili,comdat
	.globl	_ZL20rocblas_gemvt_kernelILb0ELi256EPKfS1_KPfEviiT2_lPKT1_lilS7_lilS4_lPT3_lili ; -- Begin function _ZL20rocblas_gemvt_kernelILb0ELi256EPKfS1_KPfEviiT2_lPKT1_lilS7_lilS4_lPT3_lili
	.p2align	8
	.type	_ZL20rocblas_gemvt_kernelILb0ELi256EPKfS1_KPfEviiT2_lPKT1_lilS7_lilS4_lPT3_lili,@function
_ZL20rocblas_gemvt_kernelILb0ELi256EPKfS1_KPfEviiT2_lPKT1_lilS7_lilS4_lPT3_lili: ; @_ZL20rocblas_gemvt_kernelILb0ELi256EPKfS1_KPfEviiT2_lPKT1_lilS7_lilS4_lPT3_lili
; %bb.0:
	s_clause 0x1
	s_load_b256 s[16:23], s[0:1], 0x8
	s_load_b256 s[4:11], s[0:1], 0x58
	s_waitcnt lgkmcnt(0)
	s_mul_i32 s3, s15, s19
	s_mul_hi_u32 s13, s15, s18
	s_mul_i32 s12, s15, s18
	s_add_i32 s13, s13, s3
	s_mul_i32 s3, s15, s7
	s_lshl_b64 s[12:13], s[12:13], 2
	s_mul_hi_u32 s7, s15, s6
	s_add_u32 s12, s16, s12
	s_addc_u32 s13, s17, s13
	s_add_i32 s7, s7, s3
	s_mul_i32 s6, s15, s6
	s_delay_alu instid0(SALU_CYCLE_1) | instskip(NEXT) | instid1(SALU_CYCLE_1)
	s_lshl_b64 s[6:7], s[6:7], 2
	s_add_u32 s4, s4, s6
	s_addc_u32 s5, s5, s7
	s_load_b32 s13, s[12:13], 0x0
	s_load_b32 s12, s[4:5], 0x0
	s_waitcnt lgkmcnt(0)
	v_cmp_eq_f32_e64 s16, s13, 0
	v_cmp_eq_f32_e64 s3, s12, 1.0
	s_delay_alu instid0(VALU_DEP_1) | instskip(NEXT) | instid1(SALU_CYCLE_1)
	s_and_b32 s3, s16, s3
	s_and_b32 vcc_lo, exec_lo, s3
	s_mov_b32 s3, 0
	s_cbranch_vccnz .LBB220_40
; %bb.1:
	s_mov_b32 s2, s15
	v_cmp_neq_f32_e64 s15, s13, 0
	s_mov_b64 s[4:5], 0
	s_and_b32 vcc_lo, exec_lo, s16
	s_mov_b64 s[6:7], 0
	s_cbranch_vccnz .LBB220_3
; %bb.2:
	s_lshl_b64 s[6:7], s[2:3], 3
	s_delay_alu instid0(SALU_CYCLE_1)
	s_add_u32 s6, s20, s6
	s_addc_u32 s7, s21, s7
	s_lshl_b64 s[18:19], s[22:23], 2
	s_load_b64 s[6:7], s[6:7], 0x0
	s_waitcnt lgkmcnt(0)
	s_add_u32 s6, s6, s18
	s_addc_u32 s7, s7, s19
.LBB220_3:
	s_and_not1_b32 vcc_lo, exec_lo, s15
	s_cbranch_vccnz .LBB220_5
; %bb.4:
	s_load_b128 s[20:23], s[0:1], 0x38
	s_lshl_b64 s[4:5], s[2:3], 3
	s_waitcnt lgkmcnt(0)
	s_add_u32 s4, s20, s4
	s_addc_u32 s5, s21, s5
	s_lshl_b64 s[18:19], s[22:23], 2
	s_load_b64 s[4:5], s[4:5], 0x0
	s_waitcnt lgkmcnt(0)
	s_add_u32 s4, s4, s18
	s_addc_u32 s5, s5, s19
.LBB220_5:
	s_lshl_b64 s[2:3], s[2:3], 3
	s_delay_alu instid0(SALU_CYCLE_1)
	s_add_u32 s2, s8, s2
	s_addc_u32 s3, s9, s3
	s_lshl_b64 s[10:11], s[10:11], 2
	s_load_b64 s[8:9], s[2:3], 0x0
	s_load_b32 s15, s[0:1], 0x78
	v_cmp_eq_u32_e64 s2, 0, v0
	s_waitcnt lgkmcnt(0)
	s_add_u32 s10, s8, s10
	s_addc_u32 s11, s9, s11
	s_and_not1_b32 vcc_lo, exec_lo, s16
	s_cbranch_vccnz .LBB220_10
; %bb.6:
	s_mov_b32 s3, 0
	s_mov_b32 s16, 0
                                        ; implicit-def: $vgpr1
                                        ; implicit-def: $sgpr8_sgpr9
	s_and_saveexec_b32 s17, s2
	s_cbranch_execz .LBB220_11
; %bb.7:
	v_cmp_eq_f32_e64 s2, s12, 0
	v_mov_b32_e32 v1, 0
	s_mul_hi_i32 s9, s15, s14
	s_mul_i32 s8, s15, s14
	s_delay_alu instid0(VALU_DEP_2)
	s_and_b32 vcc_lo, exec_lo, s2
	s_cbranch_vccnz .LBB220_9
; %bb.8:
	s_lshl_b64 s[18:19], s[8:9], 2
	s_delay_alu instid0(SALU_CYCLE_1)
	s_add_u32 s18, s10, s18
	s_addc_u32 s19, s11, s19
	s_load_b32 s2, s[18:19], 0x0
	s_waitcnt lgkmcnt(0)
	v_mul_f32_e64 v1, s12, s2
.LBB220_9:
	s_mov_b32 s16, exec_lo
	s_or_b32 exec_lo, exec_lo, s17
	s_delay_alu instid0(SALU_CYCLE_1)
	s_and_b32 vcc_lo, exec_lo, s3
	s_cbranch_vccnz .LBB220_12
	s_branch .LBB220_38
.LBB220_10:
	s_mov_b32 s16, 0
                                        ; implicit-def: $vgpr1
                                        ; implicit-def: $sgpr8_sgpr9
	s_cbranch_execnz .LBB220_12
	s_branch .LBB220_38
.LBB220_11:
	s_or_b32 exec_lo, exec_lo, s17
	s_delay_alu instid0(SALU_CYCLE_1)
	s_and_b32 vcc_lo, exec_lo, s3
	s_cbranch_vccz .LBB220_38
.LBB220_12:
	s_clause 0x2
	s_load_b32 s2, s[0:1], 0x28
	s_load_b32 s3, s[0:1], 0x0
	s_load_b32 s0, s[0:1], 0x48
	v_mov_b32_e32 v7, 0
	s_waitcnt lgkmcnt(0)
	s_mul_hi_i32 s9, s2, s14
	v_cmp_gt_i32_e32 vcc_lo, s3, v0
	s_mul_i32 s8, s2, s14
	s_delay_alu instid0(SALU_CYCLE_1) | instskip(NEXT) | instid1(SALU_CYCLE_1)
	s_lshl_b64 s[8:9], s[8:9], 2
	s_add_u32 s1, s8, s6
	v_cndmask_b32_e32 v1, 0, v0, vcc_lo
	s_addc_u32 s2, s9, s7
	s_ashr_i32 s6, s3, 31
	s_mov_b32 s8, 0
	s_lshr_b32 s6, s6, 24
	v_lshlrev_b32_e32 v1, 2, v1
	s_add_i32 s6, s3, s6
	s_delay_alu instid0(VALU_DEP_1) | instskip(NEXT) | instid1(VALU_DEP_1)
	v_add_co_u32 v1, s1, s1, v1
	v_add_co_ci_u32_e64 v2, null, s2, 0, s1
	s_and_b32 s2, s6, 0xffffff00
	s_cmpk_lt_i32 s3, 0x100
	s_cbranch_scc1 .LBB220_15
; %bb.13:
	v_mad_i64_i32 v[3:4], null, s0, v0, 0
	v_dual_mov_b32 v7, 0 :: v_dual_mov_b32 v6, v2
	v_mov_b32_e32 v5, v1
	s_ashr_i32 s1, s0, 31
	s_delay_alu instid0(SALU_CYCLE_1) | instskip(NEXT) | instid1(VALU_DEP_3)
	s_lshl_b64 s[6:7], s[0:1], 10
	v_lshlrev_b64 v[3:4], 2, v[3:4]
	s_delay_alu instid0(VALU_DEP_1) | instskip(NEXT) | instid1(VALU_DEP_2)
	v_add_co_u32 v3, vcc_lo, s4, v3
	v_add_co_ci_u32_e32 v4, vcc_lo, s5, v4, vcc_lo
.LBB220_14:                             ; =>This Inner Loop Header: Depth=1
	flat_load_b32 v8, v[5:6]
	flat_load_b32 v9, v[3:4]
	v_add_co_u32 v3, vcc_lo, v3, s6
	v_add_co_ci_u32_e32 v4, vcc_lo, s7, v4, vcc_lo
	v_add_co_u32 v5, vcc_lo, 0x400, v5
	v_add_co_ci_u32_e32 v6, vcc_lo, 0, v6, vcc_lo
	s_addk_i32 s8, 0x100
	s_delay_alu instid0(SALU_CYCLE_1)
	s_cmp_ge_i32 s8, s2
	s_waitcnt vmcnt(0) lgkmcnt(0)
	v_fmac_f32_e32 v7, v8, v9
	s_cbranch_scc0 .LBB220_14
.LBB220_15:
	v_add_nc_u32_e32 v3, s2, v0
	s_mov_b32 s1, exec_lo
	s_delay_alu instid0(VALU_DEP_1)
	v_cmpx_gt_i32_e64 s3, v3
	s_cbranch_execz .LBB220_17
; %bb.16:
	v_mad_i64_i32 v[4:5], null, s0, v3, 0
	s_ashr_i32 s3, s2, 31
	s_delay_alu instid0(SALU_CYCLE_1) | instskip(NEXT) | instid1(SALU_CYCLE_1)
	s_lshl_b64 s[2:3], s[2:3], 2
	v_add_co_u32 v1, vcc_lo, v1, s2
	s_delay_alu instid0(VALU_DEP_2) | instskip(SKIP_1) | instid1(VALU_DEP_2)
	v_lshlrev_b64 v[3:4], 2, v[4:5]
	v_add_co_ci_u32_e32 v2, vcc_lo, s3, v2, vcc_lo
	v_add_co_u32 v3, vcc_lo, s4, v3
	s_delay_alu instid0(VALU_DEP_3)
	v_add_co_ci_u32_e32 v4, vcc_lo, s5, v4, vcc_lo
	flat_load_b32 v1, v[1:2]
	flat_load_b32 v2, v[3:4]
	s_waitcnt vmcnt(0) lgkmcnt(0)
	v_fmac_f32_e32 v7, v1, v2
.LBB220_17:
	s_or_b32 exec_lo, exec_lo, s1
	v_lshlrev_b32_e32 v1, 2, v0
	s_mov_b32 s0, exec_lo
	ds_store_b32 v1, v7
	s_waitcnt lgkmcnt(0)
	s_barrier
	buffer_gl0_inv
	v_cmpx_gt_u32_e32 0x80, v0
	s_cbranch_execz .LBB220_19
; %bb.18:
	ds_load_2addr_stride64_b32 v[2:3], v1 offset1:2
	s_waitcnt lgkmcnt(0)
	v_add_f32_e32 v2, v3, v2
	ds_store_b32 v1, v2
.LBB220_19:
	s_or_b32 exec_lo, exec_lo, s0
	s_delay_alu instid0(SALU_CYCLE_1)
	s_mov_b32 s0, exec_lo
	s_waitcnt lgkmcnt(0)
	s_barrier
	buffer_gl0_inv
	v_cmpx_gt_u32_e32 64, v0
	s_cbranch_execz .LBB220_21
; %bb.20:
	ds_load_2addr_stride64_b32 v[2:3], v1 offset1:1
	s_waitcnt lgkmcnt(0)
	v_add_f32_e32 v2, v3, v2
	ds_store_b32 v1, v2
.LBB220_21:
	s_or_b32 exec_lo, exec_lo, s0
	s_delay_alu instid0(SALU_CYCLE_1)
	s_mov_b32 s0, exec_lo
	s_waitcnt lgkmcnt(0)
	s_barrier
	buffer_gl0_inv
	v_cmpx_gt_u32_e32 32, v0
	s_cbranch_execz .LBB220_23
; %bb.22:
	ds_load_2addr_b32 v[2:3], v1 offset1:32
	s_waitcnt lgkmcnt(0)
	v_add_f32_e32 v2, v3, v2
	ds_store_b32 v1, v2
.LBB220_23:
	s_or_b32 exec_lo, exec_lo, s0
	s_delay_alu instid0(SALU_CYCLE_1)
	s_mov_b32 s0, exec_lo
	s_waitcnt lgkmcnt(0)
	s_barrier
	buffer_gl0_inv
	v_cmpx_gt_u32_e32 16, v0
	s_cbranch_execz .LBB220_25
; %bb.24:
	ds_load_2addr_b32 v[2:3], v1 offset1:16
	s_waitcnt lgkmcnt(0)
	v_add_f32_e32 v2, v3, v2
	ds_store_b32 v1, v2
.LBB220_25:
	;; [unrolled: 14-line block ×5, first 2 shown]
	s_or_b32 exec_lo, exec_lo, s0
	v_cmp_eq_u32_e32 vcc_lo, 0, v0
	s_waitcnt lgkmcnt(0)
	s_barrier
	buffer_gl0_inv
	s_and_saveexec_b32 s0, vcc_lo
	s_cbranch_execz .LBB220_33
; %bb.32:
	v_mov_b32_e32 v2, 0
	ds_load_b64 v[0:1], v2
	s_waitcnt lgkmcnt(0)
	v_add_f32_e32 v0, v1, v0
	ds_store_b32 v2, v0
.LBB220_33:
	s_or_b32 exec_lo, exec_lo, s0
	s_waitcnt lgkmcnt(0)
	s_barrier
	buffer_gl0_inv
                                        ; implicit-def: $vgpr1
                                        ; implicit-def: $sgpr8_sgpr9
	s_and_saveexec_b32 s0, vcc_lo
	s_cbranch_execz .LBB220_37
; %bb.34:
	v_mov_b32_e32 v0, 0
	v_cmp_eq_f32_e64 s1, s12, 0
	s_mul_hi_i32 s9, s15, s14
	s_mul_i32 s8, s15, s14
	ds_load_b32 v0, v0
	s_and_b32 vcc_lo, exec_lo, s1
	s_waitcnt lgkmcnt(0)
	v_mul_f32_e32 v1, s13, v0
	s_cbranch_vccnz .LBB220_36
; %bb.35:
	s_lshl_b64 s[2:3], s[8:9], 2
	s_delay_alu instid0(SALU_CYCLE_1)
	s_add_u32 s2, s10, s2
	s_addc_u32 s3, s11, s3
	s_load_b32 s1, s[2:3], 0x0
	s_waitcnt lgkmcnt(0)
	v_fmac_f32_e64 v1, s12, s1
.LBB220_36:
	s_or_b32 s16, s16, exec_lo
.LBB220_37:
	s_or_b32 exec_lo, exec_lo, s0
.LBB220_38:
	s_and_saveexec_b32 s0, s16
	s_cbranch_execz .LBB220_40
; %bb.39:
	s_lshl_b64 s[0:1], s[8:9], 2
	v_mov_b32_e32 v0, 0
	s_add_u32 s0, s10, s0
	s_addc_u32 s1, s11, s1
	global_store_b32 v0, v1, s[0:1]
.LBB220_40:
	s_nop 0
	s_sendmsg sendmsg(MSG_DEALLOC_VGPRS)
	s_endpgm
	.section	.rodata,"a",@progbits
	.p2align	6, 0x0
	.amdhsa_kernel _ZL20rocblas_gemvt_kernelILb0ELi256EPKfS1_KPfEviiT2_lPKT1_lilS7_lilS4_lPT3_lili
		.amdhsa_group_segment_fixed_size 1024
		.amdhsa_private_segment_fixed_size 0
		.amdhsa_kernarg_size 140
		.amdhsa_user_sgpr_count 14
		.amdhsa_user_sgpr_dispatch_ptr 0
		.amdhsa_user_sgpr_queue_ptr 0
		.amdhsa_user_sgpr_kernarg_segment_ptr 1
		.amdhsa_user_sgpr_dispatch_id 0
		.amdhsa_user_sgpr_private_segment_size 0
		.amdhsa_wavefront_size32 1
		.amdhsa_uses_dynamic_stack 0
		.amdhsa_enable_private_segment 0
		.amdhsa_system_sgpr_workgroup_id_x 1
		.amdhsa_system_sgpr_workgroup_id_y 0
		.amdhsa_system_sgpr_workgroup_id_z 1
		.amdhsa_system_sgpr_workgroup_info 0
		.amdhsa_system_vgpr_workitem_id 0
		.amdhsa_next_free_vgpr 10
		.amdhsa_next_free_sgpr 24
		.amdhsa_reserve_vcc 1
		.amdhsa_float_round_mode_32 0
		.amdhsa_float_round_mode_16_64 0
		.amdhsa_float_denorm_mode_32 3
		.amdhsa_float_denorm_mode_16_64 3
		.amdhsa_dx10_clamp 1
		.amdhsa_ieee_mode 1
		.amdhsa_fp16_overflow 0
		.amdhsa_workgroup_processor_mode 1
		.amdhsa_memory_ordered 1
		.amdhsa_forward_progress 0
		.amdhsa_shared_vgpr_count 0
		.amdhsa_exception_fp_ieee_invalid_op 0
		.amdhsa_exception_fp_denorm_src 0
		.amdhsa_exception_fp_ieee_div_zero 0
		.amdhsa_exception_fp_ieee_overflow 0
		.amdhsa_exception_fp_ieee_underflow 0
		.amdhsa_exception_fp_ieee_inexact 0
		.amdhsa_exception_int_div_zero 0
	.end_amdhsa_kernel
	.section	.text._ZL20rocblas_gemvt_kernelILb0ELi256EPKfS1_KPfEviiT2_lPKT1_lilS7_lilS4_lPT3_lili,"axG",@progbits,_ZL20rocblas_gemvt_kernelILb0ELi256EPKfS1_KPfEviiT2_lPKT1_lilS7_lilS4_lPT3_lili,comdat
.Lfunc_end220:
	.size	_ZL20rocblas_gemvt_kernelILb0ELi256EPKfS1_KPfEviiT2_lPKT1_lilS7_lilS4_lPT3_lili, .Lfunc_end220-_ZL20rocblas_gemvt_kernelILb0ELi256EPKfS1_KPfEviiT2_lPKT1_lilS7_lilS4_lPT3_lili
                                        ; -- End function
	.section	.AMDGPU.csdata,"",@progbits
; Kernel info:
; codeLenInByte = 1472
; NumSgprs: 26
; NumVgprs: 10
; ScratchSize: 0
; MemoryBound: 0
; FloatMode: 240
; IeeeMode: 1
; LDSByteSize: 1024 bytes/workgroup (compile time only)
; SGPRBlocks: 3
; VGPRBlocks: 1
; NumSGPRsForWavesPerEU: 26
; NumVGPRsForWavesPerEU: 10
; Occupancy: 16
; WaveLimiterHint : 1
; COMPUTE_PGM_RSRC2:SCRATCH_EN: 0
; COMPUTE_PGM_RSRC2:USER_SGPR: 14
; COMPUTE_PGM_RSRC2:TRAP_HANDLER: 0
; COMPUTE_PGM_RSRC2:TGID_X_EN: 1
; COMPUTE_PGM_RSRC2:TGID_Y_EN: 0
; COMPUTE_PGM_RSRC2:TGID_Z_EN: 1
; COMPUTE_PGM_RSRC2:TIDIG_COMP_CNT: 0
	.section	.text._ZL20rocblas_gemvt_kernelILb0ELi256EPKffKPfEviiT2_lPKT1_lilS7_lilS4_lPT3_lili,"axG",@progbits,_ZL20rocblas_gemvt_kernelILb0ELi256EPKffKPfEviiT2_lPKT1_lilS7_lilS4_lPT3_lili,comdat
	.globl	_ZL20rocblas_gemvt_kernelILb0ELi256EPKffKPfEviiT2_lPKT1_lilS7_lilS4_lPT3_lili ; -- Begin function _ZL20rocblas_gemvt_kernelILb0ELi256EPKffKPfEviiT2_lPKT1_lilS7_lilS4_lPT3_lili
	.p2align	8
	.type	_ZL20rocblas_gemvt_kernelILb0ELi256EPKffKPfEviiT2_lPKT1_lilS7_lilS4_lPT3_lili,@function
_ZL20rocblas_gemvt_kernelILb0ELi256EPKffKPfEviiT2_lPKT1_lilS7_lilS4_lPT3_lili: ; @_ZL20rocblas_gemvt_kernelILb0ELi256EPKffKPfEviiT2_lPKT1_lilS7_lilS4_lPT3_lili
; %bb.0:
	s_clause 0x1
	s_load_b32 s11, s[0:1], 0x8
	s_load_b32 s10, s[0:1], 0x58
	s_waitcnt lgkmcnt(0)
	v_cmp_eq_f32_e64 s8, s11, 0
	v_cmp_eq_f32_e64 s3, s10, 1.0
	s_delay_alu instid0(VALU_DEP_1) | instskip(NEXT) | instid1(SALU_CYCLE_1)
	s_and_b32 s3, s8, s3
	s_and_b32 vcc_lo, exec_lo, s3
	s_cbranch_vccnz .LBB221_43
; %bb.1:
	v_cmp_neq_f32_e64 s4, s11, 0
	s_mov_b32 s2, s15
	s_delay_alu instid0(VALU_DEP_1)
	s_and_b32 vcc_lo, exec_lo, s4
	s_cbranch_vccnz .LBB221_3
; %bb.2:
	s_mov_b32 s3, 0
	s_mov_b64 s[6:7], 0
	s_cbranch_execz .LBB221_4
	s_branch .LBB221_5
.LBB221_3:
	s_mov_b32 s3, -1
                                        ; implicit-def: $sgpr6_sgpr7
.LBB221_4:
	s_load_b128 s[16:19], s[0:1], 0x18
	s_mov_b32 s3, 0
	s_delay_alu instid0(SALU_CYCLE_1)
	s_lshl_b64 s[6:7], s[2:3], 3
	s_waitcnt lgkmcnt(0)
	s_add_u32 s6, s16, s6
	s_addc_u32 s7, s17, s7
	s_lshl_b64 s[12:13], s[18:19], 2
	s_load_b64 s[6:7], s[6:7], 0x0
	s_waitcnt lgkmcnt(0)
	s_add_u32 s6, s6, s12
	s_addc_u32 s7, s7, s13
.LBB221_5:
	s_and_not1_b32 vcc_lo, exec_lo, s4
	s_cbranch_vccnz .LBB221_7
; %bb.6:
	s_load_b128 s[16:19], s[0:1], 0x38
	s_lshl_b64 s[4:5], s[2:3], 3
	s_waitcnt lgkmcnt(0)
	s_add_u32 s4, s16, s4
	s_addc_u32 s5, s17, s5
	s_lshl_b64 s[12:13], s[18:19], 2
	s_load_b64 s[4:5], s[4:5], 0x0
	s_waitcnt lgkmcnt(0)
	s_add_u32 s4, s4, s12
	s_addc_u32 s5, s5, s13
	s_branch .LBB221_8
.LBB221_7:
	s_mov_b64 s[4:5], 0
.LBB221_8:
	s_clause 0x1
	s_load_b128 s[16:19], s[0:1], 0x68
	s_load_b32 s15, s[0:1], 0x78
	s_lshl_b64 s[2:3], s[2:3], 3
	s_waitcnt lgkmcnt(0)
	s_add_u32 s2, s16, s2
	s_addc_u32 s3, s17, s3
	s_lshl_b64 s[16:17], s[18:19], 2
	s_load_b64 s[12:13], s[2:3], 0x0
	v_cmp_eq_u32_e64 s2, 0, v0
	s_waitcnt lgkmcnt(0)
	s_add_u32 s12, s12, s16
	s_addc_u32 s13, s13, s17
	s_and_not1_b32 vcc_lo, exec_lo, s8
	s_cbranch_vccnz .LBB221_13
; %bb.9:
	s_mov_b32 s3, 0
	s_mov_b32 s16, 0
                                        ; implicit-def: $vgpr1
                                        ; implicit-def: $sgpr8_sgpr9
	s_and_saveexec_b32 s17, s2
	s_cbranch_execz .LBB221_14
; %bb.10:
	v_cmp_eq_f32_e64 s2, s10, 0
	v_mov_b32_e32 v1, 0
	s_mul_hi_i32 s9, s15, s14
	s_mul_i32 s8, s15, s14
	s_delay_alu instid0(VALU_DEP_2)
	s_and_b32 vcc_lo, exec_lo, s2
	s_cbranch_vccnz .LBB221_12
; %bb.11:
	s_lshl_b64 s[18:19], s[8:9], 2
	s_delay_alu instid0(SALU_CYCLE_1)
	s_add_u32 s18, s12, s18
	s_addc_u32 s19, s13, s19
	s_load_b32 s2, s[18:19], 0x0
	s_waitcnt lgkmcnt(0)
	v_mul_f32_e64 v1, s2, s10
.LBB221_12:
	s_mov_b32 s16, exec_lo
	s_or_b32 exec_lo, exec_lo, s17
	s_delay_alu instid0(SALU_CYCLE_1)
	s_and_b32 vcc_lo, exec_lo, s3
	s_cbranch_vccnz .LBB221_15
	s_branch .LBB221_41
.LBB221_13:
	s_mov_b32 s16, 0
                                        ; implicit-def: $vgpr1
                                        ; implicit-def: $sgpr8_sgpr9
	s_cbranch_execnz .LBB221_15
	s_branch .LBB221_41
.LBB221_14:
	s_or_b32 exec_lo, exec_lo, s17
	s_delay_alu instid0(SALU_CYCLE_1)
	s_and_b32 vcc_lo, exec_lo, s3
	s_cbranch_vccz .LBB221_41
.LBB221_15:
	s_clause 0x2
	s_load_b32 s2, s[0:1], 0x28
	s_load_b32 s3, s[0:1], 0x0
	;; [unrolled: 1-line block ×3, first 2 shown]
	v_mov_b32_e32 v7, 0
	s_waitcnt lgkmcnt(0)
	s_mul_hi_i32 s9, s2, s14
	v_cmp_gt_i32_e32 vcc_lo, s3, v0
	s_mul_i32 s8, s2, s14
	s_delay_alu instid0(SALU_CYCLE_1) | instskip(NEXT) | instid1(SALU_CYCLE_1)
	s_lshl_b64 s[8:9], s[8:9], 2
	s_add_u32 s1, s8, s6
	v_cndmask_b32_e32 v1, 0, v0, vcc_lo
	s_addc_u32 s2, s9, s7
	s_ashr_i32 s6, s3, 31
	s_mov_b32 s8, 0
	s_lshr_b32 s6, s6, 24
	v_lshlrev_b32_e32 v1, 2, v1
	s_add_i32 s6, s3, s6
	s_delay_alu instid0(VALU_DEP_1) | instskip(NEXT) | instid1(VALU_DEP_1)
	v_add_co_u32 v1, s1, s1, v1
	v_add_co_ci_u32_e64 v2, null, s2, 0, s1
	s_and_b32 s2, s6, 0xffffff00
	s_cmpk_lt_i32 s3, 0x100
	s_cbranch_scc1 .LBB221_18
; %bb.16:
	v_mad_i64_i32 v[3:4], null, s0, v0, 0
	v_dual_mov_b32 v7, 0 :: v_dual_mov_b32 v6, v2
	v_mov_b32_e32 v5, v1
	s_ashr_i32 s1, s0, 31
	s_delay_alu instid0(SALU_CYCLE_1) | instskip(NEXT) | instid1(VALU_DEP_3)
	s_lshl_b64 s[6:7], s[0:1], 10
	v_lshlrev_b64 v[3:4], 2, v[3:4]
	s_delay_alu instid0(VALU_DEP_1) | instskip(NEXT) | instid1(VALU_DEP_2)
	v_add_co_u32 v3, vcc_lo, s4, v3
	v_add_co_ci_u32_e32 v4, vcc_lo, s5, v4, vcc_lo
.LBB221_17:                             ; =>This Inner Loop Header: Depth=1
	flat_load_b32 v8, v[5:6]
	flat_load_b32 v9, v[3:4]
	v_add_co_u32 v3, vcc_lo, v3, s6
	v_add_co_ci_u32_e32 v4, vcc_lo, s7, v4, vcc_lo
	v_add_co_u32 v5, vcc_lo, 0x400, v5
	v_add_co_ci_u32_e32 v6, vcc_lo, 0, v6, vcc_lo
	s_addk_i32 s8, 0x100
	s_delay_alu instid0(SALU_CYCLE_1)
	s_cmp_ge_i32 s8, s2
	s_waitcnt vmcnt(0) lgkmcnt(0)
	v_fmac_f32_e32 v7, v8, v9
	s_cbranch_scc0 .LBB221_17
.LBB221_18:
	v_add_nc_u32_e32 v3, s2, v0
	s_mov_b32 s1, exec_lo
	s_delay_alu instid0(VALU_DEP_1)
	v_cmpx_gt_i32_e64 s3, v3
	s_cbranch_execz .LBB221_20
; %bb.19:
	v_mad_i64_i32 v[4:5], null, s0, v3, 0
	s_ashr_i32 s3, s2, 31
	s_delay_alu instid0(SALU_CYCLE_1) | instskip(NEXT) | instid1(SALU_CYCLE_1)
	s_lshl_b64 s[2:3], s[2:3], 2
	v_add_co_u32 v1, vcc_lo, v1, s2
	s_delay_alu instid0(VALU_DEP_2) | instskip(SKIP_1) | instid1(VALU_DEP_2)
	v_lshlrev_b64 v[3:4], 2, v[4:5]
	v_add_co_ci_u32_e32 v2, vcc_lo, s3, v2, vcc_lo
	v_add_co_u32 v3, vcc_lo, s4, v3
	s_delay_alu instid0(VALU_DEP_3)
	v_add_co_ci_u32_e32 v4, vcc_lo, s5, v4, vcc_lo
	flat_load_b32 v1, v[1:2]
	flat_load_b32 v2, v[3:4]
	s_waitcnt vmcnt(0) lgkmcnt(0)
	v_fmac_f32_e32 v7, v1, v2
.LBB221_20:
	s_or_b32 exec_lo, exec_lo, s1
	v_lshlrev_b32_e32 v1, 2, v0
	s_mov_b32 s0, exec_lo
	ds_store_b32 v1, v7
	s_waitcnt lgkmcnt(0)
	s_barrier
	buffer_gl0_inv
	v_cmpx_gt_u32_e32 0x80, v0
	s_cbranch_execz .LBB221_22
; %bb.21:
	ds_load_2addr_stride64_b32 v[2:3], v1 offset1:2
	s_waitcnt lgkmcnt(0)
	v_add_f32_e32 v2, v3, v2
	ds_store_b32 v1, v2
.LBB221_22:
	s_or_b32 exec_lo, exec_lo, s0
	s_delay_alu instid0(SALU_CYCLE_1)
	s_mov_b32 s0, exec_lo
	s_waitcnt lgkmcnt(0)
	s_barrier
	buffer_gl0_inv
	v_cmpx_gt_u32_e32 64, v0
	s_cbranch_execz .LBB221_24
; %bb.23:
	ds_load_2addr_stride64_b32 v[2:3], v1 offset1:1
	s_waitcnt lgkmcnt(0)
	v_add_f32_e32 v2, v3, v2
	ds_store_b32 v1, v2
.LBB221_24:
	s_or_b32 exec_lo, exec_lo, s0
	s_delay_alu instid0(SALU_CYCLE_1)
	s_mov_b32 s0, exec_lo
	s_waitcnt lgkmcnt(0)
	s_barrier
	buffer_gl0_inv
	v_cmpx_gt_u32_e32 32, v0
	s_cbranch_execz .LBB221_26
; %bb.25:
	ds_load_2addr_b32 v[2:3], v1 offset1:32
	s_waitcnt lgkmcnt(0)
	v_add_f32_e32 v2, v3, v2
	ds_store_b32 v1, v2
.LBB221_26:
	s_or_b32 exec_lo, exec_lo, s0
	s_delay_alu instid0(SALU_CYCLE_1)
	s_mov_b32 s0, exec_lo
	s_waitcnt lgkmcnt(0)
	s_barrier
	buffer_gl0_inv
	v_cmpx_gt_u32_e32 16, v0
	s_cbranch_execz .LBB221_28
; %bb.27:
	ds_load_2addr_b32 v[2:3], v1 offset1:16
	s_waitcnt lgkmcnt(0)
	v_add_f32_e32 v2, v3, v2
	ds_store_b32 v1, v2
.LBB221_28:
	;; [unrolled: 14-line block ×5, first 2 shown]
	s_or_b32 exec_lo, exec_lo, s0
	v_cmp_eq_u32_e32 vcc_lo, 0, v0
	s_waitcnt lgkmcnt(0)
	s_barrier
	buffer_gl0_inv
	s_and_saveexec_b32 s0, vcc_lo
	s_cbranch_execz .LBB221_36
; %bb.35:
	v_mov_b32_e32 v2, 0
	ds_load_b64 v[0:1], v2
	s_waitcnt lgkmcnt(0)
	v_add_f32_e32 v0, v1, v0
	ds_store_b32 v2, v0
.LBB221_36:
	s_or_b32 exec_lo, exec_lo, s0
	s_waitcnt lgkmcnt(0)
	s_barrier
	buffer_gl0_inv
                                        ; implicit-def: $vgpr1
                                        ; implicit-def: $sgpr8_sgpr9
	s_and_saveexec_b32 s0, vcc_lo
	s_cbranch_execz .LBB221_40
; %bb.37:
	v_mov_b32_e32 v0, 0
	v_cmp_eq_f32_e64 s1, s10, 0
	s_mul_hi_i32 s9, s15, s14
	s_mul_i32 s8, s15, s14
	ds_load_b32 v0, v0
	s_and_b32 vcc_lo, exec_lo, s1
	s_waitcnt lgkmcnt(0)
	v_mul_f32_e32 v1, s11, v0
	s_cbranch_vccnz .LBB221_39
; %bb.38:
	s_lshl_b64 s[2:3], s[8:9], 2
	s_delay_alu instid0(SALU_CYCLE_1)
	s_add_u32 s2, s12, s2
	s_addc_u32 s3, s13, s3
	s_load_b32 s1, s[2:3], 0x0
	s_waitcnt lgkmcnt(0)
	v_fmac_f32_e64 v1, s1, s10
.LBB221_39:
	s_or_b32 s16, s16, exec_lo
.LBB221_40:
	s_or_b32 exec_lo, exec_lo, s0
.LBB221_41:
	s_and_saveexec_b32 s0, s16
	s_cbranch_execz .LBB221_43
; %bb.42:
	s_lshl_b64 s[0:1], s[8:9], 2
	v_mov_b32_e32 v0, 0
	s_add_u32 s0, s12, s0
	s_addc_u32 s1, s13, s1
	global_store_b32 v0, v1, s[0:1]
.LBB221_43:
	s_nop 0
	s_sendmsg sendmsg(MSG_DEALLOC_VGPRS)
	s_endpgm
	.section	.rodata,"a",@progbits
	.p2align	6, 0x0
	.amdhsa_kernel _ZL20rocblas_gemvt_kernelILb0ELi256EPKffKPfEviiT2_lPKT1_lilS7_lilS4_lPT3_lili
		.amdhsa_group_segment_fixed_size 1024
		.amdhsa_private_segment_fixed_size 0
		.amdhsa_kernarg_size 140
		.amdhsa_user_sgpr_count 14
		.amdhsa_user_sgpr_dispatch_ptr 0
		.amdhsa_user_sgpr_queue_ptr 0
		.amdhsa_user_sgpr_kernarg_segment_ptr 1
		.amdhsa_user_sgpr_dispatch_id 0
		.amdhsa_user_sgpr_private_segment_size 0
		.amdhsa_wavefront_size32 1
		.amdhsa_uses_dynamic_stack 0
		.amdhsa_enable_private_segment 0
		.amdhsa_system_sgpr_workgroup_id_x 1
		.amdhsa_system_sgpr_workgroup_id_y 0
		.amdhsa_system_sgpr_workgroup_id_z 1
		.amdhsa_system_sgpr_workgroup_info 0
		.amdhsa_system_vgpr_workitem_id 0
		.amdhsa_next_free_vgpr 10
		.amdhsa_next_free_sgpr 20
		.amdhsa_reserve_vcc 1
		.amdhsa_float_round_mode_32 0
		.amdhsa_float_round_mode_16_64 0
		.amdhsa_float_denorm_mode_32 3
		.amdhsa_float_denorm_mode_16_64 3
		.amdhsa_dx10_clamp 1
		.amdhsa_ieee_mode 1
		.amdhsa_fp16_overflow 0
		.amdhsa_workgroup_processor_mode 1
		.amdhsa_memory_ordered 1
		.amdhsa_forward_progress 0
		.amdhsa_shared_vgpr_count 0
		.amdhsa_exception_fp_ieee_invalid_op 0
		.amdhsa_exception_fp_denorm_src 0
		.amdhsa_exception_fp_ieee_div_zero 0
		.amdhsa_exception_fp_ieee_overflow 0
		.amdhsa_exception_fp_ieee_underflow 0
		.amdhsa_exception_fp_ieee_inexact 0
		.amdhsa_exception_int_div_zero 0
	.end_amdhsa_kernel
	.section	.text._ZL20rocblas_gemvt_kernelILb0ELi256EPKffKPfEviiT2_lPKT1_lilS7_lilS4_lPT3_lili,"axG",@progbits,_ZL20rocblas_gemvt_kernelILb0ELi256EPKffKPfEviiT2_lPKT1_lilS7_lilS4_lPT3_lili,comdat
.Lfunc_end221:
	.size	_ZL20rocblas_gemvt_kernelILb0ELi256EPKffKPfEviiT2_lPKT1_lilS7_lilS4_lPT3_lili, .Lfunc_end221-_ZL20rocblas_gemvt_kernelILb0ELi256EPKffKPfEviiT2_lPKT1_lilS7_lilS4_lPT3_lili
                                        ; -- End function
	.section	.AMDGPU.csdata,"",@progbits
; Kernel info:
; codeLenInByte = 1440
; NumSgprs: 22
; NumVgprs: 10
; ScratchSize: 0
; MemoryBound: 0
; FloatMode: 240
; IeeeMode: 1
; LDSByteSize: 1024 bytes/workgroup (compile time only)
; SGPRBlocks: 2
; VGPRBlocks: 1
; NumSGPRsForWavesPerEU: 22
; NumVGPRsForWavesPerEU: 10
; Occupancy: 16
; WaveLimiterHint : 1
; COMPUTE_PGM_RSRC2:SCRATCH_EN: 0
; COMPUTE_PGM_RSRC2:USER_SGPR: 14
; COMPUTE_PGM_RSRC2:TRAP_HANDLER: 0
; COMPUTE_PGM_RSRC2:TGID_X_EN: 1
; COMPUTE_PGM_RSRC2:TGID_Y_EN: 0
; COMPUTE_PGM_RSRC2:TGID_Z_EN: 1
; COMPUTE_PGM_RSRC2:TIDIG_COMP_CNT: 0
	.section	.text._ZL32rocblas_gemvt_warp_reduce_kernelILb0ELi1024EiPKfS1_KPfEviiT3_lPKT2_lT1_lS7_lS8_lS4_lPT4_lS8_li,"axG",@progbits,_ZL32rocblas_gemvt_warp_reduce_kernelILb0ELi1024EiPKfS1_KPfEviiT3_lPKT2_lT1_lS7_lS8_lS4_lPT4_lS8_li,comdat
	.globl	_ZL32rocblas_gemvt_warp_reduce_kernelILb0ELi1024EiPKfS1_KPfEviiT3_lPKT2_lT1_lS7_lS8_lS4_lPT4_lS8_li ; -- Begin function _ZL32rocblas_gemvt_warp_reduce_kernelILb0ELi1024EiPKfS1_KPfEviiT3_lPKT2_lT1_lS7_lS8_lS4_lPT4_lS8_li
	.p2align	8
	.type	_ZL32rocblas_gemvt_warp_reduce_kernelILb0ELi1024EiPKfS1_KPfEviiT3_lPKT2_lT1_lS7_lS8_lS4_lPT4_lS8_li,@function
_ZL32rocblas_gemvt_warp_reduce_kernelILb0ELi1024EiPKfS1_KPfEviiT3_lPKT2_lT1_lS7_lS8_lS4_lPT4_lS8_li: ; @_ZL32rocblas_gemvt_warp_reduce_kernelILb0ELi1024EiPKfS1_KPfEviiT3_lPKT2_lT1_lS7_lS8_lS4_lPT4_lS8_li
; %bb.0:
	s_clause 0x1
	s_load_b256 s[16:23], s[0:1], 0x8
	s_load_b256 s[4:11], s[0:1], 0x58
	s_mov_b32 s2, s15
	s_waitcnt lgkmcnt(0)
	s_mul_i32 s3, s15, s19
	s_mul_hi_u32 s13, s15, s18
	s_mul_i32 s12, s15, s18
	s_add_i32 s13, s13, s3
	s_mul_i32 s3, s15, s7
	s_lshl_b64 s[12:13], s[12:13], 2
	s_mul_hi_u32 s7, s15, s6
	s_add_u32 s12, s16, s12
	s_addc_u32 s13, s17, s13
	s_add_i32 s7, s7, s3
	s_mul_i32 s6, s15, s6
	s_delay_alu instid0(SALU_CYCLE_1) | instskip(NEXT) | instid1(SALU_CYCLE_1)
	s_lshl_b64 s[6:7], s[6:7], 2
	s_add_u32 s4, s4, s6
	s_addc_u32 s5, s5, s7
	s_load_b32 s13, s[12:13], 0x0
	s_load_b32 s12, s[4:5], 0x0
	s_waitcnt lgkmcnt(0)
	v_cmp_eq_f32_e64 s15, s13, 0
	v_cmp_eq_f32_e64 s3, s12, 1.0
	s_delay_alu instid0(VALU_DEP_1) | instskip(NEXT) | instid1(SALU_CYCLE_1)
	s_and_b32 s3, s15, s3
	s_and_b32 vcc_lo, exec_lo, s3
	s_mov_b32 s3, 0
	s_cbranch_vccnz .LBB222_33
; %bb.1:
	v_cmp_neq_f32_e64 s16, s13, 0
	s_mov_b64 s[4:5], 0
	s_and_b32 vcc_lo, exec_lo, s15
	s_mov_b64 s[6:7], 0
	s_cbranch_vccnz .LBB222_3
; %bb.2:
	s_lshl_b64 s[6:7], s[2:3], 3
	s_delay_alu instid0(SALU_CYCLE_1)
	s_add_u32 s6, s20, s6
	s_addc_u32 s7, s21, s7
	s_lshl_b64 s[18:19], s[22:23], 2
	s_load_b64 s[6:7], s[6:7], 0x0
	s_waitcnt lgkmcnt(0)
	s_add_u32 s6, s6, s18
	s_addc_u32 s7, s7, s19
.LBB222_3:
	s_and_not1_b32 vcc_lo, exec_lo, s16
	s_cbranch_vccnz .LBB222_5
; %bb.4:
	s_load_b128 s[16:19], s[0:1], 0x38
	s_lshl_b64 s[4:5], s[2:3], 3
	s_waitcnt lgkmcnt(0)
	s_add_u32 s4, s16, s4
	s_addc_u32 s5, s17, s5
	s_lshl_b64 s[16:17], s[18:19], 2
	s_load_b64 s[4:5], s[4:5], 0x0
	s_waitcnt lgkmcnt(0)
	s_add_u32 s4, s4, s16
	s_addc_u32 s5, s5, s17
.LBB222_5:
	s_lshl_b64 s[2:3], s[2:3], 3
	s_delay_alu instid0(SALU_CYCLE_1)
	s_add_u32 s2, s8, s2
	s_addc_u32 s3, s9, s3
	s_lshl_b64 s[10:11], s[10:11], 2
	s_load_b64 s[8:9], s[2:3], 0x0
	s_load_b32 s16, s[0:1], 0x78
	v_cmp_eq_u32_e64 s2, 0, v0
	s_waitcnt lgkmcnt(0)
	s_add_u32 s10, s8, s10
	s_addc_u32 s11, s9, s11
	s_and_not1_b32 vcc_lo, exec_lo, s15
	s_cbranch_vccnz .LBB222_10
; %bb.6:
	s_mov_b32 s3, 0
	s_mov_b32 s15, 0
                                        ; implicit-def: $vgpr1
                                        ; implicit-def: $sgpr8_sgpr9
	s_and_saveexec_b32 s17, s2
	s_cbranch_execz .LBB222_11
; %bb.7:
	v_cmp_eq_f32_e64 s2, s12, 0
	v_mov_b32_e32 v1, 0
	s_mul_i32 s8, s14, s16
	s_delay_alu instid0(SALU_CYCLE_1) | instskip(NEXT) | instid1(VALU_DEP_2)
	s_ashr_i32 s9, s8, 31
	s_and_b32 vcc_lo, exec_lo, s2
	s_cbranch_vccnz .LBB222_9
; %bb.8:
	s_lshl_b64 s[18:19], s[8:9], 2
	s_delay_alu instid0(SALU_CYCLE_1)
	s_add_u32 s18, s10, s18
	s_addc_u32 s19, s11, s19
	s_load_b32 s2, s[18:19], 0x0
	s_waitcnt lgkmcnt(0)
	v_mul_f32_e64 v1, s12, s2
.LBB222_9:
	s_mov_b32 s15, exec_lo
	s_or_b32 exec_lo, exec_lo, s17
	s_delay_alu instid0(SALU_CYCLE_1)
	s_and_b32 vcc_lo, exec_lo, s3
	s_cbranch_vccnz .LBB222_12
	s_branch .LBB222_31
.LBB222_10:
	s_mov_b32 s15, 0
                                        ; implicit-def: $vgpr1
                                        ; implicit-def: $sgpr8_sgpr9
	s_cbranch_execnz .LBB222_12
	s_branch .LBB222_31
.LBB222_11:
	s_or_b32 exec_lo, exec_lo, s17
	s_delay_alu instid0(SALU_CYCLE_1)
	s_and_b32 vcc_lo, exec_lo, s3
	s_cbranch_vccz .LBB222_31
.LBB222_12:
	s_clause 0x2
	s_load_b32 s2, s[0:1], 0x28
	s_load_b32 s3, s[0:1], 0x0
	;; [unrolled: 1-line block ×3, first 2 shown]
	v_mov_b32_e32 v7, 0
	s_waitcnt lgkmcnt(0)
	s_mul_i32 s8, s14, s2
	v_cmp_gt_i32_e32 vcc_lo, s3, v0
	s_ashr_i32 s9, s8, 31
	s_delay_alu instid0(SALU_CYCLE_1)
	s_lshl_b64 s[8:9], s[8:9], 2
	v_cndmask_b32_e32 v1, 0, v0, vcc_lo
	s_add_u32 s0, s8, s6
	s_addc_u32 s6, s9, s7
	s_ashr_i32 s2, s3, 31
	s_mov_b32 s7, 0
	v_lshlrev_b32_e32 v1, 2, v1
	s_lshr_b32 s2, s2, 22
	s_delay_alu instid0(SALU_CYCLE_1) | instskip(NEXT) | instid1(SALU_CYCLE_1)
	s_add_i32 s2, s3, s2
	s_and_b32 s2, s2, 0xfffffc00
	s_delay_alu instid0(VALU_DEP_1) | instskip(NEXT) | instid1(VALU_DEP_1)
	v_add_co_u32 v1, s0, s0, v1
	v_add_co_ci_u32_e64 v2, null, s6, 0, s0
	s_mov_b32 s6, exec_lo
	v_cmpx_gt_i32_e64 s2, v0
	s_cbranch_execz .LBB222_16
; %bb.13:
	v_mul_lo_u32 v3, v0, s1
	v_dual_mov_b32 v7, 0 :: v_dual_mov_b32 v6, v2
	v_dual_mov_b32 v5, v1 :: v_dual_mov_b32 v8, v0
	s_lshl_b32 s8, s1, 10
	.p2align	6
.LBB222_14:                             ; =>This Inner Loop Header: Depth=1
	s_delay_alu instid0(VALU_DEP_3) | instskip(NEXT) | instid1(VALU_DEP_1)
	v_ashrrev_i32_e32 v4, 31, v3
	v_lshlrev_b64 v[9:10], 2, v[3:4]
	v_add_nc_u32_e32 v3, s8, v3
	s_delay_alu instid0(VALU_DEP_2) | instskip(NEXT) | instid1(VALU_DEP_3)
	v_add_co_u32 v9, vcc_lo, s4, v9
	v_add_co_ci_u32_e32 v10, vcc_lo, s5, v10, vcc_lo
	flat_load_b32 v4, v[5:6]
	flat_load_b32 v9, v[9:10]
	v_add_nc_u32_e32 v8, 0x400, v8
	v_add_co_u32 v5, vcc_lo, 0x1000, v5
	v_add_co_ci_u32_e32 v6, vcc_lo, 0, v6, vcc_lo
	s_waitcnt vmcnt(0) lgkmcnt(0)
	v_fmac_f32_e32 v7, v4, v9
	v_cmp_le_i32_e64 s0, s2, v8
	s_delay_alu instid0(VALU_DEP_1) | instskip(NEXT) | instid1(SALU_CYCLE_1)
	s_or_b32 s7, s0, s7
	s_and_not1_b32 exec_lo, exec_lo, s7
	s_cbranch_execnz .LBB222_14
; %bb.15:
	s_or_b32 exec_lo, exec_lo, s7
.LBB222_16:
	s_delay_alu instid0(SALU_CYCLE_1) | instskip(SKIP_2) | instid1(VALU_DEP_1)
	s_or_b32 exec_lo, exec_lo, s6
	v_or_b32_e32 v3, s2, v0
	s_mov_b32 s0, exec_lo
	v_cmpx_gt_i32_e64 s3, v3
	s_cbranch_execz .LBB222_18
; %bb.17:
	v_mul_lo_u32 v3, v3, s1
	s_ashr_i32 s3, s2, 31
	s_delay_alu instid0(SALU_CYCLE_1) | instskip(NEXT) | instid1(SALU_CYCLE_1)
	s_lshl_b64 s[2:3], s[2:3], 2
	v_add_co_u32 v1, vcc_lo, v1, s2
	v_add_co_ci_u32_e32 v2, vcc_lo, s3, v2, vcc_lo
	s_delay_alu instid0(VALU_DEP_3) | instskip(NEXT) | instid1(VALU_DEP_1)
	v_ashrrev_i32_e32 v4, 31, v3
	v_lshlrev_b64 v[3:4], 2, v[3:4]
	s_delay_alu instid0(VALU_DEP_1) | instskip(NEXT) | instid1(VALU_DEP_2)
	v_add_co_u32 v3, vcc_lo, s4, v3
	v_add_co_ci_u32_e32 v4, vcc_lo, s5, v4, vcc_lo
	flat_load_b32 v1, v[1:2]
	flat_load_b32 v2, v[3:4]
	s_waitcnt vmcnt(0) lgkmcnt(0)
	v_fmac_f32_e32 v7, v1, v2
.LBB222_18:
	s_or_b32 exec_lo, exec_lo, s0
	v_and_b32_e32 v6, 31, v0
	v_cmp_gt_u32_e32 vcc_lo, 32, v0
	s_delay_alu instid0(VALU_DEP_2)
	v_lshlrev_b32_e32 v1, 2, v6
	s_and_saveexec_b32 s0, vcc_lo
	s_cbranch_execz .LBB222_20
; %bb.19:
	v_mov_b32_e32 v2, 0
	ds_store_b32 v1, v2
.LBB222_20:
	s_or_b32 exec_lo, exec_lo, s0
	v_mbcnt_lo_u32_b32 v8, -1, 0
	s_mov_b32 s1, exec_lo
	s_waitcnt lgkmcnt(0)
	s_barrier
	buffer_gl0_inv
	v_cmp_gt_u32_e64 s0, 16, v8
	s_delay_alu instid0(VALU_DEP_1) | instskip(SKIP_1) | instid1(VALU_DEP_2)
	v_cndmask_b32_e64 v2, 0, 1, s0
	v_cmp_gt_u32_e64 s0, 24, v8
	v_lshlrev_b32_e32 v2, 4, v2
	s_delay_alu instid0(VALU_DEP_2) | instskip(SKIP_1) | instid1(VALU_DEP_3)
	v_cndmask_b32_e64 v3, 0, 1, s0
	v_cmp_gt_u32_e64 s0, 28, v8
	v_add_lshl_u32 v2, v2, v8, 2
	s_delay_alu instid0(VALU_DEP_3)
	v_lshlrev_b32_e32 v3, 3, v3
	ds_bpermute_b32 v4, v2, v7
	v_add_lshl_u32 v3, v3, v8, 2
	s_waitcnt lgkmcnt(0)
	v_add_f32_e32 v5, v7, v4
	v_cndmask_b32_e64 v4, 0, 1, s0
	v_cmp_gt_u32_e64 s0, 30, v8
	ds_bpermute_b32 v7, v3, v5
	s_waitcnt lgkmcnt(0)
	v_dual_add_f32 v7, v5, v7 :: v_dual_lshlrev_b32 v4, 2, v4
	s_delay_alu instid0(VALU_DEP_1)
	v_add_lshl_u32 v4, v4, v8, 2
	v_cndmask_b32_e64 v5, 0, 1, s0
	v_cmp_ne_u32_e64 s0, 31, v8
	ds_bpermute_b32 v9, v4, v7
	v_lshlrev_b32_e32 v5, 1, v5
	v_add_co_ci_u32_e64 v10, s0, 0, v8, s0
	s_delay_alu instid0(VALU_DEP_2)
	v_add_lshl_u32 v5, v5, v8, 2
	s_waitcnt lgkmcnt(0)
	v_add_f32_e32 v7, v7, v9
	ds_bpermute_b32 v9, v5, v7
	s_waitcnt lgkmcnt(0)
	v_dual_add_f32 v8, v7, v9 :: v_dual_lshlrev_b32 v7, 2, v10
	ds_bpermute_b32 v9, v7, v8
	v_cmpx_eq_u32_e32 0, v6
	s_cbranch_execz .LBB222_22
; %bb.21:
	v_lshrrev_b32_e32 v6, 3, v0
	s_waitcnt lgkmcnt(0)
	v_add_f32_e32 v8, v8, v9
	s_delay_alu instid0(VALU_DEP_2)
	v_and_b32_e32 v6, 0x7c, v6
	ds_store_b32 v6, v8
.LBB222_22:
	s_or_b32 exec_lo, exec_lo, s1
	v_mov_b32_e32 v6, 0
	s_waitcnt lgkmcnt(0)
	s_barrier
	buffer_gl0_inv
	s_and_saveexec_b32 s0, vcc_lo
	s_cbranch_execz .LBB222_24
; %bb.23:
	ds_load_b32 v6, v1
.LBB222_24:
	s_or_b32 exec_lo, exec_lo, s0
	s_and_saveexec_b32 s0, vcc_lo
	s_cbranch_execz .LBB222_26
; %bb.25:
	s_waitcnt lgkmcnt(0)
	ds_bpermute_b32 v1, v2, v6
	s_waitcnt lgkmcnt(0)
	v_add_f32_e32 v1, v6, v1
	ds_bpermute_b32 v2, v3, v1
	s_waitcnt lgkmcnt(0)
	v_add_f32_e32 v1, v1, v2
	;; [unrolled: 3-line block ×5, first 2 shown]
.LBB222_26:
	s_or_b32 exec_lo, exec_lo, s0
	s_delay_alu instid0(SALU_CYCLE_1)
	s_mov_b32 s0, exec_lo
                                        ; implicit-def: $vgpr1
                                        ; implicit-def: $sgpr8_sgpr9
	v_cmpx_eq_u32_e32 0, v0
	s_cbranch_execz .LBB222_30
; %bb.27:
	v_cmp_eq_f32_e64 s1, s12, 0
	s_waitcnt lgkmcnt(0)
	v_mul_f32_e32 v1, s13, v6
	s_mul_i32 s8, s14, s16
	s_delay_alu instid0(SALU_CYCLE_1)
	s_ashr_i32 s9, s8, 31
	s_and_b32 vcc_lo, exec_lo, s1
	s_cbranch_vccnz .LBB222_29
; %bb.28:
	s_lshl_b64 s[2:3], s[8:9], 2
	s_delay_alu instid0(SALU_CYCLE_1)
	s_add_u32 s2, s10, s2
	s_addc_u32 s3, s11, s3
	s_load_b32 s1, s[2:3], 0x0
	s_waitcnt lgkmcnt(0)
	v_fmac_f32_e64 v1, s12, s1
.LBB222_29:
	s_or_b32 s15, s15, exec_lo
.LBB222_30:
	s_or_b32 exec_lo, exec_lo, s0
.LBB222_31:
	s_and_saveexec_b32 s0, s15
	s_cbranch_execz .LBB222_33
; %bb.32:
	s_lshl_b64 s[0:1], s[8:9], 2
	v_mov_b32_e32 v0, 0
	s_add_u32 s0, s10, s0
	s_addc_u32 s1, s11, s1
	global_store_b32 v0, v1, s[0:1]
.LBB222_33:
	s_nop 0
	s_sendmsg sendmsg(MSG_DEALLOC_VGPRS)
	s_endpgm
	.section	.rodata,"a",@progbits
	.p2align	6, 0x0
	.amdhsa_kernel _ZL32rocblas_gemvt_warp_reduce_kernelILb0ELi1024EiPKfS1_KPfEviiT3_lPKT2_lT1_lS7_lS8_lS4_lPT4_lS8_li
		.amdhsa_group_segment_fixed_size 128
		.amdhsa_private_segment_fixed_size 0
		.amdhsa_kernarg_size 140
		.amdhsa_user_sgpr_count 14
		.amdhsa_user_sgpr_dispatch_ptr 0
		.amdhsa_user_sgpr_queue_ptr 0
		.amdhsa_user_sgpr_kernarg_segment_ptr 1
		.amdhsa_user_sgpr_dispatch_id 0
		.amdhsa_user_sgpr_private_segment_size 0
		.amdhsa_wavefront_size32 1
		.amdhsa_uses_dynamic_stack 0
		.amdhsa_enable_private_segment 0
		.amdhsa_system_sgpr_workgroup_id_x 1
		.amdhsa_system_sgpr_workgroup_id_y 0
		.amdhsa_system_sgpr_workgroup_id_z 1
		.amdhsa_system_sgpr_workgroup_info 0
		.amdhsa_system_vgpr_workitem_id 0
		.amdhsa_next_free_vgpr 11
		.amdhsa_next_free_sgpr 24
		.amdhsa_reserve_vcc 1
		.amdhsa_float_round_mode_32 0
		.amdhsa_float_round_mode_16_64 0
		.amdhsa_float_denorm_mode_32 3
		.amdhsa_float_denorm_mode_16_64 3
		.amdhsa_dx10_clamp 1
		.amdhsa_ieee_mode 1
		.amdhsa_fp16_overflow 0
		.amdhsa_workgroup_processor_mode 1
		.amdhsa_memory_ordered 1
		.amdhsa_forward_progress 0
		.amdhsa_shared_vgpr_count 0
		.amdhsa_exception_fp_ieee_invalid_op 0
		.amdhsa_exception_fp_denorm_src 0
		.amdhsa_exception_fp_ieee_div_zero 0
		.amdhsa_exception_fp_ieee_overflow 0
		.amdhsa_exception_fp_ieee_underflow 0
		.amdhsa_exception_fp_ieee_inexact 0
		.amdhsa_exception_int_div_zero 0
	.end_amdhsa_kernel
	.section	.text._ZL32rocblas_gemvt_warp_reduce_kernelILb0ELi1024EiPKfS1_KPfEviiT3_lPKT2_lT1_lS7_lS8_lS4_lPT4_lS8_li,"axG",@progbits,_ZL32rocblas_gemvt_warp_reduce_kernelILb0ELi1024EiPKfS1_KPfEviiT3_lPKT2_lT1_lS7_lS8_lS4_lPT4_lS8_li,comdat
.Lfunc_end222:
	.size	_ZL32rocblas_gemvt_warp_reduce_kernelILb0ELi1024EiPKfS1_KPfEviiT3_lPKT2_lT1_lS7_lS8_lS4_lPT4_lS8_li, .Lfunc_end222-_ZL32rocblas_gemvt_warp_reduce_kernelILb0ELi1024EiPKfS1_KPfEviiT3_lPKT2_lT1_lS7_lS8_lS4_lPT4_lS8_li
                                        ; -- End function
	.section	.AMDGPU.csdata,"",@progbits
; Kernel info:
; codeLenInByte = 1472
; NumSgprs: 26
; NumVgprs: 11
; ScratchSize: 0
; MemoryBound: 0
; FloatMode: 240
; IeeeMode: 1
; LDSByteSize: 128 bytes/workgroup (compile time only)
; SGPRBlocks: 3
; VGPRBlocks: 1
; NumSGPRsForWavesPerEU: 26
; NumVGPRsForWavesPerEU: 11
; Occupancy: 16
; WaveLimiterHint : 1
; COMPUTE_PGM_RSRC2:SCRATCH_EN: 0
; COMPUTE_PGM_RSRC2:USER_SGPR: 14
; COMPUTE_PGM_RSRC2:TRAP_HANDLER: 0
; COMPUTE_PGM_RSRC2:TGID_X_EN: 1
; COMPUTE_PGM_RSRC2:TGID_Y_EN: 0
; COMPUTE_PGM_RSRC2:TGID_Z_EN: 1
; COMPUTE_PGM_RSRC2:TIDIG_COMP_CNT: 0
	.section	.text._ZL32rocblas_gemvt_warp_reduce_kernelILb0ELi1024ElPKfS1_KPfEviiT3_lPKT2_lT1_lS7_lS8_lS4_lPT4_lS8_li,"axG",@progbits,_ZL32rocblas_gemvt_warp_reduce_kernelILb0ELi1024ElPKfS1_KPfEviiT3_lPKT2_lT1_lS7_lS8_lS4_lPT4_lS8_li,comdat
	.globl	_ZL32rocblas_gemvt_warp_reduce_kernelILb0ELi1024ElPKfS1_KPfEviiT3_lPKT2_lT1_lS7_lS8_lS4_lPT4_lS8_li ; -- Begin function _ZL32rocblas_gemvt_warp_reduce_kernelILb0ELi1024ElPKfS1_KPfEviiT3_lPKT2_lT1_lS7_lS8_lS4_lPT4_lS8_li
	.p2align	8
	.type	_ZL32rocblas_gemvt_warp_reduce_kernelILb0ELi1024ElPKfS1_KPfEviiT3_lPKT2_lT1_lS7_lS8_lS4_lPT4_lS8_li,@function
_ZL32rocblas_gemvt_warp_reduce_kernelILb0ELi1024ElPKfS1_KPfEviiT3_lPKT2_lT1_lS7_lS8_lS4_lPT4_lS8_li: ; @_ZL32rocblas_gemvt_warp_reduce_kernelILb0ELi1024ElPKfS1_KPfEviiT3_lPKT2_lT1_lS7_lS8_lS4_lPT4_lS8_li
; %bb.0:
	s_clause 0x1
	s_load_b256 s[16:23], s[0:1], 0x8
	s_load_b256 s[4:11], s[0:1], 0x58
	s_mov_b32 s2, s15
	s_waitcnt lgkmcnt(0)
	s_mul_i32 s3, s15, s19
	s_mul_hi_u32 s13, s15, s18
	s_mul_i32 s12, s15, s18
	s_add_i32 s13, s13, s3
	s_mul_i32 s3, s15, s7
	s_lshl_b64 s[12:13], s[12:13], 2
	s_mul_hi_u32 s7, s15, s6
	s_add_u32 s12, s16, s12
	s_addc_u32 s13, s17, s13
	s_add_i32 s7, s7, s3
	s_mul_i32 s6, s15, s6
	s_delay_alu instid0(SALU_CYCLE_1) | instskip(NEXT) | instid1(SALU_CYCLE_1)
	s_lshl_b64 s[6:7], s[6:7], 2
	s_add_u32 s4, s4, s6
	s_addc_u32 s5, s5, s7
	s_load_b32 s28, s[12:13], 0x0
	s_load_b32 s15, s[4:5], 0x0
	s_waitcnt lgkmcnt(0)
	v_cmp_eq_f32_e64 s29, s28, 0
	v_cmp_eq_f32_e64 s3, s15, 1.0
	s_delay_alu instid0(VALU_DEP_1) | instskip(NEXT) | instid1(SALU_CYCLE_1)
	s_and_b32 s3, s29, s3
	s_and_b32 vcc_lo, exec_lo, s3
	s_mov_b32 s3, 0
	s_cbranch_vccnz .LBB223_33
; %bb.1:
	s_clause 0x1
	s_load_b64 s[24:25], s[0:1], 0x28
	s_load_b64 s[12:13], s[0:1], 0x78
	v_cmp_neq_f32_e64 s30, s28, 0
	s_mov_b64 s[16:17], 0
	s_and_b32 vcc_lo, exec_lo, s29
	s_mov_b64 s[26:27], 0
	s_cbranch_vccnz .LBB223_3
; %bb.2:
	s_lshl_b64 s[4:5], s[2:3], 3
	s_delay_alu instid0(SALU_CYCLE_1)
	s_add_u32 s4, s20, s4
	s_addc_u32 s5, s21, s5
	s_lshl_b64 s[6:7], s[22:23], 2
	s_load_b64 s[4:5], s[4:5], 0x0
	s_waitcnt lgkmcnt(0)
	s_add_u32 s26, s4, s6
	s_addc_u32 s27, s5, s7
.LBB223_3:
	s_clause 0x1
	s_load_b128 s[4:7], s[0:1], 0x38
	s_load_b64 s[18:19], s[0:1], 0x48
	s_and_not1_b32 vcc_lo, exec_lo, s30
	s_cbranch_vccnz .LBB223_5
; %bb.4:
	s_lshl_b64 s[16:17], s[2:3], 3
	s_waitcnt lgkmcnt(0)
	s_add_u32 s4, s4, s16
	s_addc_u32 s5, s5, s17
	s_lshl_b64 s[6:7], s[6:7], 2
	s_load_b64 s[4:5], s[4:5], 0x0
	s_waitcnt lgkmcnt(0)
	s_add_u32 s16, s4, s6
	s_addc_u32 s17, s5, s7
.LBB223_5:
	s_lshl_b64 s[2:3], s[2:3], 3
	s_delay_alu instid0(SALU_CYCLE_1)
	s_add_u32 s2, s8, s2
	s_addc_u32 s3, s9, s3
	s_waitcnt lgkmcnt(0)
	s_lshl_b64 s[6:7], s[10:11], 2
	s_load_b64 s[4:5], s[2:3], 0x0
	v_cmp_eq_u32_e64 s2, 0, v0
	s_waitcnt lgkmcnt(0)
	s_add_u32 s6, s4, s6
	s_addc_u32 s7, s5, s7
	s_and_not1_b32 vcc_lo, exec_lo, s29
	s_cbranch_vccnz .LBB223_10
; %bb.6:
	s_mov_b32 s3, 0
	s_mov_b32 s8, 0
                                        ; implicit-def: $vgpr1
                                        ; implicit-def: $sgpr4_sgpr5
	s_and_saveexec_b32 s9, s2
	s_cbranch_execz .LBB223_11
; %bb.7:
	v_cmp_eq_f32_e64 s2, s15, 0
	s_mul_i32 s4, s14, s13
	s_mul_hi_u32 s5, s14, s12
	s_ashr_i32 s8, s14, 31
	v_mov_b32_e32 v1, 0
	s_add_i32 s4, s5, s4
	s_mul_i32 s8, s8, s12
	s_and_b32 vcc_lo, exec_lo, s2
	s_add_i32 s5, s4, s8
	s_mul_i32 s4, s14, s12
	s_cbranch_vccnz .LBB223_9
; %bb.8:
	s_lshl_b64 s[10:11], s[4:5], 2
	s_delay_alu instid0(SALU_CYCLE_1)
	s_add_u32 s10, s6, s10
	s_addc_u32 s11, s7, s11
	s_load_b32 s2, s[10:11], 0x0
	s_waitcnt lgkmcnt(0)
	v_mul_f32_e64 v1, s15, s2
.LBB223_9:
	s_mov_b32 s8, exec_lo
	s_or_b32 exec_lo, exec_lo, s9
	s_delay_alu instid0(SALU_CYCLE_1)
	s_and_b32 vcc_lo, exec_lo, s3
	s_cbranch_vccnz .LBB223_12
	s_branch .LBB223_31
.LBB223_10:
	s_mov_b32 s8, 0
                                        ; implicit-def: $vgpr1
                                        ; implicit-def: $sgpr4_sgpr5
	s_cbranch_execnz .LBB223_12
	s_branch .LBB223_31
.LBB223_11:
	s_or_b32 exec_lo, exec_lo, s9
	s_delay_alu instid0(SALU_CYCLE_1)
	s_and_b32 vcc_lo, exec_lo, s3
	s_cbranch_vccz .LBB223_31
.LBB223_12:
	s_load_b32 s3, s[0:1], 0x0
	s_mul_i32 s0, s14, s25
	s_mul_hi_u32 s2, s14, s24
	s_ashr_i32 s1, s14, 31
	s_add_i32 s0, s2, s0
	s_mul_i32 s2, s1, s24
	s_mul_i32 s4, s14, s24
	s_add_i32 s5, s0, s2
	v_mov_b32_e32 v7, 0
	s_lshl_b64 s[4:5], s[4:5], 2
	s_mov_b32 s10, 0
	s_add_u32 s0, s4, s26
	s_addc_u32 s4, s5, s27
	s_mov_b32 s9, exec_lo
	s_waitcnt lgkmcnt(0)
	v_cmp_gt_i32_e32 vcc_lo, s3, v0
	s_ashr_i32 s2, s3, 31
	s_delay_alu instid0(SALU_CYCLE_1) | instskip(NEXT) | instid1(SALU_CYCLE_1)
	s_lshr_b32 s2, s2, 22
	s_add_i32 s2, s3, s2
	v_cndmask_b32_e32 v1, 0, v0, vcc_lo
	s_and_b32 s2, s2, 0xfffffc00
	s_delay_alu instid0(VALU_DEP_1) | instskip(NEXT) | instid1(VALU_DEP_1)
	v_lshlrev_b32_e32 v1, 2, v1
	v_add_co_u32 v1, s0, s0, v1
	s_delay_alu instid0(VALU_DEP_1)
	v_add_co_ci_u32_e64 v2, null, s4, 0, s0
	v_cmpx_gt_i32_e64 s2, v0
	s_cbranch_execz .LBB223_16
; %bb.13:
	v_mad_u64_u32 v[3:4], null, s18, v0, 0
	v_mov_b32_e32 v8, v0
	s_lshl_b64 s[4:5], s[18:19], 12
	v_mov_b32_e32 v7, 0
	s_delay_alu instid0(VALU_DEP_3) | instskip(NEXT) | instid1(VALU_DEP_1)
	v_mad_u64_u32 v[5:6], null, s19, v0, v[4:5]
	v_mov_b32_e32 v4, v5
	s_delay_alu instid0(VALU_DEP_1) | instskip(SKIP_1) | instid1(VALU_DEP_2)
	v_lshlrev_b64 v[5:6], 2, v[3:4]
	v_dual_mov_b32 v4, v2 :: v_dual_mov_b32 v3, v1
	v_add_co_u32 v5, vcc_lo, s16, v5
	s_delay_alu instid0(VALU_DEP_3)
	v_add_co_ci_u32_e32 v6, vcc_lo, s17, v6, vcc_lo
	.p2align	6
.LBB223_14:                             ; =>This Inner Loop Header: Depth=1
	flat_load_b32 v9, v[3:4]
	flat_load_b32 v10, v[5:6]
	v_add_nc_u32_e32 v8, 0x400, v8
	v_add_co_u32 v3, vcc_lo, 0x1000, v3
	v_add_co_ci_u32_e32 v4, vcc_lo, 0, v4, vcc_lo
	v_add_co_u32 v5, vcc_lo, v5, s4
	v_add_co_ci_u32_e32 v6, vcc_lo, s5, v6, vcc_lo
	s_waitcnt vmcnt(0) lgkmcnt(0)
	v_fmac_f32_e32 v7, v9, v10
	v_cmp_le_i32_e64 s0, s2, v8
	s_delay_alu instid0(VALU_DEP_1) | instskip(NEXT) | instid1(SALU_CYCLE_1)
	s_or_b32 s10, s0, s10
	s_and_not1_b32 exec_lo, exec_lo, s10
	s_cbranch_execnz .LBB223_14
; %bb.15:
	s_or_b32 exec_lo, exec_lo, s10
.LBB223_16:
	s_delay_alu instid0(SALU_CYCLE_1) | instskip(SKIP_2) | instid1(VALU_DEP_1)
	s_or_b32 exec_lo, exec_lo, s9
	v_or_b32_e32 v3, s2, v0
	s_mov_b32 s0, exec_lo
	v_cmpx_gt_i32_e64 s3, v3
	s_cbranch_execz .LBB223_18
; %bb.17:
	v_ashrrev_i32_e32 v6, 31, v3
	v_mul_lo_u32 v8, v3, s19
	v_mad_u64_u32 v[4:5], null, v3, s18, 0
	s_ashr_i32 s3, s2, 31
	s_delay_alu instid0(VALU_DEP_3) | instskip(SKIP_1) | instid1(SALU_CYCLE_1)
	v_mul_lo_u32 v3, v6, s18
	s_lshl_b64 s[2:3], s[2:3], 2
	v_add_co_u32 v1, vcc_lo, v1, s2
	v_add_co_ci_u32_e32 v2, vcc_lo, s3, v2, vcc_lo
	s_delay_alu instid0(VALU_DEP_3) | instskip(NEXT) | instid1(VALU_DEP_1)
	v_add3_u32 v5, v5, v8, v3
	v_lshlrev_b64 v[3:4], 2, v[4:5]
	s_delay_alu instid0(VALU_DEP_1) | instskip(NEXT) | instid1(VALU_DEP_2)
	v_add_co_u32 v3, vcc_lo, s16, v3
	v_add_co_ci_u32_e32 v4, vcc_lo, s17, v4, vcc_lo
	flat_load_b32 v1, v[1:2]
	flat_load_b32 v2, v[3:4]
	s_waitcnt vmcnt(0) lgkmcnt(0)
	v_fmac_f32_e32 v7, v1, v2
.LBB223_18:
	s_or_b32 exec_lo, exec_lo, s0
	v_and_b32_e32 v6, 31, v0
	v_cmp_gt_u32_e32 vcc_lo, 32, v0
	s_delay_alu instid0(VALU_DEP_2)
	v_lshlrev_b32_e32 v1, 2, v6
	s_and_saveexec_b32 s0, vcc_lo
	s_cbranch_execz .LBB223_20
; %bb.19:
	v_mov_b32_e32 v2, 0
	ds_store_b32 v1, v2
.LBB223_20:
	s_or_b32 exec_lo, exec_lo, s0
	v_mbcnt_lo_u32_b32 v8, -1, 0
	s_mov_b32 s2, exec_lo
	s_waitcnt lgkmcnt(0)
	s_barrier
	buffer_gl0_inv
	v_cmp_gt_u32_e64 s0, 16, v8
	s_delay_alu instid0(VALU_DEP_1) | instskip(SKIP_1) | instid1(VALU_DEP_2)
	v_cndmask_b32_e64 v2, 0, 1, s0
	v_cmp_gt_u32_e64 s0, 24, v8
	v_lshlrev_b32_e32 v2, 4, v2
	s_delay_alu instid0(VALU_DEP_2) | instskip(SKIP_1) | instid1(VALU_DEP_3)
	v_cndmask_b32_e64 v3, 0, 1, s0
	v_cmp_gt_u32_e64 s0, 28, v8
	v_add_lshl_u32 v2, v2, v8, 2
	s_delay_alu instid0(VALU_DEP_3)
	v_lshlrev_b32_e32 v3, 3, v3
	ds_bpermute_b32 v4, v2, v7
	v_add_lshl_u32 v3, v3, v8, 2
	s_waitcnt lgkmcnt(0)
	v_add_f32_e32 v5, v7, v4
	v_cndmask_b32_e64 v4, 0, 1, s0
	v_cmp_gt_u32_e64 s0, 30, v8
	ds_bpermute_b32 v7, v3, v5
	s_waitcnt lgkmcnt(0)
	v_dual_add_f32 v7, v5, v7 :: v_dual_lshlrev_b32 v4, 2, v4
	s_delay_alu instid0(VALU_DEP_1)
	v_add_lshl_u32 v4, v4, v8, 2
	v_cndmask_b32_e64 v5, 0, 1, s0
	v_cmp_ne_u32_e64 s0, 31, v8
	ds_bpermute_b32 v9, v4, v7
	v_lshlrev_b32_e32 v5, 1, v5
	v_add_co_ci_u32_e64 v10, s0, 0, v8, s0
	s_delay_alu instid0(VALU_DEP_2)
	v_add_lshl_u32 v5, v5, v8, 2
	s_waitcnt lgkmcnt(0)
	v_add_f32_e32 v7, v7, v9
	ds_bpermute_b32 v9, v5, v7
	s_waitcnt lgkmcnt(0)
	v_dual_add_f32 v8, v7, v9 :: v_dual_lshlrev_b32 v7, 2, v10
	ds_bpermute_b32 v9, v7, v8
	v_cmpx_eq_u32_e32 0, v6
	s_cbranch_execz .LBB223_22
; %bb.21:
	v_lshrrev_b32_e32 v6, 3, v0
	s_waitcnt lgkmcnt(0)
	v_add_f32_e32 v8, v8, v9
	s_delay_alu instid0(VALU_DEP_2)
	v_and_b32_e32 v6, 0x7c, v6
	ds_store_b32 v6, v8
.LBB223_22:
	s_or_b32 exec_lo, exec_lo, s2
	v_mov_b32_e32 v6, 0
	s_waitcnt lgkmcnt(0)
	s_barrier
	buffer_gl0_inv
	s_and_saveexec_b32 s0, vcc_lo
	s_cbranch_execz .LBB223_24
; %bb.23:
	ds_load_b32 v6, v1
.LBB223_24:
	s_or_b32 exec_lo, exec_lo, s0
	s_and_saveexec_b32 s0, vcc_lo
	s_cbranch_execz .LBB223_26
; %bb.25:
	s_waitcnt lgkmcnt(0)
	ds_bpermute_b32 v1, v2, v6
	s_waitcnt lgkmcnt(0)
	v_add_f32_e32 v1, v6, v1
	ds_bpermute_b32 v2, v3, v1
	s_waitcnt lgkmcnt(0)
	v_add_f32_e32 v1, v1, v2
	;; [unrolled: 3-line block ×5, first 2 shown]
.LBB223_26:
	s_or_b32 exec_lo, exec_lo, s0
	s_delay_alu instid0(SALU_CYCLE_1)
	s_mov_b32 s0, exec_lo
                                        ; implicit-def: $vgpr1
                                        ; implicit-def: $sgpr4_sgpr5
	v_cmpx_eq_u32_e32 0, v0
	s_cbranch_execz .LBB223_30
; %bb.27:
	v_cmp_eq_f32_e64 s4, s15, 0
	s_mul_i32 s2, s14, s13
	s_mul_hi_u32 s3, s14, s12
	s_waitcnt lgkmcnt(0)
	v_mul_f32_e32 v1, s28, v6
	s_add_i32 s2, s3, s2
	s_mul_i32 s1, s1, s12
	s_and_b32 vcc_lo, exec_lo, s4
	s_add_i32 s5, s2, s1
	s_mul_i32 s4, s14, s12
	s_cbranch_vccnz .LBB223_29
; %bb.28:
	s_lshl_b64 s[2:3], s[4:5], 2
	s_delay_alu instid0(SALU_CYCLE_1)
	s_add_u32 s2, s6, s2
	s_addc_u32 s3, s7, s3
	s_load_b32 s1, s[2:3], 0x0
	s_waitcnt lgkmcnt(0)
	v_fmac_f32_e64 v1, s15, s1
.LBB223_29:
	s_or_b32 s8, s8, exec_lo
.LBB223_30:
	s_or_b32 exec_lo, exec_lo, s0
.LBB223_31:
	s_and_saveexec_b32 s0, s8
	s_cbranch_execz .LBB223_33
; %bb.32:
	s_lshl_b64 s[0:1], s[4:5], 2
	v_mov_b32_e32 v0, 0
	s_add_u32 s0, s6, s0
	s_addc_u32 s1, s7, s1
	global_store_b32 v0, v1, s[0:1]
.LBB223_33:
	s_nop 0
	s_sendmsg sendmsg(MSG_DEALLOC_VGPRS)
	s_endpgm
	.section	.rodata,"a",@progbits
	.p2align	6, 0x0
	.amdhsa_kernel _ZL32rocblas_gemvt_warp_reduce_kernelILb0ELi1024ElPKfS1_KPfEviiT3_lPKT2_lT1_lS7_lS8_lS4_lPT4_lS8_li
		.amdhsa_group_segment_fixed_size 128
		.amdhsa_private_segment_fixed_size 0
		.amdhsa_kernarg_size 140
		.amdhsa_user_sgpr_count 14
		.amdhsa_user_sgpr_dispatch_ptr 0
		.amdhsa_user_sgpr_queue_ptr 0
		.amdhsa_user_sgpr_kernarg_segment_ptr 1
		.amdhsa_user_sgpr_dispatch_id 0
		.amdhsa_user_sgpr_private_segment_size 0
		.amdhsa_wavefront_size32 1
		.amdhsa_uses_dynamic_stack 0
		.amdhsa_enable_private_segment 0
		.amdhsa_system_sgpr_workgroup_id_x 1
		.amdhsa_system_sgpr_workgroup_id_y 0
		.amdhsa_system_sgpr_workgroup_id_z 1
		.amdhsa_system_sgpr_workgroup_info 0
		.amdhsa_system_vgpr_workitem_id 0
		.amdhsa_next_free_vgpr 11
		.amdhsa_next_free_sgpr 31
		.amdhsa_reserve_vcc 1
		.amdhsa_float_round_mode_32 0
		.amdhsa_float_round_mode_16_64 0
		.amdhsa_float_denorm_mode_32 3
		.amdhsa_float_denorm_mode_16_64 3
		.amdhsa_dx10_clamp 1
		.amdhsa_ieee_mode 1
		.amdhsa_fp16_overflow 0
		.amdhsa_workgroup_processor_mode 1
		.amdhsa_memory_ordered 1
		.amdhsa_forward_progress 0
		.amdhsa_shared_vgpr_count 0
		.amdhsa_exception_fp_ieee_invalid_op 0
		.amdhsa_exception_fp_denorm_src 0
		.amdhsa_exception_fp_ieee_div_zero 0
		.amdhsa_exception_fp_ieee_overflow 0
		.amdhsa_exception_fp_ieee_underflow 0
		.amdhsa_exception_fp_ieee_inexact 0
		.amdhsa_exception_int_div_zero 0
	.end_amdhsa_kernel
	.section	.text._ZL32rocblas_gemvt_warp_reduce_kernelILb0ELi1024ElPKfS1_KPfEviiT3_lPKT2_lT1_lS7_lS8_lS4_lPT4_lS8_li,"axG",@progbits,_ZL32rocblas_gemvt_warp_reduce_kernelILb0ELi1024ElPKfS1_KPfEviiT3_lPKT2_lT1_lS7_lS8_lS4_lPT4_lS8_li,comdat
.Lfunc_end223:
	.size	_ZL32rocblas_gemvt_warp_reduce_kernelILb0ELi1024ElPKfS1_KPfEviiT3_lPKT2_lT1_lS7_lS8_lS4_lPT4_lS8_li, .Lfunc_end223-_ZL32rocblas_gemvt_warp_reduce_kernelILb0ELi1024ElPKfS1_KPfEviiT3_lPKT2_lT1_lS7_lS8_lS4_lPT4_lS8_li
                                        ; -- End function
	.section	.AMDGPU.csdata,"",@progbits
; Kernel info:
; codeLenInByte = 1572
; NumSgprs: 33
; NumVgprs: 11
; ScratchSize: 0
; MemoryBound: 0
; FloatMode: 240
; IeeeMode: 1
; LDSByteSize: 128 bytes/workgroup (compile time only)
; SGPRBlocks: 4
; VGPRBlocks: 1
; NumSGPRsForWavesPerEU: 33
; NumVGPRsForWavesPerEU: 11
; Occupancy: 16
; WaveLimiterHint : 1
; COMPUTE_PGM_RSRC2:SCRATCH_EN: 0
; COMPUTE_PGM_RSRC2:USER_SGPR: 14
; COMPUTE_PGM_RSRC2:TRAP_HANDLER: 0
; COMPUTE_PGM_RSRC2:TGID_X_EN: 1
; COMPUTE_PGM_RSRC2:TGID_Y_EN: 0
; COMPUTE_PGM_RSRC2:TGID_Z_EN: 1
; COMPUTE_PGM_RSRC2:TIDIG_COMP_CNT: 0
	.section	.text._ZL32rocblas_gemvt_warp_reduce_kernelILb0ELi1024EiPKffKPfEviiT3_lPKT2_lT1_lS7_lS8_lS4_lPT4_lS8_li,"axG",@progbits,_ZL32rocblas_gemvt_warp_reduce_kernelILb0ELi1024EiPKffKPfEviiT3_lPKT2_lT1_lS7_lS8_lS4_lPT4_lS8_li,comdat
	.globl	_ZL32rocblas_gemvt_warp_reduce_kernelILb0ELi1024EiPKffKPfEviiT3_lPKT2_lT1_lS7_lS8_lS4_lPT4_lS8_li ; -- Begin function _ZL32rocblas_gemvt_warp_reduce_kernelILb0ELi1024EiPKffKPfEviiT3_lPKT2_lT1_lS7_lS8_lS4_lPT4_lS8_li
	.p2align	8
	.type	_ZL32rocblas_gemvt_warp_reduce_kernelILb0ELi1024EiPKffKPfEviiT3_lPKT2_lT1_lS7_lS8_lS4_lPT4_lS8_li,@function
_ZL32rocblas_gemvt_warp_reduce_kernelILb0ELi1024EiPKffKPfEviiT3_lPKT2_lT1_lS7_lS8_lS4_lPT4_lS8_li: ; @_ZL32rocblas_gemvt_warp_reduce_kernelILb0ELi1024EiPKffKPfEviiT3_lPKT2_lT1_lS7_lS8_lS4_lPT4_lS8_li
; %bb.0:
	s_clause 0x1
	s_load_b32 s11, s[0:1], 0x8
	s_load_b32 s10, s[0:1], 0x58
	s_waitcnt lgkmcnt(0)
	v_cmp_eq_f32_e64 s8, s11, 0
	v_cmp_eq_f32_e64 s3, s10, 1.0
	s_delay_alu instid0(VALU_DEP_1) | instskip(NEXT) | instid1(SALU_CYCLE_1)
	s_and_b32 s3, s8, s3
	s_and_b32 vcc_lo, exec_lo, s3
	s_cbranch_vccnz .LBB224_36
; %bb.1:
	v_cmp_neq_f32_e64 s4, s11, 0
	s_mov_b32 s2, s15
	s_delay_alu instid0(VALU_DEP_1)
	s_and_b32 vcc_lo, exec_lo, s4
	s_cbranch_vccnz .LBB224_3
; %bb.2:
	s_mov_b32 s3, 0
	s_mov_b64 s[6:7], 0
	s_cbranch_execz .LBB224_4
	s_branch .LBB224_5
.LBB224_3:
	s_mov_b32 s3, -1
                                        ; implicit-def: $sgpr6_sgpr7
.LBB224_4:
	s_load_b128 s[16:19], s[0:1], 0x18
	s_mov_b32 s3, 0
	s_delay_alu instid0(SALU_CYCLE_1)
	s_lshl_b64 s[6:7], s[2:3], 3
	s_waitcnt lgkmcnt(0)
	s_add_u32 s6, s16, s6
	s_addc_u32 s7, s17, s7
	s_lshl_b64 s[12:13], s[18:19], 2
	s_load_b64 s[6:7], s[6:7], 0x0
	s_waitcnt lgkmcnt(0)
	s_add_u32 s6, s6, s12
	s_addc_u32 s7, s7, s13
.LBB224_5:
	s_and_not1_b32 vcc_lo, exec_lo, s4
	s_cbranch_vccnz .LBB224_7
; %bb.6:
	s_load_b128 s[16:19], s[0:1], 0x38
	s_lshl_b64 s[4:5], s[2:3], 3
	s_waitcnt lgkmcnt(0)
	s_add_u32 s4, s16, s4
	s_addc_u32 s5, s17, s5
	s_lshl_b64 s[12:13], s[18:19], 2
	s_load_b64 s[4:5], s[4:5], 0x0
	s_waitcnt lgkmcnt(0)
	s_add_u32 s4, s4, s12
	s_addc_u32 s5, s5, s13
	s_branch .LBB224_8
.LBB224_7:
	s_mov_b64 s[4:5], 0
.LBB224_8:
	s_clause 0x1
	s_load_b128 s[16:19], s[0:1], 0x68
	s_load_b32 s15, s[0:1], 0x78
	s_lshl_b64 s[2:3], s[2:3], 3
	s_waitcnt lgkmcnt(0)
	s_add_u32 s2, s16, s2
	s_addc_u32 s3, s17, s3
	s_lshl_b64 s[16:17], s[18:19], 2
	s_load_b64 s[12:13], s[2:3], 0x0
	v_cmp_eq_u32_e64 s2, 0, v0
	s_waitcnt lgkmcnt(0)
	s_add_u32 s12, s12, s16
	s_addc_u32 s13, s13, s17
	s_and_not1_b32 vcc_lo, exec_lo, s8
	s_cbranch_vccnz .LBB224_13
; %bb.9:
	s_mov_b32 s3, 0
	s_mov_b32 s16, 0
                                        ; implicit-def: $vgpr1
                                        ; implicit-def: $sgpr8_sgpr9
	s_and_saveexec_b32 s17, s2
	s_cbranch_execz .LBB224_14
; %bb.10:
	v_cmp_eq_f32_e64 s2, s10, 0
	v_mov_b32_e32 v1, 0
	s_mul_i32 s8, s14, s15
	s_delay_alu instid0(SALU_CYCLE_1) | instskip(NEXT) | instid1(VALU_DEP_2)
	s_ashr_i32 s9, s8, 31
	s_and_b32 vcc_lo, exec_lo, s2
	s_cbranch_vccnz .LBB224_12
; %bb.11:
	s_lshl_b64 s[18:19], s[8:9], 2
	s_delay_alu instid0(SALU_CYCLE_1)
	s_add_u32 s18, s12, s18
	s_addc_u32 s19, s13, s19
	s_load_b32 s2, s[18:19], 0x0
	s_waitcnt lgkmcnt(0)
	v_mul_f32_e64 v1, s2, s10
.LBB224_12:
	s_mov_b32 s16, exec_lo
	s_or_b32 exec_lo, exec_lo, s17
	s_delay_alu instid0(SALU_CYCLE_1)
	s_and_b32 vcc_lo, exec_lo, s3
	s_cbranch_vccnz .LBB224_15
	s_branch .LBB224_34
.LBB224_13:
	s_mov_b32 s16, 0
                                        ; implicit-def: $vgpr1
                                        ; implicit-def: $sgpr8_sgpr9
	s_cbranch_execnz .LBB224_15
	s_branch .LBB224_34
.LBB224_14:
	s_or_b32 exec_lo, exec_lo, s17
	s_delay_alu instid0(SALU_CYCLE_1)
	s_and_b32 vcc_lo, exec_lo, s3
	s_cbranch_vccz .LBB224_34
.LBB224_15:
	s_clause 0x2
	s_load_b32 s2, s[0:1], 0x28
	s_load_b32 s3, s[0:1], 0x0
	;; [unrolled: 1-line block ×3, first 2 shown]
	v_mov_b32_e32 v7, 0
	s_waitcnt lgkmcnt(0)
	s_mul_i32 s8, s14, s2
	v_cmp_gt_i32_e32 vcc_lo, s3, v0
	s_ashr_i32 s9, s8, 31
	s_delay_alu instid0(SALU_CYCLE_1)
	s_lshl_b64 s[8:9], s[8:9], 2
	v_cndmask_b32_e32 v1, 0, v0, vcc_lo
	s_add_u32 s0, s8, s6
	s_addc_u32 s6, s9, s7
	s_ashr_i32 s2, s3, 31
	s_mov_b32 s7, 0
	v_lshlrev_b32_e32 v1, 2, v1
	s_lshr_b32 s2, s2, 22
	s_delay_alu instid0(SALU_CYCLE_1) | instskip(NEXT) | instid1(SALU_CYCLE_1)
	s_add_i32 s2, s3, s2
	s_and_b32 s2, s2, 0xfffffc00
	s_delay_alu instid0(VALU_DEP_1) | instskip(NEXT) | instid1(VALU_DEP_1)
	v_add_co_u32 v1, s0, s0, v1
	v_add_co_ci_u32_e64 v2, null, s6, 0, s0
	s_mov_b32 s6, exec_lo
	v_cmpx_gt_i32_e64 s2, v0
	s_cbranch_execz .LBB224_19
; %bb.16:
	v_mul_lo_u32 v3, v0, s1
	v_dual_mov_b32 v7, 0 :: v_dual_mov_b32 v6, v2
	v_dual_mov_b32 v5, v1 :: v_dual_mov_b32 v8, v0
	s_lshl_b32 s8, s1, 10
	.p2align	6
.LBB224_17:                             ; =>This Inner Loop Header: Depth=1
	s_delay_alu instid0(VALU_DEP_3) | instskip(NEXT) | instid1(VALU_DEP_1)
	v_ashrrev_i32_e32 v4, 31, v3
	v_lshlrev_b64 v[9:10], 2, v[3:4]
	v_add_nc_u32_e32 v3, s8, v3
	s_delay_alu instid0(VALU_DEP_2) | instskip(NEXT) | instid1(VALU_DEP_3)
	v_add_co_u32 v9, vcc_lo, s4, v9
	v_add_co_ci_u32_e32 v10, vcc_lo, s5, v10, vcc_lo
	flat_load_b32 v4, v[5:6]
	flat_load_b32 v9, v[9:10]
	v_add_nc_u32_e32 v8, 0x400, v8
	v_add_co_u32 v5, vcc_lo, 0x1000, v5
	v_add_co_ci_u32_e32 v6, vcc_lo, 0, v6, vcc_lo
	s_waitcnt vmcnt(0) lgkmcnt(0)
	v_fmac_f32_e32 v7, v4, v9
	v_cmp_le_i32_e64 s0, s2, v8
	s_delay_alu instid0(VALU_DEP_1) | instskip(NEXT) | instid1(SALU_CYCLE_1)
	s_or_b32 s7, s0, s7
	s_and_not1_b32 exec_lo, exec_lo, s7
	s_cbranch_execnz .LBB224_17
; %bb.18:
	s_or_b32 exec_lo, exec_lo, s7
.LBB224_19:
	s_delay_alu instid0(SALU_CYCLE_1) | instskip(SKIP_2) | instid1(VALU_DEP_1)
	s_or_b32 exec_lo, exec_lo, s6
	v_or_b32_e32 v3, s2, v0
	s_mov_b32 s0, exec_lo
	v_cmpx_gt_i32_e64 s3, v3
	s_cbranch_execz .LBB224_21
; %bb.20:
	v_mul_lo_u32 v3, v3, s1
	s_ashr_i32 s3, s2, 31
	s_delay_alu instid0(SALU_CYCLE_1) | instskip(NEXT) | instid1(SALU_CYCLE_1)
	s_lshl_b64 s[2:3], s[2:3], 2
	v_add_co_u32 v1, vcc_lo, v1, s2
	v_add_co_ci_u32_e32 v2, vcc_lo, s3, v2, vcc_lo
	s_delay_alu instid0(VALU_DEP_3) | instskip(NEXT) | instid1(VALU_DEP_1)
	v_ashrrev_i32_e32 v4, 31, v3
	v_lshlrev_b64 v[3:4], 2, v[3:4]
	s_delay_alu instid0(VALU_DEP_1) | instskip(NEXT) | instid1(VALU_DEP_2)
	v_add_co_u32 v3, vcc_lo, s4, v3
	v_add_co_ci_u32_e32 v4, vcc_lo, s5, v4, vcc_lo
	flat_load_b32 v1, v[1:2]
	flat_load_b32 v2, v[3:4]
	s_waitcnt vmcnt(0) lgkmcnt(0)
	v_fmac_f32_e32 v7, v1, v2
.LBB224_21:
	s_or_b32 exec_lo, exec_lo, s0
	v_and_b32_e32 v6, 31, v0
	v_cmp_gt_u32_e32 vcc_lo, 32, v0
	s_delay_alu instid0(VALU_DEP_2)
	v_lshlrev_b32_e32 v1, 2, v6
	s_and_saveexec_b32 s0, vcc_lo
	s_cbranch_execz .LBB224_23
; %bb.22:
	v_mov_b32_e32 v2, 0
	ds_store_b32 v1, v2
.LBB224_23:
	s_or_b32 exec_lo, exec_lo, s0
	v_mbcnt_lo_u32_b32 v8, -1, 0
	s_mov_b32 s1, exec_lo
	s_waitcnt lgkmcnt(0)
	s_barrier
	buffer_gl0_inv
	v_cmp_gt_u32_e64 s0, 16, v8
	s_delay_alu instid0(VALU_DEP_1) | instskip(SKIP_1) | instid1(VALU_DEP_2)
	v_cndmask_b32_e64 v2, 0, 1, s0
	v_cmp_gt_u32_e64 s0, 24, v8
	v_lshlrev_b32_e32 v2, 4, v2
	s_delay_alu instid0(VALU_DEP_2) | instskip(SKIP_1) | instid1(VALU_DEP_3)
	v_cndmask_b32_e64 v3, 0, 1, s0
	v_cmp_gt_u32_e64 s0, 28, v8
	v_add_lshl_u32 v2, v2, v8, 2
	s_delay_alu instid0(VALU_DEP_3)
	v_lshlrev_b32_e32 v3, 3, v3
	ds_bpermute_b32 v4, v2, v7
	v_add_lshl_u32 v3, v3, v8, 2
	s_waitcnt lgkmcnt(0)
	v_add_f32_e32 v5, v7, v4
	v_cndmask_b32_e64 v4, 0, 1, s0
	v_cmp_gt_u32_e64 s0, 30, v8
	ds_bpermute_b32 v7, v3, v5
	s_waitcnt lgkmcnt(0)
	v_dual_add_f32 v7, v5, v7 :: v_dual_lshlrev_b32 v4, 2, v4
	s_delay_alu instid0(VALU_DEP_1)
	v_add_lshl_u32 v4, v4, v8, 2
	v_cndmask_b32_e64 v5, 0, 1, s0
	v_cmp_ne_u32_e64 s0, 31, v8
	ds_bpermute_b32 v9, v4, v7
	v_lshlrev_b32_e32 v5, 1, v5
	v_add_co_ci_u32_e64 v10, s0, 0, v8, s0
	s_delay_alu instid0(VALU_DEP_2)
	v_add_lshl_u32 v5, v5, v8, 2
	s_waitcnt lgkmcnt(0)
	v_add_f32_e32 v7, v7, v9
	ds_bpermute_b32 v9, v5, v7
	s_waitcnt lgkmcnt(0)
	v_dual_add_f32 v8, v7, v9 :: v_dual_lshlrev_b32 v7, 2, v10
	ds_bpermute_b32 v9, v7, v8
	v_cmpx_eq_u32_e32 0, v6
	s_cbranch_execz .LBB224_25
; %bb.24:
	v_lshrrev_b32_e32 v6, 3, v0
	s_waitcnt lgkmcnt(0)
	v_add_f32_e32 v8, v8, v9
	s_delay_alu instid0(VALU_DEP_2)
	v_and_b32_e32 v6, 0x7c, v6
	ds_store_b32 v6, v8
.LBB224_25:
	s_or_b32 exec_lo, exec_lo, s1
	v_mov_b32_e32 v6, 0
	s_waitcnt lgkmcnt(0)
	s_barrier
	buffer_gl0_inv
	s_and_saveexec_b32 s0, vcc_lo
	s_cbranch_execz .LBB224_27
; %bb.26:
	ds_load_b32 v6, v1
.LBB224_27:
	s_or_b32 exec_lo, exec_lo, s0
	s_and_saveexec_b32 s0, vcc_lo
	s_cbranch_execz .LBB224_29
; %bb.28:
	s_waitcnt lgkmcnt(0)
	ds_bpermute_b32 v1, v2, v6
	s_waitcnt lgkmcnt(0)
	v_add_f32_e32 v1, v6, v1
	ds_bpermute_b32 v2, v3, v1
	s_waitcnt lgkmcnt(0)
	v_add_f32_e32 v1, v1, v2
	;; [unrolled: 3-line block ×5, first 2 shown]
.LBB224_29:
	s_or_b32 exec_lo, exec_lo, s0
	s_delay_alu instid0(SALU_CYCLE_1)
	s_mov_b32 s0, exec_lo
                                        ; implicit-def: $vgpr1
                                        ; implicit-def: $sgpr8_sgpr9
	v_cmpx_eq_u32_e32 0, v0
	s_cbranch_execz .LBB224_33
; %bb.30:
	v_cmp_eq_f32_e64 s1, s10, 0
	s_waitcnt lgkmcnt(0)
	v_mul_f32_e32 v1, s11, v6
	s_mul_i32 s8, s14, s15
	s_delay_alu instid0(SALU_CYCLE_1)
	s_ashr_i32 s9, s8, 31
	s_and_b32 vcc_lo, exec_lo, s1
	s_cbranch_vccnz .LBB224_32
; %bb.31:
	s_lshl_b64 s[2:3], s[8:9], 2
	s_delay_alu instid0(SALU_CYCLE_1)
	s_add_u32 s2, s12, s2
	s_addc_u32 s3, s13, s3
	s_load_b32 s1, s[2:3], 0x0
	s_waitcnt lgkmcnt(0)
	v_fmac_f32_e64 v1, s1, s10
.LBB224_32:
	s_or_b32 s16, s16, exec_lo
.LBB224_33:
	s_or_b32 exec_lo, exec_lo, s0
.LBB224_34:
	s_and_saveexec_b32 s0, s16
	s_cbranch_execz .LBB224_36
; %bb.35:
	s_lshl_b64 s[0:1], s[8:9], 2
	v_mov_b32_e32 v0, 0
	s_add_u32 s0, s12, s0
	s_addc_u32 s1, s13, s1
	global_store_b32 v0, v1, s[0:1]
.LBB224_36:
	s_nop 0
	s_sendmsg sendmsg(MSG_DEALLOC_VGPRS)
	s_endpgm
	.section	.rodata,"a",@progbits
	.p2align	6, 0x0
	.amdhsa_kernel _ZL32rocblas_gemvt_warp_reduce_kernelILb0ELi1024EiPKffKPfEviiT3_lPKT2_lT1_lS7_lS8_lS4_lPT4_lS8_li
		.amdhsa_group_segment_fixed_size 128
		.amdhsa_private_segment_fixed_size 0
		.amdhsa_kernarg_size 140
		.amdhsa_user_sgpr_count 14
		.amdhsa_user_sgpr_dispatch_ptr 0
		.amdhsa_user_sgpr_queue_ptr 0
		.amdhsa_user_sgpr_kernarg_segment_ptr 1
		.amdhsa_user_sgpr_dispatch_id 0
		.amdhsa_user_sgpr_private_segment_size 0
		.amdhsa_wavefront_size32 1
		.amdhsa_uses_dynamic_stack 0
		.amdhsa_enable_private_segment 0
		.amdhsa_system_sgpr_workgroup_id_x 1
		.amdhsa_system_sgpr_workgroup_id_y 0
		.amdhsa_system_sgpr_workgroup_id_z 1
		.amdhsa_system_sgpr_workgroup_info 0
		.amdhsa_system_vgpr_workitem_id 0
		.amdhsa_next_free_vgpr 11
		.amdhsa_next_free_sgpr 20
		.amdhsa_reserve_vcc 1
		.amdhsa_float_round_mode_32 0
		.amdhsa_float_round_mode_16_64 0
		.amdhsa_float_denorm_mode_32 3
		.amdhsa_float_denorm_mode_16_64 3
		.amdhsa_dx10_clamp 1
		.amdhsa_ieee_mode 1
		.amdhsa_fp16_overflow 0
		.amdhsa_workgroup_processor_mode 1
		.amdhsa_memory_ordered 1
		.amdhsa_forward_progress 0
		.amdhsa_shared_vgpr_count 0
		.amdhsa_exception_fp_ieee_invalid_op 0
		.amdhsa_exception_fp_denorm_src 0
		.amdhsa_exception_fp_ieee_div_zero 0
		.amdhsa_exception_fp_ieee_overflow 0
		.amdhsa_exception_fp_ieee_underflow 0
		.amdhsa_exception_fp_ieee_inexact 0
		.amdhsa_exception_int_div_zero 0
	.end_amdhsa_kernel
	.section	.text._ZL32rocblas_gemvt_warp_reduce_kernelILb0ELi1024EiPKffKPfEviiT3_lPKT2_lT1_lS7_lS8_lS4_lPT4_lS8_li,"axG",@progbits,_ZL32rocblas_gemvt_warp_reduce_kernelILb0ELi1024EiPKffKPfEviiT3_lPKT2_lT1_lS7_lS8_lS4_lPT4_lS8_li,comdat
.Lfunc_end224:
	.size	_ZL32rocblas_gemvt_warp_reduce_kernelILb0ELi1024EiPKffKPfEviiT3_lPKT2_lT1_lS7_lS8_lS4_lPT4_lS8_li, .Lfunc_end224-_ZL32rocblas_gemvt_warp_reduce_kernelILb0ELi1024EiPKffKPfEviiT3_lPKT2_lT1_lS7_lS8_lS4_lPT4_lS8_li
                                        ; -- End function
	.section	.AMDGPU.csdata,"",@progbits
; Kernel info:
; codeLenInByte = 1440
; NumSgprs: 22
; NumVgprs: 11
; ScratchSize: 0
; MemoryBound: 0
; FloatMode: 240
; IeeeMode: 1
; LDSByteSize: 128 bytes/workgroup (compile time only)
; SGPRBlocks: 2
; VGPRBlocks: 1
; NumSGPRsForWavesPerEU: 22
; NumVGPRsForWavesPerEU: 11
; Occupancy: 16
; WaveLimiterHint : 1
; COMPUTE_PGM_RSRC2:SCRATCH_EN: 0
; COMPUTE_PGM_RSRC2:USER_SGPR: 14
; COMPUTE_PGM_RSRC2:TRAP_HANDLER: 0
; COMPUTE_PGM_RSRC2:TGID_X_EN: 1
; COMPUTE_PGM_RSRC2:TGID_Y_EN: 0
; COMPUTE_PGM_RSRC2:TGID_Z_EN: 1
; COMPUTE_PGM_RSRC2:TIDIG_COMP_CNT: 0
	.section	.text._ZL32rocblas_gemvt_warp_reduce_kernelILb0ELi1024ElPKffKPfEviiT3_lPKT2_lT1_lS7_lS8_lS4_lPT4_lS8_li,"axG",@progbits,_ZL32rocblas_gemvt_warp_reduce_kernelILb0ELi1024ElPKffKPfEviiT3_lPKT2_lT1_lS7_lS8_lS4_lPT4_lS8_li,comdat
	.globl	_ZL32rocblas_gemvt_warp_reduce_kernelILb0ELi1024ElPKffKPfEviiT3_lPKT2_lT1_lS7_lS8_lS4_lPT4_lS8_li ; -- Begin function _ZL32rocblas_gemvt_warp_reduce_kernelILb0ELi1024ElPKffKPfEviiT3_lPKT2_lT1_lS7_lS8_lS4_lPT4_lS8_li
	.p2align	8
	.type	_ZL32rocblas_gemvt_warp_reduce_kernelILb0ELi1024ElPKffKPfEviiT3_lPKT2_lT1_lS7_lS8_lS4_lPT4_lS8_li,@function
_ZL32rocblas_gemvt_warp_reduce_kernelILb0ELi1024ElPKffKPfEviiT3_lPKT2_lT1_lS7_lS8_lS4_lPT4_lS8_li: ; @_ZL32rocblas_gemvt_warp_reduce_kernelILb0ELi1024ElPKffKPfEviiT3_lPKT2_lT1_lS7_lS8_lS4_lPT4_lS8_li
; %bb.0:
	s_mov_b32 s2, s15
	s_clause 0x1
	s_load_b32 s18, s[0:1], 0x8
	s_load_b32 s15, s[0:1], 0x58
	s_waitcnt lgkmcnt(0)
	v_cmp_eq_f32_e64 s16, s18, 0
	v_cmp_eq_f32_e64 s3, s15, 1.0
	s_delay_alu instid0(VALU_DEP_1) | instskip(NEXT) | instid1(SALU_CYCLE_1)
	s_and_b32 s3, s16, s3
	s_and_b32 vcc_lo, exec_lo, s3
	s_cbranch_vccnz .LBB225_36
; %bb.1:
	s_clause 0x1
	s_load_b128 s[4:7], s[0:1], 0x18
	s_load_b64 s[10:11], s[0:1], 0x28
	v_cmp_neq_f32_e64 s17, s18, 0
	s_delay_alu instid0(VALU_DEP_1)
	s_and_b32 vcc_lo, exec_lo, s17
	s_cbranch_vccnz .LBB225_3
; %bb.2:
	s_mov_b32 s3, 0
	s_mov_b64 s[12:13], 0
	s_cbranch_execz .LBB225_4
	s_branch .LBB225_5
.LBB225_3:
	s_mov_b32 s3, -1
                                        ; implicit-def: $sgpr12_sgpr13
.LBB225_4:
	s_mov_b32 s3, 0
	s_delay_alu instid0(SALU_CYCLE_1)
	s_lshl_b64 s[8:9], s[2:3], 3
	s_waitcnt lgkmcnt(0)
	s_add_u32 s4, s4, s8
	s_addc_u32 s5, s5, s9
	s_lshl_b64 s[6:7], s[6:7], 2
	s_load_b64 s[4:5], s[4:5], 0x0
	s_waitcnt lgkmcnt(0)
	s_add_u32 s12, s4, s6
	s_addc_u32 s13, s5, s7
.LBB225_5:
	s_waitcnt lgkmcnt(0)
	s_clause 0x1
	s_load_b128 s[4:7], s[0:1], 0x38
	s_load_b64 s[8:9], s[0:1], 0x48
	s_and_not1_b32 vcc_lo, exec_lo, s17
	s_cbranch_vccnz .LBB225_7
; %bb.6:
	s_lshl_b64 s[20:21], s[2:3], 3
	s_waitcnt lgkmcnt(0)
	s_add_u32 s4, s4, s20
	s_addc_u32 s5, s5, s21
	s_lshl_b64 s[6:7], s[6:7], 2
	s_load_b64 s[4:5], s[4:5], 0x0
	s_waitcnt lgkmcnt(0)
	s_add_u32 s6, s4, s6
	s_addc_u32 s7, s5, s7
	s_branch .LBB225_8
.LBB225_7:
	s_waitcnt lgkmcnt(0)
	s_mov_b64 s[6:7], 0
.LBB225_8:
	s_clause 0x1
	s_load_b128 s[20:23], s[0:1], 0x68
	s_load_b64 s[4:5], s[0:1], 0x78
	s_lshl_b64 s[2:3], s[2:3], 3
	s_waitcnt lgkmcnt(0)
	s_add_u32 s2, s20, s2
	s_addc_u32 s3, s21, s3
	s_lshl_b64 s[22:23], s[22:23], 2
	s_load_b64 s[20:21], s[2:3], 0x0
	v_cmp_eq_u32_e64 s2, 0, v0
	s_waitcnt lgkmcnt(0)
	s_add_u32 s19, s20, s22
	s_addc_u32 s20, s21, s23
	s_and_not1_b32 vcc_lo, exec_lo, s16
	s_cbranch_vccnz .LBB225_13
; %bb.9:
	s_mov_b32 s3, 0
	s_mov_b32 s21, 0
                                        ; implicit-def: $vgpr1
                                        ; implicit-def: $sgpr16_sgpr17
	s_and_saveexec_b32 s22, s2
	s_cbranch_execz .LBB225_14
; %bb.10:
	v_cmp_eq_f32_e64 s2, s15, 0
	s_mul_i32 s16, s14, s5
	s_mul_hi_u32 s17, s14, s4
	s_ashr_i32 s21, s14, 31
	v_mov_b32_e32 v1, 0
	s_add_i32 s16, s17, s16
	s_mul_i32 s21, s21, s4
	s_and_b32 vcc_lo, exec_lo, s2
	s_add_i32 s17, s16, s21
	s_mul_i32 s16, s14, s4
	s_cbranch_vccnz .LBB225_12
; %bb.11:
	s_lshl_b64 s[24:25], s[16:17], 2
	s_delay_alu instid0(SALU_CYCLE_1)
	s_add_u32 s24, s19, s24
	s_addc_u32 s25, s20, s25
	s_load_b32 s2, s[24:25], 0x0
	s_waitcnt lgkmcnt(0)
	v_mul_f32_e64 v1, s2, s15
.LBB225_12:
	s_mov_b32 s21, exec_lo
	s_or_b32 exec_lo, exec_lo, s22
	s_delay_alu instid0(SALU_CYCLE_1)
	s_and_b32 vcc_lo, exec_lo, s3
	s_cbranch_vccnz .LBB225_15
	s_branch .LBB225_34
.LBB225_13:
	s_mov_b32 s21, 0
                                        ; implicit-def: $vgpr1
                                        ; implicit-def: $sgpr16_sgpr17
	s_cbranch_execnz .LBB225_15
	s_branch .LBB225_34
.LBB225_14:
	s_or_b32 exec_lo, exec_lo, s22
	s_delay_alu instid0(SALU_CYCLE_1)
	s_and_b32 vcc_lo, exec_lo, s3
	s_cbranch_vccz .LBB225_34
.LBB225_15:
	s_load_b32 s3, s[0:1], 0x0
	s_mul_i32 s0, s14, s11
	s_mul_hi_u32 s2, s14, s10
	s_ashr_i32 s1, s14, 31
	s_add_i32 s0, s2, s0
	s_mul_i32 s2, s1, s10
	s_mul_i32 s10, s14, s10
	s_add_i32 s11, s0, s2
	v_mov_b32_e32 v7, 0
	s_lshl_b64 s[10:11], s[10:11], 2
	s_delay_alu instid0(SALU_CYCLE_1)
	s_add_u32 s0, s10, s12
	s_addc_u32 s10, s11, s13
	s_mov_b32 s13, 0
	s_mov_b32 s12, exec_lo
	s_waitcnt lgkmcnt(0)
	v_cmp_gt_i32_e32 vcc_lo, s3, v0
	s_ashr_i32 s2, s3, 31
	s_delay_alu instid0(SALU_CYCLE_1) | instskip(NEXT) | instid1(SALU_CYCLE_1)
	s_lshr_b32 s2, s2, 22
	s_add_i32 s2, s3, s2
	v_cndmask_b32_e32 v1, 0, v0, vcc_lo
	s_and_b32 s2, s2, 0xfffffc00
	s_delay_alu instid0(VALU_DEP_1) | instskip(NEXT) | instid1(VALU_DEP_1)
	v_lshlrev_b32_e32 v1, 2, v1
	v_add_co_u32 v1, s0, s0, v1
	s_delay_alu instid0(VALU_DEP_1)
	v_add_co_ci_u32_e64 v2, null, s10, 0, s0
	v_cmpx_gt_i32_e64 s2, v0
	s_cbranch_execz .LBB225_19
; %bb.16:
	v_mad_u64_u32 v[3:4], null, s8, v0, 0
	v_mov_b32_e32 v8, v0
	s_lshl_b64 s[10:11], s[8:9], 12
	v_mov_b32_e32 v7, 0
	s_delay_alu instid0(VALU_DEP_3) | instskip(NEXT) | instid1(VALU_DEP_1)
	v_mad_u64_u32 v[5:6], null, s9, v0, v[4:5]
	v_mov_b32_e32 v4, v5
	s_delay_alu instid0(VALU_DEP_1) | instskip(SKIP_1) | instid1(VALU_DEP_2)
	v_lshlrev_b64 v[5:6], 2, v[3:4]
	v_dual_mov_b32 v4, v2 :: v_dual_mov_b32 v3, v1
	v_add_co_u32 v5, vcc_lo, s6, v5
	s_delay_alu instid0(VALU_DEP_3)
	v_add_co_ci_u32_e32 v6, vcc_lo, s7, v6, vcc_lo
	.p2align	6
.LBB225_17:                             ; =>This Inner Loop Header: Depth=1
	flat_load_b32 v9, v[3:4]
	flat_load_b32 v10, v[5:6]
	v_add_nc_u32_e32 v8, 0x400, v8
	v_add_co_u32 v3, vcc_lo, 0x1000, v3
	v_add_co_ci_u32_e32 v4, vcc_lo, 0, v4, vcc_lo
	v_add_co_u32 v5, vcc_lo, v5, s10
	v_add_co_ci_u32_e32 v6, vcc_lo, s11, v6, vcc_lo
	s_waitcnt vmcnt(0) lgkmcnt(0)
	v_fmac_f32_e32 v7, v9, v10
	v_cmp_le_i32_e64 s0, s2, v8
	s_delay_alu instid0(VALU_DEP_1) | instskip(NEXT) | instid1(SALU_CYCLE_1)
	s_or_b32 s13, s0, s13
	s_and_not1_b32 exec_lo, exec_lo, s13
	s_cbranch_execnz .LBB225_17
; %bb.18:
	s_or_b32 exec_lo, exec_lo, s13
.LBB225_19:
	s_delay_alu instid0(SALU_CYCLE_1) | instskip(SKIP_2) | instid1(VALU_DEP_1)
	s_or_b32 exec_lo, exec_lo, s12
	v_or_b32_e32 v3, s2, v0
	s_mov_b32 s0, exec_lo
	v_cmpx_gt_i32_e64 s3, v3
	s_cbranch_execz .LBB225_21
; %bb.20:
	v_ashrrev_i32_e32 v6, 31, v3
	v_mul_lo_u32 v8, v3, s9
	v_mad_u64_u32 v[4:5], null, v3, s8, 0
	s_ashr_i32 s3, s2, 31
	s_delay_alu instid0(VALU_DEP_3) | instskip(SKIP_1) | instid1(SALU_CYCLE_1)
	v_mul_lo_u32 v3, v6, s8
	s_lshl_b64 s[2:3], s[2:3], 2
	v_add_co_u32 v1, vcc_lo, v1, s2
	v_add_co_ci_u32_e32 v2, vcc_lo, s3, v2, vcc_lo
	s_delay_alu instid0(VALU_DEP_3) | instskip(NEXT) | instid1(VALU_DEP_1)
	v_add3_u32 v5, v5, v8, v3
	v_lshlrev_b64 v[3:4], 2, v[4:5]
	s_delay_alu instid0(VALU_DEP_1) | instskip(NEXT) | instid1(VALU_DEP_2)
	v_add_co_u32 v3, vcc_lo, s6, v3
	v_add_co_ci_u32_e32 v4, vcc_lo, s7, v4, vcc_lo
	flat_load_b32 v1, v[1:2]
	flat_load_b32 v2, v[3:4]
	s_waitcnt vmcnt(0) lgkmcnt(0)
	v_fmac_f32_e32 v7, v1, v2
.LBB225_21:
	s_or_b32 exec_lo, exec_lo, s0
	v_and_b32_e32 v6, 31, v0
	v_cmp_gt_u32_e32 vcc_lo, 32, v0
	s_delay_alu instid0(VALU_DEP_2)
	v_lshlrev_b32_e32 v1, 2, v6
	s_and_saveexec_b32 s0, vcc_lo
	s_cbranch_execz .LBB225_23
; %bb.22:
	v_mov_b32_e32 v2, 0
	ds_store_b32 v1, v2
.LBB225_23:
	s_or_b32 exec_lo, exec_lo, s0
	v_mbcnt_lo_u32_b32 v8, -1, 0
	s_mov_b32 s2, exec_lo
	s_waitcnt lgkmcnt(0)
	s_barrier
	buffer_gl0_inv
	v_cmp_gt_u32_e64 s0, 16, v8
	s_delay_alu instid0(VALU_DEP_1) | instskip(SKIP_1) | instid1(VALU_DEP_2)
	v_cndmask_b32_e64 v2, 0, 1, s0
	v_cmp_gt_u32_e64 s0, 24, v8
	v_lshlrev_b32_e32 v2, 4, v2
	s_delay_alu instid0(VALU_DEP_2) | instskip(SKIP_1) | instid1(VALU_DEP_3)
	v_cndmask_b32_e64 v3, 0, 1, s0
	v_cmp_gt_u32_e64 s0, 28, v8
	v_add_lshl_u32 v2, v2, v8, 2
	s_delay_alu instid0(VALU_DEP_3)
	v_lshlrev_b32_e32 v3, 3, v3
	ds_bpermute_b32 v4, v2, v7
	v_add_lshl_u32 v3, v3, v8, 2
	s_waitcnt lgkmcnt(0)
	v_add_f32_e32 v5, v7, v4
	v_cndmask_b32_e64 v4, 0, 1, s0
	v_cmp_gt_u32_e64 s0, 30, v8
	ds_bpermute_b32 v7, v3, v5
	s_waitcnt lgkmcnt(0)
	v_dual_add_f32 v7, v5, v7 :: v_dual_lshlrev_b32 v4, 2, v4
	s_delay_alu instid0(VALU_DEP_1)
	v_add_lshl_u32 v4, v4, v8, 2
	v_cndmask_b32_e64 v5, 0, 1, s0
	v_cmp_ne_u32_e64 s0, 31, v8
	ds_bpermute_b32 v9, v4, v7
	v_lshlrev_b32_e32 v5, 1, v5
	v_add_co_ci_u32_e64 v10, s0, 0, v8, s0
	s_delay_alu instid0(VALU_DEP_2)
	v_add_lshl_u32 v5, v5, v8, 2
	s_waitcnt lgkmcnt(0)
	v_add_f32_e32 v7, v7, v9
	ds_bpermute_b32 v9, v5, v7
	s_waitcnt lgkmcnt(0)
	v_dual_add_f32 v8, v7, v9 :: v_dual_lshlrev_b32 v7, 2, v10
	ds_bpermute_b32 v9, v7, v8
	v_cmpx_eq_u32_e32 0, v6
	s_cbranch_execz .LBB225_25
; %bb.24:
	v_lshrrev_b32_e32 v6, 3, v0
	s_waitcnt lgkmcnt(0)
	v_add_f32_e32 v8, v8, v9
	s_delay_alu instid0(VALU_DEP_2)
	v_and_b32_e32 v6, 0x7c, v6
	ds_store_b32 v6, v8
.LBB225_25:
	s_or_b32 exec_lo, exec_lo, s2
	v_mov_b32_e32 v6, 0
	s_waitcnt lgkmcnt(0)
	s_barrier
	buffer_gl0_inv
	s_and_saveexec_b32 s0, vcc_lo
	s_cbranch_execz .LBB225_27
; %bb.26:
	ds_load_b32 v6, v1
.LBB225_27:
	s_or_b32 exec_lo, exec_lo, s0
	s_and_saveexec_b32 s0, vcc_lo
	s_cbranch_execz .LBB225_29
; %bb.28:
	s_waitcnt lgkmcnt(0)
	ds_bpermute_b32 v1, v2, v6
	s_waitcnt lgkmcnt(0)
	v_add_f32_e32 v1, v6, v1
	ds_bpermute_b32 v2, v3, v1
	s_waitcnt lgkmcnt(0)
	v_add_f32_e32 v1, v1, v2
	;; [unrolled: 3-line block ×5, first 2 shown]
.LBB225_29:
	s_or_b32 exec_lo, exec_lo, s0
	s_delay_alu instid0(SALU_CYCLE_1)
	s_mov_b32 s0, exec_lo
                                        ; implicit-def: $vgpr1
                                        ; implicit-def: $sgpr16_sgpr17
	v_cmpx_eq_u32_e32 0, v0
	s_cbranch_execz .LBB225_33
; %bb.30:
	s_mul_i32 s2, s14, s5
	v_cmp_eq_f32_e64 s5, s15, 0
	s_mul_hi_u32 s3, s14, s4
	s_waitcnt lgkmcnt(0)
	v_mul_f32_e32 v1, s18, v6
	s_add_i32 s2, s3, s2
	s_mul_i32 s1, s1, s4
	s_and_b32 vcc_lo, exec_lo, s5
	s_add_i32 s17, s2, s1
	s_mul_i32 s16, s14, s4
	s_cbranch_vccnz .LBB225_32
; %bb.31:
	s_lshl_b64 s[2:3], s[16:17], 2
	s_delay_alu instid0(SALU_CYCLE_1)
	s_add_u32 s2, s19, s2
	s_addc_u32 s3, s20, s3
	s_load_b32 s1, s[2:3], 0x0
	s_waitcnt lgkmcnt(0)
	v_fmac_f32_e64 v1, s1, s15
.LBB225_32:
	s_or_b32 s21, s21, exec_lo
.LBB225_33:
	s_or_b32 exec_lo, exec_lo, s0
.LBB225_34:
	s_and_saveexec_b32 s0, s21
	s_cbranch_execz .LBB225_36
; %bb.35:
	s_lshl_b64 s[0:1], s[16:17], 2
	v_mov_b32_e32 v0, 0
	s_add_u32 s0, s19, s0
	s_addc_u32 s1, s20, s1
	global_store_b32 v0, v1, s[0:1]
.LBB225_36:
	s_nop 0
	s_sendmsg sendmsg(MSG_DEALLOC_VGPRS)
	s_endpgm
	.section	.rodata,"a",@progbits
	.p2align	6, 0x0
	.amdhsa_kernel _ZL32rocblas_gemvt_warp_reduce_kernelILb0ELi1024ElPKffKPfEviiT3_lPKT2_lT1_lS7_lS8_lS4_lPT4_lS8_li
		.amdhsa_group_segment_fixed_size 128
		.amdhsa_private_segment_fixed_size 0
		.amdhsa_kernarg_size 140
		.amdhsa_user_sgpr_count 14
		.amdhsa_user_sgpr_dispatch_ptr 0
		.amdhsa_user_sgpr_queue_ptr 0
		.amdhsa_user_sgpr_kernarg_segment_ptr 1
		.amdhsa_user_sgpr_dispatch_id 0
		.amdhsa_user_sgpr_private_segment_size 0
		.amdhsa_wavefront_size32 1
		.amdhsa_uses_dynamic_stack 0
		.amdhsa_enable_private_segment 0
		.amdhsa_system_sgpr_workgroup_id_x 1
		.amdhsa_system_sgpr_workgroup_id_y 0
		.amdhsa_system_sgpr_workgroup_id_z 1
		.amdhsa_system_sgpr_workgroup_info 0
		.amdhsa_system_vgpr_workitem_id 0
		.amdhsa_next_free_vgpr 11
		.amdhsa_next_free_sgpr 26
		.amdhsa_reserve_vcc 1
		.amdhsa_float_round_mode_32 0
		.amdhsa_float_round_mode_16_64 0
		.amdhsa_float_denorm_mode_32 3
		.amdhsa_float_denorm_mode_16_64 3
		.amdhsa_dx10_clamp 1
		.amdhsa_ieee_mode 1
		.amdhsa_fp16_overflow 0
		.amdhsa_workgroup_processor_mode 1
		.amdhsa_memory_ordered 1
		.amdhsa_forward_progress 0
		.amdhsa_shared_vgpr_count 0
		.amdhsa_exception_fp_ieee_invalid_op 0
		.amdhsa_exception_fp_denorm_src 0
		.amdhsa_exception_fp_ieee_div_zero 0
		.amdhsa_exception_fp_ieee_overflow 0
		.amdhsa_exception_fp_ieee_underflow 0
		.amdhsa_exception_fp_ieee_inexact 0
		.amdhsa_exception_int_div_zero 0
	.end_amdhsa_kernel
	.section	.text._ZL32rocblas_gemvt_warp_reduce_kernelILb0ELi1024ElPKffKPfEviiT3_lPKT2_lT1_lS7_lS8_lS4_lPT4_lS8_li,"axG",@progbits,_ZL32rocblas_gemvt_warp_reduce_kernelILb0ELi1024ElPKffKPfEviiT3_lPKT2_lT1_lS7_lS8_lS4_lPT4_lS8_li,comdat
.Lfunc_end225:
	.size	_ZL32rocblas_gemvt_warp_reduce_kernelILb0ELi1024ElPKffKPfEviiT3_lPKT2_lT1_lS7_lS8_lS4_lPT4_lS8_li, .Lfunc_end225-_ZL32rocblas_gemvt_warp_reduce_kernelILb0ELi1024ElPKffKPfEviiT3_lPKT2_lT1_lS7_lS8_lS4_lPT4_lS8_li
                                        ; -- End function
	.section	.AMDGPU.csdata,"",@progbits
; Kernel info:
; codeLenInByte = 1548
; NumSgprs: 28
; NumVgprs: 11
; ScratchSize: 0
; MemoryBound: 0
; FloatMode: 240
; IeeeMode: 1
; LDSByteSize: 128 bytes/workgroup (compile time only)
; SGPRBlocks: 3
; VGPRBlocks: 1
; NumSGPRsForWavesPerEU: 28
; NumVGPRsForWavesPerEU: 11
; Occupancy: 16
; WaveLimiterHint : 1
; COMPUTE_PGM_RSRC2:SCRATCH_EN: 0
; COMPUTE_PGM_RSRC2:USER_SGPR: 14
; COMPUTE_PGM_RSRC2:TRAP_HANDLER: 0
; COMPUTE_PGM_RSRC2:TGID_X_EN: 1
; COMPUTE_PGM_RSRC2:TGID_Y_EN: 0
; COMPUTE_PGM_RSRC2:TGID_Z_EN: 1
; COMPUTE_PGM_RSRC2:TIDIG_COMP_CNT: 0
	.section	.text._ZL22rocblas_gemvtsm_kernelILb1ELi256EPKfS1_KPfEviiT2_lPKT1_lilS7_lilS4_lPT3_lil,"axG",@progbits,_ZL22rocblas_gemvtsm_kernelILb1ELi256EPKfS1_KPfEviiT2_lPKT1_lilS7_lilS4_lPT3_lil,comdat
	.globl	_ZL22rocblas_gemvtsm_kernelILb1ELi256EPKfS1_KPfEviiT2_lPKT1_lilS7_lilS4_lPT3_lil ; -- Begin function _ZL22rocblas_gemvtsm_kernelILb1ELi256EPKfS1_KPfEviiT2_lPKT1_lilS7_lilS4_lPT3_lil
	.p2align	8
	.type	_ZL22rocblas_gemvtsm_kernelILb1ELi256EPKfS1_KPfEviiT2_lPKT1_lilS7_lilS4_lPT3_lil,@function
_ZL22rocblas_gemvtsm_kernelILb1ELi256EPKfS1_KPfEviiT2_lPKT1_lilS7_lilS4_lPT3_lil: ; @_ZL22rocblas_gemvtsm_kernelILb1ELi256EPKfS1_KPfEviiT2_lPKT1_lilS7_lilS4_lPT3_lil
; %bb.0:
	s_mov_b32 s2, s15
	s_clause 0x1
	s_load_b256 s[12:19], s[0:1], 0x8
	s_load_b256 s[4:11], s[0:1], 0x58
	s_waitcnt lgkmcnt(0)
	s_mul_i32 s3, s2, s15
	s_mul_hi_u32 s15, s2, s14
	s_mul_i32 s14, s2, s14
	s_add_i32 s15, s15, s3
	s_mul_i32 s3, s2, s7
	s_lshl_b64 s[14:15], s[14:15], 2
	s_mul_hi_u32 s7, s2, s6
	s_add_u32 s12, s12, s14
	s_addc_u32 s13, s13, s15
	s_add_i32 s7, s7, s3
	s_mul_i32 s6, s2, s6
	s_delay_alu instid0(SALU_CYCLE_1) | instskip(NEXT) | instid1(SALU_CYCLE_1)
	s_lshl_b64 s[6:7], s[6:7], 2
	s_add_u32 s4, s4, s6
	s_addc_u32 s5, s5, s7
	s_load_b32 s21, s[12:13], 0x0
	s_load_b32 s20, s[4:5], 0x0
	s_waitcnt lgkmcnt(0)
	v_cmp_eq_f32_e64 s7, s21, 0
	v_cmp_eq_f32_e64 s3, s20, 1.0
	s_delay_alu instid0(VALU_DEP_1) | instskip(NEXT) | instid1(SALU_CYCLE_1)
	s_and_b32 s3, s7, s3
	s_and_b32 vcc_lo, exec_lo, s3
	s_mov_b32 s3, 0
	s_cbranch_vccnz .LBB226_38
; %bb.1:
	v_cmp_neq_f32_e64 s4, s21, 0
	s_mov_b64 s[14:15], 0
	s_and_b32 vcc_lo, exec_lo, s7
	s_mov_b64 s[12:13], 0
	s_cbranch_vccnz .LBB226_3
; %bb.2:
	s_lshl_b64 s[12:13], s[2:3], 3
	s_delay_alu instid0(SALU_CYCLE_1)
	s_add_u32 s12, s16, s12
	s_addc_u32 s13, s17, s13
	s_lshl_b64 s[16:17], s[18:19], 2
	s_load_b64 s[12:13], s[12:13], 0x0
	s_waitcnt lgkmcnt(0)
	s_add_u32 s12, s12, s16
	s_addc_u32 s13, s13, s17
.LBB226_3:
	s_and_not1_b32 vcc_lo, exec_lo, s4
	s_cbranch_vccnz .LBB226_5
; %bb.4:
	s_load_b128 s[16:19], s[0:1], 0x38
	s_lshl_b64 s[4:5], s[2:3], 3
	s_waitcnt lgkmcnt(0)
	s_add_u32 s4, s16, s4
	s_addc_u32 s5, s17, s5
	s_lshl_b64 s[14:15], s[18:19], 2
	s_load_b64 s[4:5], s[4:5], 0x0
	s_waitcnt lgkmcnt(0)
	s_add_u32 s14, s4, s14
	s_addc_u32 s15, s5, s15
.LBB226_5:
	s_lshl_b64 s[2:3], s[2:3], 3
	s_delay_alu instid0(SALU_CYCLE_1)
	s_add_u32 s2, s8, s2
	s_addc_u32 s3, s9, s3
	s_clause 0x1
	s_load_b64 s[4:5], s[0:1], 0x0
	s_load_b32 s6, s[0:1], 0x78
	s_load_b64 s[8:9], s[2:3], 0x0
	s_and_not1_b32 vcc_lo, exec_lo, s7
	s_mov_b32 s2, -1
	s_cbranch_vccnz .LBB226_20
; %bb.6:
	s_waitcnt lgkmcnt(0)
	s_cmp_gt_i32 s5, 0
	v_cmp_neq_f32_e64 s2, s20, 0
	s_cselect_b32 s16, -1, 0
	s_delay_alu instid0(SALU_CYCLE_1) | instskip(NEXT) | instid1(VALU_DEP_2)
	v_cndmask_b32_e64 v1, 0, 1, s16
	s_and_b32 vcc_lo, exec_lo, s2
	s_delay_alu instid0(VALU_DEP_1)
	v_cmp_ne_u32_e64 s2, 1, v1
	s_cbranch_vccnz .LBB226_13
; %bb.7:
	s_delay_alu instid0(VALU_DEP_1)
	s_and_b32 vcc_lo, exec_lo, s2
	s_cbranch_vccnz .LBB226_12
; %bb.8:
	v_mad_i64_i32 v[1:2], null, s6, v0, 0
	s_lshl_b64 s[2:3], s[10:11], 2
	s_ashr_i32 s7, s6, 31
	s_add_u32 s2, s8, s2
	s_addc_u32 s3, s9, s3
	v_mov_b32_e32 v3, 0
	s_delay_alu instid0(VALU_DEP_2) | instskip(NEXT) | instid1(VALU_DEP_1)
	v_lshlrev_b64 v[1:2], 2, v[1:2]
	v_add_co_u32 v1, vcc_lo, s2, v1
	s_delay_alu instid0(VALU_DEP_2)
	v_add_co_ci_u32_e32 v2, vcc_lo, s3, v2, vcc_lo
	s_lshl_b64 s[2:3], s[6:7], 10
	s_mov_b32 s7, 0
	s_branch .LBB226_10
.LBB226_9:                              ;   in Loop: Header=BB226_10 Depth=1
	s_or_b32 exec_lo, exec_lo, s17
	v_add_co_u32 v1, vcc_lo, v1, s2
	v_add_co_ci_u32_e32 v2, vcc_lo, s3, v2, vcc_lo
	s_addk_i32 s7, 0x100
	s_delay_alu instid0(SALU_CYCLE_1)
	s_cmp_ge_i32 s7, s5
	s_cbranch_scc1 .LBB226_12
.LBB226_10:                             ; =>This Inner Loop Header: Depth=1
	v_add_nc_u32_e32 v4, s7, v0
	s_mov_b32 s17, exec_lo
	s_delay_alu instid0(VALU_DEP_1)
	v_cmpx_gt_i32_e64 s5, v4
	s_cbranch_execz .LBB226_9
; %bb.11:                               ;   in Loop: Header=BB226_10 Depth=1
	global_store_b32 v[1:2], v3, off
	s_branch .LBB226_9
.LBB226_12:
	s_cbranch_execz .LBB226_14
	s_branch .LBB226_19
.LBB226_13:
.LBB226_14:
	s_and_not1_b32 vcc_lo, exec_lo, s16
	s_cbranch_vccnz .LBB226_19
; %bb.15:
	v_mad_i64_i32 v[1:2], null, s6, v0, 0
	s_lshl_b64 s[2:3], s[10:11], 2
	s_ashr_i32 s7, s6, 31
	s_add_u32 s2, s8, s2
	s_addc_u32 s3, s9, s3
	s_delay_alu instid0(VALU_DEP_1) | instskip(NEXT) | instid1(VALU_DEP_1)
	v_lshlrev_b64 v[1:2], 2, v[1:2]
	v_add_co_u32 v1, vcc_lo, s2, v1
	s_delay_alu instid0(VALU_DEP_2)
	v_add_co_ci_u32_e32 v2, vcc_lo, s3, v2, vcc_lo
	s_lshl_b64 s[2:3], s[6:7], 10
	s_mov_b32 s7, 0
	s_branch .LBB226_17
	.p2align	6
.LBB226_16:                             ;   in Loop: Header=BB226_17 Depth=1
	s_or_b32 exec_lo, exec_lo, s16
	v_add_co_u32 v1, vcc_lo, v1, s2
	v_add_co_ci_u32_e32 v2, vcc_lo, s3, v2, vcc_lo
	s_addk_i32 s7, 0x100
	s_delay_alu instid0(SALU_CYCLE_1)
	s_cmp_ge_i32 s7, s5
	s_cbranch_scc1 .LBB226_19
.LBB226_17:                             ; =>This Inner Loop Header: Depth=1
	v_add_nc_u32_e32 v3, s7, v0
	s_mov_b32 s16, exec_lo
	s_delay_alu instid0(VALU_DEP_1)
	v_cmpx_gt_i32_e64 s5, v3
	s_cbranch_execz .LBB226_16
; %bb.18:                               ;   in Loop: Header=BB226_17 Depth=1
	global_load_b32 v3, v[1:2], off
	s_waitcnt vmcnt(0)
	v_mul_f32_e32 v3, s20, v3
	global_store_b32 v[1:2], v3, off
	s_branch .LBB226_16
.LBB226_19:
	s_mov_b32 s2, 0
.LBB226_20:
	s_delay_alu instid0(SALU_CYCLE_1)
	s_and_not1_b32 vcc_lo, exec_lo, s2
	s_cbranch_vccnz .LBB226_38
; %bb.21:
	s_mov_b32 s2, exec_lo
	s_waitcnt lgkmcnt(0)
	v_cmpx_gt_i32_e64 s4, v0
	s_cbranch_execz .LBB226_23
; %bb.22:
	s_load_b32 s3, s[0:1], 0x48
	s_waitcnt lgkmcnt(0)
	v_mad_i64_i32 v[1:2], null, s3, v0, 0
	s_delay_alu instid0(VALU_DEP_1) | instskip(NEXT) | instid1(VALU_DEP_1)
	v_lshlrev_b64 v[1:2], 2, v[1:2]
	v_add_co_u32 v1, vcc_lo, s14, v1
	s_delay_alu instid0(VALU_DEP_2)
	v_add_co_ci_u32_e32 v2, vcc_lo, s15, v2, vcc_lo
	flat_load_b32 v1, v[1:2]
	s_waitcnt vmcnt(0) lgkmcnt(0)
	v_dual_mul_f32 v1, s21, v1 :: v_dual_lshlrev_b32 v2, 2, v0
	ds_store_b32 v2, v1
.LBB226_23:
	s_or_b32 exec_lo, exec_lo, s2
	s_cmp_lt_i32 s5, 1
	s_waitcnt lgkmcnt(0)
	s_waitcnt_vscnt null, 0x0
	s_barrier
	buffer_gl0_inv
	s_cbranch_scc1 .LBB226_38
; %bb.24:
	s_load_b32 s2, s[0:1], 0x28
	s_lshl_b64 s[0:1], s[10:11], 2
	v_cmp_neq_f32_e64 s10, s20, 0
	s_add_u32 s7, s8, s0
	s_addc_u32 s8, s9, s1
	s_ashr_i32 s9, s6, 31
	s_mov_b32 s1, 0
	s_waitcnt lgkmcnt(0)
	v_mad_i64_i32 v[1:2], null, s2, v0, 0
	s_ashr_i32 s3, s2, 31
	s_cmp_gt_i32 s4, 0
	s_cselect_b32 s11, -1, 0
	s_and_b32 s14, s4, 7
	s_cmp_gt_u32 s4, 7
	s_delay_alu instid0(VALU_DEP_1) | instskip(SKIP_3) | instid1(VALU_DEP_1)
	v_lshlrev_b64 v[1:2], 2, v[1:2]
	s_cselect_b32 s15, -1, 0
	s_and_b32 s4, s4, 0x7ffffff8
	s_cmp_lg_u32 s14, 0
	v_add_co_u32 v1, vcc_lo, s12, v1
	s_delay_alu instid0(VALU_DEP_2)
	v_add_co_ci_u32_e32 v2, vcc_lo, s13, v2, vcc_lo
	s_cselect_b32 s12, -1, 0
	s_lshl_b64 s[2:3], s[2:3], 10
	s_mov_b32 s13, 0
	s_branch .LBB226_27
.LBB226_25:                             ;   in Loop: Header=BB226_27 Depth=1
	s_delay_alu instid0(VALU_DEP_2)
	v_add_co_u32 v3, vcc_lo, s7, v3
	v_add_co_ci_u32_e32 v4, vcc_lo, s8, v4, vcc_lo
	global_store_b32 v[3:4], v7, off
.LBB226_26:                             ;   in Loop: Header=BB226_27 Depth=1
	s_or_b32 exec_lo, exec_lo, s16
	v_add_co_u32 v1, vcc_lo, v1, s2
	v_add_co_ci_u32_e32 v2, vcc_lo, s3, v2, vcc_lo
	s_addk_i32 s13, 0x100
	s_delay_alu instid0(SALU_CYCLE_1)
	s_cmp_ge_i32 s13, s5
	s_cbranch_scc1 .LBB226_38
.LBB226_27:                             ; =>This Loop Header: Depth=1
                                        ;     Child Loop BB226_33 Depth 2
                                        ;     Child Loop BB226_37 Depth 2
	v_add_nc_u32_e32 v3, s13, v0
	s_mov_b32 s16, exec_lo
	s_delay_alu instid0(VALU_DEP_1)
	v_cmpx_gt_i32_e64 s5, v3
	s_cbranch_execz .LBB226_26
; %bb.28:                               ;   in Loop: Header=BB226_27 Depth=1
	v_mad_u64_u32 v[4:5], null, v3, s6, 0
	s_and_not1_b32 vcc_lo, exec_lo, s10
	s_delay_alu instid0(VALU_DEP_1) | instskip(NEXT) | instid1(VALU_DEP_1)
	v_mad_u64_u32 v[6:7], null, v3, s9, v[5:6]
	v_mov_b32_e32 v5, v6
	s_delay_alu instid0(VALU_DEP_1)
	v_lshlrev_b64 v[3:4], 2, v[4:5]
	s_cbranch_vccnz .LBB226_30
; %bb.29:                               ;   in Loop: Header=BB226_27 Depth=1
	s_delay_alu instid0(VALU_DEP_1) | instskip(NEXT) | instid1(VALU_DEP_2)
	v_add_co_u32 v5, vcc_lo, s7, v3
	v_add_co_ci_u32_e32 v6, vcc_lo, s8, v4, vcc_lo
	global_load_b32 v5, v[5:6], off
	s_waitcnt vmcnt(0)
	v_mul_f32_e32 v7, s20, v5
	s_and_not1_b32 vcc_lo, exec_lo, s11
	s_cbranch_vccz .LBB226_31
	s_branch .LBB226_25
.LBB226_30:                             ;   in Loop: Header=BB226_27 Depth=1
	v_mov_b32_e32 v7, 0
	s_and_not1_b32 vcc_lo, exec_lo, s11
	s_cbranch_vccnz .LBB226_25
.LBB226_31:                             ;   in Loop: Header=BB226_27 Depth=1
	s_and_not1_b32 vcc_lo, exec_lo, s15
	s_cbranch_vccnz .LBB226_35
; %bb.32:                               ;   in Loop: Header=BB226_27 Depth=1
	v_dual_mov_b32 v6, v2 :: v_dual_mov_b32 v5, v1
	s_mov_b32 s0, 0
	s_mov_b32 s17, 0
	.p2align	6
.LBB226_33:                             ;   Parent Loop BB226_27 Depth=1
                                        ; =>  This Inner Loop Header: Depth=2
	s_clause 0x1
	flat_load_b128 v[8:11], v[5:6]
	flat_load_b128 v[12:15], v[5:6] offset:16
	v_mov_b32_e32 v20, s0
	v_add_co_u32 v5, vcc_lo, v5, 32
	v_add_co_ci_u32_e32 v6, vcc_lo, 0, v6, vcc_lo
	ds_load_b128 v[16:19], v20
	ds_load_b128 v[20:23], v20 offset:16
	s_add_i32 s17, s17, 8
	s_add_i32 s0, s0, 32
	s_cmp_eq_u32 s4, s17
	s_waitcnt vmcnt(1) lgkmcnt(1)
	v_fmac_f32_e32 v7, v16, v8
	s_delay_alu instid0(VALU_DEP_1) | instskip(NEXT) | instid1(VALU_DEP_1)
	v_fmac_f32_e32 v7, v17, v9
	v_fmac_f32_e32 v7, v18, v10
	s_delay_alu instid0(VALU_DEP_1) | instskip(SKIP_1) | instid1(VALU_DEP_1)
	v_fmac_f32_e32 v7, v19, v11
	s_waitcnt vmcnt(0) lgkmcnt(0)
	v_fmac_f32_e32 v7, v20, v12
	s_delay_alu instid0(VALU_DEP_1) | instskip(NEXT) | instid1(VALU_DEP_1)
	v_fmac_f32_e32 v7, v21, v13
	v_fmac_f32_e32 v7, v22, v14
	s_delay_alu instid0(VALU_DEP_1)
	v_fmac_f32_e32 v7, v23, v15
	s_cbranch_scc0 .LBB226_33
; %bb.34:                               ;   in Loop: Header=BB226_27 Depth=1
	s_mov_b32 s0, s4
	s_and_not1_b32 vcc_lo, exec_lo, s12
	s_cbranch_vccz .LBB226_36
	s_branch .LBB226_25
.LBB226_35:                             ;   in Loop: Header=BB226_27 Depth=1
	s_mov_b32 s0, 0
	s_and_not1_b32 vcc_lo, exec_lo, s12
	s_cbranch_vccnz .LBB226_25
.LBB226_36:                             ;   in Loop: Header=BB226_27 Depth=1
	s_lshl_b64 s[18:19], s[0:1], 2
	s_lshl_b32 s0, s0, 2
	v_add_co_u32 v5, vcc_lo, v1, s18
	v_add_co_ci_u32_e32 v6, vcc_lo, s19, v2, vcc_lo
	s_mov_b32 s17, s14
.LBB226_37:                             ;   Parent Loop BB226_27 Depth=1
                                        ; =>  This Inner Loop Header: Depth=2
	flat_load_b32 v8, v[5:6]
	v_mov_b32_e32 v9, s0
	v_add_co_u32 v5, vcc_lo, v5, 4
	v_add_co_ci_u32_e32 v6, vcc_lo, 0, v6, vcc_lo
	ds_load_b32 v9, v9
	s_add_i32 s17, s17, -1
	s_add_i32 s0, s0, 4
	s_cmp_lg_u32 s17, 0
	s_waitcnt vmcnt(0) lgkmcnt(0)
	v_fmac_f32_e32 v7, v9, v8
	s_cbranch_scc1 .LBB226_37
	s_branch .LBB226_25
.LBB226_38:
	s_nop 0
	s_sendmsg sendmsg(MSG_DEALLOC_VGPRS)
	s_endpgm
	.section	.rodata,"a",@progbits
	.p2align	6, 0x0
	.amdhsa_kernel _ZL22rocblas_gemvtsm_kernelILb1ELi256EPKfS1_KPfEviiT2_lPKT1_lilS7_lilS4_lPT3_lil
		.amdhsa_group_segment_fixed_size 256
		.amdhsa_private_segment_fixed_size 0
		.amdhsa_kernarg_size 136
		.amdhsa_user_sgpr_count 15
		.amdhsa_user_sgpr_dispatch_ptr 0
		.amdhsa_user_sgpr_queue_ptr 0
		.amdhsa_user_sgpr_kernarg_segment_ptr 1
		.amdhsa_user_sgpr_dispatch_id 0
		.amdhsa_user_sgpr_private_segment_size 0
		.amdhsa_wavefront_size32 1
		.amdhsa_uses_dynamic_stack 0
		.amdhsa_enable_private_segment 0
		.amdhsa_system_sgpr_workgroup_id_x 1
		.amdhsa_system_sgpr_workgroup_id_y 0
		.amdhsa_system_sgpr_workgroup_id_z 0
		.amdhsa_system_sgpr_workgroup_info 0
		.amdhsa_system_vgpr_workitem_id 0
		.amdhsa_next_free_vgpr 24
		.amdhsa_next_free_sgpr 22
		.amdhsa_reserve_vcc 1
		.amdhsa_float_round_mode_32 0
		.amdhsa_float_round_mode_16_64 0
		.amdhsa_float_denorm_mode_32 3
		.amdhsa_float_denorm_mode_16_64 3
		.amdhsa_dx10_clamp 1
		.amdhsa_ieee_mode 1
		.amdhsa_fp16_overflow 0
		.amdhsa_workgroup_processor_mode 1
		.amdhsa_memory_ordered 1
		.amdhsa_forward_progress 0
		.amdhsa_shared_vgpr_count 0
		.amdhsa_exception_fp_ieee_invalid_op 0
		.amdhsa_exception_fp_denorm_src 0
		.amdhsa_exception_fp_ieee_div_zero 0
		.amdhsa_exception_fp_ieee_overflow 0
		.amdhsa_exception_fp_ieee_underflow 0
		.amdhsa_exception_fp_ieee_inexact 0
		.amdhsa_exception_int_div_zero 0
	.end_amdhsa_kernel
	.section	.text._ZL22rocblas_gemvtsm_kernelILb1ELi256EPKfS1_KPfEviiT2_lPKT1_lilS7_lilS4_lPT3_lil,"axG",@progbits,_ZL22rocblas_gemvtsm_kernelILb1ELi256EPKfS1_KPfEviiT2_lPKT1_lilS7_lilS4_lPT3_lil,comdat
.Lfunc_end226:
	.size	_ZL22rocblas_gemvtsm_kernelILb1ELi256EPKfS1_KPfEviiT2_lPKT1_lilS7_lilS4_lPT3_lil, .Lfunc_end226-_ZL22rocblas_gemvtsm_kernelILb1ELi256EPKfS1_KPfEviiT2_lPKT1_lilS7_lilS4_lPT3_lil
                                        ; -- End function
	.section	.AMDGPU.csdata,"",@progbits
; Kernel info:
; codeLenInByte = 1408
; NumSgprs: 24
; NumVgprs: 24
; ScratchSize: 0
; MemoryBound: 0
; FloatMode: 240
; IeeeMode: 1
; LDSByteSize: 256 bytes/workgroup (compile time only)
; SGPRBlocks: 2
; VGPRBlocks: 2
; NumSGPRsForWavesPerEU: 24
; NumVGPRsForWavesPerEU: 24
; Occupancy: 16
; WaveLimiterHint : 1
; COMPUTE_PGM_RSRC2:SCRATCH_EN: 0
; COMPUTE_PGM_RSRC2:USER_SGPR: 15
; COMPUTE_PGM_RSRC2:TRAP_HANDLER: 0
; COMPUTE_PGM_RSRC2:TGID_X_EN: 1
; COMPUTE_PGM_RSRC2:TGID_Y_EN: 0
; COMPUTE_PGM_RSRC2:TGID_Z_EN: 0
; COMPUTE_PGM_RSRC2:TIDIG_COMP_CNT: 0
	.section	.text._ZL22rocblas_gemvtsm_kernelILb1ELi256EPKffKPfEviiT2_lPKT1_lilS7_lilS4_lPT3_lil,"axG",@progbits,_ZL22rocblas_gemvtsm_kernelILb1ELi256EPKffKPfEviiT2_lPKT1_lilS7_lilS4_lPT3_lil,comdat
	.globl	_ZL22rocblas_gemvtsm_kernelILb1ELi256EPKffKPfEviiT2_lPKT1_lilS7_lilS4_lPT3_lil ; -- Begin function _ZL22rocblas_gemvtsm_kernelILb1ELi256EPKffKPfEviiT2_lPKT1_lilS7_lilS4_lPT3_lil
	.p2align	8
	.type	_ZL22rocblas_gemvtsm_kernelILb1ELi256EPKffKPfEviiT2_lPKT1_lilS7_lilS4_lPT3_lil,@function
_ZL22rocblas_gemvtsm_kernelILb1ELi256EPKffKPfEviiT2_lPKT1_lilS7_lilS4_lPT3_lil: ; @_ZL22rocblas_gemvtsm_kernelILb1ELi256EPKffKPfEviiT2_lPKT1_lilS7_lilS4_lPT3_lil
; %bb.0:
	s_load_b128 s[4:7], s[0:1], 0x0
	s_waitcnt lgkmcnt(0)
	s_load_b32 s7, s[0:1], 0x58
	v_cmp_eq_f32_e64 s13, s6, 0
	s_waitcnt lgkmcnt(0)
	v_cmp_eq_f32_e64 s3, s7, 1.0
	s_delay_alu instid0(VALU_DEP_1) | instskip(NEXT) | instid1(SALU_CYCLE_1)
	s_and_b32 s3, s13, s3
	s_and_b32 vcc_lo, exec_lo, s3
	s_cbranch_vccnz .LBB227_41
; %bb.1:
	v_cmp_neq_f32_e64 s8, s6, 0
	s_mov_b32 s2, s15
	s_delay_alu instid0(VALU_DEP_1)
	s_and_b32 vcc_lo, exec_lo, s8
	s_cbranch_vccnz .LBB227_3
; %bb.2:
	s_mov_b32 s3, 0
	s_mov_b64 s[14:15], 0
	s_cbranch_execz .LBB227_4
	s_branch .LBB227_5
.LBB227_3:
	s_mov_b32 s3, -1
                                        ; implicit-def: $sgpr14_sgpr15
.LBB227_4:
	s_load_b128 s[16:19], s[0:1], 0x18
	s_mov_b32 s3, 0
	s_delay_alu instid0(SALU_CYCLE_1)
	s_lshl_b64 s[10:11], s[2:3], 3
	s_waitcnt lgkmcnt(0)
	s_add_u32 s10, s16, s10
	s_addc_u32 s11, s17, s11
	s_lshl_b64 s[14:15], s[18:19], 2
	s_load_b64 s[10:11], s[10:11], 0x0
	s_waitcnt lgkmcnt(0)
	s_add_u32 s14, s10, s14
	s_addc_u32 s15, s11, s15
.LBB227_5:
	s_and_not1_b32 vcc_lo, exec_lo, s8
	s_cbranch_vccnz .LBB227_7
; %bb.6:
	s_load_b128 s[8:11], s[0:1], 0x38
	s_lshl_b64 s[16:17], s[2:3], 3
	s_waitcnt lgkmcnt(0)
	s_add_u32 s8, s8, s16
	s_addc_u32 s9, s9, s17
	s_lshl_b64 s[10:11], s[10:11], 2
	s_load_b64 s[8:9], s[8:9], 0x0
	s_waitcnt lgkmcnt(0)
	s_add_u32 s16, s8, s10
	s_addc_u32 s17, s9, s11
	s_branch .LBB227_8
.LBB227_7:
	s_mov_b64 s[16:17], 0
.LBB227_8:
	s_clause 0x1
	s_load_b128 s[8:11], s[0:1], 0x68
	s_load_b32 s12, s[0:1], 0x78
	s_lshl_b64 s[2:3], s[2:3], 3
	s_waitcnt lgkmcnt(0)
	s_add_u32 s2, s8, s2
	s_addc_u32 s3, s9, s3
	s_and_not1_b32 vcc_lo, exec_lo, s13
	s_load_b64 s[8:9], s[2:3], 0x0
	s_mov_b32 s2, -1
	s_cbranch_vccnz .LBB227_23
; %bb.9:
	s_cmp_gt_i32 s5, 0
	v_cmp_neq_f32_e64 s2, s7, 0
	s_cselect_b32 s18, -1, 0
	s_delay_alu instid0(SALU_CYCLE_1) | instskip(NEXT) | instid1(VALU_DEP_2)
	v_cndmask_b32_e64 v1, 0, 1, s18
	s_and_b32 vcc_lo, exec_lo, s2
	s_delay_alu instid0(VALU_DEP_1)
	v_cmp_ne_u32_e64 s2, 1, v1
	s_cbranch_vccnz .LBB227_16
; %bb.10:
	s_delay_alu instid0(VALU_DEP_1)
	s_and_b32 vcc_lo, exec_lo, s2
	s_cbranch_vccnz .LBB227_15
; %bb.11:
	v_mad_i64_i32 v[1:2], null, s12, v0, 0
	s_lshl_b64 s[2:3], s[10:11], 2
	s_ashr_i32 s13, s12, 31
	s_waitcnt lgkmcnt(0)
	s_add_u32 s2, s8, s2
	s_addc_u32 s3, s9, s3
	v_mov_b32_e32 v3, 0
	s_delay_alu instid0(VALU_DEP_2) | instskip(NEXT) | instid1(VALU_DEP_1)
	v_lshlrev_b64 v[1:2], 2, v[1:2]
	v_add_co_u32 v1, vcc_lo, s2, v1
	s_delay_alu instid0(VALU_DEP_2)
	v_add_co_ci_u32_e32 v2, vcc_lo, s3, v2, vcc_lo
	s_lshl_b64 s[2:3], s[12:13], 10
	s_mov_b32 s13, 0
	s_branch .LBB227_13
.LBB227_12:                             ;   in Loop: Header=BB227_13 Depth=1
	s_or_b32 exec_lo, exec_lo, s19
	v_add_co_u32 v1, vcc_lo, v1, s2
	v_add_co_ci_u32_e32 v2, vcc_lo, s3, v2, vcc_lo
	s_addk_i32 s13, 0x100
	s_delay_alu instid0(SALU_CYCLE_1)
	s_cmp_ge_i32 s13, s5
	s_cbranch_scc1 .LBB227_15
.LBB227_13:                             ; =>This Inner Loop Header: Depth=1
	v_add_nc_u32_e32 v4, s13, v0
	s_mov_b32 s19, exec_lo
	s_delay_alu instid0(VALU_DEP_1)
	v_cmpx_gt_i32_e64 s5, v4
	s_cbranch_execz .LBB227_12
; %bb.14:                               ;   in Loop: Header=BB227_13 Depth=1
	global_store_b32 v[1:2], v3, off
	s_branch .LBB227_12
.LBB227_15:
	s_cbranch_execz .LBB227_17
	s_branch .LBB227_22
.LBB227_16:
.LBB227_17:
	s_and_not1_b32 vcc_lo, exec_lo, s18
	s_cbranch_vccnz .LBB227_22
; %bb.18:
	v_mad_i64_i32 v[1:2], null, s12, v0, 0
	s_lshl_b64 s[2:3], s[10:11], 2
	s_ashr_i32 s13, s12, 31
	s_waitcnt lgkmcnt(0)
	s_add_u32 s2, s8, s2
	s_addc_u32 s3, s9, s3
	s_delay_alu instid0(VALU_DEP_1) | instskip(NEXT) | instid1(VALU_DEP_1)
	v_lshlrev_b64 v[1:2], 2, v[1:2]
	v_add_co_u32 v1, vcc_lo, s2, v1
	s_delay_alu instid0(VALU_DEP_2)
	v_add_co_ci_u32_e32 v2, vcc_lo, s3, v2, vcc_lo
	s_lshl_b64 s[2:3], s[12:13], 10
	s_mov_b32 s13, 0
	s_branch .LBB227_20
	.p2align	6
.LBB227_19:                             ;   in Loop: Header=BB227_20 Depth=1
	s_or_b32 exec_lo, exec_lo, s18
	v_add_co_u32 v1, vcc_lo, v1, s2
	v_add_co_ci_u32_e32 v2, vcc_lo, s3, v2, vcc_lo
	s_addk_i32 s13, 0x100
	s_delay_alu instid0(SALU_CYCLE_1)
	s_cmp_ge_i32 s13, s5
	s_cbranch_scc1 .LBB227_22
.LBB227_20:                             ; =>This Inner Loop Header: Depth=1
	v_add_nc_u32_e32 v3, s13, v0
	s_mov_b32 s18, exec_lo
	s_delay_alu instid0(VALU_DEP_1)
	v_cmpx_gt_i32_e64 s5, v3
	s_cbranch_execz .LBB227_19
; %bb.21:                               ;   in Loop: Header=BB227_20 Depth=1
	global_load_b32 v3, v[1:2], off
	s_waitcnt vmcnt(0)
	v_mul_f32_e32 v3, s7, v3
	global_store_b32 v[1:2], v3, off
	s_branch .LBB227_19
.LBB227_22:
	s_mov_b32 s2, 0
.LBB227_23:
	s_delay_alu instid0(SALU_CYCLE_1)
	s_and_not1_b32 vcc_lo, exec_lo, s2
	s_cbranch_vccnz .LBB227_41
; %bb.24:
	s_mov_b32 s2, exec_lo
	v_cmpx_gt_i32_e64 s4, v0
	s_cbranch_execz .LBB227_26
; %bb.25:
	s_load_b32 s3, s[0:1], 0x48
	s_waitcnt lgkmcnt(0)
	v_mad_i64_i32 v[1:2], null, s3, v0, 0
	s_delay_alu instid0(VALU_DEP_1) | instskip(NEXT) | instid1(VALU_DEP_1)
	v_lshlrev_b64 v[1:2], 2, v[1:2]
	v_add_co_u32 v1, vcc_lo, s16, v1
	s_delay_alu instid0(VALU_DEP_2)
	v_add_co_ci_u32_e32 v2, vcc_lo, s17, v2, vcc_lo
	flat_load_b32 v1, v[1:2]
	s_waitcnt vmcnt(0) lgkmcnt(0)
	v_dual_mul_f32 v1, s6, v1 :: v_dual_lshlrev_b32 v2, 2, v0
	ds_store_b32 v2, v1
.LBB227_26:
	s_or_b32 exec_lo, exec_lo, s2
	s_cmp_lt_i32 s5, 1
	s_waitcnt lgkmcnt(0)
	s_waitcnt_vscnt null, 0x0
	s_barrier
	buffer_gl0_inv
	s_cbranch_scc1 .LBB227_41
; %bb.27:
	s_load_b32 s2, s[0:1], 0x28
	s_lshl_b64 s[0:1], s[10:11], 2
	v_cmp_neq_f32_e64 s10, s7, 0
	s_add_u32 s6, s8, s0
	s_addc_u32 s8, s9, s1
	s_ashr_i32 s9, s12, 31
	s_mov_b32 s1, 0
	s_waitcnt lgkmcnt(0)
	v_mad_i64_i32 v[1:2], null, s2, v0, 0
	s_ashr_i32 s3, s2, 31
	s_cmp_gt_i32 s4, 0
	s_cselect_b32 s11, -1, 0
	s_and_b32 s13, s4, 7
	s_cmp_gt_u32 s4, 7
	s_delay_alu instid0(VALU_DEP_1) | instskip(SKIP_3) | instid1(VALU_DEP_1)
	v_lshlrev_b64 v[1:2], 2, v[1:2]
	s_cselect_b32 s16, -1, 0
	s_and_b32 s4, s4, 0x7ffffff8
	s_cmp_lg_u32 s13, 0
	v_add_co_u32 v1, vcc_lo, s14, v1
	s_delay_alu instid0(VALU_DEP_2)
	v_add_co_ci_u32_e32 v2, vcc_lo, s15, v2, vcc_lo
	s_cselect_b32 s14, -1, 0
	s_lshl_b64 s[2:3], s[2:3], 10
	s_mov_b32 s15, 0
	s_branch .LBB227_30
.LBB227_28:                             ;   in Loop: Header=BB227_30 Depth=1
	s_delay_alu instid0(VALU_DEP_2)
	v_add_co_u32 v3, vcc_lo, s6, v3
	v_add_co_ci_u32_e32 v4, vcc_lo, s8, v4, vcc_lo
	global_store_b32 v[3:4], v7, off
.LBB227_29:                             ;   in Loop: Header=BB227_30 Depth=1
	s_or_b32 exec_lo, exec_lo, s17
	v_add_co_u32 v1, vcc_lo, v1, s2
	v_add_co_ci_u32_e32 v2, vcc_lo, s3, v2, vcc_lo
	s_addk_i32 s15, 0x100
	s_delay_alu instid0(SALU_CYCLE_1)
	s_cmp_ge_i32 s15, s5
	s_cbranch_scc1 .LBB227_41
.LBB227_30:                             ; =>This Loop Header: Depth=1
                                        ;     Child Loop BB227_36 Depth 2
                                        ;     Child Loop BB227_40 Depth 2
	v_add_nc_u32_e32 v3, s15, v0
	s_mov_b32 s17, exec_lo
	s_delay_alu instid0(VALU_DEP_1)
	v_cmpx_gt_i32_e64 s5, v3
	s_cbranch_execz .LBB227_29
; %bb.31:                               ;   in Loop: Header=BB227_30 Depth=1
	v_mad_u64_u32 v[4:5], null, v3, s12, 0
	s_and_not1_b32 vcc_lo, exec_lo, s10
	s_delay_alu instid0(VALU_DEP_1) | instskip(NEXT) | instid1(VALU_DEP_1)
	v_mad_u64_u32 v[6:7], null, v3, s9, v[5:6]
	v_mov_b32_e32 v5, v6
	s_delay_alu instid0(VALU_DEP_1)
	v_lshlrev_b64 v[3:4], 2, v[4:5]
	s_cbranch_vccnz .LBB227_33
; %bb.32:                               ;   in Loop: Header=BB227_30 Depth=1
	s_delay_alu instid0(VALU_DEP_1) | instskip(NEXT) | instid1(VALU_DEP_2)
	v_add_co_u32 v5, vcc_lo, s6, v3
	v_add_co_ci_u32_e32 v6, vcc_lo, s8, v4, vcc_lo
	global_load_b32 v5, v[5:6], off
	s_waitcnt vmcnt(0)
	v_mul_f32_e32 v7, s7, v5
	s_and_not1_b32 vcc_lo, exec_lo, s11
	s_cbranch_vccz .LBB227_34
	s_branch .LBB227_28
.LBB227_33:                             ;   in Loop: Header=BB227_30 Depth=1
	v_mov_b32_e32 v7, 0
	s_and_not1_b32 vcc_lo, exec_lo, s11
	s_cbranch_vccnz .LBB227_28
.LBB227_34:                             ;   in Loop: Header=BB227_30 Depth=1
	s_and_not1_b32 vcc_lo, exec_lo, s16
	s_cbranch_vccnz .LBB227_38
; %bb.35:                               ;   in Loop: Header=BB227_30 Depth=1
	v_dual_mov_b32 v6, v2 :: v_dual_mov_b32 v5, v1
	s_mov_b32 s0, 0
	s_mov_b32 s18, 0
	.p2align	6
.LBB227_36:                             ;   Parent Loop BB227_30 Depth=1
                                        ; =>  This Inner Loop Header: Depth=2
	s_clause 0x1
	flat_load_b128 v[8:11], v[5:6]
	flat_load_b128 v[12:15], v[5:6] offset:16
	v_mov_b32_e32 v20, s0
	v_add_co_u32 v5, vcc_lo, v5, 32
	v_add_co_ci_u32_e32 v6, vcc_lo, 0, v6, vcc_lo
	ds_load_b128 v[16:19], v20
	ds_load_b128 v[20:23], v20 offset:16
	s_add_i32 s18, s18, 8
	s_add_i32 s0, s0, 32
	s_cmp_eq_u32 s4, s18
	s_waitcnt vmcnt(1) lgkmcnt(1)
	v_fmac_f32_e32 v7, v16, v8
	s_delay_alu instid0(VALU_DEP_1) | instskip(NEXT) | instid1(VALU_DEP_1)
	v_fmac_f32_e32 v7, v17, v9
	v_fmac_f32_e32 v7, v18, v10
	s_delay_alu instid0(VALU_DEP_1) | instskip(SKIP_1) | instid1(VALU_DEP_1)
	v_fmac_f32_e32 v7, v19, v11
	s_waitcnt vmcnt(0) lgkmcnt(0)
	v_fmac_f32_e32 v7, v20, v12
	s_delay_alu instid0(VALU_DEP_1) | instskip(NEXT) | instid1(VALU_DEP_1)
	v_fmac_f32_e32 v7, v21, v13
	v_fmac_f32_e32 v7, v22, v14
	s_delay_alu instid0(VALU_DEP_1)
	v_fmac_f32_e32 v7, v23, v15
	s_cbranch_scc0 .LBB227_36
; %bb.37:                               ;   in Loop: Header=BB227_30 Depth=1
	s_mov_b32 s0, s4
	s_and_not1_b32 vcc_lo, exec_lo, s14
	s_cbranch_vccz .LBB227_39
	s_branch .LBB227_28
.LBB227_38:                             ;   in Loop: Header=BB227_30 Depth=1
	s_mov_b32 s0, 0
	s_and_not1_b32 vcc_lo, exec_lo, s14
	s_cbranch_vccnz .LBB227_28
.LBB227_39:                             ;   in Loop: Header=BB227_30 Depth=1
	s_lshl_b64 s[18:19], s[0:1], 2
	s_lshl_b32 s0, s0, 2
	v_add_co_u32 v5, vcc_lo, v1, s18
	v_add_co_ci_u32_e32 v6, vcc_lo, s19, v2, vcc_lo
	s_mov_b32 s18, s13
.LBB227_40:                             ;   Parent Loop BB227_30 Depth=1
                                        ; =>  This Inner Loop Header: Depth=2
	flat_load_b32 v8, v[5:6]
	v_mov_b32_e32 v9, s0
	v_add_co_u32 v5, vcc_lo, v5, 4
	v_add_co_ci_u32_e32 v6, vcc_lo, 0, v6, vcc_lo
	ds_load_b32 v9, v9
	s_add_i32 s18, s18, -1
	s_add_i32 s0, s0, 4
	s_cmp_lg_u32 s18, 0
	s_waitcnt vmcnt(0) lgkmcnt(0)
	v_fmac_f32_e32 v7, v9, v8
	s_cbranch_scc1 .LBB227_40
	s_branch .LBB227_28
.LBB227_41:
	s_nop 0
	s_sendmsg sendmsg(MSG_DEALLOC_VGPRS)
	s_endpgm
	.section	.rodata,"a",@progbits
	.p2align	6, 0x0
	.amdhsa_kernel _ZL22rocblas_gemvtsm_kernelILb1ELi256EPKffKPfEviiT2_lPKT1_lilS7_lilS4_lPT3_lil
		.amdhsa_group_segment_fixed_size 256
		.amdhsa_private_segment_fixed_size 0
		.amdhsa_kernarg_size 136
		.amdhsa_user_sgpr_count 15
		.amdhsa_user_sgpr_dispatch_ptr 0
		.amdhsa_user_sgpr_queue_ptr 0
		.amdhsa_user_sgpr_kernarg_segment_ptr 1
		.amdhsa_user_sgpr_dispatch_id 0
		.amdhsa_user_sgpr_private_segment_size 0
		.amdhsa_wavefront_size32 1
		.amdhsa_uses_dynamic_stack 0
		.amdhsa_enable_private_segment 0
		.amdhsa_system_sgpr_workgroup_id_x 1
		.amdhsa_system_sgpr_workgroup_id_y 0
		.amdhsa_system_sgpr_workgroup_id_z 0
		.amdhsa_system_sgpr_workgroup_info 0
		.amdhsa_system_vgpr_workitem_id 0
		.amdhsa_next_free_vgpr 24
		.amdhsa_next_free_sgpr 20
		.amdhsa_reserve_vcc 1
		.amdhsa_float_round_mode_32 0
		.amdhsa_float_round_mode_16_64 0
		.amdhsa_float_denorm_mode_32 3
		.amdhsa_float_denorm_mode_16_64 3
		.amdhsa_dx10_clamp 1
		.amdhsa_ieee_mode 1
		.amdhsa_fp16_overflow 0
		.amdhsa_workgroup_processor_mode 1
		.amdhsa_memory_ordered 1
		.amdhsa_forward_progress 0
		.amdhsa_shared_vgpr_count 0
		.amdhsa_exception_fp_ieee_invalid_op 0
		.amdhsa_exception_fp_denorm_src 0
		.amdhsa_exception_fp_ieee_div_zero 0
		.amdhsa_exception_fp_ieee_overflow 0
		.amdhsa_exception_fp_ieee_underflow 0
		.amdhsa_exception_fp_ieee_inexact 0
		.amdhsa_exception_int_div_zero 0
	.end_amdhsa_kernel
	.section	.text._ZL22rocblas_gemvtsm_kernelILb1ELi256EPKffKPfEviiT2_lPKT1_lilS7_lilS4_lPT3_lil,"axG",@progbits,_ZL22rocblas_gemvtsm_kernelILb1ELi256EPKffKPfEviiT2_lPKT1_lilS7_lilS4_lPT3_lil,comdat
.Lfunc_end227:
	.size	_ZL22rocblas_gemvtsm_kernelILb1ELi256EPKffKPfEviiT2_lPKT1_lilS7_lilS4_lPT3_lil, .Lfunc_end227-_ZL22rocblas_gemvtsm_kernelILb1ELi256EPKffKPfEviiT2_lPKT1_lilS7_lilS4_lPT3_lil
                                        ; -- End function
	.section	.AMDGPU.csdata,"",@progbits
; Kernel info:
; codeLenInByte = 1364
; NumSgprs: 22
; NumVgprs: 24
; ScratchSize: 0
; MemoryBound: 0
; FloatMode: 240
; IeeeMode: 1
; LDSByteSize: 256 bytes/workgroup (compile time only)
; SGPRBlocks: 2
; VGPRBlocks: 2
; NumSGPRsForWavesPerEU: 22
; NumVGPRsForWavesPerEU: 24
; Occupancy: 16
; WaveLimiterHint : 1
; COMPUTE_PGM_RSRC2:SCRATCH_EN: 0
; COMPUTE_PGM_RSRC2:USER_SGPR: 15
; COMPUTE_PGM_RSRC2:TRAP_HANDLER: 0
; COMPUTE_PGM_RSRC2:TGID_X_EN: 1
; COMPUTE_PGM_RSRC2:TGID_Y_EN: 0
; COMPUTE_PGM_RSRC2:TGID_Z_EN: 0
; COMPUTE_PGM_RSRC2:TIDIG_COMP_CNT: 0
	.section	.text._ZL23rocblas_gemvt_sn_kernelILb1ELi256ELi4EiPKfS1_fEviiT4_lPKT3_lilS5_lilPT5_i,"axG",@progbits,_ZL23rocblas_gemvt_sn_kernelILb1ELi256ELi4EiPKfS1_fEviiT4_lPKT3_lilS5_lilPT5_i,comdat
	.globl	_ZL23rocblas_gemvt_sn_kernelILb1ELi256ELi4EiPKfS1_fEviiT4_lPKT3_lilS5_lilPT5_i ; -- Begin function _ZL23rocblas_gemvt_sn_kernelILb1ELi256ELi4EiPKfS1_fEviiT4_lPKT3_lilS5_lilPT5_i
	.p2align	8
	.type	_ZL23rocblas_gemvt_sn_kernelILb1ELi256ELi4EiPKfS1_fEviiT4_lPKT3_lilS5_lilPT5_i,@function
_ZL23rocblas_gemvt_sn_kernelILb1ELi256ELi4EiPKfS1_fEviiT4_lPKT3_lilS5_lilPT5_i: ; @_ZL23rocblas_gemvt_sn_kernelILb1ELi256ELi4EiPKfS1_fEviiT4_lPKT3_lilS5_lilPT5_i
; %bb.0:
	s_load_b256 s[4:11], s[0:1], 0x8
	s_mov_b32 s18, s15
	s_mov_b32 s19, 0
	s_mov_b64 s[12:13], 0
	s_waitcnt lgkmcnt(0)
	s_mul_i32 s2, s15, s7
	s_mul_hi_u32 s3, s15, s6
	s_delay_alu instid0(SALU_CYCLE_1) | instskip(SKIP_1) | instid1(SALU_CYCLE_1)
	s_add_i32 s3, s3, s2
	s_mul_i32 s2, s15, s6
	s_lshl_b64 s[2:3], s[2:3], 2
	s_delay_alu instid0(SALU_CYCLE_1)
	s_add_u32 s2, s4, s2
	s_addc_u32 s3, s5, s3
	s_load_b32 s28, s[2:3], 0x0
	s_mov_b64 s[2:3], 0
	s_waitcnt lgkmcnt(0)
	v_cmp_eq_f32_e64 s4, s28, 0
	v_cmp_neq_f32_e64 s5, s28, 0
	s_delay_alu instid0(VALU_DEP_2)
	s_and_b32 vcc_lo, exec_lo, s4
	s_cbranch_vccnz .LBB228_2
; %bb.1:
	s_lshl_b64 s[2:3], s[18:19], 3
	s_delay_alu instid0(SALU_CYCLE_1)
	s_add_u32 s2, s8, s2
	s_addc_u32 s3, s9, s3
	s_lshl_b64 s[6:7], s[10:11], 2
	s_load_b64 s[2:3], s[2:3], 0x0
	s_waitcnt lgkmcnt(0)
	s_add_u32 s2, s2, s6
	s_addc_u32 s3, s3, s7
.LBB228_2:
	s_delay_alu instid0(VALU_DEP_1)
	s_and_not1_b32 vcc_lo, exec_lo, s5
	s_cbranch_vccnz .LBB228_4
; %bb.3:
	s_load_b128 s[8:11], s[0:1], 0x38
	s_lshl_b64 s[6:7], s[18:19], 3
	s_waitcnt lgkmcnt(0)
	s_add_u32 s6, s8, s6
	s_addc_u32 s7, s9, s7
	s_lshl_b64 s[8:9], s[10:11], 2
	s_load_b64 s[6:7], s[6:7], 0x0
	s_waitcnt lgkmcnt(0)
	s_add_u32 s12, s6, s8
	s_addc_u32 s13, s7, s9
.LBB228_4:
	s_clause 0x2
	s_load_b64 s[10:11], s[0:1], 0x0
	s_load_b32 s16, s[0:1], 0x68
	s_load_b64 s[6:7], s[0:1], 0x58
	s_mov_b32 s17, 0
	s_waitcnt lgkmcnt(0)
	s_ashr_i32 s8, s11, 31
	s_mul_hi_u32 s5, s11, s18
	s_mul_i32 s9, s8, s18
	s_mul_i32 s15, s11, s18
	s_add_i32 s5, s5, s9
	s_mul_hi_u32 s9, s15, s16
	s_mul_i32 s5, s5, s16
	s_mul_i32 s18, s15, s16
	s_add_i32 s19, s9, s5
	s_delay_alu instid0(SALU_CYCLE_1) | instskip(NEXT) | instid1(SALU_CYCLE_1)
	s_lshl_b64 s[18:19], s[18:19], 2
	s_add_u32 s30, s6, s18
	s_addc_u32 s31, s7, s19
	s_and_not1_b32 vcc_lo, exec_lo, s4
	s_mov_b32 s4, -1
	s_cbranch_vccnz .LBB228_9
; %bb.5:
	v_cmp_eq_u32_e32 vcc_lo, 0, v0
	s_cmp_gt_i32 s11, 0
	s_cselect_b32 s4, -1, 0
	s_delay_alu instid0(SALU_CYCLE_1) | instskip(NEXT) | instid1(SALU_CYCLE_1)
	s_and_b32 s4, vcc_lo, s4
	s_and_saveexec_b32 s9, s4
	s_cbranch_execz .LBB228_8
; %bb.6:
	s_mov_b32 s15, 0
	v_mov_b32_e32 v1, 0
	s_lshl_b64 s[4:5], s[14:15], 2
	s_mov_b32 s15, s11
	s_add_u32 s4, s30, s4
	s_addc_u32 s5, s31, s5
	s_lshl_b64 s[6:7], s[16:17], 2
.LBB228_7:                              ; =>This Inner Loop Header: Depth=1
	s_add_i32 s15, s15, -1
	global_store_b32 v1, v1, s[4:5]
	s_add_u32 s4, s4, s6
	s_addc_u32 s5, s5, s7
	s_cmp_eq_u32 s15, 0
	s_cbranch_scc0 .LBB228_7
.LBB228_8:
	s_or_b32 exec_lo, exec_lo, s9
	s_mov_b32 s4, 0
.LBB228_9:
	s_delay_alu instid0(SALU_CYCLE_1)
	s_and_not1_b32 vcc_lo, exec_lo, s4
	s_cbranch_vccnz .LBB228_83
; %bb.10:
	s_clause 0x1
	s_load_b32 s18, s[0:1], 0x28
	s_load_b32 s17, s[0:1], 0x48
	s_lshl_b32 s4, s14, 10
	s_ashr_i32 s0, s10, 31
	v_lshl_or_b32 v1, v0, 2, s4
	s_lshr_b32 s0, s0, 30
	s_lshr_b32 s1, s8, 30
	s_add_i32 s0, s10, s0
	s_add_i32 s1, s11, s1
	v_ashrrev_i32_e32 v2, 31, v1
	s_and_b32 s0, s0, -4
	s_and_b32 s15, s1, -4
	s_sub_i32 s29, s10, s0
	v_add_nc_u32_e32 v22, 4, v1
	v_lshlrev_b64 v[2:3], 2, v[1:2]
	v_add_nc_u32_e32 v23, s29, v1
	v_and_b32_e32 v19, 31, v0
	v_cmp_gt_u32_e64 s0, 32, v0
	v_mbcnt_lo_u32_b32 v21, -1, 0
	v_cmp_gt_u32_e64 s1, 8, v0
	v_add_co_u32 v17, vcc_lo, s2, v2
	s_waitcnt lgkmcnt(0)
	v_mul_lo_u32 v5, v1, s17
	v_add_co_ci_u32_e32 v18, vcc_lo, s3, v3, vcc_lo
	v_lshrrev_b32_e32 v20, 3, v0
	v_cmp_eq_u32_e64 s2, 0, v0
	s_cmp_lt_i32 s15, 1
	s_cbranch_scc1 .LBB228_58
; %bb.11:
	v_cmp_gt_u32_e32 vcc_lo, 16, v21
	v_mul_lo_u32 v6, v1, s17
	s_cmp_gt_i32 s29, 0
	s_mov_b32 s9, 0
	v_cmp_ge_i32_e64 s3, s10, v22
	v_cndmask_b32_e64 v2, 0, 1, vcc_lo
	v_cmp_gt_u32_e32 vcc_lo, 24, v21
	v_cmp_ge_i32_e64 s4, s10, v23
	v_cmp_eq_u32_e64 s5, 0, v19
	v_lshlrev_b32_e32 v29, 2, v19
	v_dual_mov_b32 v31, 0 :: v_dual_lshlrev_b32 v2, 4, v2
	v_cndmask_b32_e64 v3, 0, 1, vcc_lo
	v_cmp_gt_u32_e32 vcc_lo, 28, v21
	v_and_b32_e32 v30, 28, v20
	s_delay_alu instid0(VALU_DEP_4)
	v_add_lshl_u32 v24, v2, v21, 2
	s_cselect_b32 s33, -1, 0
	v_lshlrev_b32_e32 v2, 3, v3
	v_cndmask_b32_e64 v4, 0, 1, vcc_lo
	v_cmp_gt_u32_e32 vcc_lo, 30, v21
	s_mov_b32 s19, s9
	s_lshl_b32 s8, s18, 1
	v_add_lshl_u32 v25, v2, v21, 2
	v_lshlrev_b32_e32 v1, 2, v4
	v_cndmask_b32_e64 v7, 0, 1, vcc_lo
	v_cmp_ne_u32_e32 vcc_lo, 31, v21
	s_lshl_b32 s34, s18, 2
	s_mul_i32 s35, s18, 3
	v_add_lshl_u32 v26, v1, v21, 2
	v_lshlrev_b32_e32 v3, 1, v7
	v_add_nc_u32_e32 v1, s17, v6
	v_ashrrev_i32_e32 v7, 31, v6
	v_add_co_ci_u32_e32 v4, vcc_lo, 0, v21, vcc_lo
	s_delay_alu instid0(VALU_DEP_4) | instskip(NEXT) | instid1(VALU_DEP_4)
	v_add_lshl_u32 v27, v3, v21, 2
	v_add_nc_u32_e32 v3, s17, v1
	v_ashrrev_i32_e32 v2, 31, v1
	v_lshlrev_b64 v[7:8], 2, v[6:7]
	v_lshlrev_b32_e32 v28, 2, v4
	s_mov_b32 s36, s9
	v_add_nc_u32_e32 v11, s17, v3
	v_lshlrev_b64 v[1:2], 2, v[1:2]
	v_ashrrev_i32_e32 v4, 31, v3
	v_add_co_u32 v7, vcc_lo, s12, v7
	s_delay_alu instid0(VALU_DEP_4) | instskip(SKIP_1) | instid1(VALU_DEP_4)
	v_ashrrev_i32_e32 v12, 31, v11
	v_add_co_ci_u32_e32 v8, vcc_lo, s13, v8, vcc_lo
	v_lshlrev_b64 v[3:4], 2, v[3:4]
	v_add_co_u32 v9, vcc_lo, s12, v1
	v_add_co_ci_u32_e32 v10, vcc_lo, s13, v2, vcc_lo
	v_lshlrev_b64 v[1:2], 2, v[11:12]
	s_delay_alu instid0(VALU_DEP_4) | instskip(SKIP_2) | instid1(VALU_DEP_3)
	v_add_co_u32 v11, vcc_lo, s12, v3
	v_add_co_ci_u32_e32 v12, vcc_lo, s13, v4, vcc_lo
	s_mov_b32 s20, s9
	v_add_co_u32 v13, vcc_lo, s12, v1
	s_delay_alu instid0(VALU_DEP_4)
	v_add_co_ci_u32_e32 v14, vcc_lo, s13, v2, vcc_lo
	s_mov_b64 s[22:23], s[8:9]
	s_mov_b64 s[24:25], s[18:19]
	s_mov_b32 s19, 0
                                        ; implicit-def: $vgpr1_vgpr2_vgpr3_vgpr4
	s_branch .LBB228_13
.LBB228_12:                             ;   in Loop: Header=BB228_13 Depth=1
	s_or_b32 exec_lo, exec_lo, s6
	s_add_i32 s19, s19, 4
	s_add_u32 s24, s24, s34
	s_addc_u32 s25, s25, 0
	s_add_u32 s22, s22, s34
	s_addc_u32 s23, s23, 0
	;; [unrolled: 2-line block ×3, first 2 shown]
	s_add_i32 s20, s20, s34
	s_cmp_ge_i32 s19, s15
	s_cbranch_scc1 .LBB228_59
.LBB228_13:                             ; =>This Loop Header: Depth=1
                                        ;     Child Loop BB228_44 Depth 2
                                        ;     Child Loop BB228_47 Depth 2
                                        ; implicit-def: $vgpr32
                                        ; implicit-def: $vgpr33
                                        ; implicit-def: $vgpr34
                                        ; implicit-def: $vgpr35
	s_and_saveexec_b32 s6, s3
	s_delay_alu instid0(SALU_CYCLE_1)
	s_xor_b32 s6, exec_lo, s6
	s_cbranch_execnz .LBB228_40
; %bb.14:                               ;   in Loop: Header=BB228_13 Depth=1
	s_and_not1_saveexec_b32 s37, s6
	s_cbranch_execnz .LBB228_41
.LBB228_15:                             ;   in Loop: Header=BB228_13 Depth=1
	s_or_b32 exec_lo, exec_lo, s37
	s_and_saveexec_b32 s6, s0
	s_cbranch_execz .LBB228_17
.LBB228_16:                             ;   in Loop: Header=BB228_13 Depth=1
	ds_store_b32 v29, v31
.LBB228_17:                             ;   in Loop: Header=BB228_13 Depth=1
	s_or_b32 exec_lo, exec_lo, s6
	ds_bpermute_b32 v15, v24, v35
	s_waitcnt lgkmcnt(0)
	s_waitcnt_vscnt null, 0x0
	s_barrier
	buffer_gl0_inv
	v_add_f32_e32 v15, v35, v15
	ds_bpermute_b32 v16, v25, v15
	s_waitcnt lgkmcnt(0)
	v_add_f32_e32 v15, v15, v16
	ds_bpermute_b32 v16, v26, v15
	s_waitcnt lgkmcnt(0)
	;; [unrolled: 3-line block ×3, first 2 shown]
	v_add_f32_e32 v15, v15, v16
	ds_bpermute_b32 v16, v28, v15
	s_and_saveexec_b32 s6, s5
	s_cbranch_execz .LBB228_19
; %bb.18:                               ;   in Loop: Header=BB228_13 Depth=1
	s_waitcnt lgkmcnt(0)
	v_add_f32_e32 v15, v15, v16
	ds_store_b32 v30, v15
.LBB228_19:                             ;   in Loop: Header=BB228_13 Depth=1
	s_or_b32 exec_lo, exec_lo, s6
	v_mov_b32_e32 v15, 0
	s_waitcnt lgkmcnt(0)
	s_barrier
	buffer_gl0_inv
	s_and_saveexec_b32 s6, s1
	s_cbranch_execnz .LBB228_49
; %bb.20:                               ;   in Loop: Header=BB228_13 Depth=1
	s_or_b32 exec_lo, exec_lo, s6
	s_and_saveexec_b32 s6, s0
	s_cbranch_execnz .LBB228_50
.LBB228_21:                             ;   in Loop: Header=BB228_13 Depth=1
	s_or_b32 exec_lo, exec_lo, s6
	s_and_saveexec_b32 s6, s0
	s_cbranch_execz .LBB228_23
.LBB228_22:                             ;   in Loop: Header=BB228_13 Depth=1
	ds_store_b32 v29, v31
.LBB228_23:                             ;   in Loop: Header=BB228_13 Depth=1
	s_or_b32 exec_lo, exec_lo, s6
	ds_bpermute_b32 v16, v24, v34
	s_waitcnt lgkmcnt(0)
	s_barrier
	buffer_gl0_inv
	v_add_f32_e32 v16, v34, v16
	ds_bpermute_b32 v34, v25, v16
	s_waitcnt lgkmcnt(0)
	v_add_f32_e32 v16, v16, v34
	ds_bpermute_b32 v34, v26, v16
	s_waitcnt lgkmcnt(0)
	;; [unrolled: 3-line block ×3, first 2 shown]
	v_add_f32_e32 v16, v16, v34
	ds_bpermute_b32 v34, v28, v16
	s_and_saveexec_b32 s6, s5
	s_cbranch_execz .LBB228_25
; %bb.24:                               ;   in Loop: Header=BB228_13 Depth=1
	s_waitcnt lgkmcnt(0)
	v_add_f32_e32 v16, v16, v34
	ds_store_b32 v30, v16
.LBB228_25:                             ;   in Loop: Header=BB228_13 Depth=1
	s_or_b32 exec_lo, exec_lo, s6
	v_mov_b32_e32 v16, 0
	s_waitcnt lgkmcnt(0)
	s_barrier
	buffer_gl0_inv
	s_and_saveexec_b32 s6, s1
	s_cbranch_execnz .LBB228_51
; %bb.26:                               ;   in Loop: Header=BB228_13 Depth=1
	s_or_b32 exec_lo, exec_lo, s6
	s_and_saveexec_b32 s6, s0
	s_cbranch_execnz .LBB228_52
.LBB228_27:                             ;   in Loop: Header=BB228_13 Depth=1
	s_or_b32 exec_lo, exec_lo, s6
	s_and_saveexec_b32 s6, s0
	s_cbranch_execz .LBB228_29
.LBB228_28:                             ;   in Loop: Header=BB228_13 Depth=1
	ds_store_b32 v29, v31
.LBB228_29:                             ;   in Loop: Header=BB228_13 Depth=1
	s_or_b32 exec_lo, exec_lo, s6
	ds_bpermute_b32 v34, v24, v33
	s_waitcnt lgkmcnt(0)
	s_barrier
	buffer_gl0_inv
	v_add_f32_e32 v33, v33, v34
	ds_bpermute_b32 v34, v25, v33
	s_waitcnt lgkmcnt(0)
	v_add_f32_e32 v33, v33, v34
	ds_bpermute_b32 v34, v26, v33
	s_waitcnt lgkmcnt(0)
	;; [unrolled: 3-line block ×3, first 2 shown]
	v_add_f32_e32 v33, v33, v34
	ds_bpermute_b32 v34, v28, v33
	s_and_saveexec_b32 s6, s5
	s_cbranch_execz .LBB228_31
; %bb.30:                               ;   in Loop: Header=BB228_13 Depth=1
	s_waitcnt lgkmcnt(0)
	v_add_f32_e32 v33, v33, v34
	ds_store_b32 v30, v33
.LBB228_31:                             ;   in Loop: Header=BB228_13 Depth=1
	s_or_b32 exec_lo, exec_lo, s6
	v_mov_b32_e32 v33, 0
	s_waitcnt lgkmcnt(0)
	s_barrier
	buffer_gl0_inv
	s_and_saveexec_b32 s6, s1
	s_cbranch_execnz .LBB228_53
; %bb.32:                               ;   in Loop: Header=BB228_13 Depth=1
	s_or_b32 exec_lo, exec_lo, s6
	s_and_saveexec_b32 s6, s0
	s_cbranch_execnz .LBB228_54
.LBB228_33:                             ;   in Loop: Header=BB228_13 Depth=1
	s_or_b32 exec_lo, exec_lo, s6
	s_and_saveexec_b32 s6, s0
	s_cbranch_execz .LBB228_35
.LBB228_34:                             ;   in Loop: Header=BB228_13 Depth=1
	ds_store_b32 v29, v31
.LBB228_35:                             ;   in Loop: Header=BB228_13 Depth=1
	s_or_b32 exec_lo, exec_lo, s6
	ds_bpermute_b32 v34, v24, v32
	s_waitcnt lgkmcnt(0)
	s_barrier
	buffer_gl0_inv
	v_add_f32_e32 v32, v32, v34
	ds_bpermute_b32 v34, v25, v32
	s_waitcnt lgkmcnt(0)
	v_add_f32_e32 v32, v32, v34
	ds_bpermute_b32 v34, v26, v32
	s_waitcnt lgkmcnt(0)
	;; [unrolled: 3-line block ×3, first 2 shown]
	v_add_f32_e32 v32, v32, v34
	ds_bpermute_b32 v34, v28, v32
	s_and_saveexec_b32 s6, s5
	s_cbranch_execz .LBB228_37
; %bb.36:                               ;   in Loop: Header=BB228_13 Depth=1
	s_waitcnt lgkmcnt(0)
	v_add_f32_e32 v32, v32, v34
	ds_store_b32 v30, v32
.LBB228_37:                             ;   in Loop: Header=BB228_13 Depth=1
	s_or_b32 exec_lo, exec_lo, s6
	v_mov_b32_e32 v32, 0
	s_waitcnt lgkmcnt(0)
	s_barrier
	buffer_gl0_inv
	s_and_saveexec_b32 s6, s1
	s_cbranch_execnz .LBB228_55
; %bb.38:                               ;   in Loop: Header=BB228_13 Depth=1
	s_or_b32 exec_lo, exec_lo, s6
	s_and_saveexec_b32 s6, s0
	s_cbranch_execnz .LBB228_56
.LBB228_39:                             ;   in Loop: Header=BB228_13 Depth=1
	s_or_b32 exec_lo, exec_lo, s6
	s_and_saveexec_b32 s6, s2
	s_cbranch_execz .LBB228_12
	s_branch .LBB228_57
.LBB228_40:                             ;   in Loop: Header=BB228_13 Depth=1
	s_mul_i32 s26, s19, s18
	s_delay_alu instid0(SALU_CYCLE_1)
	s_ashr_i32 s27, s26, 31
	s_add_i32 s38, s26, s18
	s_lshl_b64 s[26:27], s[26:27], 2
	s_ashr_i32 s39, s38, 31
	v_add_co_u32 v2, vcc_lo, v17, s26
	v_add_co_ci_u32_e32 v3, vcc_lo, s27, v18, vcc_lo
	s_lshl_b64 s[26:27], s[38:39], 2
	s_add_i32 s38, s38, s18
	v_add_co_u32 v15, vcc_lo, v17, s26
	s_ashr_i32 s39, s38, 31
	s_add_i32 s26, s38, s18
	s_lshl_b64 s[38:39], s[38:39], 2
	v_add_co_ci_u32_e32 v16, vcc_lo, s27, v18, vcc_lo
	s_ashr_i32 s27, s26, 31
	s_waitcnt lgkmcnt(0)
	v_add_co_u32 v32, vcc_lo, v17, s38
	s_lshl_b64 s[26:27], s[26:27], 2
	v_add_co_ci_u32_e32 v33, vcc_lo, s39, v18, vcc_lo
	v_add_co_u32 v47, vcc_lo, v17, s26
	v_add_co_ci_u32_e32 v48, vcc_lo, s27, v18, vcc_lo
	flat_load_b32 v1, v[7:8]
	s_clause 0x3
	flat_load_b128 v[35:38], v[2:3]
	flat_load_b128 v[39:42], v[15:16]
	;; [unrolled: 1-line block ×4, first 2 shown]
	s_clause 0x2
	flat_load_b32 v2, v[9:10]
	flat_load_b32 v3, v[11:12]
	;; [unrolled: 1-line block ×3, first 2 shown]
	s_waitcnt vmcnt(6) lgkmcnt(6)
	v_fma_f32 v35, v1, v35, 0
	s_waitcnt vmcnt(5) lgkmcnt(5)
	v_fma_f32 v34, v1, v39, 0
	;; [unrolled: 2-line block ×4, first 2 shown]
	s_waitcnt vmcnt(2) lgkmcnt(2)
	v_fmac_f32_e32 v34, v2, v40
	v_fmac_f32_e32 v35, v2, v36
	s_delay_alu instid0(VALU_DEP_3) | instskip(SKIP_1) | instid1(VALU_DEP_3)
	v_fmac_f32_e32 v32, v2, v48
	s_waitcnt vmcnt(1) lgkmcnt(1)
	v_dual_fmac_f32 v33, v2, v44 :: v_dual_fmac_f32 v34, v3, v41
	s_delay_alu instid0(VALU_DEP_3) | instskip(NEXT) | instid1(VALU_DEP_3)
	v_fmac_f32_e32 v35, v3, v37
	v_fmac_f32_e32 v32, v3, v49
	s_waitcnt vmcnt(0) lgkmcnt(0)
	s_delay_alu instid0(VALU_DEP_3) | instskip(NEXT) | instid1(VALU_DEP_3)
	v_dual_fmac_f32 v33, v3, v45 :: v_dual_fmac_f32 v34, v4, v42
	v_fmac_f32_e32 v35, v4, v38
	s_delay_alu instid0(VALU_DEP_3) | instskip(NEXT) | instid1(VALU_DEP_3)
	v_fmac_f32_e32 v32, v4, v50
	v_fmac_f32_e32 v33, v4, v46
	s_and_not1_saveexec_b32 s37, s6
	s_cbranch_execz .LBB228_15
.LBB228_41:                             ;   in Loop: Header=BB228_13 Depth=1
	s_waitcnt lgkmcnt(0)
	v_dual_mov_b32 v32, 0 :: v_dual_mov_b32 v33, 0
	v_dual_mov_b32 v34, 0 :: v_dual_mov_b32 v35, 0
	s_and_saveexec_b32 s38, s4
	s_cbranch_execz .LBB228_48
; %bb.42:                               ;   in Loop: Header=BB228_13 Depth=1
	s_and_not1_b32 vcc_lo, exec_lo, s33
	s_cbranch_vccnz .LBB228_45
; %bb.43:                               ;   in Loop: Header=BB228_13 Depth=1
	v_mov_b32_e32 v15, v6
	s_mov_b64 s[26:27], 0
	.p2align	6
.LBB228_44:                             ;   Parent Loop BB228_13 Depth=1
                                        ; =>  This Inner Loop Header: Depth=2
	s_delay_alu instid0(VALU_DEP_1) | instskip(SKIP_1) | instid1(VALU_DEP_1)
	v_ashrrev_i32_e32 v16, 31, v15
	s_cmp_eq_u32 s26, 3
	v_lshlrev_b64 v[32:33], 2, v[15:16]
	s_delay_alu instid0(VALU_DEP_1) | instskip(NEXT) | instid1(VALU_DEP_2)
	v_add_co_u32 v32, vcc_lo, s12, v32
	v_add_co_ci_u32_e32 v33, vcc_lo, s13, v33, vcc_lo
	s_cselect_b32 vcc_lo, -1, 0
	s_cmp_eq_u32 s26, 2
	s_cselect_b32 s6, -1, 0
	flat_load_b32 v16, v[32:33]
	s_cmp_eq_u32 s26, 1
	v_add_nc_u32_e32 v15, s17, v15
	s_cselect_b32 s7, -1, 0
	s_cmp_eq_u32 s26, 0
	s_cselect_b32 s8, -1, 0
	s_add_u32 s26, s26, 1
	s_addc_u32 s27, s27, 0
	s_cmp_eq_u32 s29, s26
	s_waitcnt vmcnt(0) lgkmcnt(0)
	v_cndmask_b32_e32 v4, v4, v16, vcc_lo
	v_cndmask_b32_e64 v3, v3, v16, s6
	v_cndmask_b32_e64 v2, v2, v16, s7
	v_cndmask_b32_e64 v1, v1, v16, s8
	s_cbranch_scc0 .LBB228_44
.LBB228_45:                             ;   in Loop: Header=BB228_13 Depth=1
	v_dual_mov_b32 v32, 0 :: v_dual_mov_b32 v33, 0
	v_dual_mov_b32 v34, 0 :: v_dual_mov_b32 v35, 0
	s_and_not1_b32 vcc_lo, exec_lo, s33
	s_cbranch_vccnz .LBB228_48
; %bb.46:                               ;   in Loop: Header=BB228_13 Depth=1
	s_ashr_i32 s21, s20, 31
	v_dual_mov_b32 v35, 0 :: v_dual_mov_b32 v34, 0
	s_lshl_b64 s[6:7], s[20:21], 2
	v_dual_mov_b32 v33, 0 :: v_dual_mov_b32 v32, 0
	v_add_co_u32 v15, vcc_lo, v17, s6
	v_add_co_ci_u32_e32 v16, vcc_lo, s7, v18, vcc_lo
	s_mov_b64 s[26:27], 0
.LBB228_47:                             ;   Parent Loop BB228_13 Depth=1
                                        ; =>  This Inner Loop Header: Depth=2
	s_delay_alu instid0(SALU_CYCLE_1)
	s_cmp_eq_u32 s26, 1
	s_cselect_b32 vcc_lo, -1, 0
	s_cmp_eq_u32 s26, 2
	v_cndmask_b32_e32 v36, v1, v2, vcc_lo
	s_cselect_b32 vcc_lo, -1, 0
	s_cmp_eq_u32 s26, 3
	s_delay_alu instid0(VALU_DEP_1)
	v_cndmask_b32_e32 v42, v36, v3, vcc_lo
	s_cselect_b32 vcc_lo, -1, 0
	s_add_i32 s6, s24, s26
	s_add_i32 s40, s22, s26
	s_ashr_i32 s7, s6, 31
	s_ashr_i32 s41, s40, 31
	s_lshl_b64 s[6:7], s[6:7], 2
	s_add_i32 s42, s35, s26
	v_add_co_u32 v36, s6, v17, s6
	s_lshl_b64 s[40:41], s[40:41], 2
	s_ashr_i32 s43, s42, 31
	v_add_co_ci_u32_e64 v37, s6, s7, v18, s6
	v_add_co_u32 v38, s6, v17, s40
	s_lshl_b64 s[42:43], s[42:43], 2
	v_add_co_ci_u32_e64 v39, s6, s41, v18, s6
	v_add_co_u32 v40, s6, v17, s42
	s_delay_alu instid0(VALU_DEP_1)
	v_add_co_ci_u32_e64 v41, s6, s43, v18, s6
	flat_load_b32 v43, v[15:16]
	s_clause 0x2
	flat_load_b32 v36, v[36:37]
	flat_load_b32 v37, v[38:39]
	;; [unrolled: 1-line block ×3, first 2 shown]
	v_cndmask_b32_e32 v39, v42, v4, vcc_lo
	v_add_co_u32 v15, s6, v15, 4
	s_delay_alu instid0(VALU_DEP_1)
	v_add_co_ci_u32_e64 v16, s6, 0, v16, s6
	s_add_u32 s26, s26, 1
	s_addc_u32 s27, s27, 0
	s_cmp_lg_u32 s29, s26
	s_waitcnt vmcnt(3) lgkmcnt(3)
	v_fmac_f32_e32 v35, v39, v43
	s_waitcnt vmcnt(2) lgkmcnt(2)
	v_fmac_f32_e32 v34, v39, v36
	;; [unrolled: 2-line block ×4, first 2 shown]
	s_cbranch_scc1 .LBB228_47
.LBB228_48:                             ;   in Loop: Header=BB228_13 Depth=1
	s_or_b32 exec_lo, exec_lo, s38
	s_delay_alu instid0(SALU_CYCLE_1)
	s_or_b32 exec_lo, exec_lo, s37
	s_and_saveexec_b32 s6, s0
	s_cbranch_execnz .LBB228_16
	s_branch .LBB228_17
.LBB228_49:                             ;   in Loop: Header=BB228_13 Depth=1
	ds_load_b32 v15, v29
	s_or_b32 exec_lo, exec_lo, s6
	s_and_saveexec_b32 s6, s0
	s_cbranch_execz .LBB228_21
.LBB228_50:                             ;   in Loop: Header=BB228_13 Depth=1
	s_waitcnt lgkmcnt(0)
	ds_bpermute_b32 v16, v26, v15
	s_waitcnt lgkmcnt(0)
	v_add_f32_e32 v15, v15, v16
	ds_bpermute_b32 v16, v27, v15
	s_waitcnt lgkmcnt(0)
	v_add_f32_e32 v15, v15, v16
	;; [unrolled: 3-line block ×3, first 2 shown]
	s_or_b32 exec_lo, exec_lo, s6
	s_and_saveexec_b32 s6, s0
	s_cbranch_execnz .LBB228_22
	s_branch .LBB228_23
.LBB228_51:                             ;   in Loop: Header=BB228_13 Depth=1
	ds_load_b32 v16, v29
	s_or_b32 exec_lo, exec_lo, s6
	s_and_saveexec_b32 s6, s0
	s_cbranch_execz .LBB228_27
.LBB228_52:                             ;   in Loop: Header=BB228_13 Depth=1
	s_waitcnt lgkmcnt(0)
	ds_bpermute_b32 v34, v26, v16
	s_waitcnt lgkmcnt(0)
	v_add_f32_e32 v16, v16, v34
	ds_bpermute_b32 v34, v27, v16
	s_waitcnt lgkmcnt(0)
	v_add_f32_e32 v16, v16, v34
	;; [unrolled: 3-line block ×3, first 2 shown]
	s_or_b32 exec_lo, exec_lo, s6
	s_and_saveexec_b32 s6, s0
	s_cbranch_execnz .LBB228_28
	s_branch .LBB228_29
.LBB228_53:                             ;   in Loop: Header=BB228_13 Depth=1
	ds_load_b32 v33, v29
	s_or_b32 exec_lo, exec_lo, s6
	s_and_saveexec_b32 s6, s0
	s_cbranch_execz .LBB228_33
.LBB228_54:                             ;   in Loop: Header=BB228_13 Depth=1
	s_waitcnt lgkmcnt(0)
	ds_bpermute_b32 v34, v26, v33
	s_waitcnt lgkmcnt(0)
	v_add_f32_e32 v33, v33, v34
	ds_bpermute_b32 v34, v27, v33
	s_waitcnt lgkmcnt(0)
	v_add_f32_e32 v33, v33, v34
	ds_bpermute_b32 v34, v28, v33
	s_waitcnt lgkmcnt(0)
	v_add_f32_e32 v33, v33, v34
	s_or_b32 exec_lo, exec_lo, s6
	s_and_saveexec_b32 s6, s0
	s_cbranch_execnz .LBB228_34
	s_branch .LBB228_35
.LBB228_55:                             ;   in Loop: Header=BB228_13 Depth=1
	ds_load_b32 v32, v29
	s_or_b32 exec_lo, exec_lo, s6
	s_and_saveexec_b32 s6, s0
	s_cbranch_execz .LBB228_39
.LBB228_56:                             ;   in Loop: Header=BB228_13 Depth=1
	s_waitcnt lgkmcnt(0)
	ds_bpermute_b32 v34, v26, v32
	s_waitcnt lgkmcnt(0)
	v_add_f32_e32 v32, v32, v34
	ds_bpermute_b32 v34, v27, v32
	s_waitcnt lgkmcnt(0)
	v_add_f32_e32 v32, v32, v34
	;; [unrolled: 3-line block ×3, first 2 shown]
	s_or_b32 exec_lo, exec_lo, s6
	s_and_saveexec_b32 s6, s2
	s_cbranch_execz .LBB228_12
.LBB228_57:                             ;   in Loop: Header=BB228_13 Depth=1
	s_mul_i32 s7, s19, s16
	v_dual_mul_f32 v15, s28, v15 :: v_dual_mul_f32 v16, s28, v16
	s_add_i32 s8, s7, s14
	v_mul_f32_e32 v33, s28, v33
	s_lshl_b64 s[26:27], s[8:9], 2
	s_delay_alu instid0(SALU_CYCLE_1)
	s_add_u32 s26, s30, s26
	s_addc_u32 s27, s31, s27
	s_add_i32 s8, s8, s16
	global_store_b32 v31, v15, s[26:27]
	s_lshl_b64 s[38:39], s[8:9], 2
	s_waitcnt lgkmcnt(0)
	v_mul_f32_e32 v15, s28, v32
	s_add_u32 s38, s30, s38
	s_addc_u32 s39, s31, s39
	s_add_i32 s8, s8, s16
	global_store_b32 v31, v16, s[38:39]
	s_lshl_b64 s[40:41], s[8:9], 2
	s_delay_alu instid0(SALU_CYCLE_1) | instskip(SKIP_2) | instid1(SALU_CYCLE_1)
	s_add_u32 s26, s30, s40
	s_addc_u32 s27, s31, s41
	s_add_i32 s8, s8, s16
	s_lshl_b64 s[40:41], s[8:9], 2
	s_delay_alu instid0(SALU_CYCLE_1)
	s_add_u32 s38, s30, s40
	s_addc_u32 s39, s31, s41
	s_clause 0x1
	global_store_b32 v31, v33, s[26:27]
	global_store_b32 v31, v15, s[38:39]
	s_branch .LBB228_12
.LBB228_58:
	s_mov_b32 s19, 0
                                        ; implicit-def: $vgpr1_vgpr2_vgpr3_vgpr4
.LBB228_59:
	s_delay_alu instid0(SALU_CYCLE_1)
	s_cmp_ge_i32 s19, s11
	s_cbranch_scc1 .LBB228_83
; %bb.60:
	v_cmp_gt_u32_e32 vcc_lo, 16, v21
	v_cmp_ge_i32_e64 s1, s10, v23
	v_cmp_gt_u32_e64 s2, 32, v0
	v_cmp_gt_u32_e64 s4, 8, v0
	v_cmp_eq_u32_e64 s5, 0, v0
	v_cndmask_b32_e64 v6, 0, 1, vcc_lo
	v_cmp_gt_u32_e32 vcc_lo, 24, v21
	v_cmp_ge_i32_e64 s0, s10, v22
	s_cmp_gt_i32 s29, 0
	s_mov_b32 s15, 0
	v_lshlrev_b32_e32 v6, 4, v6
	v_cndmask_b32_e64 v7, 0, 1, vcc_lo
	v_cmp_gt_u32_e32 vcc_lo, 28, v21
	s_cselect_b32 s9, -1, 0
	v_lshlrev_b32_e32 v16, 2, v19
	s_delay_alu instid0(VALU_DEP_3)
	v_dual_mov_b32 v0, 0 :: v_dual_lshlrev_b32 v7, 3, v7
	v_cndmask_b32_e64 v8, 0, 1, vcc_lo
	v_cmp_gt_u32_e32 vcc_lo, 30, v21
	v_add_lshl_u32 v22, v6, v21, 2
	v_ashrrev_i32_e32 v6, 31, v5
	v_add_lshl_u32 v23, v7, v21, 2
	v_lshlrev_b32_e32 v8, 2, v8
	v_cndmask_b32_e64 v9, 0, 1, vcc_lo
	v_cmp_ne_u32_e32 vcc_lo, 31, v21
	v_add_nc_u32_e32 v7, s17, v5
	v_lshlrev_b64 v[11:12], 2, v[5:6]
	v_add_lshl_u32 v24, v8, v21, 2
	v_lshlrev_b32_e32 v9, 1, v9
	v_add_co_ci_u32_e32 v10, vcc_lo, 0, v21, vcc_lo
	v_ashrrev_i32_e32 v8, 31, v7
	v_add_co_u32 v6, vcc_lo, s12, v11
	s_delay_alu instid0(VALU_DEP_4) | instskip(SKIP_4) | instid1(VALU_DEP_4)
	v_add_lshl_u32 v21, v9, v21, 2
	v_add_nc_u32_e32 v9, s17, v7
	v_lshlrev_b32_e32 v25, 2, v10
	v_lshlrev_b64 v[13:14], 2, v[7:8]
	v_add_co_ci_u32_e32 v7, vcc_lo, s13, v12, vcc_lo
	v_add_nc_u32_e32 v26, s17, v9
	v_ashrrev_i32_e32 v10, 31, v9
	v_cmp_eq_u32_e64 s3, 0, v19
	v_add_co_u32 v8, vcc_lo, s12, v13
	s_delay_alu instid0(VALU_DEP_4) | instskip(NEXT) | instid1(VALU_DEP_4)
	v_ashrrev_i32_e32 v27, 31, v26
	v_lshlrev_b64 v[10:11], 2, v[9:10]
	v_add_co_ci_u32_e32 v9, vcc_lo, s13, v14, vcc_lo
	v_and_b32_e32 v19, 28, v20
	s_delay_alu instid0(VALU_DEP_4) | instskip(SKIP_1) | instid1(VALU_DEP_4)
	v_lshlrev_b64 v[12:13], 2, v[26:27]
	s_lshl_b64 s[6:7], s[14:15], 2
	v_add_co_u32 v10, vcc_lo, s12, v10
	v_add_co_ci_u32_e32 v11, vcc_lo, s13, v11, vcc_lo
	s_delay_alu instid0(VALU_DEP_3) | instskip(NEXT) | instid1(VALU_DEP_4)
	v_add_co_u32 v12, vcc_lo, s12, v12
	v_add_co_ci_u32_e32 v13, vcc_lo, s13, v13, vcc_lo
	s_add_u32 s10, s30, s6
	s_addc_u32 s14, s31, s7
	s_mul_i32 s20, s19, s18
	s_branch .LBB228_62
.LBB228_61:                             ;   in Loop: Header=BB228_62 Depth=1
	s_or_b32 exec_lo, exec_lo, s6
	s_add_i32 s19, s19, 1
	s_add_i32 s20, s20, s18
	s_cmp_ge_i32 s19, s11
	s_cbranch_scc1 .LBB228_83
.LBB228_62:                             ; =>This Loop Header: Depth=1
                                        ;     Child Loop BB228_75 Depth 2
                                        ;     Child Loop BB228_78 Depth 2
	v_mov_b32_e32 v20, s15
	s_and_saveexec_b32 s6, s0
	s_delay_alu instid0(SALU_CYCLE_1)
	s_xor_b32 s6, exec_lo, s6
	s_cbranch_execnz .LBB228_71
; %bb.63:                               ;   in Loop: Header=BB228_62 Depth=1
	s_and_not1_saveexec_b32 s24, s6
	s_cbranch_execnz .LBB228_72
.LBB228_64:                             ;   in Loop: Header=BB228_62 Depth=1
	s_or_b32 exec_lo, exec_lo, s24
	s_and_saveexec_b32 s6, s2
	s_cbranch_execz .LBB228_66
.LBB228_65:                             ;   in Loop: Header=BB228_62 Depth=1
	ds_store_b32 v16, v0
.LBB228_66:                             ;   in Loop: Header=BB228_62 Depth=1
	s_or_b32 exec_lo, exec_lo, s6
	s_waitcnt lgkmcnt(0)
	ds_bpermute_b32 v14, v22, v20
	s_waitcnt lgkmcnt(0)
	s_waitcnt_vscnt null, 0x0
	s_barrier
	buffer_gl0_inv
	v_add_f32_e32 v14, v20, v14
	ds_bpermute_b32 v15, v23, v14
	s_waitcnt lgkmcnt(0)
	v_add_f32_e32 v14, v14, v15
	ds_bpermute_b32 v15, v24, v14
	s_waitcnt lgkmcnt(0)
	v_add_f32_e32 v14, v14, v15
	ds_bpermute_b32 v15, v21, v14
	s_waitcnt lgkmcnt(0)
	v_add_f32_e32 v14, v14, v15
	ds_bpermute_b32 v15, v25, v14
	s_and_saveexec_b32 s6, s3
	s_cbranch_execz .LBB228_68
; %bb.67:                               ;   in Loop: Header=BB228_62 Depth=1
	s_waitcnt lgkmcnt(0)
	v_add_f32_e32 v14, v14, v15
	ds_store_b32 v19, v14
.LBB228_68:                             ;   in Loop: Header=BB228_62 Depth=1
	s_or_b32 exec_lo, exec_lo, s6
	v_mov_b32_e32 v14, 0
	s_waitcnt lgkmcnt(0)
	s_barrier
	buffer_gl0_inv
	s_and_saveexec_b32 s6, s4
	s_cbranch_execnz .LBB228_80
; %bb.69:                               ;   in Loop: Header=BB228_62 Depth=1
	s_or_b32 exec_lo, exec_lo, s6
	s_and_saveexec_b32 s6, s2
	s_cbranch_execnz .LBB228_81
.LBB228_70:                             ;   in Loop: Header=BB228_62 Depth=1
	s_or_b32 exec_lo, exec_lo, s6
	s_and_saveexec_b32 s6, s5
	s_cbranch_execz .LBB228_61
	s_branch .LBB228_82
.LBB228_71:                             ;   in Loop: Header=BB228_62 Depth=1
	s_mul_i32 s22, s19, s18
	s_delay_alu instid0(SALU_CYCLE_1) | instskip(NEXT) | instid1(SALU_CYCLE_1)
	s_ashr_i32 s23, s22, 31
	s_lshl_b64 s[22:23], s[22:23], 2
	s_delay_alu instid0(SALU_CYCLE_1)
	v_add_co_u32 v1, vcc_lo, v17, s22
	v_add_co_ci_u32_e32 v2, vcc_lo, s23, v18, vcc_lo
	flat_load_b128 v[26:29], v[1:2]
	s_clause 0x3
	flat_load_b32 v1, v[6:7]
	flat_load_b32 v2, v[8:9]
	;; [unrolled: 1-line block ×4, first 2 shown]
	s_waitcnt vmcnt(3) lgkmcnt(3)
	v_fma_f32 v20, v1, v26, 0
	s_waitcnt vmcnt(2) lgkmcnt(2)
	s_delay_alu instid0(VALU_DEP_1) | instskip(SKIP_1) | instid1(VALU_DEP_1)
	v_fmac_f32_e32 v20, v2, v27
	s_waitcnt vmcnt(1) lgkmcnt(1)
	v_fmac_f32_e32 v20, v3, v28
	s_waitcnt vmcnt(0) lgkmcnt(0)
	s_delay_alu instid0(VALU_DEP_1)
	v_fmac_f32_e32 v20, v4, v29
	s_and_not1_saveexec_b32 s24, s6
	s_cbranch_execz .LBB228_64
.LBB228_72:                             ;   in Loop: Header=BB228_62 Depth=1
	s_and_saveexec_b32 s25, s1
	s_cbranch_execz .LBB228_79
; %bb.73:                               ;   in Loop: Header=BB228_62 Depth=1
	s_and_not1_b32 vcc_lo, exec_lo, s9
	s_cbranch_vccnz .LBB228_76
; %bb.74:                               ;   in Loop: Header=BB228_62 Depth=1
	s_waitcnt lgkmcnt(0)
	v_mov_b32_e32 v14, v5
	s_mov_b64 s[22:23], 0
	.p2align	6
.LBB228_75:                             ;   Parent Loop BB228_62 Depth=1
                                        ; =>  This Inner Loop Header: Depth=2
	s_delay_alu instid0(VALU_DEP_1) | instskip(SKIP_1) | instid1(VALU_DEP_1)
	v_ashrrev_i32_e32 v15, 31, v14
	s_cmp_eq_u32 s22, 3
	v_lshlrev_b64 v[26:27], 2, v[14:15]
	v_add_nc_u32_e32 v14, s17, v14
	s_delay_alu instid0(VALU_DEP_2) | instskip(NEXT) | instid1(VALU_DEP_3)
	v_add_co_u32 v26, vcc_lo, s12, v26
	v_add_co_ci_u32_e32 v27, vcc_lo, s13, v27, vcc_lo
	s_cselect_b32 vcc_lo, -1, 0
	s_cmp_eq_u32 s22, 2
	s_cselect_b32 s6, -1, 0
	flat_load_b32 v15, v[26:27]
	s_cmp_eq_u32 s22, 1
	s_cselect_b32 s7, -1, 0
	s_cmp_eq_u32 s22, 0
	s_cselect_b32 s8, -1, 0
	s_add_u32 s22, s22, 1
	s_addc_u32 s23, s23, 0
	s_cmp_eq_u32 s29, s22
	s_waitcnt vmcnt(0) lgkmcnt(0)
	v_cndmask_b32_e32 v4, v4, v15, vcc_lo
	v_cndmask_b32_e64 v3, v3, v15, s6
	v_cndmask_b32_e64 v2, v2, v15, s7
	;; [unrolled: 1-line block ×3, first 2 shown]
	s_cbranch_scc0 .LBB228_75
.LBB228_76:                             ;   in Loop: Header=BB228_62 Depth=1
	s_and_not1_b32 vcc_lo, exec_lo, s9
	s_cbranch_vccnz .LBB228_79
; %bb.77:                               ;   in Loop: Header=BB228_62 Depth=1
	s_ashr_i32 s21, s20, 31
	s_delay_alu instid0(SALU_CYCLE_1)
	s_lshl_b64 s[6:7], s[20:21], 2
	s_waitcnt lgkmcnt(0)
	v_add_co_u32 v14, vcc_lo, v17, s6
	v_add_co_ci_u32_e32 v15, vcc_lo, s7, v18, vcc_lo
	s_mov_b64 s[6:7], 0
	.p2align	6
.LBB228_78:                             ;   Parent Loop BB228_62 Depth=1
                                        ; =>  This Inner Loop Header: Depth=2
	flat_load_b32 v26, v[14:15]
	s_cmp_eq_u32 s6, 1
	s_cselect_b32 vcc_lo, -1, 0
	s_cmp_eq_u32 s6, 2
	v_cndmask_b32_e32 v27, v1, v2, vcc_lo
	s_cselect_b32 vcc_lo, -1, 0
	s_cmp_eq_u32 s6, 3
	s_delay_alu instid0(VALU_DEP_1)
	v_cndmask_b32_e32 v27, v27, v3, vcc_lo
	s_cselect_b32 vcc_lo, -1, 0
	s_add_u32 s6, s6, 1
	s_addc_u32 s7, s7, 0
	s_cmp_lg_u32 s29, s6
	v_cndmask_b32_e32 v27, v27, v4, vcc_lo
	v_add_co_u32 v14, vcc_lo, v14, 4
	v_add_co_ci_u32_e32 v15, vcc_lo, 0, v15, vcc_lo
	s_waitcnt vmcnt(0) lgkmcnt(0)
	s_delay_alu instid0(VALU_DEP_3)
	v_fmac_f32_e32 v20, v27, v26
	s_cbranch_scc1 .LBB228_78
.LBB228_79:                             ;   in Loop: Header=BB228_62 Depth=1
	s_or_b32 exec_lo, exec_lo, s25
	s_delay_alu instid0(SALU_CYCLE_1)
	s_or_b32 exec_lo, exec_lo, s24
	s_and_saveexec_b32 s6, s2
	s_cbranch_execnz .LBB228_65
	s_branch .LBB228_66
.LBB228_80:                             ;   in Loop: Header=BB228_62 Depth=1
	ds_load_b32 v14, v16
	s_or_b32 exec_lo, exec_lo, s6
	s_and_saveexec_b32 s6, s2
	s_cbranch_execz .LBB228_70
.LBB228_81:                             ;   in Loop: Header=BB228_62 Depth=1
	s_waitcnt lgkmcnt(0)
	ds_bpermute_b32 v15, v24, v14
	s_waitcnt lgkmcnt(0)
	v_add_f32_e32 v14, v14, v15
	ds_bpermute_b32 v15, v21, v14
	s_waitcnt lgkmcnt(0)
	v_add_f32_e32 v14, v14, v15
	;; [unrolled: 3-line block ×3, first 2 shown]
	s_or_b32 exec_lo, exec_lo, s6
	s_and_saveexec_b32 s6, s5
	s_cbranch_execz .LBB228_61
.LBB228_82:                             ;   in Loop: Header=BB228_62 Depth=1
	s_mul_hi_u32 s23, s19, s16
	s_mul_i32 s22, s19, s16
	s_waitcnt lgkmcnt(0)
	v_mul_f32_e32 v14, s28, v14
	s_lshl_b64 s[22:23], s[22:23], 2
	s_delay_alu instid0(SALU_CYCLE_1)
	s_add_u32 s22, s10, s22
	s_addc_u32 s23, s14, s23
	global_store_b32 v0, v14, s[22:23]
	s_branch .LBB228_61
.LBB228_83:
	s_nop 0
	s_sendmsg sendmsg(MSG_DEALLOC_VGPRS)
	s_endpgm
	.section	.rodata,"a",@progbits
	.p2align	6, 0x0
	.amdhsa_kernel _ZL23rocblas_gemvt_sn_kernelILb1ELi256ELi4EiPKfS1_fEviiT4_lPKT3_lilS5_lilPT5_i
		.amdhsa_group_segment_fixed_size 128
		.amdhsa_private_segment_fixed_size 0
		.amdhsa_kernarg_size 360
		.amdhsa_user_sgpr_count 14
		.amdhsa_user_sgpr_dispatch_ptr 0
		.amdhsa_user_sgpr_queue_ptr 0
		.amdhsa_user_sgpr_kernarg_segment_ptr 1
		.amdhsa_user_sgpr_dispatch_id 0
		.amdhsa_user_sgpr_private_segment_size 0
		.amdhsa_wavefront_size32 1
		.amdhsa_uses_dynamic_stack 0
		.amdhsa_enable_private_segment 0
		.amdhsa_system_sgpr_workgroup_id_x 1
		.amdhsa_system_sgpr_workgroup_id_y 0
		.amdhsa_system_sgpr_workgroup_id_z 1
		.amdhsa_system_sgpr_workgroup_info 0
		.amdhsa_system_vgpr_workitem_id 0
		.amdhsa_next_free_vgpr 51
		.amdhsa_next_free_sgpr 44
		.amdhsa_reserve_vcc 1
		.amdhsa_float_round_mode_32 0
		.amdhsa_float_round_mode_16_64 0
		.amdhsa_float_denorm_mode_32 3
		.amdhsa_float_denorm_mode_16_64 3
		.amdhsa_dx10_clamp 1
		.amdhsa_ieee_mode 1
		.amdhsa_fp16_overflow 0
		.amdhsa_workgroup_processor_mode 1
		.amdhsa_memory_ordered 1
		.amdhsa_forward_progress 0
		.amdhsa_shared_vgpr_count 0
		.amdhsa_exception_fp_ieee_invalid_op 0
		.amdhsa_exception_fp_denorm_src 0
		.amdhsa_exception_fp_ieee_div_zero 0
		.amdhsa_exception_fp_ieee_overflow 0
		.amdhsa_exception_fp_ieee_underflow 0
		.amdhsa_exception_fp_ieee_inexact 0
		.amdhsa_exception_int_div_zero 0
	.end_amdhsa_kernel
	.section	.text._ZL23rocblas_gemvt_sn_kernelILb1ELi256ELi4EiPKfS1_fEviiT4_lPKT3_lilS5_lilPT5_i,"axG",@progbits,_ZL23rocblas_gemvt_sn_kernelILb1ELi256ELi4EiPKfS1_fEviiT4_lPKT3_lilS5_lilPT5_i,comdat
.Lfunc_end228:
	.size	_ZL23rocblas_gemvt_sn_kernelILb1ELi256ELi4EiPKfS1_fEviiT4_lPKT3_lilS5_lilPT5_i, .Lfunc_end228-_ZL23rocblas_gemvt_sn_kernelILb1ELi256ELi4EiPKfS1_fEviiT4_lPKT3_lilS5_lilPT5_i
                                        ; -- End function
	.section	.AMDGPU.csdata,"",@progbits
; Kernel info:
; codeLenInByte = 4140
; NumSgprs: 46
; NumVgprs: 51
; ScratchSize: 0
; MemoryBound: 0
; FloatMode: 240
; IeeeMode: 1
; LDSByteSize: 128 bytes/workgroup (compile time only)
; SGPRBlocks: 5
; VGPRBlocks: 6
; NumSGPRsForWavesPerEU: 46
; NumVGPRsForWavesPerEU: 51
; Occupancy: 16
; WaveLimiterHint : 0
; COMPUTE_PGM_RSRC2:SCRATCH_EN: 0
; COMPUTE_PGM_RSRC2:USER_SGPR: 14
; COMPUTE_PGM_RSRC2:TRAP_HANDLER: 0
; COMPUTE_PGM_RSRC2:TGID_X_EN: 1
; COMPUTE_PGM_RSRC2:TGID_Y_EN: 0
; COMPUTE_PGM_RSRC2:TGID_Z_EN: 1
; COMPUTE_PGM_RSRC2:TIDIG_COMP_CNT: 0
	.section	.text._ZL23rocblas_gemvt_sn_kernelILb1ELi256ELi4ElPKfS1_fEviiT4_lPKT3_lilS5_lilPT5_i,"axG",@progbits,_ZL23rocblas_gemvt_sn_kernelILb1ELi256ELi4ElPKfS1_fEviiT4_lPKT3_lilS5_lilPT5_i,comdat
	.globl	_ZL23rocblas_gemvt_sn_kernelILb1ELi256ELi4ElPKfS1_fEviiT4_lPKT3_lilS5_lilPT5_i ; -- Begin function _ZL23rocblas_gemvt_sn_kernelILb1ELi256ELi4ElPKfS1_fEviiT4_lPKT3_lilS5_lilPT5_i
	.p2align	8
	.type	_ZL23rocblas_gemvt_sn_kernelILb1ELi256ELi4ElPKfS1_fEviiT4_lPKT3_lilS5_lilPT5_i,@function
_ZL23rocblas_gemvt_sn_kernelILb1ELi256ELi4ElPKfS1_fEviiT4_lPKT3_lilS5_lilPT5_i: ; @_ZL23rocblas_gemvt_sn_kernelILb1ELi256ELi4ElPKfS1_fEviiT4_lPKT3_lilS5_lilPT5_i
; %bb.0:
	s_load_b256 s[4:11], s[0:1], 0x8
	s_mov_b32 s2, s15
	s_mov_b64 s[20:21], 0
	s_mov_b64 s[18:19], 0
	s_waitcnt lgkmcnt(0)
	s_mul_i32 s3, s15, s7
	s_mul_hi_u32 s7, s15, s6
	s_mul_i32 s6, s15, s6
	s_add_i32 s7, s7, s3
	s_mov_b32 s3, 0
	s_lshl_b64 s[6:7], s[6:7], 2
	s_delay_alu instid0(SALU_CYCLE_1)
	s_add_u32 s4, s4, s6
	s_addc_u32 s5, s5, s7
	s_load_b32 s33, s[4:5], 0x0
	s_waitcnt lgkmcnt(0)
	v_cmp_eq_f32_e64 s4, s33, 0
	v_cmp_neq_f32_e64 s5, s33, 0
	s_delay_alu instid0(VALU_DEP_2)
	s_and_b32 vcc_lo, exec_lo, s4
	s_cbranch_vccnz .LBB229_2
; %bb.1:
	s_lshl_b64 s[6:7], s[2:3], 3
	s_delay_alu instid0(SALU_CYCLE_1)
	s_add_u32 s6, s8, s6
	s_addc_u32 s7, s9, s7
	s_lshl_b64 s[8:9], s[10:11], 2
	s_load_b64 s[6:7], s[6:7], 0x0
	s_waitcnt lgkmcnt(0)
	s_add_u32 s18, s6, s8
	s_addc_u32 s19, s7, s9
.LBB229_2:
	s_delay_alu instid0(VALU_DEP_1)
	s_and_not1_b32 vcc_lo, exec_lo, s5
	s_cbranch_vccnz .LBB229_4
; %bb.3:
	s_load_b128 s[8:11], s[0:1], 0x38
	s_lshl_b64 s[6:7], s[2:3], 3
	s_waitcnt lgkmcnt(0)
	s_add_u32 s6, s8, s6
	s_addc_u32 s7, s9, s7
	s_lshl_b64 s[8:9], s[10:11], 2
	s_load_b64 s[6:7], s[6:7], 0x0
	s_waitcnt lgkmcnt(0)
	s_add_u32 s20, s6, s8
	s_addc_u32 s21, s7, s9
.LBB229_4:
	s_clause 0x2
	s_load_b64 s[10:11], s[0:1], 0x0
	s_load_b32 s12, s[0:1], 0x68
	s_load_b64 s[8:9], s[0:1], 0x58
	s_mov_b32 s13, 0
	s_waitcnt lgkmcnt(0)
	s_ashr_i32 s6, s11, 31
	s_mul_hi_u32 s3, s11, s2
	s_mul_i32 s5, s6, s2
	s_mul_i32 s2, s11, s2
	s_add_i32 s3, s3, s5
	s_mul_hi_u32 s5, s2, s12
	s_mul_i32 s3, s3, s12
	s_mul_i32 s2, s2, s12
	s_add_i32 s3, s5, s3
	s_delay_alu instid0(SALU_CYCLE_1) | instskip(NEXT) | instid1(SALU_CYCLE_1)
	s_lshl_b64 s[2:3], s[2:3], 2
	s_add_u32 s36, s8, s2
	s_addc_u32 s37, s9, s3
	s_and_not1_b32 vcc_lo, exec_lo, s4
	s_mov_b32 s2, -1
	s_cbranch_vccnz .LBB229_9
; %bb.5:
	v_cmp_eq_u32_e32 vcc_lo, 0, v0
	s_cmp_gt_i32 s11, 0
	s_cselect_b32 s2, -1, 0
	s_delay_alu instid0(SALU_CYCLE_1) | instskip(NEXT) | instid1(SALU_CYCLE_1)
	s_and_b32 s2, vcc_lo, s2
	s_and_saveexec_b32 s7, s2
	s_cbranch_execz .LBB229_8
; %bb.6:
	s_mov_b32 s15, 0
	v_mov_b32_e32 v1, 0
	s_lshl_b64 s[2:3], s[14:15], 2
	s_mov_b32 s8, s11
	s_add_u32 s2, s36, s2
	s_addc_u32 s3, s37, s3
	s_lshl_b64 s[4:5], s[12:13], 2
.LBB229_7:                              ; =>This Inner Loop Header: Depth=1
	s_add_i32 s8, s8, -1
	global_store_b32 v1, v1, s[2:3]
	s_add_u32 s2, s2, s4
	s_addc_u32 s3, s3, s5
	s_cmp_eq_u32 s8, 0
	s_cbranch_scc0 .LBB229_7
.LBB229_8:
	s_or_b32 exec_lo, exec_lo, s7
	s_mov_b32 s2, 0
.LBB229_9:
	s_delay_alu instid0(SALU_CYCLE_1)
	s_and_not1_b32 vcc_lo, exec_lo, s2
	s_cbranch_vccnz .LBB229_83
; %bb.10:
	s_lshl_b32 s2, s14, 10
	s_clause 0x1
	s_load_b32 s16, s[0:1], 0x28
	s_load_b32 s22, s[0:1], 0x48
	v_lshl_or_b32 v9, v0, 2, s2
	s_ashr_i32 s2, s10, 31
	s_lshr_b32 s1, s6, 30
	s_lshr_b32 s0, s2, 30
	s_add_i32 s1, s11, s1
	v_ashrrev_i32_e32 v10, 31, v9
	s_add_i32 s0, s10, s0
	s_and_b32 s38, s1, -4
	s_and_b32 s0, s0, -4
	v_add_nc_u32_e32 v28, 4, v9
	v_lshlrev_b64 v[7:8], 2, v[9:10]
	s_sub_i32 s13, s10, s0
	v_and_b32_e32 v25, 31, v0
	v_add_nc_u32_e32 v29, s13, v9
	v_cmp_gt_u32_e64 s0, 32, v0
	v_mbcnt_lo_u32_b32 v27, -1, 0
	v_add_co_u32 v5, vcc_lo, s18, v7
	v_add_co_ci_u32_e32 v6, vcc_lo, s19, v8, vcc_lo
	v_cmp_gt_u32_e64 s1, 8, v0
	v_lshrrev_b32_e32 v26, 3, v0
	v_cmp_eq_u32_e64 s2, 0, v0
	v_or_b32_e32 v24, 1, v9
	v_or_b32_e32 v23, 2, v9
	;; [unrolled: 1-line block ×3, first 2 shown]
	s_waitcnt lgkmcnt(0)
	s_ashr_i32 s17, s16, 31
	s_ashr_i32 s23, s22, 31
	s_cmp_lt_i32 s38, 1
	s_cbranch_scc1 .LBB229_58
; %bb.11:
	v_cmp_gt_u32_e32 vcc_lo, 16, v27
	v_mad_i64_i32 v[12:13], null, s22, v23, 0
	v_mad_i64_i32 v[14:15], null, s22, v22, 0
	v_cndmask_b32_e64 v1, 0, 1, vcc_lo
	v_cmp_gt_u32_e32 vcc_lo, 24, v27
	s_mov_b32 s15, 0
	s_cmp_gt_i32 s13, 0
	v_cmp_ge_i32_e64 s3, s10, v28
	v_lshlrev_b32_e32 v1, 4, v1
	v_cndmask_b32_e64 v2, 0, 1, vcc_lo
	v_cmp_gt_u32_e32 vcc_lo, 28, v27
	v_cmp_ge_i32_e64 s4, s10, v29
	s_cselect_b32 s39, -1, 0
	s_delay_alu instid0(VALU_DEP_3)
	v_dual_mov_b32 v37, 0 :: v_dual_lshlrev_b32 v2, 3, v2
	v_cndmask_b32_e64 v3, 0, 1, vcc_lo
	v_cmp_gt_u32_e32 vcc_lo, 30, v27
	v_cmp_eq_u32_e64 s5, 0, v25
	v_lshlrev_b32_e32 v35, 2, v25
	v_add_lshl_u32 v31, v2, v27, 2
	v_lshlrev_b32_e32 v3, 2, v3
	v_cndmask_b32_e64 v4, 0, 1, vcc_lo
	v_cmp_ne_u32_e32 vcc_lo, 31, v27
	v_dual_mov_b32 v19, v6 :: v_dual_mov_b32 v18, v5
	v_add_lshl_u32 v30, v1, v27, 2
	s_delay_alu instid0(VALU_DEP_4) | instskip(SKIP_3) | instid1(VALU_DEP_4)
	v_lshlrev_b32_e32 v4, 1, v4
	v_mad_i64_i32 v[1:2], null, s22, v9, 0
	v_add_lshl_u32 v32, v3, v27, 2
	v_add_co_ci_u32_e32 v10, vcc_lo, 0, v27, vcc_lo
	v_add_lshl_u32 v33, v4, v27, 2
	v_mad_i64_i32 v[3:4], null, s22, v24, 0
	v_lshlrev_b64 v[1:2], 2, v[1:2]
	s_delay_alu instid0(VALU_DEP_4) | instskip(SKIP_4) | instid1(VALU_DEP_4)
	v_lshlrev_b32_e32 v34, 2, v10
	s_lshl_b64 s[6:7], s[14:15], 2
	v_and_b32_e32 v36, 28, v26
	s_add_u32 s40, s36, s6
	s_addc_u32 s41, s37, s7
	v_lshlrev_b64 v[3:4], 2, v[3:4]
	v_add_co_u32 v10, vcc_lo, s20, v1
	v_add_co_ci_u32_e32 v11, vcc_lo, s21, v2, vcc_lo
	v_lshlrev_b64 v[1:2], 2, v[12:13]
	s_delay_alu instid0(VALU_DEP_4) | instskip(SKIP_2) | instid1(VALU_DEP_4)
	v_add_co_u32 v12, vcc_lo, s20, v3
	v_add_co_ci_u32_e32 v13, vcc_lo, s21, v4, vcc_lo
	v_lshlrev_b64 v[3:4], 2, v[14:15]
	v_add_co_u32 v14, vcc_lo, s20, v1
	v_add_co_ci_u32_e32 v15, vcc_lo, s21, v2, vcc_lo
	s_lshl_b64 s[24:25], s[22:23], 2
	s_delay_alu instid0(VALU_DEP_3) | instskip(NEXT) | instid1(VALU_DEP_4)
	v_add_co_u32 v16, vcc_lo, s20, v3
	v_add_co_ci_u32_e32 v17, vcc_lo, s21, v4, vcc_lo
	s_mul_hi_i32 s42, s16, 12
	s_mul_i32 s43, s16, 12
	s_lshl_b64 s[26:27], s[16:17], 4
	s_lshl_b64 s[28:29], s[16:17], 3
	;; [unrolled: 1-line block ×3, first 2 shown]
                                        ; implicit-def: $vgpr1_vgpr2_vgpr3_vgpr4
	s_branch .LBB229_13
.LBB229_12:                             ;   in Loop: Header=BB229_13 Depth=1
	s_or_b32 exec_lo, exec_lo, s6
	v_add_co_u32 v18, vcc_lo, v18, s26
	v_add_co_ci_u32_e32 v19, vcc_lo, s27, v19, vcc_lo
	s_add_i32 s15, s15, 4
	s_delay_alu instid0(SALU_CYCLE_1)
	s_cmp_ge_i32 s15, s38
	s_cbranch_scc1 .LBB229_59
.LBB229_13:                             ; =>This Loop Header: Depth=1
                                        ;     Child Loop BB229_44 Depth 2
                                        ;     Child Loop BB229_47 Depth 2
                                        ; implicit-def: $vgpr38
                                        ; implicit-def: $vgpr39
                                        ; implicit-def: $vgpr40
                                        ; implicit-def: $vgpr41
	s_and_saveexec_b32 s6, s3
	s_delay_alu instid0(SALU_CYCLE_1)
	s_xor_b32 s6, exec_lo, s6
	s_cbranch_execnz .LBB229_40
; %bb.14:                               ;   in Loop: Header=BB229_13 Depth=1
	s_and_not1_saveexec_b32 s44, s6
	s_cbranch_execnz .LBB229_41
.LBB229_15:                             ;   in Loop: Header=BB229_13 Depth=1
	s_or_b32 exec_lo, exec_lo, s44
	s_and_saveexec_b32 s6, s0
	s_cbranch_execz .LBB229_17
.LBB229_16:                             ;   in Loop: Header=BB229_13 Depth=1
	ds_store_b32 v35, v37
.LBB229_17:                             ;   in Loop: Header=BB229_13 Depth=1
	s_or_b32 exec_lo, exec_lo, s6
	ds_bpermute_b32 v20, v30, v41
	s_waitcnt lgkmcnt(0)
	s_waitcnt_vscnt null, 0x0
	s_barrier
	buffer_gl0_inv
	v_add_f32_e32 v20, v41, v20
	ds_bpermute_b32 v21, v31, v20
	s_waitcnt lgkmcnt(0)
	v_add_f32_e32 v20, v20, v21
	ds_bpermute_b32 v21, v32, v20
	s_waitcnt lgkmcnt(0)
	;; [unrolled: 3-line block ×3, first 2 shown]
	v_add_f32_e32 v20, v20, v21
	ds_bpermute_b32 v21, v34, v20
	s_and_saveexec_b32 s6, s5
	s_cbranch_execz .LBB229_19
; %bb.18:                               ;   in Loop: Header=BB229_13 Depth=1
	s_waitcnt lgkmcnt(0)
	v_add_f32_e32 v20, v20, v21
	ds_store_b32 v36, v20
.LBB229_19:                             ;   in Loop: Header=BB229_13 Depth=1
	s_or_b32 exec_lo, exec_lo, s6
	v_mov_b32_e32 v20, 0
	s_waitcnt lgkmcnt(0)
	s_barrier
	buffer_gl0_inv
	s_and_saveexec_b32 s6, s1
	s_cbranch_execnz .LBB229_49
; %bb.20:                               ;   in Loop: Header=BB229_13 Depth=1
	s_or_b32 exec_lo, exec_lo, s6
	s_and_saveexec_b32 s6, s0
	s_cbranch_execnz .LBB229_50
.LBB229_21:                             ;   in Loop: Header=BB229_13 Depth=1
	s_or_b32 exec_lo, exec_lo, s6
	s_and_saveexec_b32 s6, s0
	s_cbranch_execz .LBB229_23
.LBB229_22:                             ;   in Loop: Header=BB229_13 Depth=1
	ds_store_b32 v35, v37
.LBB229_23:                             ;   in Loop: Header=BB229_13 Depth=1
	s_or_b32 exec_lo, exec_lo, s6
	ds_bpermute_b32 v21, v30, v40
	s_waitcnt lgkmcnt(0)
	s_barrier
	buffer_gl0_inv
	v_add_f32_e32 v21, v40, v21
	ds_bpermute_b32 v40, v31, v21
	s_waitcnt lgkmcnt(0)
	v_add_f32_e32 v21, v21, v40
	ds_bpermute_b32 v40, v32, v21
	s_waitcnt lgkmcnt(0)
	;; [unrolled: 3-line block ×3, first 2 shown]
	v_add_f32_e32 v21, v21, v40
	ds_bpermute_b32 v40, v34, v21
	s_and_saveexec_b32 s6, s5
	s_cbranch_execz .LBB229_25
; %bb.24:                               ;   in Loop: Header=BB229_13 Depth=1
	s_waitcnt lgkmcnt(0)
	v_add_f32_e32 v21, v21, v40
	ds_store_b32 v36, v21
.LBB229_25:                             ;   in Loop: Header=BB229_13 Depth=1
	s_or_b32 exec_lo, exec_lo, s6
	v_mov_b32_e32 v21, 0
	s_waitcnt lgkmcnt(0)
	s_barrier
	buffer_gl0_inv
	s_and_saveexec_b32 s6, s1
	s_cbranch_execnz .LBB229_51
; %bb.26:                               ;   in Loop: Header=BB229_13 Depth=1
	s_or_b32 exec_lo, exec_lo, s6
	s_and_saveexec_b32 s6, s0
	s_cbranch_execnz .LBB229_52
.LBB229_27:                             ;   in Loop: Header=BB229_13 Depth=1
	s_or_b32 exec_lo, exec_lo, s6
	s_and_saveexec_b32 s6, s0
	s_cbranch_execz .LBB229_29
.LBB229_28:                             ;   in Loop: Header=BB229_13 Depth=1
	ds_store_b32 v35, v37
.LBB229_29:                             ;   in Loop: Header=BB229_13 Depth=1
	s_or_b32 exec_lo, exec_lo, s6
	ds_bpermute_b32 v40, v30, v39
	s_waitcnt lgkmcnt(0)
	s_barrier
	buffer_gl0_inv
	v_add_f32_e32 v39, v39, v40
	ds_bpermute_b32 v40, v31, v39
	s_waitcnt lgkmcnt(0)
	v_add_f32_e32 v39, v39, v40
	ds_bpermute_b32 v40, v32, v39
	s_waitcnt lgkmcnt(0)
	;; [unrolled: 3-line block ×3, first 2 shown]
	v_add_f32_e32 v39, v39, v40
	ds_bpermute_b32 v40, v34, v39
	s_and_saveexec_b32 s6, s5
	s_cbranch_execz .LBB229_31
; %bb.30:                               ;   in Loop: Header=BB229_13 Depth=1
	s_waitcnt lgkmcnt(0)
	v_add_f32_e32 v39, v39, v40
	ds_store_b32 v36, v39
.LBB229_31:                             ;   in Loop: Header=BB229_13 Depth=1
	s_or_b32 exec_lo, exec_lo, s6
	v_mov_b32_e32 v39, 0
	s_waitcnt lgkmcnt(0)
	s_barrier
	buffer_gl0_inv
	s_and_saveexec_b32 s6, s1
	s_cbranch_execnz .LBB229_53
; %bb.32:                               ;   in Loop: Header=BB229_13 Depth=1
	s_or_b32 exec_lo, exec_lo, s6
	s_and_saveexec_b32 s6, s0
	s_cbranch_execnz .LBB229_54
.LBB229_33:                             ;   in Loop: Header=BB229_13 Depth=1
	s_or_b32 exec_lo, exec_lo, s6
	s_and_saveexec_b32 s6, s0
	s_cbranch_execz .LBB229_35
.LBB229_34:                             ;   in Loop: Header=BB229_13 Depth=1
	ds_store_b32 v35, v37
.LBB229_35:                             ;   in Loop: Header=BB229_13 Depth=1
	s_or_b32 exec_lo, exec_lo, s6
	ds_bpermute_b32 v40, v30, v38
	s_waitcnt lgkmcnt(0)
	s_barrier
	buffer_gl0_inv
	v_add_f32_e32 v38, v38, v40
	ds_bpermute_b32 v40, v31, v38
	s_waitcnt lgkmcnt(0)
	v_add_f32_e32 v38, v38, v40
	ds_bpermute_b32 v40, v32, v38
	s_waitcnt lgkmcnt(0)
	;; [unrolled: 3-line block ×3, first 2 shown]
	v_add_f32_e32 v38, v38, v40
	ds_bpermute_b32 v40, v34, v38
	s_and_saveexec_b32 s6, s5
	s_cbranch_execz .LBB229_37
; %bb.36:                               ;   in Loop: Header=BB229_13 Depth=1
	s_waitcnt lgkmcnt(0)
	v_add_f32_e32 v38, v38, v40
	ds_store_b32 v36, v38
.LBB229_37:                             ;   in Loop: Header=BB229_13 Depth=1
	s_or_b32 exec_lo, exec_lo, s6
	v_mov_b32_e32 v38, 0
	s_waitcnt lgkmcnt(0)
	s_barrier
	buffer_gl0_inv
	s_and_saveexec_b32 s6, s1
	s_cbranch_execnz .LBB229_55
; %bb.38:                               ;   in Loop: Header=BB229_13 Depth=1
	s_or_b32 exec_lo, exec_lo, s6
	s_and_saveexec_b32 s6, s0
	s_cbranch_execnz .LBB229_56
.LBB229_39:                             ;   in Loop: Header=BB229_13 Depth=1
	s_or_b32 exec_lo, exec_lo, s6
	s_and_saveexec_b32 s6, s2
	s_cbranch_execz .LBB229_12
	s_branch .LBB229_57
.LBB229_40:                             ;   in Loop: Header=BB229_13 Depth=1
	s_mul_i32 s7, s15, s17
	s_mul_hi_u32 s8, s15, s16
	s_delay_alu instid0(SALU_CYCLE_1)
	s_add_i32 s9, s8, s7
	s_mul_i32 s8, s15, s16
	s_or_b32 s7, s15, 1
	s_lshl_b64 s[8:9], s[8:9], 2
	s_mul_i32 s34, s7, s17
	s_mul_hi_u32 s35, s7, s16
	v_add_co_u32 v2, vcc_lo, v5, s8
	v_add_co_ci_u32_e32 v3, vcc_lo, s9, v6, vcc_lo
	s_add_i32 s9, s35, s34
	s_mul_i32 s8, s7, s16
	s_or_b32 s7, s15, 2
	s_lshl_b64 s[8:9], s[8:9], 2
	s_mul_i32 s34, s7, s17
	s_mul_hi_u32 s35, s7, s16
	v_add_co_u32 v20, vcc_lo, v5, s8
	v_add_co_ci_u32_e32 v21, vcc_lo, s9, v6, vcc_lo
	s_add_i32 s9, s35, s34
	s_or_b32 s34, s15, 3
	s_mul_i32 s8, s7, s16
	s_mul_i32 s7, s34, s17
	s_mul_hi_u32 s35, s34, s16
	s_lshl_b64 s[8:9], s[8:9], 2
	s_add_i32 s35, s35, s7
	s_mul_i32 s34, s34, s16
	s_waitcnt lgkmcnt(0)
	v_add_co_u32 v38, vcc_lo, v5, s8
	v_add_co_ci_u32_e32 v39, vcc_lo, s9, v6, vcc_lo
	s_lshl_b64 s[8:9], s[34:35], 2
	s_delay_alu instid0(SALU_CYCLE_1)
	v_add_co_u32 v53, vcc_lo, v5, s8
	v_add_co_ci_u32_e32 v54, vcc_lo, s9, v6, vcc_lo
	flat_load_b32 v1, v[10:11]
	s_clause 0x3
	flat_load_b128 v[41:44], v[2:3]
	flat_load_b128 v[45:48], v[20:21]
	;; [unrolled: 1-line block ×4, first 2 shown]
	s_clause 0x2
	flat_load_b32 v2, v[12:13]
	flat_load_b32 v3, v[14:15]
	;; [unrolled: 1-line block ×3, first 2 shown]
	s_waitcnt vmcnt(6) lgkmcnt(6)
	v_fma_f32 v41, v1, v41, 0
	s_waitcnt vmcnt(5) lgkmcnt(5)
	v_fma_f32 v40, v1, v45, 0
	;; [unrolled: 2-line block ×4, first 2 shown]
	s_waitcnt vmcnt(2) lgkmcnt(2)
	v_fmac_f32_e32 v40, v2, v46
	v_fmac_f32_e32 v41, v2, v42
	s_delay_alu instid0(VALU_DEP_3) | instskip(SKIP_1) | instid1(VALU_DEP_3)
	v_fmac_f32_e32 v38, v2, v54
	s_waitcnt vmcnt(1) lgkmcnt(1)
	v_dual_fmac_f32 v39, v2, v50 :: v_dual_fmac_f32 v40, v3, v47
	s_delay_alu instid0(VALU_DEP_3) | instskip(NEXT) | instid1(VALU_DEP_3)
	v_fmac_f32_e32 v41, v3, v43
	v_fmac_f32_e32 v38, v3, v55
	s_waitcnt vmcnt(0) lgkmcnt(0)
	s_delay_alu instid0(VALU_DEP_3) | instskip(NEXT) | instid1(VALU_DEP_3)
	v_dual_fmac_f32 v39, v3, v51 :: v_dual_fmac_f32 v40, v4, v48
	v_fmac_f32_e32 v41, v4, v44
	s_delay_alu instid0(VALU_DEP_3) | instskip(NEXT) | instid1(VALU_DEP_3)
	v_fmac_f32_e32 v38, v4, v56
	v_fmac_f32_e32 v39, v4, v52
	s_and_not1_saveexec_b32 s44, s6
	s_cbranch_execz .LBB229_15
.LBB229_41:                             ;   in Loop: Header=BB229_13 Depth=1
	s_waitcnt lgkmcnt(0)
	v_dual_mov_b32 v38, 0 :: v_dual_mov_b32 v39, 0
	v_dual_mov_b32 v40, 0 :: v_dual_mov_b32 v41, 0
	s_and_saveexec_b32 s45, s4
	s_cbranch_execz .LBB229_48
; %bb.42:                               ;   in Loop: Header=BB229_13 Depth=1
	s_and_not1_b32 vcc_lo, exec_lo, s39
	s_cbranch_vccnz .LBB229_45
; %bb.43:                               ;   in Loop: Header=BB229_13 Depth=1
	v_dual_mov_b32 v21, v11 :: v_dual_mov_b32 v20, v10
	s_mov_b64 s[34:35], 0
	.p2align	6
.LBB229_44:                             ;   Parent Loop BB229_13 Depth=1
                                        ; =>  This Inner Loop Header: Depth=2
	flat_load_b32 v38, v[20:21]
	v_add_co_u32 v20, vcc_lo, v20, s24
	s_cmp_eq_u32 s34, 3
	v_add_co_ci_u32_e32 v21, vcc_lo, s25, v21, vcc_lo
	s_cselect_b32 vcc_lo, -1, 0
	s_cmp_eq_u32 s34, 2
	s_cselect_b32 s6, -1, 0
	s_cmp_eq_u32 s34, 1
	s_cselect_b32 s7, -1, 0
	;; [unrolled: 2-line block ×3, first 2 shown]
	s_add_u32 s34, s34, 1
	s_addc_u32 s35, s35, 0
	s_cmp_eq_u32 s13, s34
	s_waitcnt vmcnt(0) lgkmcnt(0)
	v_cndmask_b32_e32 v4, v4, v38, vcc_lo
	v_cndmask_b32_e64 v3, v3, v38, s6
	v_cndmask_b32_e64 v2, v2, v38, s7
	;; [unrolled: 1-line block ×3, first 2 shown]
	s_cbranch_scc0 .LBB229_44
.LBB229_45:                             ;   in Loop: Header=BB229_13 Depth=1
	v_dual_mov_b32 v38, 0 :: v_dual_mov_b32 v39, 0
	v_dual_mov_b32 v40, 0 :: v_dual_mov_b32 v41, 0
	s_and_not1_b32 vcc_lo, exec_lo, s39
	s_cbranch_vccnz .LBB229_48
; %bb.46:                               ;   in Loop: Header=BB229_13 Depth=1
	v_dual_mov_b32 v21, v19 :: v_dual_mov_b32 v40, 0
	v_dual_mov_b32 v41, 0 :: v_dual_mov_b32 v20, v18
	;; [unrolled: 1-line block ×3, first 2 shown]
	s_mov_b64 s[8:9], 0
	s_set_inst_prefetch_distance 0x1
	.p2align	6
.LBB229_47:                             ;   Parent Loop BB229_13 Depth=1
                                        ; =>  This Inner Loop Header: Depth=2
	s_delay_alu instid0(VALU_DEP_2)
	v_add_co_u32 v42, vcc_lo, v20, s30
	v_add_co_ci_u32_e32 v43, vcc_lo, s31, v21, vcc_lo
	v_add_co_u32 v44, vcc_lo, v20, s28
	v_add_co_ci_u32_e32 v45, vcc_lo, s29, v21, vcc_lo
	;; [unrolled: 2-line block ×3, first 2 shown]
	s_clause 0x3
	flat_load_b32 v48, v[20:21]
	flat_load_b32 v42, v[42:43]
	flat_load_b32 v43, v[44:45]
	flat_load_b32 v44, v[46:47]
	s_cmp_eq_u32 s8, 1
	v_add_co_u32 v20, s6, v20, 4
	s_cselect_b32 vcc_lo, -1, 0
	s_cmp_eq_u32 s8, 2
	v_cndmask_b32_e32 v45, v1, v2, vcc_lo
	s_cselect_b32 vcc_lo, -1, 0
	s_cmp_eq_u32 s8, 3
	v_add_co_ci_u32_e64 v21, s6, 0, v21, s6
	s_delay_alu instid0(VALU_DEP_2)
	v_cndmask_b32_e32 v45, v45, v3, vcc_lo
	s_cselect_b32 vcc_lo, -1, 0
	s_add_u32 s8, s8, 1
	s_addc_u32 s9, s9, 0
	s_cmp_lg_u32 s13, s8
	v_cndmask_b32_e32 v45, v45, v4, vcc_lo
	s_waitcnt vmcnt(3) lgkmcnt(3)
	s_delay_alu instid0(VALU_DEP_1)
	v_fmac_f32_e32 v41, v45, v48
	s_waitcnt vmcnt(2) lgkmcnt(2)
	v_fmac_f32_e32 v40, v45, v42
	s_waitcnt vmcnt(1) lgkmcnt(1)
	;; [unrolled: 2-line block ×3, first 2 shown]
	v_fmac_f32_e32 v38, v45, v44
	s_cbranch_scc1 .LBB229_47
.LBB229_48:                             ;   in Loop: Header=BB229_13 Depth=1
	s_set_inst_prefetch_distance 0x2
	s_or_b32 exec_lo, exec_lo, s45
	s_delay_alu instid0(SALU_CYCLE_1)
	s_or_b32 exec_lo, exec_lo, s44
	s_and_saveexec_b32 s6, s0
	s_cbranch_execnz .LBB229_16
	s_branch .LBB229_17
.LBB229_49:                             ;   in Loop: Header=BB229_13 Depth=1
	ds_load_b32 v20, v35
	s_or_b32 exec_lo, exec_lo, s6
	s_and_saveexec_b32 s6, s0
	s_cbranch_execz .LBB229_21
.LBB229_50:                             ;   in Loop: Header=BB229_13 Depth=1
	s_waitcnt lgkmcnt(0)
	ds_bpermute_b32 v21, v32, v20
	s_waitcnt lgkmcnt(0)
	v_add_f32_e32 v20, v20, v21
	ds_bpermute_b32 v21, v33, v20
	s_waitcnt lgkmcnt(0)
	v_add_f32_e32 v20, v20, v21
	;; [unrolled: 3-line block ×3, first 2 shown]
	s_or_b32 exec_lo, exec_lo, s6
	s_and_saveexec_b32 s6, s0
	s_cbranch_execnz .LBB229_22
	s_branch .LBB229_23
.LBB229_51:                             ;   in Loop: Header=BB229_13 Depth=1
	ds_load_b32 v21, v35
	s_or_b32 exec_lo, exec_lo, s6
	s_and_saveexec_b32 s6, s0
	s_cbranch_execz .LBB229_27
.LBB229_52:                             ;   in Loop: Header=BB229_13 Depth=1
	s_waitcnt lgkmcnt(0)
	ds_bpermute_b32 v40, v32, v21
	s_waitcnt lgkmcnt(0)
	v_add_f32_e32 v21, v21, v40
	ds_bpermute_b32 v40, v33, v21
	s_waitcnt lgkmcnt(0)
	v_add_f32_e32 v21, v21, v40
	;; [unrolled: 3-line block ×3, first 2 shown]
	s_or_b32 exec_lo, exec_lo, s6
	s_and_saveexec_b32 s6, s0
	s_cbranch_execnz .LBB229_28
	s_branch .LBB229_29
.LBB229_53:                             ;   in Loop: Header=BB229_13 Depth=1
	ds_load_b32 v39, v35
	s_or_b32 exec_lo, exec_lo, s6
	s_and_saveexec_b32 s6, s0
	s_cbranch_execz .LBB229_33
.LBB229_54:                             ;   in Loop: Header=BB229_13 Depth=1
	s_waitcnt lgkmcnt(0)
	ds_bpermute_b32 v40, v32, v39
	s_waitcnt lgkmcnt(0)
	v_add_f32_e32 v39, v39, v40
	ds_bpermute_b32 v40, v33, v39
	s_waitcnt lgkmcnt(0)
	v_add_f32_e32 v39, v39, v40
	;; [unrolled: 3-line block ×3, first 2 shown]
	s_or_b32 exec_lo, exec_lo, s6
	s_and_saveexec_b32 s6, s0
	s_cbranch_execnz .LBB229_34
	s_branch .LBB229_35
.LBB229_55:                             ;   in Loop: Header=BB229_13 Depth=1
	ds_load_b32 v38, v35
	s_or_b32 exec_lo, exec_lo, s6
	s_and_saveexec_b32 s6, s0
	s_cbranch_execz .LBB229_39
.LBB229_56:                             ;   in Loop: Header=BB229_13 Depth=1
	s_waitcnt lgkmcnt(0)
	ds_bpermute_b32 v40, v32, v38
	s_waitcnt lgkmcnt(0)
	v_add_f32_e32 v38, v38, v40
	ds_bpermute_b32 v40, v33, v38
	s_waitcnt lgkmcnt(0)
	v_add_f32_e32 v38, v38, v40
	;; [unrolled: 3-line block ×3, first 2 shown]
	s_or_b32 exec_lo, exec_lo, s6
	s_and_saveexec_b32 s6, s2
	s_cbranch_execz .LBB229_12
.LBB229_57:                             ;   in Loop: Header=BB229_13 Depth=1
	s_mul_hi_u32 s9, s15, s12
	s_mul_i32 s8, s15, s12
	v_dual_mul_f32 v20, s33, v20 :: v_dual_mul_f32 v21, s33, v21
	s_lshl_b64 s[8:9], s[8:9], 2
	s_waitcnt lgkmcnt(0)
	v_mul_f32_e32 v38, s33, v38
	s_add_u32 s8, s40, s8
	s_addc_u32 s9, s41, s9
	s_or_b32 s7, s15, 1
	global_store_b32 v37, v20, s[8:9]
	s_mul_hi_u32 s35, s7, s12
	s_mul_i32 s34, s7, s12
	v_mul_f32_e32 v20, s33, v39
	s_lshl_b64 s[34:35], s[34:35], 2
	s_delay_alu instid0(SALU_CYCLE_1)
	s_add_u32 s34, s40, s34
	s_addc_u32 s35, s41, s35
	s_or_b32 s7, s15, 2
	global_store_b32 v37, v21, s[34:35]
	s_mul_hi_u32 s45, s7, s12
	s_mul_i32 s44, s7, s12
	s_delay_alu instid0(SALU_CYCLE_1) | instskip(NEXT) | instid1(SALU_CYCLE_1)
	s_lshl_b64 s[44:45], s[44:45], 2
	s_add_u32 s8, s40, s44
	s_addc_u32 s9, s41, s45
	s_or_b32 s7, s15, 3
	s_delay_alu instid0(SALU_CYCLE_1) | instskip(SKIP_1) | instid1(SALU_CYCLE_1)
	s_mul_hi_u32 s45, s7, s12
	s_mul_i32 s44, s7, s12
	s_lshl_b64 s[44:45], s[44:45], 2
	s_delay_alu instid0(SALU_CYCLE_1)
	s_add_u32 s34, s40, s44
	s_addc_u32 s35, s41, s45
	s_clause 0x1
	global_store_b32 v37, v20, s[8:9]
	global_store_b32 v37, v38, s[34:35]
	s_branch .LBB229_12
.LBB229_58:
	s_mov_b32 s15, 0
                                        ; implicit-def: $vgpr1_vgpr2_vgpr3_vgpr4
.LBB229_59:
	s_delay_alu instid0(SALU_CYCLE_1)
	s_cmp_ge_i32 s15, s11
	s_cbranch_scc1 .LBB229_83
; %bb.60:
	v_cmp_gt_u32_e32 vcc_lo, 16, v27
	v_cmp_ge_i32_e64 s0, s10, v28
	v_cmp_ge_i32_e64 s1, s10, v29
	v_mad_i64_i32 v[16:17], null, s22, v22, 0
	v_cndmask_b32_e64 v10, 0, 1, vcc_lo
	v_cmp_gt_u32_e32 vcc_lo, 24, v27
	s_cmp_gt_i32 s13, 0
	s_mov_b32 s9, 0
	s_mov_b32 s8, s14
	v_lshlrev_b32_e32 v10, 4, v10
	v_cndmask_b32_e64 v11, 0, 1, vcc_lo
	v_cmp_gt_u32_e32 vcc_lo, 28, v27
	s_cselect_b32 s10, -1, 0
	s_lshl_b64 s[6:7], s[8:9], 2
	v_add_lshl_u32 v20, v10, v27, 2
	v_lshlrev_b32_e32 v11, 3, v11
	v_cndmask_b32_e64 v12, 0, 1, vcc_lo
	v_cmp_gt_u32_e32 vcc_lo, 30, v27
	s_add_u32 s14, s36, s6
	s_addc_u32 s24, s37, s7
	v_add_lshl_u32 v21, v11, v27, 2
	v_lshlrev_b32_e32 v12, 2, v12
	v_cndmask_b32_e64 v13, 0, 1, vcc_lo
	v_cmp_ne_u32_e32 vcc_lo, 31, v27
	v_mad_i64_i32 v[10:11], null, s22, v9, 0
	s_delay_alu instid0(VALU_DEP_4) | instskip(NEXT) | instid1(VALU_DEP_4)
	v_add_lshl_u32 v28, v12, v27, 2
	v_lshlrev_b32_e32 v13, 1, v13
	v_add_co_ci_u32_e32 v14, vcc_lo, 0, v27, vcc_lo
	s_mul_i32 s6, s17, s15
	s_mul_hi_u32 s7, s16, s15
	s_delay_alu instid0(VALU_DEP_2)
	v_add_lshl_u32 v27, v13, v27, 2
	v_mad_i64_i32 v[12:13], null, s22, v24, 0
	v_lshlrev_b32_e32 v29, 2, v14
	v_mad_i64_i32 v[14:15], null, s22, v23, 0
	v_lshlrev_b64 v[9:10], 2, v[10:11]
	s_add_i32 s7, s7, s6
	s_mul_i32 s6, s16, s15
	s_delay_alu instid0(VALU_DEP_4)
	v_lshlrev_b64 v[11:12], 2, v[12:13]
	s_lshl_b64 s[6:7], s[6:7], 2
	v_cmp_gt_u32_e64 s2, 32, v0
	v_add_co_u32 v9, vcc_lo, s20, v9
	v_lshlrev_b64 v[13:14], 2, v[14:15]
	v_add_co_ci_u32_e32 v10, vcc_lo, s21, v10, vcc_lo
	v_add_co_u32 v11, vcc_lo, s20, v11
	v_lshlrev_b64 v[15:16], 2, v[16:17]
	v_add_co_ci_u32_e32 v12, vcc_lo, s21, v12, vcc_lo
	v_add_co_u32 v13, vcc_lo, s20, v13
	v_add_co_ci_u32_e32 v14, vcc_lo, s21, v14, vcc_lo
	s_delay_alu instid0(VALU_DEP_4)
	v_add_co_u32 v15, vcc_lo, s20, v15
	v_add_co_ci_u32_e32 v16, vcc_lo, s21, v16, vcc_lo
	s_lshl_b64 s[20:21], s[22:23], 2
	s_add_u32 s6, s18, s6
	s_addc_u32 s7, s19, s7
	v_add_co_u32 v7, vcc_lo, s6, v7
	v_lshlrev_b32_e32 v19, 2, v25
	v_cmp_eq_u32_e64 s3, 0, v25
	v_and_b32_e32 v25, 28, v26
	v_cmp_gt_u32_e64 s4, 8, v0
	v_cmp_eq_u32_e64 s5, 0, v0
	v_mov_b32_e32 v0, 0
	v_add_co_ci_u32_e32 v8, vcc_lo, s7, v8, vcc_lo
	s_lshl_b64 s[18:19], s[16:17], 2
	s_branch .LBB229_62
.LBB229_61:                             ;   in Loop: Header=BB229_62 Depth=1
	s_or_b32 exec_lo, exec_lo, s6
	v_add_co_u32 v7, vcc_lo, v7, s18
	v_add_co_ci_u32_e32 v8, vcc_lo, s19, v8, vcc_lo
	s_add_i32 s15, s15, 1
	s_delay_alu instid0(SALU_CYCLE_1)
	s_cmp_ge_i32 s15, s11
	s_cbranch_scc1 .LBB229_83
.LBB229_62:                             ; =>This Loop Header: Depth=1
                                        ;     Child Loop BB229_75 Depth 2
                                        ;     Child Loop BB229_78 Depth 2
	v_mov_b32_e32 v22, s9
	s_and_saveexec_b32 s6, s0
	s_delay_alu instid0(SALU_CYCLE_1)
	s_xor_b32 s6, exec_lo, s6
	s_cbranch_execnz .LBB229_71
; %bb.63:                               ;   in Loop: Header=BB229_62 Depth=1
	s_and_not1_saveexec_b32 s25, s6
	s_cbranch_execnz .LBB229_72
.LBB229_64:                             ;   in Loop: Header=BB229_62 Depth=1
	s_or_b32 exec_lo, exec_lo, s25
	s_and_saveexec_b32 s6, s2
	s_cbranch_execz .LBB229_66
.LBB229_65:                             ;   in Loop: Header=BB229_62 Depth=1
	ds_store_b32 v19, v0
.LBB229_66:                             ;   in Loop: Header=BB229_62 Depth=1
	s_or_b32 exec_lo, exec_lo, s6
	s_waitcnt lgkmcnt(0)
	ds_bpermute_b32 v17, v20, v22
	s_waitcnt lgkmcnt(0)
	s_waitcnt_vscnt null, 0x0
	s_barrier
	buffer_gl0_inv
	v_add_f32_e32 v17, v22, v17
	ds_bpermute_b32 v18, v21, v17
	s_waitcnt lgkmcnt(0)
	v_add_f32_e32 v17, v17, v18
	ds_bpermute_b32 v18, v28, v17
	s_waitcnt lgkmcnt(0)
	v_add_f32_e32 v17, v17, v18
	ds_bpermute_b32 v18, v27, v17
	s_waitcnt lgkmcnt(0)
	v_add_f32_e32 v17, v17, v18
	ds_bpermute_b32 v18, v29, v17
	s_and_saveexec_b32 s6, s3
	s_cbranch_execz .LBB229_68
; %bb.67:                               ;   in Loop: Header=BB229_62 Depth=1
	s_waitcnt lgkmcnt(0)
	v_add_f32_e32 v17, v17, v18
	ds_store_b32 v25, v17
.LBB229_68:                             ;   in Loop: Header=BB229_62 Depth=1
	s_or_b32 exec_lo, exec_lo, s6
	v_mov_b32_e32 v17, 0
	s_waitcnt lgkmcnt(0)
	s_barrier
	buffer_gl0_inv
	s_and_saveexec_b32 s6, s4
	s_cbranch_execnz .LBB229_80
; %bb.69:                               ;   in Loop: Header=BB229_62 Depth=1
	s_or_b32 exec_lo, exec_lo, s6
	s_and_saveexec_b32 s6, s2
	s_cbranch_execnz .LBB229_81
.LBB229_70:                             ;   in Loop: Header=BB229_62 Depth=1
	s_or_b32 exec_lo, exec_lo, s6
	s_and_saveexec_b32 s6, s5
	s_cbranch_execz .LBB229_61
	s_branch .LBB229_82
.LBB229_71:                             ;   in Loop: Header=BB229_62 Depth=1
	s_mul_i32 s7, s15, s17
	s_mul_hi_u32 s8, s15, s16
	s_mul_i32 s22, s15, s16
	s_add_i32 s23, s8, s7
	s_delay_alu instid0(SALU_CYCLE_1) | instskip(NEXT) | instid1(SALU_CYCLE_1)
	s_lshl_b64 s[22:23], s[22:23], 2
	v_add_co_u32 v1, vcc_lo, v5, s22
	v_add_co_ci_u32_e32 v2, vcc_lo, s23, v6, vcc_lo
	flat_load_b128 v[30:33], v[1:2]
	s_clause 0x3
	flat_load_b32 v1, v[9:10]
	flat_load_b32 v2, v[11:12]
	;; [unrolled: 1-line block ×4, first 2 shown]
	s_waitcnt vmcnt(3) lgkmcnt(3)
	v_fma_f32 v22, v1, v30, 0
	s_waitcnt vmcnt(2) lgkmcnt(2)
	s_delay_alu instid0(VALU_DEP_1) | instskip(SKIP_1) | instid1(VALU_DEP_1)
	v_fmac_f32_e32 v22, v2, v31
	s_waitcnt vmcnt(1) lgkmcnt(1)
	v_fmac_f32_e32 v22, v3, v32
	s_waitcnt vmcnt(0) lgkmcnt(0)
	s_delay_alu instid0(VALU_DEP_1)
	v_fmac_f32_e32 v22, v4, v33
	s_and_not1_saveexec_b32 s25, s6
	s_cbranch_execz .LBB229_64
.LBB229_72:                             ;   in Loop: Header=BB229_62 Depth=1
	s_and_saveexec_b32 s26, s1
	s_cbranch_execz .LBB229_79
; %bb.73:                               ;   in Loop: Header=BB229_62 Depth=1
	s_and_not1_b32 vcc_lo, exec_lo, s10
	s_cbranch_vccnz .LBB229_76
; %bb.74:                               ;   in Loop: Header=BB229_62 Depth=1
	s_waitcnt lgkmcnt(0)
	v_dual_mov_b32 v18, v10 :: v_dual_mov_b32 v17, v9
	s_mov_b64 s[22:23], 0
	.p2align	6
.LBB229_75:                             ;   Parent Loop BB229_62 Depth=1
                                        ; =>  This Inner Loop Header: Depth=2
	flat_load_b32 v23, v[17:18]
	v_add_co_u32 v17, vcc_lo, v17, s20
	s_cmp_eq_u32 s22, 3
	v_add_co_ci_u32_e32 v18, vcc_lo, s21, v18, vcc_lo
	s_cselect_b32 vcc_lo, -1, 0
	s_cmp_eq_u32 s22, 2
	s_cselect_b32 s6, -1, 0
	s_cmp_eq_u32 s22, 1
	s_cselect_b32 s7, -1, 0
	;; [unrolled: 2-line block ×3, first 2 shown]
	s_add_u32 s22, s22, 1
	s_addc_u32 s23, s23, 0
	s_cmp_eq_u32 s13, s22
	s_waitcnt vmcnt(0) lgkmcnt(0)
	v_cndmask_b32_e32 v4, v4, v23, vcc_lo
	v_cndmask_b32_e64 v3, v3, v23, s6
	v_cndmask_b32_e64 v2, v2, v23, s7
	v_cndmask_b32_e64 v1, v1, v23, s8
	s_cbranch_scc0 .LBB229_75
.LBB229_76:                             ;   in Loop: Header=BB229_62 Depth=1
	s_and_not1_b32 vcc_lo, exec_lo, s10
	s_cbranch_vccnz .LBB229_79
; %bb.77:                               ;   in Loop: Header=BB229_62 Depth=1
	s_waitcnt lgkmcnt(0)
	v_dual_mov_b32 v18, v8 :: v_dual_mov_b32 v17, v7
	s_mov_b64 s[6:7], 0
	.p2align	6
.LBB229_78:                             ;   Parent Loop BB229_62 Depth=1
                                        ; =>  This Inner Loop Header: Depth=2
	flat_load_b32 v23, v[17:18]
	s_cmp_eq_u32 s6, 1
	s_cselect_b32 vcc_lo, -1, 0
	s_cmp_eq_u32 s6, 2
	v_cndmask_b32_e32 v24, v1, v2, vcc_lo
	s_cselect_b32 vcc_lo, -1, 0
	s_cmp_eq_u32 s6, 3
	s_delay_alu instid0(VALU_DEP_1)
	v_cndmask_b32_e32 v24, v24, v3, vcc_lo
	s_cselect_b32 vcc_lo, -1, 0
	s_add_u32 s6, s6, 1
	s_addc_u32 s7, s7, 0
	s_cmp_lg_u32 s13, s6
	v_cndmask_b32_e32 v24, v24, v4, vcc_lo
	v_add_co_u32 v17, vcc_lo, v17, 4
	v_add_co_ci_u32_e32 v18, vcc_lo, 0, v18, vcc_lo
	s_waitcnt vmcnt(0) lgkmcnt(0)
	s_delay_alu instid0(VALU_DEP_3)
	v_fmac_f32_e32 v22, v24, v23
	s_cbranch_scc1 .LBB229_78
.LBB229_79:                             ;   in Loop: Header=BB229_62 Depth=1
	s_or_b32 exec_lo, exec_lo, s26
	s_delay_alu instid0(SALU_CYCLE_1)
	s_or_b32 exec_lo, exec_lo, s25
	s_and_saveexec_b32 s6, s2
	s_cbranch_execnz .LBB229_65
	s_branch .LBB229_66
.LBB229_80:                             ;   in Loop: Header=BB229_62 Depth=1
	ds_load_b32 v17, v19
	s_or_b32 exec_lo, exec_lo, s6
	s_and_saveexec_b32 s6, s2
	s_cbranch_execz .LBB229_70
.LBB229_81:                             ;   in Loop: Header=BB229_62 Depth=1
	s_waitcnt lgkmcnt(0)
	ds_bpermute_b32 v18, v28, v17
	s_waitcnt lgkmcnt(0)
	v_add_f32_e32 v17, v17, v18
	ds_bpermute_b32 v18, v27, v17
	s_waitcnt lgkmcnt(0)
	v_add_f32_e32 v17, v17, v18
	;; [unrolled: 3-line block ×3, first 2 shown]
	s_or_b32 exec_lo, exec_lo, s6
	s_and_saveexec_b32 s6, s5
	s_cbranch_execz .LBB229_61
.LBB229_82:                             ;   in Loop: Header=BB229_62 Depth=1
	s_mul_hi_u32 s23, s15, s12
	s_mul_i32 s22, s15, s12
	s_waitcnt lgkmcnt(0)
	v_mul_f32_e32 v17, s33, v17
	s_lshl_b64 s[22:23], s[22:23], 2
	s_delay_alu instid0(SALU_CYCLE_1)
	s_add_u32 s22, s14, s22
	s_addc_u32 s23, s24, s23
	global_store_b32 v0, v17, s[22:23]
	s_branch .LBB229_61
.LBB229_83:
	s_nop 0
	s_sendmsg sendmsg(MSG_DEALLOC_VGPRS)
	s_endpgm
	.section	.rodata,"a",@progbits
	.p2align	6, 0x0
	.amdhsa_kernel _ZL23rocblas_gemvt_sn_kernelILb1ELi256ELi4ElPKfS1_fEviiT4_lPKT3_lilS5_lilPT5_i
		.amdhsa_group_segment_fixed_size 128
		.amdhsa_private_segment_fixed_size 0
		.amdhsa_kernarg_size 360
		.amdhsa_user_sgpr_count 14
		.amdhsa_user_sgpr_dispatch_ptr 0
		.amdhsa_user_sgpr_queue_ptr 0
		.amdhsa_user_sgpr_kernarg_segment_ptr 1
		.amdhsa_user_sgpr_dispatch_id 0
		.amdhsa_user_sgpr_private_segment_size 0
		.amdhsa_wavefront_size32 1
		.amdhsa_uses_dynamic_stack 0
		.amdhsa_enable_private_segment 0
		.amdhsa_system_sgpr_workgroup_id_x 1
		.amdhsa_system_sgpr_workgroup_id_y 0
		.amdhsa_system_sgpr_workgroup_id_z 1
		.amdhsa_system_sgpr_workgroup_info 0
		.amdhsa_system_vgpr_workitem_id 0
		.amdhsa_next_free_vgpr 57
		.amdhsa_next_free_sgpr 46
		.amdhsa_reserve_vcc 1
		.amdhsa_float_round_mode_32 0
		.amdhsa_float_round_mode_16_64 0
		.amdhsa_float_denorm_mode_32 3
		.amdhsa_float_denorm_mode_16_64 3
		.amdhsa_dx10_clamp 1
		.amdhsa_ieee_mode 1
		.amdhsa_fp16_overflow 0
		.amdhsa_workgroup_processor_mode 1
		.amdhsa_memory_ordered 1
		.amdhsa_forward_progress 0
		.amdhsa_shared_vgpr_count 0
		.amdhsa_exception_fp_ieee_invalid_op 0
		.amdhsa_exception_fp_denorm_src 0
		.amdhsa_exception_fp_ieee_div_zero 0
		.amdhsa_exception_fp_ieee_overflow 0
		.amdhsa_exception_fp_ieee_underflow 0
		.amdhsa_exception_fp_ieee_inexact 0
		.amdhsa_exception_int_div_zero 0
	.end_amdhsa_kernel
	.section	.text._ZL23rocblas_gemvt_sn_kernelILb1ELi256ELi4ElPKfS1_fEviiT4_lPKT3_lilS5_lilPT5_i,"axG",@progbits,_ZL23rocblas_gemvt_sn_kernelILb1ELi256ELi4ElPKfS1_fEviiT4_lPKT3_lilS5_lilPT5_i,comdat
.Lfunc_end229:
	.size	_ZL23rocblas_gemvt_sn_kernelILb1ELi256ELi4ElPKfS1_fEviiT4_lPKT3_lilS5_lilPT5_i, .Lfunc_end229-_ZL23rocblas_gemvt_sn_kernelILb1ELi256ELi4ElPKfS1_fEviiT4_lPKT3_lilS5_lilPT5_i
                                        ; -- End function
	.section	.AMDGPU.csdata,"",@progbits
; Kernel info:
; codeLenInByte = 4168
; NumSgprs: 48
; NumVgprs: 57
; ScratchSize: 0
; MemoryBound: 0
; FloatMode: 240
; IeeeMode: 1
; LDSByteSize: 128 bytes/workgroup (compile time only)
; SGPRBlocks: 5
; VGPRBlocks: 7
; NumSGPRsForWavesPerEU: 48
; NumVGPRsForWavesPerEU: 57
; Occupancy: 16
; WaveLimiterHint : 0
; COMPUTE_PGM_RSRC2:SCRATCH_EN: 0
; COMPUTE_PGM_RSRC2:USER_SGPR: 14
; COMPUTE_PGM_RSRC2:TRAP_HANDLER: 0
; COMPUTE_PGM_RSRC2:TGID_X_EN: 1
; COMPUTE_PGM_RSRC2:TGID_Y_EN: 0
; COMPUTE_PGM_RSRC2:TGID_Z_EN: 1
; COMPUTE_PGM_RSRC2:TIDIG_COMP_CNT: 0
	.section	.text._ZL23rocblas_gemvt_sn_kernelILb1ELi256ELi4EiPKfffEviiT4_lPKT3_lilS5_lilPT5_i,"axG",@progbits,_ZL23rocblas_gemvt_sn_kernelILb1ELi256ELi4EiPKfffEviiT4_lPKT3_lilS5_lilPT5_i,comdat
	.globl	_ZL23rocblas_gemvt_sn_kernelILb1ELi256ELi4EiPKfffEviiT4_lPKT3_lilS5_lilPT5_i ; -- Begin function _ZL23rocblas_gemvt_sn_kernelILb1ELi256ELi4EiPKfffEviiT4_lPKT3_lilS5_lilPT5_i
	.p2align	8
	.type	_ZL23rocblas_gemvt_sn_kernelILb1ELi256ELi4EiPKfffEviiT4_lPKT3_lilS5_lilPT5_i,@function
_ZL23rocblas_gemvt_sn_kernelILb1ELi256ELi4EiPKfffEviiT4_lPKT3_lilS5_lilPT5_i: ; @_ZL23rocblas_gemvt_sn_kernelILb1ELi256ELi4EiPKfffEviiT4_lPKT3_lilS5_lilPT5_i
; %bb.0:
	s_load_b128 s[16:19], s[0:1], 0x0
	s_mov_b32 s4, s15
	s_mov_b32 s5, 0
	s_waitcnt lgkmcnt(0)
	v_cmp_neq_f32_e64 s7, s18, 0
	v_cmp_eq_f32_e64 s6, s18, 0
	s_delay_alu instid0(VALU_DEP_2)
	s_and_b32 vcc_lo, exec_lo, s7
	s_cbranch_vccnz .LBB230_2
; %bb.1:
	s_mov_b64 s[2:3], 0
	s_and_not1_b32 vcc_lo, exec_lo, s5
	s_cbranch_vccz .LBB230_3
	s_branch .LBB230_4
.LBB230_2:
	s_mov_b32 s5, -1
                                        ; implicit-def: $sgpr2_sgpr3
.LBB230_3:
	s_load_b128 s[8:11], s[0:1], 0x18
	s_mov_b32 s5, 0
	s_delay_alu instid0(SALU_CYCLE_1)
	s_lshl_b64 s[2:3], s[4:5], 3
	s_waitcnt lgkmcnt(0)
	s_add_u32 s2, s8, s2
	s_addc_u32 s3, s9, s3
	s_lshl_b64 s[8:9], s[10:11], 2
	s_load_b64 s[2:3], s[2:3], 0x0
	s_waitcnt lgkmcnt(0)
	s_add_u32 s2, s2, s8
	s_addc_u32 s3, s3, s9
.LBB230_4:
	s_and_not1_b32 vcc_lo, exec_lo, s7
	s_cbranch_vccnz .LBB230_6
; %bb.5:
	s_load_b128 s[8:11], s[0:1], 0x38
	s_lshl_b64 s[12:13], s[4:5], 3
	s_waitcnt lgkmcnt(0)
	s_add_u32 s8, s8, s12
	s_addc_u32 s9, s9, s13
	s_lshl_b64 s[10:11], s[10:11], 2
	s_load_b64 s[8:9], s[8:9], 0x0
	s_waitcnt lgkmcnt(0)
	s_add_u32 s10, s8, s10
	s_addc_u32 s11, s9, s11
	s_branch .LBB230_7
.LBB230_6:
	s_mov_b64 s[10:11], 0
.LBB230_7:
	s_clause 0x1
	s_load_b32 s12, s[0:1], 0x68
	s_load_b64 s[20:21], s[0:1], 0x58
	s_ashr_i32 s8, s17, 31
	s_mul_hi_u32 s7, s4, s17
	s_mul_i32 s9, s4, s8
	s_mul_i32 s5, s5, s17
	s_add_i32 s7, s7, s9
	s_mul_i32 s4, s4, s17
	s_add_i32 s5, s7, s5
	s_mov_b32 s13, 0
	s_waitcnt lgkmcnt(0)
	s_mul_i32 s5, s5, s12
	s_mul_hi_u32 s7, s4, s12
	s_mul_i32 s4, s4, s12
	s_add_i32 s5, s7, s5
	s_delay_alu instid0(SALU_CYCLE_1) | instskip(NEXT) | instid1(SALU_CYCLE_1)
	s_lshl_b64 s[4:5], s[4:5], 2
	s_add_u32 s30, s20, s4
	s_addc_u32 s31, s21, s5
	s_and_not1_b32 vcc_lo, exec_lo, s6
	s_mov_b32 s4, -1
	s_cbranch_vccnz .LBB230_12
; %bb.8:
	v_cmp_eq_u32_e32 vcc_lo, 0, v0
	s_cmp_gt_i32 s17, 0
	s_cselect_b32 s4, -1, 0
	s_delay_alu instid0(SALU_CYCLE_1) | instskip(NEXT) | instid1(SALU_CYCLE_1)
	s_and_b32 s4, vcc_lo, s4
	s_and_saveexec_b32 s9, s4
	s_cbranch_execz .LBB230_11
; %bb.9:
	s_mov_b32 s15, 0
	v_mov_b32_e32 v1, 0
	s_lshl_b64 s[4:5], s[14:15], 2
	s_delay_alu instid0(SALU_CYCLE_1)
	s_add_u32 s4, s30, s4
	s_addc_u32 s5, s31, s5
	s_lshl_b64 s[6:7], s[12:13], 2
	s_mov_b32 s13, s17
.LBB230_10:                             ; =>This Inner Loop Header: Depth=1
	s_delay_alu instid0(SALU_CYCLE_1)
	s_add_i32 s13, s13, -1
	global_store_b32 v1, v1, s[4:5]
	s_add_u32 s4, s4, s6
	s_addc_u32 s5, s5, s7
	s_cmp_eq_u32 s13, 0
	s_cbranch_scc0 .LBB230_10
.LBB230_11:
	s_or_b32 exec_lo, exec_lo, s9
	s_mov_b32 s4, 0
.LBB230_12:
	s_delay_alu instid0(SALU_CYCLE_1)
	s_and_not1_b32 vcc_lo, exec_lo, s4
	s_cbranch_vccnz .LBB230_86
; %bb.13:
	s_clause 0x1
	s_load_b32 s20, s[0:1], 0x28
	s_load_b32 s13, s[0:1], 0x48
	s_lshl_b32 s4, s14, 10
	s_ashr_i32 s0, s16, 31
	v_lshl_or_b32 v1, v0, 2, s4
	s_lshr_b32 s0, s0, 30
	s_lshr_b32 s1, s8, 30
	s_add_i32 s0, s16, s0
	s_add_i32 s1, s17, s1
	v_ashrrev_i32_e32 v2, 31, v1
	s_and_b32 s0, s0, -4
	s_and_b32 s15, s1, -4
	s_sub_i32 s19, s16, s0
	v_add_nc_u32_e32 v22, 4, v1
	v_lshlrev_b64 v[2:3], 2, v[1:2]
	v_add_nc_u32_e32 v23, s19, v1
	v_and_b32_e32 v19, 31, v0
	v_cmp_gt_u32_e64 s0, 32, v0
	v_mbcnt_lo_u32_b32 v21, -1, 0
	v_cmp_gt_u32_e64 s1, 8, v0
	v_add_co_u32 v17, vcc_lo, s2, v2
	s_waitcnt lgkmcnt(0)
	v_mul_lo_u32 v5, v1, s13
	v_add_co_ci_u32_e32 v18, vcc_lo, s3, v3, vcc_lo
	v_lshrrev_b32_e32 v20, 3, v0
	v_cmp_eq_u32_e64 s2, 0, v0
	s_cmp_lt_i32 s15, 1
	s_cbranch_scc1 .LBB230_61
; %bb.14:
	v_cmp_gt_u32_e32 vcc_lo, 16, v21
	v_mul_lo_u32 v6, v1, s13
	s_cmp_gt_i32 s19, 0
	s_mov_b32 s9, 0
	v_cmp_ge_i32_e64 s3, s16, v22
	v_cndmask_b32_e64 v2, 0, 1, vcc_lo
	v_cmp_gt_u32_e32 vcc_lo, 24, v21
	v_cmp_ge_i32_e64 s4, s16, v23
	v_cmp_eq_u32_e64 s5, 0, v19
	v_lshlrev_b32_e32 v29, 2, v19
	v_dual_mov_b32 v31, 0 :: v_dual_lshlrev_b32 v2, 4, v2
	v_cndmask_b32_e64 v3, 0, 1, vcc_lo
	v_cmp_gt_u32_e32 vcc_lo, 28, v21
	v_and_b32_e32 v30, 28, v20
	s_delay_alu instid0(VALU_DEP_4)
	v_add_lshl_u32 v24, v2, v21, 2
	s_cselect_b32 s33, -1, 0
	v_lshlrev_b32_e32 v2, 3, v3
	v_cndmask_b32_e64 v4, 0, 1, vcc_lo
	v_cmp_gt_u32_e32 vcc_lo, 30, v21
	s_mov_b32 s21, s9
	s_lshl_b32 s8, s20, 1
	v_add_lshl_u32 v25, v2, v21, 2
	v_lshlrev_b32_e32 v1, 2, v4
	v_cndmask_b32_e64 v7, 0, 1, vcc_lo
	v_cmp_ne_u32_e32 vcc_lo, 31, v21
	s_lshl_b32 s34, s20, 2
	s_mul_i32 s35, s20, 3
	v_add_lshl_u32 v26, v1, v21, 2
	v_lshlrev_b32_e32 v3, 1, v7
	v_add_nc_u32_e32 v1, s13, v6
	v_ashrrev_i32_e32 v7, 31, v6
	v_add_co_ci_u32_e32 v4, vcc_lo, 0, v21, vcc_lo
	s_delay_alu instid0(VALU_DEP_4) | instskip(NEXT) | instid1(VALU_DEP_4)
	v_add_lshl_u32 v27, v3, v21, 2
	v_add_nc_u32_e32 v3, s13, v1
	v_ashrrev_i32_e32 v2, 31, v1
	v_lshlrev_b64 v[7:8], 2, v[6:7]
	v_lshlrev_b32_e32 v28, 2, v4
	s_mov_b32 s36, s9
	v_add_nc_u32_e32 v11, s13, v3
	v_lshlrev_b64 v[1:2], 2, v[1:2]
	v_ashrrev_i32_e32 v4, 31, v3
	v_add_co_u32 v7, vcc_lo, s10, v7
	s_delay_alu instid0(VALU_DEP_4) | instskip(SKIP_1) | instid1(VALU_DEP_4)
	v_ashrrev_i32_e32 v12, 31, v11
	v_add_co_ci_u32_e32 v8, vcc_lo, s11, v8, vcc_lo
	v_lshlrev_b64 v[3:4], 2, v[3:4]
	v_add_co_u32 v9, vcc_lo, s10, v1
	v_add_co_ci_u32_e32 v10, vcc_lo, s11, v2, vcc_lo
	v_lshlrev_b64 v[1:2], 2, v[11:12]
	s_delay_alu instid0(VALU_DEP_4) | instskip(SKIP_2) | instid1(VALU_DEP_3)
	v_add_co_u32 v11, vcc_lo, s10, v3
	v_add_co_ci_u32_e32 v12, vcc_lo, s11, v4, vcc_lo
	s_mov_b32 s22, s9
	v_add_co_u32 v13, vcc_lo, s10, v1
	s_delay_alu instid0(VALU_DEP_4)
	v_add_co_ci_u32_e32 v14, vcc_lo, s11, v2, vcc_lo
	s_mov_b64 s[24:25], s[8:9]
	s_mov_b64 s[26:27], s[20:21]
	s_mov_b32 s21, 0
                                        ; implicit-def: $vgpr1_vgpr2_vgpr3_vgpr4
	s_branch .LBB230_16
.LBB230_15:                             ;   in Loop: Header=BB230_16 Depth=1
	s_or_b32 exec_lo, exec_lo, s6
	s_add_i32 s21, s21, 4
	s_add_u32 s26, s26, s34
	s_addc_u32 s27, s27, 0
	s_add_u32 s24, s24, s34
	s_addc_u32 s25, s25, 0
	;; [unrolled: 2-line block ×3, first 2 shown]
	s_add_i32 s22, s22, s34
	s_cmp_ge_i32 s21, s15
	s_cbranch_scc1 .LBB230_62
.LBB230_16:                             ; =>This Loop Header: Depth=1
                                        ;     Child Loop BB230_47 Depth 2
                                        ;     Child Loop BB230_50 Depth 2
                                        ; implicit-def: $vgpr32
                                        ; implicit-def: $vgpr33
                                        ; implicit-def: $vgpr34
                                        ; implicit-def: $vgpr35
	s_and_saveexec_b32 s6, s3
	s_delay_alu instid0(SALU_CYCLE_1)
	s_xor_b32 s6, exec_lo, s6
	s_cbranch_execnz .LBB230_43
; %bb.17:                               ;   in Loop: Header=BB230_16 Depth=1
	s_and_not1_saveexec_b32 s37, s6
	s_cbranch_execnz .LBB230_44
.LBB230_18:                             ;   in Loop: Header=BB230_16 Depth=1
	s_or_b32 exec_lo, exec_lo, s37
	s_and_saveexec_b32 s6, s0
	s_cbranch_execz .LBB230_20
.LBB230_19:                             ;   in Loop: Header=BB230_16 Depth=1
	ds_store_b32 v29, v31
.LBB230_20:                             ;   in Loop: Header=BB230_16 Depth=1
	s_or_b32 exec_lo, exec_lo, s6
	ds_bpermute_b32 v15, v24, v35
	s_waitcnt lgkmcnt(0)
	s_waitcnt_vscnt null, 0x0
	s_barrier
	buffer_gl0_inv
	v_add_f32_e32 v15, v35, v15
	ds_bpermute_b32 v16, v25, v15
	s_waitcnt lgkmcnt(0)
	v_add_f32_e32 v15, v15, v16
	ds_bpermute_b32 v16, v26, v15
	s_waitcnt lgkmcnt(0)
	;; [unrolled: 3-line block ×3, first 2 shown]
	v_add_f32_e32 v15, v15, v16
	ds_bpermute_b32 v16, v28, v15
	s_and_saveexec_b32 s6, s5
	s_cbranch_execz .LBB230_22
; %bb.21:                               ;   in Loop: Header=BB230_16 Depth=1
	s_waitcnt lgkmcnt(0)
	v_add_f32_e32 v15, v15, v16
	ds_store_b32 v30, v15
.LBB230_22:                             ;   in Loop: Header=BB230_16 Depth=1
	s_or_b32 exec_lo, exec_lo, s6
	v_mov_b32_e32 v15, 0
	s_waitcnt lgkmcnt(0)
	s_barrier
	buffer_gl0_inv
	s_and_saveexec_b32 s6, s1
	s_cbranch_execnz .LBB230_52
; %bb.23:                               ;   in Loop: Header=BB230_16 Depth=1
	s_or_b32 exec_lo, exec_lo, s6
	s_and_saveexec_b32 s6, s0
	s_cbranch_execnz .LBB230_53
.LBB230_24:                             ;   in Loop: Header=BB230_16 Depth=1
	s_or_b32 exec_lo, exec_lo, s6
	s_and_saveexec_b32 s6, s0
	s_cbranch_execz .LBB230_26
.LBB230_25:                             ;   in Loop: Header=BB230_16 Depth=1
	ds_store_b32 v29, v31
.LBB230_26:                             ;   in Loop: Header=BB230_16 Depth=1
	s_or_b32 exec_lo, exec_lo, s6
	ds_bpermute_b32 v16, v24, v34
	s_waitcnt lgkmcnt(0)
	s_barrier
	buffer_gl0_inv
	v_add_f32_e32 v16, v34, v16
	ds_bpermute_b32 v34, v25, v16
	s_waitcnt lgkmcnt(0)
	v_add_f32_e32 v16, v16, v34
	ds_bpermute_b32 v34, v26, v16
	s_waitcnt lgkmcnt(0)
	;; [unrolled: 3-line block ×3, first 2 shown]
	v_add_f32_e32 v16, v16, v34
	ds_bpermute_b32 v34, v28, v16
	s_and_saveexec_b32 s6, s5
	s_cbranch_execz .LBB230_28
; %bb.27:                               ;   in Loop: Header=BB230_16 Depth=1
	s_waitcnt lgkmcnt(0)
	v_add_f32_e32 v16, v16, v34
	ds_store_b32 v30, v16
.LBB230_28:                             ;   in Loop: Header=BB230_16 Depth=1
	s_or_b32 exec_lo, exec_lo, s6
	v_mov_b32_e32 v16, 0
	s_waitcnt lgkmcnt(0)
	s_barrier
	buffer_gl0_inv
	s_and_saveexec_b32 s6, s1
	s_cbranch_execnz .LBB230_54
; %bb.29:                               ;   in Loop: Header=BB230_16 Depth=1
	s_or_b32 exec_lo, exec_lo, s6
	s_and_saveexec_b32 s6, s0
	s_cbranch_execnz .LBB230_55
.LBB230_30:                             ;   in Loop: Header=BB230_16 Depth=1
	s_or_b32 exec_lo, exec_lo, s6
	s_and_saveexec_b32 s6, s0
	s_cbranch_execz .LBB230_32
.LBB230_31:                             ;   in Loop: Header=BB230_16 Depth=1
	ds_store_b32 v29, v31
.LBB230_32:                             ;   in Loop: Header=BB230_16 Depth=1
	s_or_b32 exec_lo, exec_lo, s6
	ds_bpermute_b32 v34, v24, v33
	s_waitcnt lgkmcnt(0)
	s_barrier
	buffer_gl0_inv
	v_add_f32_e32 v33, v33, v34
	ds_bpermute_b32 v34, v25, v33
	s_waitcnt lgkmcnt(0)
	v_add_f32_e32 v33, v33, v34
	ds_bpermute_b32 v34, v26, v33
	s_waitcnt lgkmcnt(0)
	;; [unrolled: 3-line block ×3, first 2 shown]
	v_add_f32_e32 v33, v33, v34
	ds_bpermute_b32 v34, v28, v33
	s_and_saveexec_b32 s6, s5
	s_cbranch_execz .LBB230_34
; %bb.33:                               ;   in Loop: Header=BB230_16 Depth=1
	s_waitcnt lgkmcnt(0)
	v_add_f32_e32 v33, v33, v34
	ds_store_b32 v30, v33
.LBB230_34:                             ;   in Loop: Header=BB230_16 Depth=1
	s_or_b32 exec_lo, exec_lo, s6
	v_mov_b32_e32 v33, 0
	s_waitcnt lgkmcnt(0)
	s_barrier
	buffer_gl0_inv
	s_and_saveexec_b32 s6, s1
	s_cbranch_execnz .LBB230_56
; %bb.35:                               ;   in Loop: Header=BB230_16 Depth=1
	s_or_b32 exec_lo, exec_lo, s6
	s_and_saveexec_b32 s6, s0
	s_cbranch_execnz .LBB230_57
.LBB230_36:                             ;   in Loop: Header=BB230_16 Depth=1
	s_or_b32 exec_lo, exec_lo, s6
	s_and_saveexec_b32 s6, s0
	s_cbranch_execz .LBB230_38
.LBB230_37:                             ;   in Loop: Header=BB230_16 Depth=1
	ds_store_b32 v29, v31
.LBB230_38:                             ;   in Loop: Header=BB230_16 Depth=1
	s_or_b32 exec_lo, exec_lo, s6
	ds_bpermute_b32 v34, v24, v32
	s_waitcnt lgkmcnt(0)
	s_barrier
	buffer_gl0_inv
	v_add_f32_e32 v32, v32, v34
	ds_bpermute_b32 v34, v25, v32
	s_waitcnt lgkmcnt(0)
	v_add_f32_e32 v32, v32, v34
	ds_bpermute_b32 v34, v26, v32
	s_waitcnt lgkmcnt(0)
	;; [unrolled: 3-line block ×3, first 2 shown]
	v_add_f32_e32 v32, v32, v34
	ds_bpermute_b32 v34, v28, v32
	s_and_saveexec_b32 s6, s5
	s_cbranch_execz .LBB230_40
; %bb.39:                               ;   in Loop: Header=BB230_16 Depth=1
	s_waitcnt lgkmcnt(0)
	v_add_f32_e32 v32, v32, v34
	ds_store_b32 v30, v32
.LBB230_40:                             ;   in Loop: Header=BB230_16 Depth=1
	s_or_b32 exec_lo, exec_lo, s6
	v_mov_b32_e32 v32, 0
	s_waitcnt lgkmcnt(0)
	s_barrier
	buffer_gl0_inv
	s_and_saveexec_b32 s6, s1
	s_cbranch_execnz .LBB230_58
; %bb.41:                               ;   in Loop: Header=BB230_16 Depth=1
	s_or_b32 exec_lo, exec_lo, s6
	s_and_saveexec_b32 s6, s0
	s_cbranch_execnz .LBB230_59
.LBB230_42:                             ;   in Loop: Header=BB230_16 Depth=1
	s_or_b32 exec_lo, exec_lo, s6
	s_and_saveexec_b32 s6, s2
	s_cbranch_execz .LBB230_15
	s_branch .LBB230_60
.LBB230_43:                             ;   in Loop: Header=BB230_16 Depth=1
	s_mul_i32 s28, s21, s20
	s_delay_alu instid0(SALU_CYCLE_1)
	s_ashr_i32 s29, s28, 31
	s_add_i32 s38, s28, s20
	s_lshl_b64 s[28:29], s[28:29], 2
	s_ashr_i32 s39, s38, 31
	v_add_co_u32 v2, vcc_lo, v17, s28
	v_add_co_ci_u32_e32 v3, vcc_lo, s29, v18, vcc_lo
	s_lshl_b64 s[28:29], s[38:39], 2
	s_add_i32 s38, s38, s20
	v_add_co_u32 v15, vcc_lo, v17, s28
	s_ashr_i32 s39, s38, 31
	s_add_i32 s28, s38, s20
	s_lshl_b64 s[38:39], s[38:39], 2
	v_add_co_ci_u32_e32 v16, vcc_lo, s29, v18, vcc_lo
	s_ashr_i32 s29, s28, 31
	s_waitcnt lgkmcnt(0)
	v_add_co_u32 v32, vcc_lo, v17, s38
	s_lshl_b64 s[28:29], s[28:29], 2
	v_add_co_ci_u32_e32 v33, vcc_lo, s39, v18, vcc_lo
	v_add_co_u32 v47, vcc_lo, v17, s28
	v_add_co_ci_u32_e32 v48, vcc_lo, s29, v18, vcc_lo
	flat_load_b32 v1, v[7:8]
	s_clause 0x3
	flat_load_b128 v[35:38], v[2:3]
	flat_load_b128 v[39:42], v[15:16]
	;; [unrolled: 1-line block ×4, first 2 shown]
	s_clause 0x2
	flat_load_b32 v2, v[9:10]
	flat_load_b32 v3, v[11:12]
	;; [unrolled: 1-line block ×3, first 2 shown]
	s_waitcnt vmcnt(6) lgkmcnt(6)
	v_fma_f32 v35, v1, v35, 0
	s_waitcnt vmcnt(5) lgkmcnt(5)
	v_fma_f32 v34, v1, v39, 0
	;; [unrolled: 2-line block ×4, first 2 shown]
	s_waitcnt vmcnt(2) lgkmcnt(2)
	v_fmac_f32_e32 v34, v2, v40
	v_fmac_f32_e32 v35, v2, v36
	s_delay_alu instid0(VALU_DEP_3) | instskip(SKIP_1) | instid1(VALU_DEP_3)
	v_fmac_f32_e32 v32, v2, v48
	s_waitcnt vmcnt(1) lgkmcnt(1)
	v_dual_fmac_f32 v33, v2, v44 :: v_dual_fmac_f32 v34, v3, v41
	s_delay_alu instid0(VALU_DEP_3) | instskip(NEXT) | instid1(VALU_DEP_3)
	v_fmac_f32_e32 v35, v3, v37
	v_fmac_f32_e32 v32, v3, v49
	s_waitcnt vmcnt(0) lgkmcnt(0)
	s_delay_alu instid0(VALU_DEP_3) | instskip(NEXT) | instid1(VALU_DEP_3)
	v_dual_fmac_f32 v33, v3, v45 :: v_dual_fmac_f32 v34, v4, v42
	v_fmac_f32_e32 v35, v4, v38
	s_delay_alu instid0(VALU_DEP_3) | instskip(NEXT) | instid1(VALU_DEP_3)
	v_fmac_f32_e32 v32, v4, v50
	v_fmac_f32_e32 v33, v4, v46
	s_and_not1_saveexec_b32 s37, s6
	s_cbranch_execz .LBB230_18
.LBB230_44:                             ;   in Loop: Header=BB230_16 Depth=1
	s_waitcnt lgkmcnt(0)
	v_dual_mov_b32 v32, 0 :: v_dual_mov_b32 v33, 0
	v_dual_mov_b32 v34, 0 :: v_dual_mov_b32 v35, 0
	s_and_saveexec_b32 s38, s4
	s_cbranch_execz .LBB230_51
; %bb.45:                               ;   in Loop: Header=BB230_16 Depth=1
	s_and_not1_b32 vcc_lo, exec_lo, s33
	s_cbranch_vccnz .LBB230_48
; %bb.46:                               ;   in Loop: Header=BB230_16 Depth=1
	v_mov_b32_e32 v15, v6
	s_mov_b64 s[28:29], 0
	.p2align	6
.LBB230_47:                             ;   Parent Loop BB230_16 Depth=1
                                        ; =>  This Inner Loop Header: Depth=2
	s_delay_alu instid0(VALU_DEP_1) | instskip(SKIP_1) | instid1(VALU_DEP_1)
	v_ashrrev_i32_e32 v16, 31, v15
	s_cmp_eq_u32 s28, 3
	v_lshlrev_b64 v[32:33], 2, v[15:16]
	s_delay_alu instid0(VALU_DEP_1) | instskip(NEXT) | instid1(VALU_DEP_2)
	v_add_co_u32 v32, vcc_lo, s10, v32
	v_add_co_ci_u32_e32 v33, vcc_lo, s11, v33, vcc_lo
	s_cselect_b32 vcc_lo, -1, 0
	s_cmp_eq_u32 s28, 2
	s_cselect_b32 s6, -1, 0
	flat_load_b32 v16, v[32:33]
	s_cmp_eq_u32 s28, 1
	v_add_nc_u32_e32 v15, s13, v15
	s_cselect_b32 s7, -1, 0
	s_cmp_eq_u32 s28, 0
	s_cselect_b32 s8, -1, 0
	s_add_u32 s28, s28, 1
	s_addc_u32 s29, s29, 0
	s_cmp_eq_u32 s19, s28
	s_waitcnt vmcnt(0) lgkmcnt(0)
	v_cndmask_b32_e32 v4, v4, v16, vcc_lo
	v_cndmask_b32_e64 v3, v3, v16, s6
	v_cndmask_b32_e64 v2, v2, v16, s7
	;; [unrolled: 1-line block ×3, first 2 shown]
	s_cbranch_scc0 .LBB230_47
.LBB230_48:                             ;   in Loop: Header=BB230_16 Depth=1
	v_dual_mov_b32 v32, 0 :: v_dual_mov_b32 v33, 0
	v_dual_mov_b32 v34, 0 :: v_dual_mov_b32 v35, 0
	s_and_not1_b32 vcc_lo, exec_lo, s33
	s_cbranch_vccnz .LBB230_51
; %bb.49:                               ;   in Loop: Header=BB230_16 Depth=1
	s_ashr_i32 s23, s22, 31
	v_dual_mov_b32 v35, 0 :: v_dual_mov_b32 v34, 0
	s_lshl_b64 s[6:7], s[22:23], 2
	v_dual_mov_b32 v33, 0 :: v_dual_mov_b32 v32, 0
	v_add_co_u32 v15, vcc_lo, v17, s6
	v_add_co_ci_u32_e32 v16, vcc_lo, s7, v18, vcc_lo
	s_mov_b64 s[28:29], 0
.LBB230_50:                             ;   Parent Loop BB230_16 Depth=1
                                        ; =>  This Inner Loop Header: Depth=2
	s_delay_alu instid0(SALU_CYCLE_1)
	s_cmp_eq_u32 s28, 1
	s_cselect_b32 vcc_lo, -1, 0
	s_cmp_eq_u32 s28, 2
	v_cndmask_b32_e32 v36, v1, v2, vcc_lo
	s_cselect_b32 vcc_lo, -1, 0
	s_cmp_eq_u32 s28, 3
	s_delay_alu instid0(VALU_DEP_1)
	v_cndmask_b32_e32 v42, v36, v3, vcc_lo
	s_cselect_b32 vcc_lo, -1, 0
	s_add_i32 s6, s26, s28
	s_add_i32 s40, s24, s28
	s_ashr_i32 s7, s6, 31
	s_ashr_i32 s41, s40, 31
	s_lshl_b64 s[6:7], s[6:7], 2
	s_add_i32 s42, s35, s28
	v_add_co_u32 v36, s6, v17, s6
	s_lshl_b64 s[40:41], s[40:41], 2
	s_ashr_i32 s43, s42, 31
	v_add_co_ci_u32_e64 v37, s6, s7, v18, s6
	v_add_co_u32 v38, s6, v17, s40
	s_lshl_b64 s[42:43], s[42:43], 2
	v_add_co_ci_u32_e64 v39, s6, s41, v18, s6
	v_add_co_u32 v40, s6, v17, s42
	s_delay_alu instid0(VALU_DEP_1)
	v_add_co_ci_u32_e64 v41, s6, s43, v18, s6
	flat_load_b32 v43, v[15:16]
	s_clause 0x2
	flat_load_b32 v36, v[36:37]
	flat_load_b32 v37, v[38:39]
	;; [unrolled: 1-line block ×3, first 2 shown]
	v_cndmask_b32_e32 v39, v42, v4, vcc_lo
	v_add_co_u32 v15, s6, v15, 4
	s_delay_alu instid0(VALU_DEP_1)
	v_add_co_ci_u32_e64 v16, s6, 0, v16, s6
	s_add_u32 s28, s28, 1
	s_addc_u32 s29, s29, 0
	s_cmp_lg_u32 s19, s28
	s_waitcnt vmcnt(3) lgkmcnt(3)
	v_fmac_f32_e32 v35, v39, v43
	s_waitcnt vmcnt(2) lgkmcnt(2)
	v_fmac_f32_e32 v34, v39, v36
	;; [unrolled: 2-line block ×4, first 2 shown]
	s_cbranch_scc1 .LBB230_50
.LBB230_51:                             ;   in Loop: Header=BB230_16 Depth=1
	s_or_b32 exec_lo, exec_lo, s38
	s_delay_alu instid0(SALU_CYCLE_1)
	s_or_b32 exec_lo, exec_lo, s37
	s_and_saveexec_b32 s6, s0
	s_cbranch_execnz .LBB230_19
	s_branch .LBB230_20
.LBB230_52:                             ;   in Loop: Header=BB230_16 Depth=1
	ds_load_b32 v15, v29
	s_or_b32 exec_lo, exec_lo, s6
	s_and_saveexec_b32 s6, s0
	s_cbranch_execz .LBB230_24
.LBB230_53:                             ;   in Loop: Header=BB230_16 Depth=1
	s_waitcnt lgkmcnt(0)
	ds_bpermute_b32 v16, v26, v15
	s_waitcnt lgkmcnt(0)
	v_add_f32_e32 v15, v15, v16
	ds_bpermute_b32 v16, v27, v15
	s_waitcnt lgkmcnt(0)
	v_add_f32_e32 v15, v15, v16
	;; [unrolled: 3-line block ×3, first 2 shown]
	s_or_b32 exec_lo, exec_lo, s6
	s_and_saveexec_b32 s6, s0
	s_cbranch_execnz .LBB230_25
	s_branch .LBB230_26
.LBB230_54:                             ;   in Loop: Header=BB230_16 Depth=1
	ds_load_b32 v16, v29
	s_or_b32 exec_lo, exec_lo, s6
	s_and_saveexec_b32 s6, s0
	s_cbranch_execz .LBB230_30
.LBB230_55:                             ;   in Loop: Header=BB230_16 Depth=1
	s_waitcnt lgkmcnt(0)
	ds_bpermute_b32 v34, v26, v16
	s_waitcnt lgkmcnt(0)
	v_add_f32_e32 v16, v16, v34
	ds_bpermute_b32 v34, v27, v16
	s_waitcnt lgkmcnt(0)
	v_add_f32_e32 v16, v16, v34
	;; [unrolled: 3-line block ×3, first 2 shown]
	s_or_b32 exec_lo, exec_lo, s6
	s_and_saveexec_b32 s6, s0
	s_cbranch_execnz .LBB230_31
	s_branch .LBB230_32
.LBB230_56:                             ;   in Loop: Header=BB230_16 Depth=1
	ds_load_b32 v33, v29
	s_or_b32 exec_lo, exec_lo, s6
	s_and_saveexec_b32 s6, s0
	s_cbranch_execz .LBB230_36
.LBB230_57:                             ;   in Loop: Header=BB230_16 Depth=1
	s_waitcnt lgkmcnt(0)
	ds_bpermute_b32 v34, v26, v33
	s_waitcnt lgkmcnt(0)
	v_add_f32_e32 v33, v33, v34
	ds_bpermute_b32 v34, v27, v33
	s_waitcnt lgkmcnt(0)
	v_add_f32_e32 v33, v33, v34
	;; [unrolled: 3-line block ×3, first 2 shown]
	s_or_b32 exec_lo, exec_lo, s6
	s_and_saveexec_b32 s6, s0
	s_cbranch_execnz .LBB230_37
	s_branch .LBB230_38
.LBB230_58:                             ;   in Loop: Header=BB230_16 Depth=1
	ds_load_b32 v32, v29
	s_or_b32 exec_lo, exec_lo, s6
	s_and_saveexec_b32 s6, s0
	s_cbranch_execz .LBB230_42
.LBB230_59:                             ;   in Loop: Header=BB230_16 Depth=1
	s_waitcnt lgkmcnt(0)
	ds_bpermute_b32 v34, v26, v32
	s_waitcnt lgkmcnt(0)
	v_add_f32_e32 v32, v32, v34
	ds_bpermute_b32 v34, v27, v32
	s_waitcnt lgkmcnt(0)
	v_add_f32_e32 v32, v32, v34
	ds_bpermute_b32 v34, v28, v32
	s_waitcnt lgkmcnt(0)
	v_add_f32_e32 v32, v32, v34
	s_or_b32 exec_lo, exec_lo, s6
	s_and_saveexec_b32 s6, s2
	s_cbranch_execz .LBB230_15
.LBB230_60:                             ;   in Loop: Header=BB230_16 Depth=1
	s_mul_i32 s7, s21, s12
	v_dual_mul_f32 v15, s18, v15 :: v_dual_mul_f32 v16, s18, v16
	s_add_i32 s8, s7, s14
	v_mul_f32_e32 v33, s18, v33
	s_lshl_b64 s[28:29], s[8:9], 2
	s_delay_alu instid0(SALU_CYCLE_1)
	s_add_u32 s28, s30, s28
	s_addc_u32 s29, s31, s29
	s_add_i32 s8, s8, s12
	global_store_b32 v31, v15, s[28:29]
	s_lshl_b64 s[38:39], s[8:9], 2
	s_waitcnt lgkmcnt(0)
	v_mul_f32_e32 v15, s18, v32
	s_add_u32 s38, s30, s38
	s_addc_u32 s39, s31, s39
	s_add_i32 s8, s8, s12
	global_store_b32 v31, v16, s[38:39]
	s_lshl_b64 s[40:41], s[8:9], 2
	s_delay_alu instid0(SALU_CYCLE_1) | instskip(SKIP_2) | instid1(SALU_CYCLE_1)
	s_add_u32 s28, s30, s40
	s_addc_u32 s29, s31, s41
	s_add_i32 s8, s8, s12
	s_lshl_b64 s[40:41], s[8:9], 2
	s_delay_alu instid0(SALU_CYCLE_1)
	s_add_u32 s38, s30, s40
	s_addc_u32 s39, s31, s41
	s_clause 0x1
	global_store_b32 v31, v33, s[28:29]
	global_store_b32 v31, v15, s[38:39]
	s_branch .LBB230_15
.LBB230_61:
	s_mov_b32 s21, 0
                                        ; implicit-def: $vgpr1_vgpr2_vgpr3_vgpr4
.LBB230_62:
	s_delay_alu instid0(SALU_CYCLE_1)
	s_cmp_ge_i32 s21, s17
	s_cbranch_scc1 .LBB230_86
; %bb.63:
	v_cmp_gt_u32_e32 vcc_lo, 16, v21
	v_cmp_ge_i32_e64 s1, s16, v23
	v_cmp_gt_u32_e64 s2, 32, v0
	v_cmp_gt_u32_e64 s4, 8, v0
	v_cmp_eq_u32_e64 s5, 0, v0
	v_cndmask_b32_e64 v6, 0, 1, vcc_lo
	v_cmp_gt_u32_e32 vcc_lo, 24, v21
	v_cmp_ge_i32_e64 s0, s16, v22
	s_cmp_gt_i32 s19, 0
	s_mov_b32 s15, 0
	v_lshlrev_b32_e32 v6, 4, v6
	v_cndmask_b32_e64 v7, 0, 1, vcc_lo
	v_cmp_gt_u32_e32 vcc_lo, 28, v21
	s_cselect_b32 s9, -1, 0
	v_lshlrev_b32_e32 v16, 2, v19
	s_delay_alu instid0(VALU_DEP_3)
	v_dual_mov_b32 v0, 0 :: v_dual_lshlrev_b32 v7, 3, v7
	v_cndmask_b32_e64 v8, 0, 1, vcc_lo
	v_cmp_gt_u32_e32 vcc_lo, 30, v21
	v_add_lshl_u32 v22, v6, v21, 2
	v_ashrrev_i32_e32 v6, 31, v5
	v_add_lshl_u32 v23, v7, v21, 2
	v_lshlrev_b32_e32 v8, 2, v8
	v_cndmask_b32_e64 v9, 0, 1, vcc_lo
	v_cmp_ne_u32_e32 vcc_lo, 31, v21
	v_add_nc_u32_e32 v7, s13, v5
	v_lshlrev_b64 v[11:12], 2, v[5:6]
	v_add_lshl_u32 v24, v8, v21, 2
	v_lshlrev_b32_e32 v9, 1, v9
	v_add_co_ci_u32_e32 v10, vcc_lo, 0, v21, vcc_lo
	v_ashrrev_i32_e32 v8, 31, v7
	v_add_co_u32 v6, vcc_lo, s10, v11
	s_delay_alu instid0(VALU_DEP_4) | instskip(SKIP_4) | instid1(VALU_DEP_4)
	v_add_lshl_u32 v21, v9, v21, 2
	v_add_nc_u32_e32 v9, s13, v7
	v_lshlrev_b32_e32 v25, 2, v10
	v_lshlrev_b64 v[13:14], 2, v[7:8]
	v_add_co_ci_u32_e32 v7, vcc_lo, s11, v12, vcc_lo
	v_add_nc_u32_e32 v26, s13, v9
	v_ashrrev_i32_e32 v10, 31, v9
	v_cmp_eq_u32_e64 s3, 0, v19
	v_add_co_u32 v8, vcc_lo, s10, v13
	s_delay_alu instid0(VALU_DEP_4) | instskip(NEXT) | instid1(VALU_DEP_4)
	v_ashrrev_i32_e32 v27, 31, v26
	v_lshlrev_b64 v[10:11], 2, v[9:10]
	v_add_co_ci_u32_e32 v9, vcc_lo, s11, v14, vcc_lo
	v_and_b32_e32 v19, 28, v20
	s_delay_alu instid0(VALU_DEP_4) | instskip(SKIP_1) | instid1(VALU_DEP_4)
	v_lshlrev_b64 v[12:13], 2, v[26:27]
	s_lshl_b64 s[6:7], s[14:15], 2
	v_add_co_u32 v10, vcc_lo, s10, v10
	v_add_co_ci_u32_e32 v11, vcc_lo, s11, v11, vcc_lo
	s_delay_alu instid0(VALU_DEP_3) | instskip(NEXT) | instid1(VALU_DEP_4)
	v_add_co_u32 v12, vcc_lo, s10, v12
	v_add_co_ci_u32_e32 v13, vcc_lo, s11, v13, vcc_lo
	s_add_u32 s14, s30, s6
	s_addc_u32 s16, s31, s7
	s_mul_i32 s22, s21, s20
	s_branch .LBB230_65
.LBB230_64:                             ;   in Loop: Header=BB230_65 Depth=1
	s_or_b32 exec_lo, exec_lo, s6
	s_add_i32 s21, s21, 1
	s_add_i32 s22, s22, s20
	s_cmp_ge_i32 s21, s17
	s_cbranch_scc1 .LBB230_86
.LBB230_65:                             ; =>This Loop Header: Depth=1
                                        ;     Child Loop BB230_78 Depth 2
                                        ;     Child Loop BB230_81 Depth 2
	v_mov_b32_e32 v20, s15
	s_and_saveexec_b32 s6, s0
	s_delay_alu instid0(SALU_CYCLE_1)
	s_xor_b32 s6, exec_lo, s6
	s_cbranch_execnz .LBB230_74
; %bb.66:                               ;   in Loop: Header=BB230_65 Depth=1
	s_and_not1_saveexec_b32 s26, s6
	s_cbranch_execnz .LBB230_75
.LBB230_67:                             ;   in Loop: Header=BB230_65 Depth=1
	s_or_b32 exec_lo, exec_lo, s26
	s_and_saveexec_b32 s6, s2
	s_cbranch_execz .LBB230_69
.LBB230_68:                             ;   in Loop: Header=BB230_65 Depth=1
	ds_store_b32 v16, v0
.LBB230_69:                             ;   in Loop: Header=BB230_65 Depth=1
	s_or_b32 exec_lo, exec_lo, s6
	s_waitcnt lgkmcnt(0)
	ds_bpermute_b32 v14, v22, v20
	s_waitcnt lgkmcnt(0)
	s_waitcnt_vscnt null, 0x0
	s_barrier
	buffer_gl0_inv
	v_add_f32_e32 v14, v20, v14
	ds_bpermute_b32 v15, v23, v14
	s_waitcnt lgkmcnt(0)
	v_add_f32_e32 v14, v14, v15
	ds_bpermute_b32 v15, v24, v14
	s_waitcnt lgkmcnt(0)
	;; [unrolled: 3-line block ×3, first 2 shown]
	v_add_f32_e32 v14, v14, v15
	ds_bpermute_b32 v15, v25, v14
	s_and_saveexec_b32 s6, s3
	s_cbranch_execz .LBB230_71
; %bb.70:                               ;   in Loop: Header=BB230_65 Depth=1
	s_waitcnt lgkmcnt(0)
	v_add_f32_e32 v14, v14, v15
	ds_store_b32 v19, v14
.LBB230_71:                             ;   in Loop: Header=BB230_65 Depth=1
	s_or_b32 exec_lo, exec_lo, s6
	v_mov_b32_e32 v14, 0
	s_waitcnt lgkmcnt(0)
	s_barrier
	buffer_gl0_inv
	s_and_saveexec_b32 s6, s4
	s_cbranch_execnz .LBB230_83
; %bb.72:                               ;   in Loop: Header=BB230_65 Depth=1
	s_or_b32 exec_lo, exec_lo, s6
	s_and_saveexec_b32 s6, s2
	s_cbranch_execnz .LBB230_84
.LBB230_73:                             ;   in Loop: Header=BB230_65 Depth=1
	s_or_b32 exec_lo, exec_lo, s6
	s_and_saveexec_b32 s6, s5
	s_cbranch_execz .LBB230_64
	s_branch .LBB230_85
.LBB230_74:                             ;   in Loop: Header=BB230_65 Depth=1
	s_mul_i32 s24, s21, s20
	s_delay_alu instid0(SALU_CYCLE_1) | instskip(NEXT) | instid1(SALU_CYCLE_1)
	s_ashr_i32 s25, s24, 31
	s_lshl_b64 s[24:25], s[24:25], 2
	s_delay_alu instid0(SALU_CYCLE_1)
	v_add_co_u32 v1, vcc_lo, v17, s24
	v_add_co_ci_u32_e32 v2, vcc_lo, s25, v18, vcc_lo
	flat_load_b128 v[26:29], v[1:2]
	s_clause 0x3
	flat_load_b32 v1, v[6:7]
	flat_load_b32 v2, v[8:9]
	;; [unrolled: 1-line block ×4, first 2 shown]
	s_waitcnt vmcnt(3) lgkmcnt(3)
	v_fma_f32 v20, v1, v26, 0
	s_waitcnt vmcnt(2) lgkmcnt(2)
	s_delay_alu instid0(VALU_DEP_1) | instskip(SKIP_1) | instid1(VALU_DEP_1)
	v_fmac_f32_e32 v20, v2, v27
	s_waitcnt vmcnt(1) lgkmcnt(1)
	v_fmac_f32_e32 v20, v3, v28
	s_waitcnt vmcnt(0) lgkmcnt(0)
	s_delay_alu instid0(VALU_DEP_1)
	v_fmac_f32_e32 v20, v4, v29
	s_and_not1_saveexec_b32 s26, s6
	s_cbranch_execz .LBB230_67
.LBB230_75:                             ;   in Loop: Header=BB230_65 Depth=1
	s_and_saveexec_b32 s27, s1
	s_cbranch_execz .LBB230_82
; %bb.76:                               ;   in Loop: Header=BB230_65 Depth=1
	s_and_not1_b32 vcc_lo, exec_lo, s9
	s_cbranch_vccnz .LBB230_79
; %bb.77:                               ;   in Loop: Header=BB230_65 Depth=1
	s_waitcnt lgkmcnt(0)
	v_mov_b32_e32 v14, v5
	s_mov_b64 s[24:25], 0
	.p2align	6
.LBB230_78:                             ;   Parent Loop BB230_65 Depth=1
                                        ; =>  This Inner Loop Header: Depth=2
	s_delay_alu instid0(VALU_DEP_1) | instskip(SKIP_1) | instid1(VALU_DEP_1)
	v_ashrrev_i32_e32 v15, 31, v14
	s_cmp_eq_u32 s24, 3
	v_lshlrev_b64 v[26:27], 2, v[14:15]
	v_add_nc_u32_e32 v14, s13, v14
	s_delay_alu instid0(VALU_DEP_2) | instskip(NEXT) | instid1(VALU_DEP_3)
	v_add_co_u32 v26, vcc_lo, s10, v26
	v_add_co_ci_u32_e32 v27, vcc_lo, s11, v27, vcc_lo
	s_cselect_b32 vcc_lo, -1, 0
	s_cmp_eq_u32 s24, 2
	s_cselect_b32 s6, -1, 0
	flat_load_b32 v15, v[26:27]
	s_cmp_eq_u32 s24, 1
	s_cselect_b32 s7, -1, 0
	s_cmp_eq_u32 s24, 0
	s_cselect_b32 s8, -1, 0
	s_add_u32 s24, s24, 1
	s_addc_u32 s25, s25, 0
	s_cmp_eq_u32 s19, s24
	s_waitcnt vmcnt(0) lgkmcnt(0)
	v_cndmask_b32_e32 v4, v4, v15, vcc_lo
	v_cndmask_b32_e64 v3, v3, v15, s6
	v_cndmask_b32_e64 v2, v2, v15, s7
	;; [unrolled: 1-line block ×3, first 2 shown]
	s_cbranch_scc0 .LBB230_78
.LBB230_79:                             ;   in Loop: Header=BB230_65 Depth=1
	s_and_not1_b32 vcc_lo, exec_lo, s9
	s_cbranch_vccnz .LBB230_82
; %bb.80:                               ;   in Loop: Header=BB230_65 Depth=1
	s_ashr_i32 s23, s22, 31
	s_delay_alu instid0(SALU_CYCLE_1)
	s_lshl_b64 s[6:7], s[22:23], 2
	s_waitcnt lgkmcnt(0)
	v_add_co_u32 v14, vcc_lo, v17, s6
	v_add_co_ci_u32_e32 v15, vcc_lo, s7, v18, vcc_lo
	s_mov_b64 s[6:7], 0
	.p2align	6
.LBB230_81:                             ;   Parent Loop BB230_65 Depth=1
                                        ; =>  This Inner Loop Header: Depth=2
	flat_load_b32 v26, v[14:15]
	s_cmp_eq_u32 s6, 1
	s_cselect_b32 vcc_lo, -1, 0
	s_cmp_eq_u32 s6, 2
	v_cndmask_b32_e32 v27, v1, v2, vcc_lo
	s_cselect_b32 vcc_lo, -1, 0
	s_cmp_eq_u32 s6, 3
	s_delay_alu instid0(VALU_DEP_1)
	v_cndmask_b32_e32 v27, v27, v3, vcc_lo
	s_cselect_b32 vcc_lo, -1, 0
	s_add_u32 s6, s6, 1
	s_addc_u32 s7, s7, 0
	s_cmp_lg_u32 s19, s6
	v_cndmask_b32_e32 v27, v27, v4, vcc_lo
	v_add_co_u32 v14, vcc_lo, v14, 4
	v_add_co_ci_u32_e32 v15, vcc_lo, 0, v15, vcc_lo
	s_waitcnt vmcnt(0) lgkmcnt(0)
	s_delay_alu instid0(VALU_DEP_3)
	v_fmac_f32_e32 v20, v27, v26
	s_cbranch_scc1 .LBB230_81
.LBB230_82:                             ;   in Loop: Header=BB230_65 Depth=1
	s_or_b32 exec_lo, exec_lo, s27
	s_delay_alu instid0(SALU_CYCLE_1)
	s_or_b32 exec_lo, exec_lo, s26
	s_and_saveexec_b32 s6, s2
	s_cbranch_execnz .LBB230_68
	s_branch .LBB230_69
.LBB230_83:                             ;   in Loop: Header=BB230_65 Depth=1
	ds_load_b32 v14, v16
	s_or_b32 exec_lo, exec_lo, s6
	s_and_saveexec_b32 s6, s2
	s_cbranch_execz .LBB230_73
.LBB230_84:                             ;   in Loop: Header=BB230_65 Depth=1
	s_waitcnt lgkmcnt(0)
	ds_bpermute_b32 v15, v24, v14
	s_waitcnt lgkmcnt(0)
	v_add_f32_e32 v14, v14, v15
	ds_bpermute_b32 v15, v21, v14
	s_waitcnt lgkmcnt(0)
	v_add_f32_e32 v14, v14, v15
	;; [unrolled: 3-line block ×3, first 2 shown]
	s_or_b32 exec_lo, exec_lo, s6
	s_and_saveexec_b32 s6, s5
	s_cbranch_execz .LBB230_64
.LBB230_85:                             ;   in Loop: Header=BB230_65 Depth=1
	s_mul_hi_u32 s25, s21, s12
	s_mul_i32 s24, s21, s12
	s_waitcnt lgkmcnt(0)
	v_mul_f32_e32 v14, s18, v14
	s_lshl_b64 s[24:25], s[24:25], 2
	s_delay_alu instid0(SALU_CYCLE_1)
	s_add_u32 s24, s14, s24
	s_addc_u32 s25, s16, s25
	global_store_b32 v0, v14, s[24:25]
	s_branch .LBB230_64
.LBB230_86:
	s_nop 0
	s_sendmsg sendmsg(MSG_DEALLOC_VGPRS)
	s_endpgm
	.section	.rodata,"a",@progbits
	.p2align	6, 0x0
	.amdhsa_kernel _ZL23rocblas_gemvt_sn_kernelILb1ELi256ELi4EiPKfffEviiT4_lPKT3_lilS5_lilPT5_i
		.amdhsa_group_segment_fixed_size 128
		.amdhsa_private_segment_fixed_size 0
		.amdhsa_kernarg_size 360
		.amdhsa_user_sgpr_count 14
		.amdhsa_user_sgpr_dispatch_ptr 0
		.amdhsa_user_sgpr_queue_ptr 0
		.amdhsa_user_sgpr_kernarg_segment_ptr 1
		.amdhsa_user_sgpr_dispatch_id 0
		.amdhsa_user_sgpr_private_segment_size 0
		.amdhsa_wavefront_size32 1
		.amdhsa_uses_dynamic_stack 0
		.amdhsa_enable_private_segment 0
		.amdhsa_system_sgpr_workgroup_id_x 1
		.amdhsa_system_sgpr_workgroup_id_y 0
		.amdhsa_system_sgpr_workgroup_id_z 1
		.amdhsa_system_sgpr_workgroup_info 0
		.amdhsa_system_vgpr_workitem_id 0
		.amdhsa_next_free_vgpr 51
		.amdhsa_next_free_sgpr 44
		.amdhsa_reserve_vcc 1
		.amdhsa_float_round_mode_32 0
		.amdhsa_float_round_mode_16_64 0
		.amdhsa_float_denorm_mode_32 3
		.amdhsa_float_denorm_mode_16_64 3
		.amdhsa_dx10_clamp 1
		.amdhsa_ieee_mode 1
		.amdhsa_fp16_overflow 0
		.amdhsa_workgroup_processor_mode 1
		.amdhsa_memory_ordered 1
		.amdhsa_forward_progress 0
		.amdhsa_shared_vgpr_count 0
		.amdhsa_exception_fp_ieee_invalid_op 0
		.amdhsa_exception_fp_denorm_src 0
		.amdhsa_exception_fp_ieee_div_zero 0
		.amdhsa_exception_fp_ieee_overflow 0
		.amdhsa_exception_fp_ieee_underflow 0
		.amdhsa_exception_fp_ieee_inexact 0
		.amdhsa_exception_int_div_zero 0
	.end_amdhsa_kernel
	.section	.text._ZL23rocblas_gemvt_sn_kernelILb1ELi256ELi4EiPKfffEviiT4_lPKT3_lilS5_lilPT5_i,"axG",@progbits,_ZL23rocblas_gemvt_sn_kernelILb1ELi256ELi4EiPKfffEviiT4_lPKT3_lilS5_lilPT5_i,comdat
.Lfunc_end230:
	.size	_ZL23rocblas_gemvt_sn_kernelILb1ELi256ELi4EiPKfffEviiT4_lPKT3_lilS5_lilPT5_i, .Lfunc_end230-_ZL23rocblas_gemvt_sn_kernelILb1ELi256ELi4EiPKfffEviiT4_lPKT3_lilS5_lilPT5_i
                                        ; -- End function
	.section	.AMDGPU.csdata,"",@progbits
; Kernel info:
; codeLenInByte = 4132
; NumSgprs: 46
; NumVgprs: 51
; ScratchSize: 0
; MemoryBound: 0
; FloatMode: 240
; IeeeMode: 1
; LDSByteSize: 128 bytes/workgroup (compile time only)
; SGPRBlocks: 5
; VGPRBlocks: 6
; NumSGPRsForWavesPerEU: 46
; NumVGPRsForWavesPerEU: 51
; Occupancy: 16
; WaveLimiterHint : 0
; COMPUTE_PGM_RSRC2:SCRATCH_EN: 0
; COMPUTE_PGM_RSRC2:USER_SGPR: 14
; COMPUTE_PGM_RSRC2:TRAP_HANDLER: 0
; COMPUTE_PGM_RSRC2:TGID_X_EN: 1
; COMPUTE_PGM_RSRC2:TGID_Y_EN: 0
; COMPUTE_PGM_RSRC2:TGID_Z_EN: 1
; COMPUTE_PGM_RSRC2:TIDIG_COMP_CNT: 0
	.section	.text._ZL23rocblas_gemvt_sn_kernelILb1ELi256ELi4ElPKfffEviiT4_lPKT3_lilS5_lilPT5_i,"axG",@progbits,_ZL23rocblas_gemvt_sn_kernelILb1ELi256ELi4ElPKfffEviiT4_lPKT3_lilS5_lilPT5_i,comdat
	.globl	_ZL23rocblas_gemvt_sn_kernelILb1ELi256ELi4ElPKfffEviiT4_lPKT3_lilS5_lilPT5_i ; -- Begin function _ZL23rocblas_gemvt_sn_kernelILb1ELi256ELi4ElPKfffEviiT4_lPKT3_lilS5_lilPT5_i
	.p2align	8
	.type	_ZL23rocblas_gemvt_sn_kernelILb1ELi256ELi4ElPKfffEviiT4_lPKT3_lilS5_lilPT5_i,@function
_ZL23rocblas_gemvt_sn_kernelILb1ELi256ELi4ElPKfffEviiT4_lPKT3_lilS5_lilPT5_i: ; @_ZL23rocblas_gemvt_sn_kernelILb1ELi256ELi4ElPKfffEviiT4_lPKT3_lilS5_lilPT5_i
; %bb.0:
	s_load_b128 s[16:19], s[0:1], 0x0
	s_mov_b32 s2, s15
	s_mov_b32 s3, 0
	s_waitcnt lgkmcnt(0)
	v_cmp_neq_f32_e64 s5, s18, 0
	v_cmp_eq_f32_e64 s4, s18, 0
	s_delay_alu instid0(VALU_DEP_2)
	s_and_b32 vcc_lo, exec_lo, s5
	s_cbranch_vccnz .LBB231_2
; %bb.1:
	s_mov_b64 s[20:21], 0
	s_and_not1_b32 vcc_lo, exec_lo, s3
	s_cbranch_vccz .LBB231_3
	s_branch .LBB231_4
.LBB231_2:
	s_mov_b32 s3, -1
                                        ; implicit-def: $sgpr20_sgpr21
.LBB231_3:
	s_load_b128 s[8:11], s[0:1], 0x18
	s_mov_b32 s3, 0
	s_delay_alu instid0(SALU_CYCLE_1)
	s_lshl_b64 s[6:7], s[2:3], 3
	s_waitcnt lgkmcnt(0)
	s_add_u32 s6, s8, s6
	s_addc_u32 s7, s9, s7
	s_lshl_b64 s[8:9], s[10:11], 2
	s_load_b64 s[6:7], s[6:7], 0x0
	s_waitcnt lgkmcnt(0)
	s_add_u32 s20, s6, s8
	s_addc_u32 s21, s7, s9
.LBB231_4:
	s_and_not1_b32 vcc_lo, exec_lo, s5
	s_cbranch_vccnz .LBB231_6
; %bb.5:
	s_load_b128 s[8:11], s[0:1], 0x38
	s_lshl_b64 s[6:7], s[2:3], 3
	s_waitcnt lgkmcnt(0)
	s_add_u32 s6, s8, s6
	s_addc_u32 s7, s9, s7
	s_lshl_b64 s[8:9], s[10:11], 2
	s_load_b64 s[6:7], s[6:7], 0x0
	s_waitcnt lgkmcnt(0)
	s_add_u32 s22, s6, s8
	s_addc_u32 s23, s7, s9
	s_branch .LBB231_7
.LBB231_6:
	s_mov_b64 s[22:23], 0
.LBB231_7:
	s_clause 0x1
	s_load_b32 s10, s[0:1], 0x68
	s_load_b64 s[8:9], s[0:1], 0x58
	s_ashr_i32 s6, s17, 31
	s_mul_hi_u32 s5, s2, s17
	s_mul_i32 s7, s2, s6
	s_mul_i32 s3, s3, s17
	s_add_i32 s5, s5, s7
	s_mul_i32 s2, s2, s17
	s_add_i32 s3, s5, s3
	s_mov_b32 s11, 0
	s_waitcnt lgkmcnt(0)
	s_mul_i32 s3, s3, s10
	s_mul_hi_u32 s5, s2, s10
	s_mul_i32 s2, s2, s10
	s_add_i32 s3, s5, s3
	s_delay_alu instid0(SALU_CYCLE_1) | instskip(NEXT) | instid1(SALU_CYCLE_1)
	s_lshl_b64 s[2:3], s[2:3], 2
	s_add_u32 s19, s8, s2
	s_addc_u32 s33, s9, s3
	s_and_not1_b32 vcc_lo, exec_lo, s4
	s_mov_b32 s2, -1
	s_cbranch_vccnz .LBB231_12
; %bb.8:
	v_cmp_eq_u32_e32 vcc_lo, 0, v0
	s_cmp_gt_i32 s17, 0
	s_cselect_b32 s2, -1, 0
	s_delay_alu instid0(SALU_CYCLE_1) | instskip(NEXT) | instid1(SALU_CYCLE_1)
	s_and_b32 s2, vcc_lo, s2
	s_and_saveexec_b32 s7, s2
	s_cbranch_execz .LBB231_11
; %bb.9:
	s_mov_b32 s15, 0
	v_mov_b32_e32 v1, 0
	s_lshl_b64 s[2:3], s[14:15], 2
	s_mov_b32 s8, s17
	s_add_u32 s2, s19, s2
	s_addc_u32 s3, s33, s3
	s_lshl_b64 s[4:5], s[10:11], 2
.LBB231_10:                             ; =>This Inner Loop Header: Depth=1
	s_add_i32 s8, s8, -1
	global_store_b32 v1, v1, s[2:3]
	s_add_u32 s2, s2, s4
	s_addc_u32 s3, s3, s5
	s_cmp_eq_u32 s8, 0
	s_cbranch_scc0 .LBB231_10
.LBB231_11:
	s_or_b32 exec_lo, exec_lo, s7
	s_mov_b32 s2, 0
.LBB231_12:
	s_delay_alu instid0(SALU_CYCLE_1)
	s_and_not1_b32 vcc_lo, exec_lo, s2
	s_cbranch_vccnz .LBB231_86
; %bb.13:
	s_lshl_b32 s2, s14, 10
	s_clause 0x1
	s_load_b32 s12, s[0:1], 0x28
	s_load_b32 s24, s[0:1], 0x48
	v_lshl_or_b32 v9, v0, 2, s2
	s_ashr_i32 s2, s16, 31
	s_lshr_b32 s1, s6, 30
	s_lshr_b32 s0, s2, 30
	s_add_i32 s1, s17, s1
	v_ashrrev_i32_e32 v10, 31, v9
	s_add_i32 s0, s16, s0
	s_and_b32 s38, s1, -4
	s_and_b32 s0, s0, -4
	v_add_nc_u32_e32 v28, 4, v9
	v_lshlrev_b64 v[7:8], 2, v[9:10]
	s_sub_i32 s11, s16, s0
	v_and_b32_e32 v25, 31, v0
	v_add_nc_u32_e32 v29, s11, v9
	v_cmp_gt_u32_e64 s0, 32, v0
	v_mbcnt_lo_u32_b32 v27, -1, 0
	v_add_co_u32 v5, vcc_lo, s20, v7
	v_add_co_ci_u32_e32 v6, vcc_lo, s21, v8, vcc_lo
	v_cmp_gt_u32_e64 s1, 8, v0
	v_lshrrev_b32_e32 v26, 3, v0
	v_cmp_eq_u32_e64 s2, 0, v0
	v_or_b32_e32 v24, 1, v9
	v_or_b32_e32 v23, 2, v9
	;; [unrolled: 1-line block ×3, first 2 shown]
	s_waitcnt lgkmcnt(0)
	s_ashr_i32 s13, s12, 31
	s_ashr_i32 s25, s24, 31
	s_cmp_lt_i32 s38, 1
	s_cbranch_scc1 .LBB231_61
; %bb.14:
	v_cmp_gt_u32_e32 vcc_lo, 16, v27
	v_mad_i64_i32 v[12:13], null, s24, v23, 0
	v_mad_i64_i32 v[14:15], null, s24, v22, 0
	v_cndmask_b32_e64 v1, 0, 1, vcc_lo
	v_cmp_gt_u32_e32 vcc_lo, 24, v27
	s_mov_b32 s15, 0
	s_cmp_gt_i32 s11, 0
	v_cmp_ge_i32_e64 s3, s16, v28
	v_lshlrev_b32_e32 v1, 4, v1
	v_cndmask_b32_e64 v2, 0, 1, vcc_lo
	v_cmp_gt_u32_e32 vcc_lo, 28, v27
	v_cmp_ge_i32_e64 s4, s16, v29
	s_cselect_b32 s39, -1, 0
	s_delay_alu instid0(VALU_DEP_3)
	v_dual_mov_b32 v37, 0 :: v_dual_lshlrev_b32 v2, 3, v2
	v_cndmask_b32_e64 v3, 0, 1, vcc_lo
	v_cmp_gt_u32_e32 vcc_lo, 30, v27
	v_cmp_eq_u32_e64 s5, 0, v25
	v_lshlrev_b32_e32 v35, 2, v25
	v_add_lshl_u32 v31, v2, v27, 2
	v_lshlrev_b32_e32 v3, 2, v3
	v_cndmask_b32_e64 v4, 0, 1, vcc_lo
	v_cmp_ne_u32_e32 vcc_lo, 31, v27
	v_dual_mov_b32 v19, v6 :: v_dual_mov_b32 v18, v5
	v_add_lshl_u32 v30, v1, v27, 2
	s_delay_alu instid0(VALU_DEP_4) | instskip(SKIP_3) | instid1(VALU_DEP_4)
	v_lshlrev_b32_e32 v4, 1, v4
	v_mad_i64_i32 v[1:2], null, s24, v9, 0
	v_add_lshl_u32 v32, v3, v27, 2
	v_add_co_ci_u32_e32 v10, vcc_lo, 0, v27, vcc_lo
	v_add_lshl_u32 v33, v4, v27, 2
	v_mad_i64_i32 v[3:4], null, s24, v24, 0
	v_lshlrev_b64 v[1:2], 2, v[1:2]
	s_delay_alu instid0(VALU_DEP_4) | instskip(SKIP_4) | instid1(VALU_DEP_4)
	v_lshlrev_b32_e32 v34, 2, v10
	s_lshl_b64 s[6:7], s[14:15], 2
	v_and_b32_e32 v36, 28, v26
	s_add_u32 s40, s19, s6
	s_addc_u32 s41, s33, s7
	v_lshlrev_b64 v[3:4], 2, v[3:4]
	v_add_co_u32 v10, vcc_lo, s22, v1
	v_add_co_ci_u32_e32 v11, vcc_lo, s23, v2, vcc_lo
	v_lshlrev_b64 v[1:2], 2, v[12:13]
	s_delay_alu instid0(VALU_DEP_4) | instskip(SKIP_2) | instid1(VALU_DEP_4)
	v_add_co_u32 v12, vcc_lo, s22, v3
	v_add_co_ci_u32_e32 v13, vcc_lo, s23, v4, vcc_lo
	v_lshlrev_b64 v[3:4], 2, v[14:15]
	v_add_co_u32 v14, vcc_lo, s22, v1
	v_add_co_ci_u32_e32 v15, vcc_lo, s23, v2, vcc_lo
	s_lshl_b64 s[26:27], s[24:25], 2
	s_delay_alu instid0(VALU_DEP_3) | instskip(NEXT) | instid1(VALU_DEP_4)
	v_add_co_u32 v16, vcc_lo, s22, v3
	v_add_co_ci_u32_e32 v17, vcc_lo, s23, v4, vcc_lo
	s_mul_hi_i32 s42, s12, 12
	s_mul_i32 s43, s12, 12
	s_lshl_b64 s[28:29], s[12:13], 4
	s_lshl_b64 s[30:31], s[12:13], 3
	;; [unrolled: 1-line block ×3, first 2 shown]
                                        ; implicit-def: $vgpr1_vgpr2_vgpr3_vgpr4
	s_branch .LBB231_16
.LBB231_15:                             ;   in Loop: Header=BB231_16 Depth=1
	s_or_b32 exec_lo, exec_lo, s6
	v_add_co_u32 v18, vcc_lo, v18, s28
	v_add_co_ci_u32_e32 v19, vcc_lo, s29, v19, vcc_lo
	s_add_i32 s15, s15, 4
	s_delay_alu instid0(SALU_CYCLE_1)
	s_cmp_ge_i32 s15, s38
	s_cbranch_scc1 .LBB231_62
.LBB231_16:                             ; =>This Loop Header: Depth=1
                                        ;     Child Loop BB231_47 Depth 2
                                        ;     Child Loop BB231_50 Depth 2
                                        ; implicit-def: $vgpr38
                                        ; implicit-def: $vgpr39
                                        ; implicit-def: $vgpr40
                                        ; implicit-def: $vgpr41
	s_and_saveexec_b32 s6, s3
	s_delay_alu instid0(SALU_CYCLE_1)
	s_xor_b32 s6, exec_lo, s6
	s_cbranch_execnz .LBB231_43
; %bb.17:                               ;   in Loop: Header=BB231_16 Depth=1
	s_and_not1_saveexec_b32 s44, s6
	s_cbranch_execnz .LBB231_44
.LBB231_18:                             ;   in Loop: Header=BB231_16 Depth=1
	s_or_b32 exec_lo, exec_lo, s44
	s_and_saveexec_b32 s6, s0
	s_cbranch_execz .LBB231_20
.LBB231_19:                             ;   in Loop: Header=BB231_16 Depth=1
	ds_store_b32 v35, v37
.LBB231_20:                             ;   in Loop: Header=BB231_16 Depth=1
	s_or_b32 exec_lo, exec_lo, s6
	ds_bpermute_b32 v20, v30, v41
	s_waitcnt lgkmcnt(0)
	s_waitcnt_vscnt null, 0x0
	s_barrier
	buffer_gl0_inv
	v_add_f32_e32 v20, v41, v20
	ds_bpermute_b32 v21, v31, v20
	s_waitcnt lgkmcnt(0)
	v_add_f32_e32 v20, v20, v21
	ds_bpermute_b32 v21, v32, v20
	s_waitcnt lgkmcnt(0)
	;; [unrolled: 3-line block ×3, first 2 shown]
	v_add_f32_e32 v20, v20, v21
	ds_bpermute_b32 v21, v34, v20
	s_and_saveexec_b32 s6, s5
	s_cbranch_execz .LBB231_22
; %bb.21:                               ;   in Loop: Header=BB231_16 Depth=1
	s_waitcnt lgkmcnt(0)
	v_add_f32_e32 v20, v20, v21
	ds_store_b32 v36, v20
.LBB231_22:                             ;   in Loop: Header=BB231_16 Depth=1
	s_or_b32 exec_lo, exec_lo, s6
	v_mov_b32_e32 v20, 0
	s_waitcnt lgkmcnt(0)
	s_barrier
	buffer_gl0_inv
	s_and_saveexec_b32 s6, s1
	s_cbranch_execnz .LBB231_52
; %bb.23:                               ;   in Loop: Header=BB231_16 Depth=1
	s_or_b32 exec_lo, exec_lo, s6
	s_and_saveexec_b32 s6, s0
	s_cbranch_execnz .LBB231_53
.LBB231_24:                             ;   in Loop: Header=BB231_16 Depth=1
	s_or_b32 exec_lo, exec_lo, s6
	s_and_saveexec_b32 s6, s0
	s_cbranch_execz .LBB231_26
.LBB231_25:                             ;   in Loop: Header=BB231_16 Depth=1
	ds_store_b32 v35, v37
.LBB231_26:                             ;   in Loop: Header=BB231_16 Depth=1
	s_or_b32 exec_lo, exec_lo, s6
	ds_bpermute_b32 v21, v30, v40
	s_waitcnt lgkmcnt(0)
	s_barrier
	buffer_gl0_inv
	v_add_f32_e32 v21, v40, v21
	ds_bpermute_b32 v40, v31, v21
	s_waitcnt lgkmcnt(0)
	v_add_f32_e32 v21, v21, v40
	ds_bpermute_b32 v40, v32, v21
	s_waitcnt lgkmcnt(0)
	;; [unrolled: 3-line block ×3, first 2 shown]
	v_add_f32_e32 v21, v21, v40
	ds_bpermute_b32 v40, v34, v21
	s_and_saveexec_b32 s6, s5
	s_cbranch_execz .LBB231_28
; %bb.27:                               ;   in Loop: Header=BB231_16 Depth=1
	s_waitcnt lgkmcnt(0)
	v_add_f32_e32 v21, v21, v40
	ds_store_b32 v36, v21
.LBB231_28:                             ;   in Loop: Header=BB231_16 Depth=1
	s_or_b32 exec_lo, exec_lo, s6
	v_mov_b32_e32 v21, 0
	s_waitcnt lgkmcnt(0)
	s_barrier
	buffer_gl0_inv
	s_and_saveexec_b32 s6, s1
	s_cbranch_execnz .LBB231_54
; %bb.29:                               ;   in Loop: Header=BB231_16 Depth=1
	s_or_b32 exec_lo, exec_lo, s6
	s_and_saveexec_b32 s6, s0
	s_cbranch_execnz .LBB231_55
.LBB231_30:                             ;   in Loop: Header=BB231_16 Depth=1
	s_or_b32 exec_lo, exec_lo, s6
	s_and_saveexec_b32 s6, s0
	s_cbranch_execz .LBB231_32
.LBB231_31:                             ;   in Loop: Header=BB231_16 Depth=1
	ds_store_b32 v35, v37
.LBB231_32:                             ;   in Loop: Header=BB231_16 Depth=1
	s_or_b32 exec_lo, exec_lo, s6
	ds_bpermute_b32 v40, v30, v39
	s_waitcnt lgkmcnt(0)
	s_barrier
	buffer_gl0_inv
	v_add_f32_e32 v39, v39, v40
	ds_bpermute_b32 v40, v31, v39
	s_waitcnt lgkmcnt(0)
	v_add_f32_e32 v39, v39, v40
	ds_bpermute_b32 v40, v32, v39
	s_waitcnt lgkmcnt(0)
	;; [unrolled: 3-line block ×3, first 2 shown]
	v_add_f32_e32 v39, v39, v40
	ds_bpermute_b32 v40, v34, v39
	s_and_saveexec_b32 s6, s5
	s_cbranch_execz .LBB231_34
; %bb.33:                               ;   in Loop: Header=BB231_16 Depth=1
	s_waitcnt lgkmcnt(0)
	v_add_f32_e32 v39, v39, v40
	ds_store_b32 v36, v39
.LBB231_34:                             ;   in Loop: Header=BB231_16 Depth=1
	s_or_b32 exec_lo, exec_lo, s6
	v_mov_b32_e32 v39, 0
	s_waitcnt lgkmcnt(0)
	s_barrier
	buffer_gl0_inv
	s_and_saveexec_b32 s6, s1
	s_cbranch_execnz .LBB231_56
; %bb.35:                               ;   in Loop: Header=BB231_16 Depth=1
	s_or_b32 exec_lo, exec_lo, s6
	s_and_saveexec_b32 s6, s0
	s_cbranch_execnz .LBB231_57
.LBB231_36:                             ;   in Loop: Header=BB231_16 Depth=1
	s_or_b32 exec_lo, exec_lo, s6
	s_and_saveexec_b32 s6, s0
	s_cbranch_execz .LBB231_38
.LBB231_37:                             ;   in Loop: Header=BB231_16 Depth=1
	ds_store_b32 v35, v37
.LBB231_38:                             ;   in Loop: Header=BB231_16 Depth=1
	s_or_b32 exec_lo, exec_lo, s6
	ds_bpermute_b32 v40, v30, v38
	s_waitcnt lgkmcnt(0)
	s_barrier
	buffer_gl0_inv
	v_add_f32_e32 v38, v38, v40
	ds_bpermute_b32 v40, v31, v38
	s_waitcnt lgkmcnt(0)
	v_add_f32_e32 v38, v38, v40
	ds_bpermute_b32 v40, v32, v38
	s_waitcnt lgkmcnt(0)
	;; [unrolled: 3-line block ×3, first 2 shown]
	v_add_f32_e32 v38, v38, v40
	ds_bpermute_b32 v40, v34, v38
	s_and_saveexec_b32 s6, s5
	s_cbranch_execz .LBB231_40
; %bb.39:                               ;   in Loop: Header=BB231_16 Depth=1
	s_waitcnt lgkmcnt(0)
	v_add_f32_e32 v38, v38, v40
	ds_store_b32 v36, v38
.LBB231_40:                             ;   in Loop: Header=BB231_16 Depth=1
	s_or_b32 exec_lo, exec_lo, s6
	v_mov_b32_e32 v38, 0
	s_waitcnt lgkmcnt(0)
	s_barrier
	buffer_gl0_inv
	s_and_saveexec_b32 s6, s1
	s_cbranch_execnz .LBB231_58
; %bb.41:                               ;   in Loop: Header=BB231_16 Depth=1
	s_or_b32 exec_lo, exec_lo, s6
	s_and_saveexec_b32 s6, s0
	s_cbranch_execnz .LBB231_59
.LBB231_42:                             ;   in Loop: Header=BB231_16 Depth=1
	s_or_b32 exec_lo, exec_lo, s6
	s_and_saveexec_b32 s6, s2
	s_cbranch_execz .LBB231_15
	s_branch .LBB231_60
.LBB231_43:                             ;   in Loop: Header=BB231_16 Depth=1
	s_mul_i32 s7, s15, s13
	s_mul_hi_u32 s8, s15, s12
	s_delay_alu instid0(SALU_CYCLE_1)
	s_add_i32 s9, s8, s7
	s_mul_i32 s8, s15, s12
	s_or_b32 s7, s15, 1
	s_lshl_b64 s[8:9], s[8:9], 2
	s_mul_i32 s36, s7, s13
	s_mul_hi_u32 s37, s7, s12
	v_add_co_u32 v2, vcc_lo, v5, s8
	v_add_co_ci_u32_e32 v3, vcc_lo, s9, v6, vcc_lo
	s_add_i32 s9, s37, s36
	s_mul_i32 s8, s7, s12
	s_or_b32 s7, s15, 2
	s_lshl_b64 s[8:9], s[8:9], 2
	s_mul_i32 s36, s7, s13
	s_mul_hi_u32 s37, s7, s12
	v_add_co_u32 v20, vcc_lo, v5, s8
	v_add_co_ci_u32_e32 v21, vcc_lo, s9, v6, vcc_lo
	s_add_i32 s9, s37, s36
	s_or_b32 s36, s15, 3
	s_mul_i32 s8, s7, s12
	s_mul_i32 s7, s36, s13
	s_mul_hi_u32 s37, s36, s12
	s_lshl_b64 s[8:9], s[8:9], 2
	s_add_i32 s37, s37, s7
	s_mul_i32 s36, s36, s12
	s_waitcnt lgkmcnt(0)
	v_add_co_u32 v38, vcc_lo, v5, s8
	v_add_co_ci_u32_e32 v39, vcc_lo, s9, v6, vcc_lo
	s_lshl_b64 s[8:9], s[36:37], 2
	s_delay_alu instid0(SALU_CYCLE_1)
	v_add_co_u32 v53, vcc_lo, v5, s8
	v_add_co_ci_u32_e32 v54, vcc_lo, s9, v6, vcc_lo
	flat_load_b32 v1, v[10:11]
	s_clause 0x3
	flat_load_b128 v[41:44], v[2:3]
	flat_load_b128 v[45:48], v[20:21]
	;; [unrolled: 1-line block ×4, first 2 shown]
	s_clause 0x2
	flat_load_b32 v2, v[12:13]
	flat_load_b32 v3, v[14:15]
	;; [unrolled: 1-line block ×3, first 2 shown]
	s_waitcnt vmcnt(6) lgkmcnt(6)
	v_fma_f32 v41, v1, v41, 0
	s_waitcnt vmcnt(5) lgkmcnt(5)
	v_fma_f32 v40, v1, v45, 0
	;; [unrolled: 2-line block ×4, first 2 shown]
	s_waitcnt vmcnt(2) lgkmcnt(2)
	v_fmac_f32_e32 v40, v2, v46
	v_fmac_f32_e32 v41, v2, v42
	s_delay_alu instid0(VALU_DEP_3) | instskip(SKIP_1) | instid1(VALU_DEP_3)
	v_fmac_f32_e32 v38, v2, v54
	s_waitcnt vmcnt(1) lgkmcnt(1)
	v_dual_fmac_f32 v39, v2, v50 :: v_dual_fmac_f32 v40, v3, v47
	s_delay_alu instid0(VALU_DEP_3) | instskip(NEXT) | instid1(VALU_DEP_3)
	v_fmac_f32_e32 v41, v3, v43
	v_fmac_f32_e32 v38, v3, v55
	s_waitcnt vmcnt(0) lgkmcnt(0)
	s_delay_alu instid0(VALU_DEP_3) | instskip(NEXT) | instid1(VALU_DEP_3)
	v_dual_fmac_f32 v39, v3, v51 :: v_dual_fmac_f32 v40, v4, v48
	v_fmac_f32_e32 v41, v4, v44
	s_delay_alu instid0(VALU_DEP_3) | instskip(NEXT) | instid1(VALU_DEP_3)
	v_fmac_f32_e32 v38, v4, v56
	v_fmac_f32_e32 v39, v4, v52
	s_and_not1_saveexec_b32 s44, s6
	s_cbranch_execz .LBB231_18
.LBB231_44:                             ;   in Loop: Header=BB231_16 Depth=1
	s_waitcnt lgkmcnt(0)
	v_dual_mov_b32 v38, 0 :: v_dual_mov_b32 v39, 0
	v_dual_mov_b32 v40, 0 :: v_dual_mov_b32 v41, 0
	s_and_saveexec_b32 s45, s4
	s_cbranch_execz .LBB231_51
; %bb.45:                               ;   in Loop: Header=BB231_16 Depth=1
	s_and_not1_b32 vcc_lo, exec_lo, s39
	s_cbranch_vccnz .LBB231_48
; %bb.46:                               ;   in Loop: Header=BB231_16 Depth=1
	v_dual_mov_b32 v21, v11 :: v_dual_mov_b32 v20, v10
	s_mov_b64 s[36:37], 0
	.p2align	6
.LBB231_47:                             ;   Parent Loop BB231_16 Depth=1
                                        ; =>  This Inner Loop Header: Depth=2
	flat_load_b32 v38, v[20:21]
	v_add_co_u32 v20, vcc_lo, v20, s26
	s_cmp_eq_u32 s36, 3
	v_add_co_ci_u32_e32 v21, vcc_lo, s27, v21, vcc_lo
	s_cselect_b32 vcc_lo, -1, 0
	s_cmp_eq_u32 s36, 2
	s_cselect_b32 s6, -1, 0
	s_cmp_eq_u32 s36, 1
	s_cselect_b32 s7, -1, 0
	;; [unrolled: 2-line block ×3, first 2 shown]
	s_add_u32 s36, s36, 1
	s_addc_u32 s37, s37, 0
	s_cmp_eq_u32 s11, s36
	s_waitcnt vmcnt(0) lgkmcnt(0)
	v_cndmask_b32_e32 v4, v4, v38, vcc_lo
	v_cndmask_b32_e64 v3, v3, v38, s6
	v_cndmask_b32_e64 v2, v2, v38, s7
	;; [unrolled: 1-line block ×3, first 2 shown]
	s_cbranch_scc0 .LBB231_47
.LBB231_48:                             ;   in Loop: Header=BB231_16 Depth=1
	v_dual_mov_b32 v38, 0 :: v_dual_mov_b32 v39, 0
	v_dual_mov_b32 v40, 0 :: v_dual_mov_b32 v41, 0
	s_and_not1_b32 vcc_lo, exec_lo, s39
	s_cbranch_vccnz .LBB231_51
; %bb.49:                               ;   in Loop: Header=BB231_16 Depth=1
	v_dual_mov_b32 v21, v19 :: v_dual_mov_b32 v40, 0
	v_dual_mov_b32 v41, 0 :: v_dual_mov_b32 v20, v18
	v_dual_mov_b32 v39, 0 :: v_dual_mov_b32 v38, 0
	s_mov_b64 s[8:9], 0
	s_set_inst_prefetch_distance 0x1
	.p2align	6
.LBB231_50:                             ;   Parent Loop BB231_16 Depth=1
                                        ; =>  This Inner Loop Header: Depth=2
	s_delay_alu instid0(VALU_DEP_2)
	v_add_co_u32 v42, vcc_lo, v20, s34
	v_add_co_ci_u32_e32 v43, vcc_lo, s35, v21, vcc_lo
	v_add_co_u32 v44, vcc_lo, v20, s30
	v_add_co_ci_u32_e32 v45, vcc_lo, s31, v21, vcc_lo
	;; [unrolled: 2-line block ×3, first 2 shown]
	s_clause 0x3
	flat_load_b32 v48, v[20:21]
	flat_load_b32 v42, v[42:43]
	;; [unrolled: 1-line block ×4, first 2 shown]
	s_cmp_eq_u32 s8, 1
	v_add_co_u32 v20, s6, v20, 4
	s_cselect_b32 vcc_lo, -1, 0
	s_cmp_eq_u32 s8, 2
	v_cndmask_b32_e32 v45, v1, v2, vcc_lo
	s_cselect_b32 vcc_lo, -1, 0
	s_cmp_eq_u32 s8, 3
	v_add_co_ci_u32_e64 v21, s6, 0, v21, s6
	s_delay_alu instid0(VALU_DEP_2)
	v_cndmask_b32_e32 v45, v45, v3, vcc_lo
	s_cselect_b32 vcc_lo, -1, 0
	s_add_u32 s8, s8, 1
	s_addc_u32 s9, s9, 0
	s_cmp_lg_u32 s11, s8
	v_cndmask_b32_e32 v45, v45, v4, vcc_lo
	s_waitcnt vmcnt(3) lgkmcnt(3)
	s_delay_alu instid0(VALU_DEP_1)
	v_fmac_f32_e32 v41, v45, v48
	s_waitcnt vmcnt(2) lgkmcnt(2)
	v_fmac_f32_e32 v40, v45, v42
	s_waitcnt vmcnt(1) lgkmcnt(1)
	;; [unrolled: 2-line block ×3, first 2 shown]
	v_fmac_f32_e32 v38, v45, v44
	s_cbranch_scc1 .LBB231_50
.LBB231_51:                             ;   in Loop: Header=BB231_16 Depth=1
	s_set_inst_prefetch_distance 0x2
	s_or_b32 exec_lo, exec_lo, s45
	s_delay_alu instid0(SALU_CYCLE_1)
	s_or_b32 exec_lo, exec_lo, s44
	s_and_saveexec_b32 s6, s0
	s_cbranch_execnz .LBB231_19
	s_branch .LBB231_20
.LBB231_52:                             ;   in Loop: Header=BB231_16 Depth=1
	ds_load_b32 v20, v35
	s_or_b32 exec_lo, exec_lo, s6
	s_and_saveexec_b32 s6, s0
	s_cbranch_execz .LBB231_24
.LBB231_53:                             ;   in Loop: Header=BB231_16 Depth=1
	s_waitcnt lgkmcnt(0)
	ds_bpermute_b32 v21, v32, v20
	s_waitcnt lgkmcnt(0)
	v_add_f32_e32 v20, v20, v21
	ds_bpermute_b32 v21, v33, v20
	s_waitcnt lgkmcnt(0)
	v_add_f32_e32 v20, v20, v21
	;; [unrolled: 3-line block ×3, first 2 shown]
	s_or_b32 exec_lo, exec_lo, s6
	s_and_saveexec_b32 s6, s0
	s_cbranch_execnz .LBB231_25
	s_branch .LBB231_26
.LBB231_54:                             ;   in Loop: Header=BB231_16 Depth=1
	ds_load_b32 v21, v35
	s_or_b32 exec_lo, exec_lo, s6
	s_and_saveexec_b32 s6, s0
	s_cbranch_execz .LBB231_30
.LBB231_55:                             ;   in Loop: Header=BB231_16 Depth=1
	s_waitcnt lgkmcnt(0)
	ds_bpermute_b32 v40, v32, v21
	s_waitcnt lgkmcnt(0)
	v_add_f32_e32 v21, v21, v40
	ds_bpermute_b32 v40, v33, v21
	s_waitcnt lgkmcnt(0)
	v_add_f32_e32 v21, v21, v40
	;; [unrolled: 3-line block ×3, first 2 shown]
	s_or_b32 exec_lo, exec_lo, s6
	s_and_saveexec_b32 s6, s0
	s_cbranch_execnz .LBB231_31
	s_branch .LBB231_32
.LBB231_56:                             ;   in Loop: Header=BB231_16 Depth=1
	ds_load_b32 v39, v35
	s_or_b32 exec_lo, exec_lo, s6
	s_and_saveexec_b32 s6, s0
	s_cbranch_execz .LBB231_36
.LBB231_57:                             ;   in Loop: Header=BB231_16 Depth=1
	s_waitcnt lgkmcnt(0)
	ds_bpermute_b32 v40, v32, v39
	s_waitcnt lgkmcnt(0)
	v_add_f32_e32 v39, v39, v40
	ds_bpermute_b32 v40, v33, v39
	s_waitcnt lgkmcnt(0)
	v_add_f32_e32 v39, v39, v40
	;; [unrolled: 3-line block ×3, first 2 shown]
	s_or_b32 exec_lo, exec_lo, s6
	s_and_saveexec_b32 s6, s0
	s_cbranch_execnz .LBB231_37
	s_branch .LBB231_38
.LBB231_58:                             ;   in Loop: Header=BB231_16 Depth=1
	ds_load_b32 v38, v35
	s_or_b32 exec_lo, exec_lo, s6
	s_and_saveexec_b32 s6, s0
	s_cbranch_execz .LBB231_42
.LBB231_59:                             ;   in Loop: Header=BB231_16 Depth=1
	s_waitcnt lgkmcnt(0)
	ds_bpermute_b32 v40, v32, v38
	s_waitcnt lgkmcnt(0)
	v_add_f32_e32 v38, v38, v40
	ds_bpermute_b32 v40, v33, v38
	s_waitcnt lgkmcnt(0)
	v_add_f32_e32 v38, v38, v40
	;; [unrolled: 3-line block ×3, first 2 shown]
	s_or_b32 exec_lo, exec_lo, s6
	s_and_saveexec_b32 s6, s2
	s_cbranch_execz .LBB231_15
.LBB231_60:                             ;   in Loop: Header=BB231_16 Depth=1
	s_mul_hi_u32 s9, s15, s10
	s_mul_i32 s8, s15, s10
	v_dual_mul_f32 v20, s18, v20 :: v_dual_mul_f32 v21, s18, v21
	s_lshl_b64 s[8:9], s[8:9], 2
	s_waitcnt lgkmcnt(0)
	v_mul_f32_e32 v38, s18, v38
	s_add_u32 s8, s40, s8
	s_addc_u32 s9, s41, s9
	s_or_b32 s7, s15, 1
	global_store_b32 v37, v20, s[8:9]
	s_mul_hi_u32 s37, s7, s10
	s_mul_i32 s36, s7, s10
	v_mul_f32_e32 v20, s18, v39
	s_lshl_b64 s[36:37], s[36:37], 2
	s_delay_alu instid0(SALU_CYCLE_1)
	s_add_u32 s36, s40, s36
	s_addc_u32 s37, s41, s37
	s_or_b32 s7, s15, 2
	global_store_b32 v37, v21, s[36:37]
	s_mul_hi_u32 s45, s7, s10
	s_mul_i32 s44, s7, s10
	s_delay_alu instid0(SALU_CYCLE_1) | instskip(NEXT) | instid1(SALU_CYCLE_1)
	s_lshl_b64 s[44:45], s[44:45], 2
	s_add_u32 s8, s40, s44
	s_addc_u32 s9, s41, s45
	s_or_b32 s7, s15, 3
	s_delay_alu instid0(SALU_CYCLE_1) | instskip(SKIP_1) | instid1(SALU_CYCLE_1)
	s_mul_hi_u32 s45, s7, s10
	s_mul_i32 s44, s7, s10
	s_lshl_b64 s[44:45], s[44:45], 2
	s_delay_alu instid0(SALU_CYCLE_1)
	s_add_u32 s36, s40, s44
	s_addc_u32 s37, s41, s45
	s_clause 0x1
	global_store_b32 v37, v20, s[8:9]
	global_store_b32 v37, v38, s[36:37]
	s_branch .LBB231_15
.LBB231_61:
	s_mov_b32 s15, 0
                                        ; implicit-def: $vgpr1_vgpr2_vgpr3_vgpr4
.LBB231_62:
	s_delay_alu instid0(SALU_CYCLE_1)
	s_cmp_ge_i32 s15, s17
	s_cbranch_scc1 .LBB231_86
; %bb.63:
	v_cmp_gt_u32_e32 vcc_lo, 16, v27
	v_cmp_ge_i32_e64 s0, s16, v28
	v_cmp_ge_i32_e64 s1, s16, v29
	v_mad_i64_i32 v[16:17], null, s24, v22, 0
	v_cndmask_b32_e64 v10, 0, 1, vcc_lo
	v_cmp_gt_u32_e32 vcc_lo, 24, v27
	s_cmp_gt_i32 s11, 0
	s_mov_b32 s9, 0
	s_mov_b32 s8, s14
	v_lshlrev_b32_e32 v10, 4, v10
	v_cndmask_b32_e64 v11, 0, 1, vcc_lo
	v_cmp_gt_u32_e32 vcc_lo, 28, v27
	s_cselect_b32 s16, -1, 0
	s_lshl_b64 s[6:7], s[8:9], 2
	v_add_lshl_u32 v20, v10, v27, 2
	v_lshlrev_b32_e32 v11, 3, v11
	v_cndmask_b32_e64 v12, 0, 1, vcc_lo
	v_cmp_gt_u32_e32 vcc_lo, 30, v27
	s_add_u32 s14, s19, s6
	s_addc_u32 s19, s33, s7
	v_add_lshl_u32 v21, v11, v27, 2
	v_lshlrev_b32_e32 v12, 2, v12
	v_cndmask_b32_e64 v13, 0, 1, vcc_lo
	v_cmp_ne_u32_e32 vcc_lo, 31, v27
	v_mad_i64_i32 v[10:11], null, s24, v9, 0
	s_delay_alu instid0(VALU_DEP_4) | instskip(NEXT) | instid1(VALU_DEP_4)
	v_add_lshl_u32 v28, v12, v27, 2
	v_lshlrev_b32_e32 v13, 1, v13
	v_add_co_ci_u32_e32 v14, vcc_lo, 0, v27, vcc_lo
	s_mul_i32 s6, s13, s15
	s_mul_hi_u32 s7, s12, s15
	s_delay_alu instid0(VALU_DEP_2)
	v_add_lshl_u32 v27, v13, v27, 2
	v_mad_i64_i32 v[12:13], null, s24, v24, 0
	v_lshlrev_b32_e32 v29, 2, v14
	v_mad_i64_i32 v[14:15], null, s24, v23, 0
	v_lshlrev_b64 v[9:10], 2, v[10:11]
	s_add_i32 s7, s7, s6
	s_mul_i32 s6, s12, s15
	s_delay_alu instid0(VALU_DEP_4)
	v_lshlrev_b64 v[11:12], 2, v[12:13]
	s_lshl_b64 s[6:7], s[6:7], 2
	v_cmp_gt_u32_e64 s2, 32, v0
	v_add_co_u32 v9, vcc_lo, s22, v9
	v_lshlrev_b64 v[13:14], 2, v[14:15]
	v_add_co_ci_u32_e32 v10, vcc_lo, s23, v10, vcc_lo
	v_add_co_u32 v11, vcc_lo, s22, v11
	v_lshlrev_b64 v[15:16], 2, v[16:17]
	v_add_co_ci_u32_e32 v12, vcc_lo, s23, v12, vcc_lo
	v_add_co_u32 v13, vcc_lo, s22, v13
	v_add_co_ci_u32_e32 v14, vcc_lo, s23, v14, vcc_lo
	s_delay_alu instid0(VALU_DEP_4)
	v_add_co_u32 v15, vcc_lo, s22, v15
	v_add_co_ci_u32_e32 v16, vcc_lo, s23, v16, vcc_lo
	s_lshl_b64 s[22:23], s[24:25], 2
	s_add_u32 s6, s20, s6
	s_addc_u32 s7, s21, s7
	v_add_co_u32 v7, vcc_lo, s6, v7
	v_lshlrev_b32_e32 v19, 2, v25
	v_cmp_eq_u32_e64 s3, 0, v25
	v_and_b32_e32 v25, 28, v26
	v_cmp_gt_u32_e64 s4, 8, v0
	v_cmp_eq_u32_e64 s5, 0, v0
	v_mov_b32_e32 v0, 0
	v_add_co_ci_u32_e32 v8, vcc_lo, s7, v8, vcc_lo
	s_lshl_b64 s[20:21], s[12:13], 2
	s_branch .LBB231_65
.LBB231_64:                             ;   in Loop: Header=BB231_65 Depth=1
	s_or_b32 exec_lo, exec_lo, s6
	v_add_co_u32 v7, vcc_lo, v7, s20
	v_add_co_ci_u32_e32 v8, vcc_lo, s21, v8, vcc_lo
	s_add_i32 s15, s15, 1
	s_delay_alu instid0(SALU_CYCLE_1)
	s_cmp_ge_i32 s15, s17
	s_cbranch_scc1 .LBB231_86
.LBB231_65:                             ; =>This Loop Header: Depth=1
                                        ;     Child Loop BB231_78 Depth 2
                                        ;     Child Loop BB231_81 Depth 2
	v_mov_b32_e32 v22, s9
	s_and_saveexec_b32 s6, s0
	s_delay_alu instid0(SALU_CYCLE_1)
	s_xor_b32 s6, exec_lo, s6
	s_cbranch_execnz .LBB231_74
; %bb.66:                               ;   in Loop: Header=BB231_65 Depth=1
	s_and_not1_saveexec_b32 s26, s6
	s_cbranch_execnz .LBB231_75
.LBB231_67:                             ;   in Loop: Header=BB231_65 Depth=1
	s_or_b32 exec_lo, exec_lo, s26
	s_and_saveexec_b32 s6, s2
	s_cbranch_execz .LBB231_69
.LBB231_68:                             ;   in Loop: Header=BB231_65 Depth=1
	ds_store_b32 v19, v0
.LBB231_69:                             ;   in Loop: Header=BB231_65 Depth=1
	s_or_b32 exec_lo, exec_lo, s6
	s_waitcnt lgkmcnt(0)
	ds_bpermute_b32 v17, v20, v22
	s_waitcnt lgkmcnt(0)
	s_waitcnt_vscnt null, 0x0
	s_barrier
	buffer_gl0_inv
	v_add_f32_e32 v17, v22, v17
	ds_bpermute_b32 v18, v21, v17
	s_waitcnt lgkmcnt(0)
	v_add_f32_e32 v17, v17, v18
	ds_bpermute_b32 v18, v28, v17
	s_waitcnt lgkmcnt(0)
	;; [unrolled: 3-line block ×3, first 2 shown]
	v_add_f32_e32 v17, v17, v18
	ds_bpermute_b32 v18, v29, v17
	s_and_saveexec_b32 s6, s3
	s_cbranch_execz .LBB231_71
; %bb.70:                               ;   in Loop: Header=BB231_65 Depth=1
	s_waitcnt lgkmcnt(0)
	v_add_f32_e32 v17, v17, v18
	ds_store_b32 v25, v17
.LBB231_71:                             ;   in Loop: Header=BB231_65 Depth=1
	s_or_b32 exec_lo, exec_lo, s6
	v_mov_b32_e32 v17, 0
	s_waitcnt lgkmcnt(0)
	s_barrier
	buffer_gl0_inv
	s_and_saveexec_b32 s6, s4
	s_cbranch_execnz .LBB231_83
; %bb.72:                               ;   in Loop: Header=BB231_65 Depth=1
	s_or_b32 exec_lo, exec_lo, s6
	s_and_saveexec_b32 s6, s2
	s_cbranch_execnz .LBB231_84
.LBB231_73:                             ;   in Loop: Header=BB231_65 Depth=1
	s_or_b32 exec_lo, exec_lo, s6
	s_and_saveexec_b32 s6, s5
	s_cbranch_execz .LBB231_64
	s_branch .LBB231_85
.LBB231_74:                             ;   in Loop: Header=BB231_65 Depth=1
	s_mul_i32 s7, s15, s13
	s_mul_hi_u32 s8, s15, s12
	s_mul_i32 s24, s15, s12
	s_add_i32 s25, s8, s7
	s_delay_alu instid0(SALU_CYCLE_1) | instskip(NEXT) | instid1(SALU_CYCLE_1)
	s_lshl_b64 s[24:25], s[24:25], 2
	v_add_co_u32 v1, vcc_lo, v5, s24
	v_add_co_ci_u32_e32 v2, vcc_lo, s25, v6, vcc_lo
	flat_load_b128 v[30:33], v[1:2]
	s_clause 0x3
	flat_load_b32 v1, v[9:10]
	flat_load_b32 v2, v[11:12]
	;; [unrolled: 1-line block ×4, first 2 shown]
	s_waitcnt vmcnt(3) lgkmcnt(3)
	v_fma_f32 v22, v1, v30, 0
	s_waitcnt vmcnt(2) lgkmcnt(2)
	s_delay_alu instid0(VALU_DEP_1) | instskip(SKIP_1) | instid1(VALU_DEP_1)
	v_fmac_f32_e32 v22, v2, v31
	s_waitcnt vmcnt(1) lgkmcnt(1)
	v_fmac_f32_e32 v22, v3, v32
	s_waitcnt vmcnt(0) lgkmcnt(0)
	s_delay_alu instid0(VALU_DEP_1)
	v_fmac_f32_e32 v22, v4, v33
	s_and_not1_saveexec_b32 s26, s6
	s_cbranch_execz .LBB231_67
.LBB231_75:                             ;   in Loop: Header=BB231_65 Depth=1
	s_and_saveexec_b32 s27, s1
	s_cbranch_execz .LBB231_82
; %bb.76:                               ;   in Loop: Header=BB231_65 Depth=1
	s_and_not1_b32 vcc_lo, exec_lo, s16
	s_cbranch_vccnz .LBB231_79
; %bb.77:                               ;   in Loop: Header=BB231_65 Depth=1
	s_waitcnt lgkmcnt(0)
	v_dual_mov_b32 v18, v10 :: v_dual_mov_b32 v17, v9
	s_mov_b64 s[24:25], 0
	.p2align	6
.LBB231_78:                             ;   Parent Loop BB231_65 Depth=1
                                        ; =>  This Inner Loop Header: Depth=2
	flat_load_b32 v23, v[17:18]
	v_add_co_u32 v17, vcc_lo, v17, s22
	s_cmp_eq_u32 s24, 3
	v_add_co_ci_u32_e32 v18, vcc_lo, s23, v18, vcc_lo
	s_cselect_b32 vcc_lo, -1, 0
	s_cmp_eq_u32 s24, 2
	s_cselect_b32 s6, -1, 0
	s_cmp_eq_u32 s24, 1
	s_cselect_b32 s7, -1, 0
	;; [unrolled: 2-line block ×3, first 2 shown]
	s_add_u32 s24, s24, 1
	s_addc_u32 s25, s25, 0
	s_cmp_eq_u32 s11, s24
	s_waitcnt vmcnt(0) lgkmcnt(0)
	v_cndmask_b32_e32 v4, v4, v23, vcc_lo
	v_cndmask_b32_e64 v3, v3, v23, s6
	v_cndmask_b32_e64 v2, v2, v23, s7
	;; [unrolled: 1-line block ×3, first 2 shown]
	s_cbranch_scc0 .LBB231_78
.LBB231_79:                             ;   in Loop: Header=BB231_65 Depth=1
	s_and_not1_b32 vcc_lo, exec_lo, s16
	s_cbranch_vccnz .LBB231_82
; %bb.80:                               ;   in Loop: Header=BB231_65 Depth=1
	s_waitcnt lgkmcnt(0)
	v_dual_mov_b32 v18, v8 :: v_dual_mov_b32 v17, v7
	s_mov_b64 s[6:7], 0
	.p2align	6
.LBB231_81:                             ;   Parent Loop BB231_65 Depth=1
                                        ; =>  This Inner Loop Header: Depth=2
	flat_load_b32 v23, v[17:18]
	s_cmp_eq_u32 s6, 1
	s_cselect_b32 vcc_lo, -1, 0
	s_cmp_eq_u32 s6, 2
	v_cndmask_b32_e32 v24, v1, v2, vcc_lo
	s_cselect_b32 vcc_lo, -1, 0
	s_cmp_eq_u32 s6, 3
	s_delay_alu instid0(VALU_DEP_1)
	v_cndmask_b32_e32 v24, v24, v3, vcc_lo
	s_cselect_b32 vcc_lo, -1, 0
	s_add_u32 s6, s6, 1
	s_addc_u32 s7, s7, 0
	s_cmp_lg_u32 s11, s6
	v_cndmask_b32_e32 v24, v24, v4, vcc_lo
	v_add_co_u32 v17, vcc_lo, v17, 4
	v_add_co_ci_u32_e32 v18, vcc_lo, 0, v18, vcc_lo
	s_waitcnt vmcnt(0) lgkmcnt(0)
	s_delay_alu instid0(VALU_DEP_3)
	v_fmac_f32_e32 v22, v24, v23
	s_cbranch_scc1 .LBB231_81
.LBB231_82:                             ;   in Loop: Header=BB231_65 Depth=1
	s_or_b32 exec_lo, exec_lo, s27
	s_delay_alu instid0(SALU_CYCLE_1)
	s_or_b32 exec_lo, exec_lo, s26
	s_and_saveexec_b32 s6, s2
	s_cbranch_execnz .LBB231_68
	s_branch .LBB231_69
.LBB231_83:                             ;   in Loop: Header=BB231_65 Depth=1
	ds_load_b32 v17, v19
	s_or_b32 exec_lo, exec_lo, s6
	s_and_saveexec_b32 s6, s2
	s_cbranch_execz .LBB231_73
.LBB231_84:                             ;   in Loop: Header=BB231_65 Depth=1
	s_waitcnt lgkmcnt(0)
	ds_bpermute_b32 v18, v28, v17
	s_waitcnt lgkmcnt(0)
	v_add_f32_e32 v17, v17, v18
	ds_bpermute_b32 v18, v27, v17
	s_waitcnt lgkmcnt(0)
	v_add_f32_e32 v17, v17, v18
	;; [unrolled: 3-line block ×3, first 2 shown]
	s_or_b32 exec_lo, exec_lo, s6
	s_and_saveexec_b32 s6, s5
	s_cbranch_execz .LBB231_64
.LBB231_85:                             ;   in Loop: Header=BB231_65 Depth=1
	s_mul_hi_u32 s25, s15, s10
	s_mul_i32 s24, s15, s10
	s_waitcnt lgkmcnt(0)
	v_mul_f32_e32 v17, s18, v17
	s_lshl_b64 s[24:25], s[24:25], 2
	s_delay_alu instid0(SALU_CYCLE_1)
	s_add_u32 s24, s14, s24
	s_addc_u32 s25, s19, s25
	global_store_b32 v0, v17, s[24:25]
	s_branch .LBB231_64
.LBB231_86:
	s_nop 0
	s_sendmsg sendmsg(MSG_DEALLOC_VGPRS)
	s_endpgm
	.section	.rodata,"a",@progbits
	.p2align	6, 0x0
	.amdhsa_kernel _ZL23rocblas_gemvt_sn_kernelILb1ELi256ELi4ElPKfffEviiT4_lPKT3_lilS5_lilPT5_i
		.amdhsa_group_segment_fixed_size 128
		.amdhsa_private_segment_fixed_size 0
		.amdhsa_kernarg_size 360
		.amdhsa_user_sgpr_count 14
		.amdhsa_user_sgpr_dispatch_ptr 0
		.amdhsa_user_sgpr_queue_ptr 0
		.amdhsa_user_sgpr_kernarg_segment_ptr 1
		.amdhsa_user_sgpr_dispatch_id 0
		.amdhsa_user_sgpr_private_segment_size 0
		.amdhsa_wavefront_size32 1
		.amdhsa_uses_dynamic_stack 0
		.amdhsa_enable_private_segment 0
		.amdhsa_system_sgpr_workgroup_id_x 1
		.amdhsa_system_sgpr_workgroup_id_y 0
		.amdhsa_system_sgpr_workgroup_id_z 1
		.amdhsa_system_sgpr_workgroup_info 0
		.amdhsa_system_vgpr_workitem_id 0
		.amdhsa_next_free_vgpr 57
		.amdhsa_next_free_sgpr 46
		.amdhsa_reserve_vcc 1
		.amdhsa_float_round_mode_32 0
		.amdhsa_float_round_mode_16_64 0
		.amdhsa_float_denorm_mode_32 3
		.amdhsa_float_denorm_mode_16_64 3
		.amdhsa_dx10_clamp 1
		.amdhsa_ieee_mode 1
		.amdhsa_fp16_overflow 0
		.amdhsa_workgroup_processor_mode 1
		.amdhsa_memory_ordered 1
		.amdhsa_forward_progress 0
		.amdhsa_shared_vgpr_count 0
		.amdhsa_exception_fp_ieee_invalid_op 0
		.amdhsa_exception_fp_denorm_src 0
		.amdhsa_exception_fp_ieee_div_zero 0
		.amdhsa_exception_fp_ieee_overflow 0
		.amdhsa_exception_fp_ieee_underflow 0
		.amdhsa_exception_fp_ieee_inexact 0
		.amdhsa_exception_int_div_zero 0
	.end_amdhsa_kernel
	.section	.text._ZL23rocblas_gemvt_sn_kernelILb1ELi256ELi4ElPKfffEviiT4_lPKT3_lilS5_lilPT5_i,"axG",@progbits,_ZL23rocblas_gemvt_sn_kernelILb1ELi256ELi4ElPKfffEviiT4_lPKT3_lilS5_lilPT5_i,comdat
.Lfunc_end231:
	.size	_ZL23rocblas_gemvt_sn_kernelILb1ELi256ELi4ElPKfffEviiT4_lPKT3_lilS5_lilPT5_i, .Lfunc_end231-_ZL23rocblas_gemvt_sn_kernelILb1ELi256ELi4ElPKfffEviiT4_lPKT3_lilS5_lilPT5_i
                                        ; -- End function
	.section	.AMDGPU.csdata,"",@progbits
; Kernel info:
; codeLenInByte = 4156
; NumSgprs: 48
; NumVgprs: 57
; ScratchSize: 0
; MemoryBound: 0
; FloatMode: 240
; IeeeMode: 1
; LDSByteSize: 128 bytes/workgroup (compile time only)
; SGPRBlocks: 5
; VGPRBlocks: 7
; NumSGPRsForWavesPerEU: 48
; NumVGPRsForWavesPerEU: 57
; Occupancy: 16
; WaveLimiterHint : 0
; COMPUTE_PGM_RSRC2:SCRATCH_EN: 0
; COMPUTE_PGM_RSRC2:USER_SGPR: 14
; COMPUTE_PGM_RSRC2:TRAP_HANDLER: 0
; COMPUTE_PGM_RSRC2:TGID_X_EN: 1
; COMPUTE_PGM_RSRC2:TGID_Y_EN: 0
; COMPUTE_PGM_RSRC2:TGID_Z_EN: 1
; COMPUTE_PGM_RSRC2:TIDIG_COMP_CNT: 0
	.section	.text._ZL36rocblas_gemvt_double_buffered_kernelILb1ELi128ELi8ELi8EPKfS1_KPfEviiT4_lPKT3_lilS7_lilPT5_lili,"axG",@progbits,_ZL36rocblas_gemvt_double_buffered_kernelILb1ELi128ELi8ELi8EPKfS1_KPfEviiT4_lPKT3_lilS7_lilPT5_lili,comdat
	.globl	_ZL36rocblas_gemvt_double_buffered_kernelILb1ELi128ELi8ELi8EPKfS1_KPfEviiT4_lPKT3_lilS7_lilPT5_lili ; -- Begin function _ZL36rocblas_gemvt_double_buffered_kernelILb1ELi128ELi8ELi8EPKfS1_KPfEviiT4_lPKT3_lilS7_lilPT5_lili
	.p2align	8
	.type	_ZL36rocblas_gemvt_double_buffered_kernelILb1ELi128ELi8ELi8EPKfS1_KPfEviiT4_lPKT3_lilS7_lilPT5_lili,@function
_ZL36rocblas_gemvt_double_buffered_kernelILb1ELi128ELi8ELi8EPKfS1_KPfEviiT4_lPKT3_lilS7_lilPT5_lili: ; @_ZL36rocblas_gemvt_double_buffered_kernelILb1ELi128ELi8ELi8EPKfS1_KPfEviiT4_lPKT3_lilS7_lilPT5_lili
; %bb.0:
	s_load_b256 s[4:11], s[0:1], 0x8
	s_waitcnt lgkmcnt(0)
	s_mul_i32 s3, s15, s7
	s_mul_hi_u32 s7, s15, s6
	s_mul_i32 s6, s15, s6
	s_add_i32 s7, s7, s3
	s_delay_alu instid0(SALU_CYCLE_1) | instskip(NEXT) | instid1(SALU_CYCLE_1)
	s_lshl_b64 s[6:7], s[6:7], 2
	s_add_u32 s4, s4, s6
	s_addc_u32 s5, s5, s7
	s_load_b32 s18, s[4:5], 0x0
	s_waitcnt lgkmcnt(0)
	v_cmp_eq_f32_e64 s3, s18, 0
	s_delay_alu instid0(VALU_DEP_1)
	s_and_b32 vcc_lo, exec_lo, s3
	s_mov_b32 s3, 0
	s_cbranch_vccnz .LBB232_11
; %bb.1:
	s_clause 0x1
	s_load_b32 s4, s[0:1], 0x84
	s_load_b32 s5, s[0:1], 0x0
	s_mov_b32 s2, s15
	s_waitcnt lgkmcnt(0)
	v_cvt_f32_u32_e32 v1, s4
	s_ashr_i32 s7, s5, 31
	s_sub_i32 s12, 0, s4
	s_lshr_b32 s7, s7, 25
	s_delay_alu instid0(SALU_CYCLE_1) | instskip(SKIP_4) | instid1(VALU_DEP_1)
	s_add_i32 s5, s5, s7
	v_rcp_iflag_f32_e32 v1, v1
	s_ashr_i32 s5, s5, 7
	s_waitcnt_depctr 0xfff
	v_mul_f32_e32 v1, 0x4f7ffffe, v1
	v_cvt_u32_f32_e32 v1, v1
	s_delay_alu instid0(VALU_DEP_1) | instskip(NEXT) | instid1(VALU_DEP_1)
	v_readfirstlane_b32 s6, v1
	s_mul_i32 s12, s12, s6
	s_delay_alu instid0(SALU_CYCLE_1) | instskip(NEXT) | instid1(SALU_CYCLE_1)
	s_mul_hi_u32 s7, s6, s12
	s_add_i32 s6, s6, s7
	s_delay_alu instid0(SALU_CYCLE_1) | instskip(NEXT) | instid1(SALU_CYCLE_1)
	s_mul_hi_u32 s6, s5, s6
	s_mul_i32 s7, s6, s4
	s_add_i32 s12, s6, 1
	s_sub_i32 s7, s5, s7
	s_delay_alu instid0(SALU_CYCLE_1)
	s_sub_i32 s15, s7, s4
	s_cmp_ge_u32 s7, s4
	s_cselect_b32 s6, s12, s6
	s_cselect_b32 s7, s15, s7
	s_add_i32 s12, s6, 1
	s_cmp_ge_u32 s7, s4
	s_cselect_b32 s12, s12, s6
	s_delay_alu instid0(SALU_CYCLE_1) | instskip(NEXT) | instid1(SALU_CYCLE_1)
	s_mul_i32 s4, s12, s4
	s_sub_i32 s15, s5, s4
	s_delay_alu instid0(SALU_CYCLE_1) | instskip(SKIP_1) | instid1(SALU_CYCLE_1)
	s_cmp_lt_u32 s14, s15
	s_cselect_b32 s4, -1, 0
	s_cmp_lg_u32 s4, 0
	s_addc_u32 s19, s12, 0
	s_delay_alu instid0(SALU_CYCLE_1)
	s_cmp_eq_u32 s19, 0
	s_cbranch_scc1 .LBB232_11
; %bb.2:
	s_load_b128 s[4:7], s[0:1], 0x58
	s_lshl_b64 s[16:17], s[2:3], 3
	v_dual_mov_b32 v35, 0 :: v_dual_and_b32 v10, 0x3ff, v0
	v_bfe_u32 v11, v0, 10, 10
	v_dual_mov_b32 v36, 0 :: v_dual_mov_b32 v1, 0
	s_delay_alu instid0(VALU_DEP_3) | instskip(NEXT) | instid1(VALU_DEP_3)
	v_dual_mov_b32 v37, 0 :: v_dual_and_b32 v0, 63, v10
	v_lshl_add_u32 v2, v11, 7, v10
	v_mov_b32_e32 v38, 0
	v_mov_b32_e32 v40, 0
	s_delay_alu instid0(VALU_DEP_4) | instskip(NEXT) | instid1(VALU_DEP_4)
	v_dual_mov_b32 v41, 0 :: v_dual_lshlrev_b32 v12, 2, v0
	v_lshrrev_b32_e32 v13, 3, v2
	s_delay_alu instid0(VALU_DEP_1)
	v_dual_mov_b32 v39, 0 :: v_dual_and_b32 v14, 0x7ff8, v13
	s_waitcnt lgkmcnt(0)
	s_add_u32 s2, s4, s16
	s_addc_u32 s3, s5, s17
	s_load_b64 s[4:5], s[2:3], 0x0
	s_lshl_b32 s2, s13, 7
	s_delay_alu instid0(SALU_CYCLE_1)
	s_ashr_i32 s3, s2, 31
	s_cmp_lt_i32 s19, 1
	s_cbranch_scc1 .LBB232_8
; %bb.3:
	v_cvt_f64_i32_e32 v[3:4], s14
	v_cvt_f64_u32_e32 v[5:6], s15
	s_mul_i32 s12, s12, s14
	s_clause 0x1
	s_load_b32 s14, s[0:1], 0x28
	s_load_b128 s[20:23], s[0:1], 0x38
	v_cvt_f64_u32_e32 v[7:8], s12
	s_load_b32 s12, s[0:1], 0x48
	v_lshrrev_b32_e32 v2, 1, v2
	s_delay_alu instid0(VALU_DEP_1)
	v_dual_mov_b32 v1, 0 :: v_dual_and_b32 v2, 0x1ffe0, v2
	s_waitcnt lgkmcnt(0)
	s_ashr_i32 s15, s14, 31
	s_add_u32 s8, s8, s16
	s_addc_u32 s9, s9, s17
	s_add_u32 s16, s20, s16
	s_load_b64 s[8:9], s[8:9], 0x0
	s_addc_u32 s17, s21, s17
	s_lshl_b64 s[10:11], s[10:11], 2
	s_load_b64 s[16:17], s[16:17], 0x0
	s_ashr_i32 s13, s12, 31
	s_delay_alu instid0(VALU_DEP_4)
	v_min_f64 v[3:4], v[3:4], v[5:6]
	s_waitcnt lgkmcnt(0)
	s_add_u32 s24, s8, s10
	s_addc_u32 s25, s9, s11
	s_lshl_b64 s[8:9], s[22:23], 2
	s_mul_hi_i32 s23, s14, s2
	s_add_u32 s20, s16, s8
	s_addc_u32 s21, s17, s9
	s_mul_i32 s22, s14, s2
	s_delay_alu instid0(VALU_DEP_1) | instskip(NEXT) | instid1(VALU_DEP_1)
	v_add_f64 v[3:4], v[3:4], v[7:8]
	v_cvt_i32_f64_e32 v5, v[3:4]
	v_mad_i64_i32 v[3:4], null, s14, v14, v[0:1]
	s_delay_alu instid0(VALU_DEP_1) | instskip(NEXT) | instid1(VALU_DEP_3)
	v_lshlrev_b64 v[3:4], 2, v[3:4]
	v_readfirstlane_b32 s10, v5
	s_delay_alu instid0(VALU_DEP_1) | instskip(NEXT) | instid1(SALU_CYCLE_1)
	s_lshl_b32 s8, s10, 7
	s_ashr_i32 s9, s8, 31
	s_delay_alu instid0(SALU_CYCLE_1)
	s_lshl_b64 s[10:11], s[8:9], 2
	s_lshl_b64 s[8:9], s[22:23], 2
	s_add_u32 s16, s24, s10
	s_addc_u32 s17, s25, s11
	s_add_u32 s8, s16, s8
	s_addc_u32 s9, s17, s9
	v_add_co_u32 v3, vcc_lo, s8, v3
	v_add_co_ci_u32_e32 v4, vcc_lo, s9, v4, vcc_lo
	s_lshl_b64 s[8:9], s[14:15], 2
	s_lshl_b64 s[22:23], s[2:3], 2
	s_delay_alu instid0(VALU_DEP_2) | instskip(NEXT) | instid1(VALU_DEP_2)
	v_add_co_u32 v5, vcc_lo, v3, s8
	v_add_co_ci_u32_e32 v6, vcc_lo, s9, v4, vcc_lo
	s_clause 0x1
	global_load_b32 v21, v[3:4], off
	global_load_b32 v22, v[5:6], off
	v_add_co_u32 v7, vcc_lo, v5, s8
	v_add_co_ci_u32_e32 v8, vcc_lo, s9, v6, vcc_lo
	v_add_co_u32 v35, s3, v2, s22
	s_delay_alu instid0(VALU_DEP_3) | instskip(NEXT) | instid1(VALU_DEP_3)
	v_add_co_u32 v15, vcc_lo, v7, s8
	v_add_co_ci_u32_e32 v16, vcc_lo, s9, v8, vcc_lo
	global_load_b32 v23, v[7:8], off
	v_add_co_u32 v17, vcc_lo, v15, s8
	v_add_co_ci_u32_e32 v18, vcc_lo, s9, v16, vcc_lo
	v_add_co_ci_u32_e64 v36, null, 0, s23, s3
	s_delay_alu instid0(VALU_DEP_3) | instskip(NEXT) | instid1(VALU_DEP_3)
	v_add_co_u32 v19, vcc_lo, v17, s8
	v_add_co_ci_u32_e32 v20, vcc_lo, s9, v18, vcc_lo
	v_or_b32_e32 v37, s10, v12
	s_delay_alu instid0(VALU_DEP_3) | instskip(NEXT) | instid1(VALU_DEP_3)
	v_add_co_u32 v3, vcc_lo, v19, s8
	v_add_co_ci_u32_e32 v4, vcc_lo, s9, v20, vcc_lo
	s_delay_alu instid0(VALU_DEP_3) | instskip(NEXT) | instid1(VALU_DEP_3)
	v_or_b32_e32 v38, 0x100, v37
	v_add_co_u32 v5, vcc_lo, v3, s8
	s_delay_alu instid0(VALU_DEP_3)
	v_add_co_ci_u32_e32 v6, vcc_lo, s9, v4, vcc_lo
	global_load_b32 v26, v[15:16], off
	global_load_b32 v27, v[17:18], off
	;; [unrolled: 1-line block ×5, first 2 shown]
	v_add_co_u32 v4, vcc_lo, v35, 4
	v_add_co_ci_u32_e32 v5, vcc_lo, 0, v36, vcc_lo
	v_add_co_u32 v6, vcc_lo, v35, 8
	s_delay_alu instid0(VALU_DEP_3) | instskip(SKIP_1) | instid1(VALU_DEP_4)
	v_mad_u64_u32 v[2:3], null, v4, s14, s[16:17]
	v_mul_lo_u32 v4, v4, s15
	v_mul_lo_u32 v5, v5, s14
	s_delay_alu instid0(VALU_DEP_4)
	v_mul_lo_u32 v8, v6, s15
	v_mul_lo_u32 v39, v37, s13
	s_mul_i32 s3, s11, s12
	v_mov_b32_e32 v41, v1
	v_mov_b32_e32 v40, v1
	s_lshl_b64 s[10:11], s[12:13], 9
	v_add3_u32 v7, v5, v3, v4
	v_add_co_ci_u32_e32 v5, vcc_lo, 0, v36, vcc_lo
	v_add_co_u32 v9, vcc_lo, v35, 12
	v_mad_u64_u32 v[3:4], null, v6, s14, s[16:17]
	v_add_co_ci_u32_e32 v15, vcc_lo, 0, v36, vcc_lo
	s_delay_alu instid0(VALU_DEP_4) | instskip(NEXT) | instid1(VALU_DEP_4)
	v_mul_lo_u32 v17, v5, s14
	v_mad_u64_u32 v[5:6], null, v9, s14, s[16:17]
	s_delay_alu instid0(VALU_DEP_3)
	v_mul_lo_u32 v18, v15, s14
	v_add_co_u32 v15, vcc_lo, 0x200, v2
	v_mul_lo_u32 v9, v9, s15
	v_add_co_ci_u32_e32 v16, vcc_lo, 0, v7, vcc_lo
	v_add3_u32 v2, v17, v4, v8
	v_add_co_u32 v4, vcc_lo, v35, 16
	v_add_co_ci_u32_e32 v8, vcc_lo, 0, v36, vcc_lo
	v_add3_u32 v9, v18, v6, v9
	s_delay_alu instid0(VALU_DEP_3) | instskip(SKIP_1) | instid1(VALU_DEP_4)
	v_mad_u64_u32 v[6:7], null, v4, s14, s[16:17]
	v_mul_lo_u32 v4, v4, s15
	v_mul_lo_u32 v8, v8, s14
	v_add_co_u32 v17, vcc_lo, 0x200, v3
	v_add_co_ci_u32_e32 v18, vcc_lo, 0, v2, vcc_lo
	v_add_co_u32 v19, vcc_lo, 0x200, v5
	v_add_co_ci_u32_e32 v20, vcc_lo, 0, v9, vcc_lo
	v_add_co_u32 v5, vcc_lo, v35, 20
	v_add3_u32 v7, v8, v7, v4
	v_add_co_ci_u32_e32 v4, vcc_lo, 0, v36, vcc_lo
	v_add_co_u32 v9, vcc_lo, v35, 24
	v_add_co_ci_u32_e32 v24, vcc_lo, 0, v36, vcc_lo
	v_mad_u64_u32 v[2:3], null, v5, s14, s[16:17]
	v_mul_lo_u32 v8, v5, s15
	s_delay_alu instid0(VALU_DEP_3)
	v_mul_lo_u32 v32, v24, s14
	v_add_co_u32 v24, vcc_lo, 0x200, v6
	v_mul_lo_u32 v31, v4, s14
	v_mad_u64_u32 v[4:5], null, v9, s14, s[16:17]
	v_mul_lo_u32 v9, v9, s15
	v_add_co_ci_u32_e32 v25, vcc_lo, 0, v7, vcc_lo
	v_add_co_u32 v6, vcc_lo, v35, 28
	v_add_co_ci_u32_e32 v7, vcc_lo, 0, v36, vcc_lo
	v_add3_u32 v3, v31, v3, v8
	v_add3_u32 v5, v32, v5, v9
	s_delay_alu instid0(VALU_DEP_4)
	v_mad_u64_u32 v[8:9], null, v6, s14, s[16:17]
	v_mul_lo_u32 v6, v6, s15
	v_mul_lo_u32 v7, v7, s14
	v_add_co_u32 v31, vcc_lo, 0x200, v2
	v_add_co_ci_u32_e32 v32, vcc_lo, 0, v3, vcc_lo
	v_add_co_u32 v33, vcc_lo, 0x200, v4
	v_add_co_ci_u32_e32 v34, vcc_lo, 0, v5, vcc_lo
	v_add3_u32 v9, v7, v9, v6
	v_mad_u64_u32 v[2:3], null, v35, s14, s[16:17]
	v_mul_lo_u32 v35, v35, s15
	v_mul_lo_u32 v36, v36, s14
	v_mad_u64_u32 v[4:5], null, v37, s12, 0
	v_mul_lo_u32 v37, v38, s13
	v_mad_u64_u32 v[6:7], null, v38, s12, 0
	v_add_co_u32 v42, vcc_lo, 0x200, v8
	v_add_co_ci_u32_e32 v43, vcc_lo, 0, v9, vcc_lo
	v_add3_u32 v3, v36, v3, v35
	v_add3_u32 v5, v5, v39, s3
	;; [unrolled: 1-line block ×3, first 2 shown]
	v_mov_b32_e32 v39, v1
	v_mov_b32_e32 v37, v1
	;; [unrolled: 1-line block ×5, first 2 shown]
	s_add_i32 s3, s19, -1
	s_mov_b32 s12, 0
	s_waitcnt vmcnt(6)
	v_dual_mov_b32 v44, v21 :: v_dual_mov_b32 v45, v22
	s_waitcnt vmcnt(4)
	v_dual_mov_b32 v46, v23 :: v_dual_mov_b32 v47, v26
	;; [unrolled: 2-line block ×4, first 2 shown]
.LBB232_4:                              ; =>This Inner Loop Header: Depth=1
	v_add_co_u32 v8, vcc_lo, v2, v12
	v_add_co_ci_u32_e32 v9, vcc_lo, 0, v3, vcc_lo
	s_cmp_lg_u32 s3, s12
	s_delay_alu instid0(VALU_DEP_2) | instskip(NEXT) | instid1(VALU_DEP_2)
	v_add_co_u32 v52, vcc_lo, 0x100, v8
	v_add_co_ci_u32_e32 v54, vcc_lo, 0, v9, vcc_lo
	s_delay_alu instid0(VALU_DEP_2) | instskip(NEXT) | instid1(VALU_DEP_2)
	v_add_co_u32 v53, vcc_lo, v52, s8
	v_add_co_ci_u32_e32 v54, vcc_lo, s9, v54, vcc_lo
	;; [unrolled: 3-line block ×7, first 2 shown]
	v_add_co_u32 v65, vcc_lo, s20, v4
	v_add_co_ci_u32_e32 v66, vcc_lo, s21, v5, vcc_lo
	s_delay_alu instid0(VALU_DEP_4) | instskip(NEXT) | instid1(VALU_DEP_4)
	v_add_co_u32 v67, vcc_lo, v63, s8
	v_add_co_ci_u32_e32 v68, vcc_lo, s9, v64, vcc_lo
	s_clause 0x4
	global_load_b32 v52, v[8:9], off offset:256
	global_load_b32 v53, v[53:54], off
	global_load_b32 v54, v[55:56], off
	;; [unrolled: 1-line block ×8, first 2 shown]
	s_cbranch_scc0 .LBB232_6
; %bb.5:                                ;   in Loop: Header=BB232_4 Depth=1
	v_add_co_u32 v45, vcc_lo, v15, v12
	v_add_co_ci_u32_e32 v46, vcc_lo, 0, v16, vcc_lo
	v_add_co_u32 v47, vcc_lo, v17, v12
	v_add_co_ci_u32_e32 v48, vcc_lo, 0, v18, vcc_lo
	global_load_b32 v44, v[8:9], off offset:512
	global_load_b32 v45, v[45:46], off
	global_load_b32 v46, v[47:48], off
	v_add_co_u32 v8, vcc_lo, v19, v12
	v_add_co_ci_u32_e32 v9, vcc_lo, 0, v20, vcc_lo
	v_add_co_u32 v48, vcc_lo, v24, v12
	v_add_co_ci_u32_e32 v49, vcc_lo, 0, v25, vcc_lo
	;; [unrolled: 2-line block ×5, first 2 shown]
	global_load_b32 v47, v[8:9], off
	global_load_b32 v48, v[48:49], off
	;; [unrolled: 1-line block ×5, first 2 shown]
.LBB232_6:                              ;   in Loop: Header=BB232_4 Depth=1
	v_add_co_u32 v8, vcc_lo, s20, v6
	v_add_co_ci_u32_e32 v9, vcc_lo, s21, v7, vcc_lo
	v_add_co_u32 v15, vcc_lo, 0x200, v15
	v_add_co_ci_u32_e32 v16, vcc_lo, 0, v16, vcc_lo
	global_load_b32 v8, v[8:9], off
	v_add_co_u32 v17, vcc_lo, 0x200, v17
	v_add_co_ci_u32_e32 v18, vcc_lo, 0, v18, vcc_lo
	v_add_co_u32 v19, vcc_lo, 0x200, v19
	v_add_co_ci_u32_e32 v20, vcc_lo, 0, v20, vcc_lo
	;; [unrolled: 2-line block ×5, first 2 shown]
	s_waitcnt vmcnt(1)
	v_fmac_f32_e32 v1, v21, v60
	v_fmac_f32_e32 v41, v22, v60
	;; [unrolled: 1-line block ×8, first 2 shown]
	v_add_co_u32 v42, vcc_lo, 0x200, v42
	v_add_co_ci_u32_e32 v43, vcc_lo, 0, v43, vcc_lo
	v_add_co_u32 v2, vcc_lo, 0x200, v2
	s_add_i32 s12, s12, 1
	v_add_co_ci_u32_e32 v3, vcc_lo, 0, v3, vcc_lo
	s_add_u32 s20, s20, s10
	s_addc_u32 s21, s21, s11
	s_cmp_ge_i32 s12, s19
	s_waitcnt vmcnt(0)
	v_fmac_f32_e32 v1, v52, v8
	v_fmac_f32_e32 v41, v53, v8
	;; [unrolled: 1-line block ×8, first 2 shown]
	s_cbranch_scc1 .LBB232_8
; %bb.7:                                ;   in Loop: Header=BB232_4 Depth=1
	v_dual_mov_b32 v21, v44 :: v_dual_mov_b32 v22, v45
	v_dual_mov_b32 v23, v46 :: v_dual_mov_b32 v26, v47
	;; [unrolled: 1-line block ×4, first 2 shown]
	s_branch .LBB232_4
.LBB232_8:
	v_lshlrev_b32_e32 v2, 8, v13
	v_lshl_or_b32 v3, v14, 8, v12
	s_mov_b32 s3, 0
	s_mov_b32 s8, exec_lo
	s_delay_alu instid0(VALU_DEP_2)
	v_or3_b32 v2, v2, v12, 0x700
	ds_store_2addr_stride64_b32 v3, v1, v41 offset1:1
	ds_store_2addr_stride64_b32 v3, v39, v40 offset0:2 offset1:3
	ds_store_2addr_stride64_b32 v3, v37, v38 offset0:4 offset1:5
	ds_store_b32 v3, v36 offset:1536
	ds_store_b32 v2, v35
	s_waitcnt lgkmcnt(0)
	s_barrier
	buffer_gl0_inv
	v_cmpx_eq_u32_e32 0, v11
	s_cbranch_execz .LBB232_11
; %bb.9:
	v_lshlrev_b32_e32 v2, 6, v10
	v_add_nc_u32_e32 v1, 1, v10
	v_add_nc_u32_e32 v5, 4, v10
	;; [unrolled: 1-line block ×4, first 2 shown]
	v_or_b32_e32 v4, v0, v2
	v_add_nc_u32_e32 v0, 2, v10
	v_and_or_b32 v1, v1, 63, v2
	v_add_nc_u32_e32 v9, 7, v10
	v_add_nc_u32_e32 v11, 8, v10
	v_lshlrev_b32_e32 v6, 2, v4
	v_and_or_b32 v0, v0, 63, v2
	v_add_nc_u32_e32 v12, 9, v10
	v_add_nc_u32_e32 v13, 10, v10
	;; [unrolled: 1-line block ×3, first 2 shown]
	ds_load_b32 v6, v6
	v_lshlrev_b32_e32 v1, 2, v1
	v_lshlrev_b32_e32 v0, 2, v0
	v_add_nc_u32_e32 v15, 13, v10
	v_add_nc_u32_e32 v16, 14, v10
	;; [unrolled: 1-line block ×3, first 2 shown]
	ds_load_b32 v1, v1
	ds_load_b32 v0, v0
	s_load_b32 s8, s[0:1], 0x68
	s_lshl_b64 s[0:1], s[6:7], 2
	v_xor_b32_e32 v4, 32, v4
	s_add_u32 s0, s4, s0
	s_addc_u32 s1, s5, s1
	s_delay_alu instid0(VALU_DEP_1) | instskip(SKIP_2) | instid1(VALU_DEP_1)
	v_lshlrev_b32_e32 v4, 2, v4
	s_waitcnt lgkmcnt(0)
	v_add_f32_e32 v6, 0, v6
	v_add_f32_e32 v1, v6, v1
	v_add_nc_u32_e32 v3, 3, v10
	v_and_or_b32 v5, v5, 63, v2
	v_and_or_b32 v7, v7, 63, v2
	;; [unrolled: 1-line block ×3, first 2 shown]
	v_add_f32_e32 v0, v1, v0
	v_and_or_b32 v3, v3, 63, v2
	v_and_or_b32 v9, v9, 63, v2
	v_lshlrev_b32_e32 v5, 2, v5
	v_lshlrev_b32_e32 v7, 2, v7
	;; [unrolled: 1-line block ×5, first 2 shown]
	v_and_or_b32 v1, v11, 63, v2
	ds_load_b32 v3, v3
	ds_load_b32 v5, v5
	;; [unrolled: 1-line block ×5, first 2 shown]
	v_and_or_b32 v12, v12, 63, v2
	v_lshlrev_b32_e32 v1, 2, v1
	v_and_or_b32 v13, v13, 63, v2
	v_add_nc_u32_e32 v6, 12, v10
	v_add_nc_u32_e32 v11, 16, v10
	v_lshlrev_b32_e32 v12, 2, v12
	ds_load_b32 v1, v1
	v_lshlrev_b32_e32 v13, 2, v13
	v_and_or_b32 v6, v6, 63, v2
	s_mul_hi_i32 s5, s8, s2
	s_mul_i32 s4, s8, s2
	s_delay_alu instid0(SALU_CYCLE_1) | instskip(NEXT) | instid1(VALU_DEP_1)
	s_lshl_b64 s[4:5], s[4:5], 2
	v_lshlrev_b32_e32 v6, 2, v6
	s_add_u32 s0, s0, s4
	s_waitcnt lgkmcnt(5)
	v_add_f32_e32 v0, v0, v3
	v_and_or_b32 v3, v14, 63, v2
	v_and_or_b32 v14, v16, 63, v2
	s_addc_u32 s1, s1, s5
	v_add_nc_u32_e32 v16, 22, v10
	s_waitcnt lgkmcnt(4)
	v_add_f32_e32 v0, v0, v5
	v_and_or_b32 v5, v15, 63, v2
	v_lshlrev_b32_e32 v3, 2, v3
	s_waitcnt lgkmcnt(3)
	s_delay_alu instid0(VALU_DEP_3)
	v_dual_add_f32 v0, v0, v7 :: v_dual_add_nc_u32 v15, 20, v10
	ds_load_b32 v7, v12
	s_waitcnt lgkmcnt(3)
	v_dual_add_f32 v0, v0, v8 :: v_dual_lshlrev_b32 v5, 2, v5
	ds_load_b32 v8, v13
	v_and_or_b32 v12, v17, 63, v2
	v_lshlrev_b32_e32 v13, 2, v14
	v_add_nc_u32_e32 v14, 19, v10
	s_waitcnt lgkmcnt(3)
	v_add_f32_e32 v0, v0, v9
	v_lshlrev_b32_e32 v12, 2, v12
	ds_load_b32 v3, v3
	ds_load_b32 v6, v6
	;; [unrolled: 1-line block ×5, first 2 shown]
	s_waitcnt lgkmcnt(7)
	v_dual_add_f32 v0, v0, v1 :: v_dual_add_nc_u32 v13, 18, v10
	s_waitcnt lgkmcnt(6)
	s_delay_alu instid0(VALU_DEP_1) | instskip(NEXT) | instid1(VALU_DEP_1)
	v_dual_add_f32 v0, v0, v7 :: v_dual_add_nc_u32 v1, 17, v10
	v_and_or_b32 v1, v1, 63, v2
	s_waitcnt lgkmcnt(5)
	s_delay_alu instid0(VALU_DEP_2)
	v_dual_add_f32 v0, v0, v8 :: v_dual_add_nc_u32 v7, 21, v10
	v_and_or_b32 v8, v11, 63, v2
	v_and_or_b32 v11, v13, 63, v2
	;; [unrolled: 1-line block ×3, first 2 shown]
	v_lshlrev_b32_e32 v14, 2, v1
	s_waitcnt lgkmcnt(4)
	v_add_f32_e32 v0, v0, v3
	v_and_or_b32 v3, v15, 63, v2
	v_lshlrev_b32_e32 v8, 2, v8
	v_lshlrev_b32_e32 v11, 2, v11
	v_and_or_b32 v7, v7, 63, v2
	s_waitcnt lgkmcnt(3)
	v_add_f32_e32 v6, v0, v6
	v_mad_i64_i32 v[0:1], null, s8, v10, 0
	v_lshlrev_b32_e32 v15, 2, v3
	v_lshlrev_b32_e32 v13, 2, v13
	s_waitcnt lgkmcnt(2)
	v_add_f32_e32 v3, v6, v5
	ds_load_b32 v5, v8
	ds_load_b32 v6, v14
	;; [unrolled: 1-line block ×3, first 2 shown]
	v_lshlrev_b32_e32 v7, 2, v7
	v_lshlrev_b64 v[0:1], 2, v[0:1]
	s_waitcnt lgkmcnt(4)
	v_add_f32_e32 v3, v3, v9
	v_and_or_b32 v9, v16, 63, v2
	s_delay_alu instid0(VALU_DEP_3) | instskip(SKIP_1) | instid1(VALU_DEP_3)
	v_add_co_u32 v0, vcc_lo, s0, v0
	s_waitcnt lgkmcnt(3)
	v_dual_add_f32 v8, v3, v12 :: v_dual_add_nc_u32 v3, 23, v10
	v_add_co_ci_u32_e32 v1, vcc_lo, s1, v1, vcc_lo
	v_lshlrev_b32_e32 v9, 2, v9
	s_delay_alu instid0(VALU_DEP_3)
	v_and_or_b32 v12, v3, 63, v2
	global_load_b32 v3, v[0:1], off
	s_waitcnt lgkmcnt(2)
	v_dual_add_f32 v5, v8, v5 :: v_dual_add_nc_u32 v8, 25, v10
	v_lshlrev_b32_e32 v12, 2, v12
	ds_load_b32 v13, v13
	ds_load_b32 v14, v15
	;; [unrolled: 1-line block ×5, first 2 shown]
	s_waitcnt lgkmcnt(6)
	v_add_f32_e32 v5, v5, v6
	s_waitcnt lgkmcnt(5)
	s_delay_alu instid0(VALU_DEP_1) | instskip(NEXT) | instid1(VALU_DEP_1)
	v_dual_add_f32 v5, v5, v11 :: v_dual_add_nc_u32 v6, 24, v10
	v_and_or_b32 v6, v6, 63, v2
	v_add_nc_u32_e32 v11, 26, v10
	s_waitcnt lgkmcnt(4)
	s_delay_alu instid0(VALU_DEP_2)
	v_dual_add_f32 v5, v5, v13 :: v_dual_lshlrev_b32 v6, 2, v6
	v_add_nc_u32_e32 v13, 27, v10
	ds_load_b32 v6, v6
	s_waitcnt lgkmcnt(4)
	v_add_f32_e32 v5, v5, v14
	s_waitcnt lgkmcnt(3)
	s_delay_alu instid0(VALU_DEP_1)
	v_dual_add_f32 v5, v5, v7 :: v_dual_add_nc_u32 v14, 28, v10
	v_and_or_b32 v7, v8, 63, v2
	v_and_or_b32 v8, v11, 63, v2
	;; [unrolled: 1-line block ×3, first 2 shown]
	v_add_nc_u32_e32 v13, 31, v10
	s_waitcnt lgkmcnt(2)
	v_add_f32_e32 v5, v5, v9
	v_lshlrev_b32_e32 v7, 2, v7
	v_lshlrev_b32_e32 v8, 2, v8
	;; [unrolled: 1-line block ×3, first 2 shown]
	v_add_nc_u32_e32 v11, 29, v10
	s_waitcnt lgkmcnt(1)
	v_add_f32_e32 v5, v5, v12
	ds_load_b32 v7, v7
	ds_load_b32 v8, v8
	v_add_nc_u32_e32 v12, 30, v10
	v_and_or_b32 v14, v14, 63, v2
	v_and_or_b32 v11, v11, 63, v2
	;; [unrolled: 1-line block ×3, first 2 shown]
	s_waitcnt lgkmcnt(2)
	v_add_f32_e32 v5, v5, v6
	v_and_or_b32 v12, v12, 63, v2
	v_lshlrev_b32_e32 v14, 2, v14
	v_lshlrev_b32_e32 v11, 2, v11
	;; [unrolled: 1-line block ×3, first 2 shown]
	v_add_nc_u32_e32 v6, 33, v10
	v_lshlrev_b32_e32 v12, 2, v12
	ds_load_b32 v9, v9
	ds_load_b32 v14, v14
	;; [unrolled: 1-line block ×6, first 2 shown]
	v_and_or_b32 v6, v6, 63, v2
	s_waitcnt lgkmcnt(7)
	v_add_f32_e32 v5, v5, v7
	v_add_nc_u32_e32 v7, 34, v10
	s_waitcnt lgkmcnt(6)
	s_delay_alu instid0(VALU_DEP_2) | instskip(NEXT) | instid1(VALU_DEP_2)
	v_dual_add_f32 v5, v5, v8 :: v_dual_lshlrev_b32 v6, 2, v6
	v_and_or_b32 v7, v7, 63, v2
	v_add_nc_u32_e32 v8, 35, v10
	ds_load_b32 v6, v6
	s_waitcnt lgkmcnt(6)
	v_add_f32_e32 v5, v5, v9
	v_add_nc_u32_e32 v9, 36, v10
	v_lshlrev_b32_e32 v7, 2, v7
	v_and_or_b32 v8, v8, 63, v2
	s_waitcnt lgkmcnt(5)
	v_add_f32_e32 v5, v5, v14
	v_add_nc_u32_e32 v14, 37, v10
	v_and_or_b32 v9, v9, 63, v2
	ds_load_b32 v7, v7
	s_waitcnt lgkmcnt(5)
	v_dual_add_f32 v5, v5, v11 :: v_dual_lshlrev_b32 v8, 2, v8
	v_add_nc_u32_e32 v11, 38, v10
	v_lshlrev_b32_e32 v9, 2, v9
	s_waitcnt lgkmcnt(4)
	s_delay_alu instid0(VALU_DEP_3) | instskip(NEXT) | instid1(VALU_DEP_3)
	v_dual_add_f32 v5, v5, v12 :: v_dual_add_nc_u32 v12, 39, v10
	v_and_or_b32 v11, v11, 63, v2
	s_waitcnt lgkmcnt(3)
	s_delay_alu instid0(VALU_DEP_2)
	v_add_f32_e32 v5, v5, v13
	v_and_or_b32 v13, v14, 63, v2
	v_and_or_b32 v12, v12, 63, v2
	v_lshlrev_b32_e32 v11, 2, v11
	v_add_nc_u32_e32 v14, 45, v10
	s_waitcnt lgkmcnt(2)
	v_dual_add_f32 v4, v5, v4 :: v_dual_lshlrev_b32 v13, 2, v13
	v_lshlrev_b32_e32 v12, 2, v12
	ds_load_b32 v8, v8
	ds_load_b32 v9, v9
	;; [unrolled: 1-line block ×5, first 2 shown]
	s_waitcnt lgkmcnt(6)
	v_add_f32_e32 v4, v4, v6
	v_add_nc_u32_e32 v5, 40, v10
	v_add_nc_u32_e32 v6, 41, v10
	s_waitcnt lgkmcnt(5)
	s_delay_alu instid0(VALU_DEP_3) | instskip(NEXT) | instid1(VALU_DEP_3)
	v_add_f32_e32 v4, v4, v7
	v_and_or_b32 v5, v5, 63, v2
	v_add_nc_u32_e32 v7, 42, v10
	v_and_or_b32 v6, v6, 63, v2
	s_delay_alu instid0(VALU_DEP_3) | instskip(NEXT) | instid1(VALU_DEP_3)
	v_lshlrev_b32_e32 v5, 2, v5
	v_and_or_b32 v7, v7, 63, v2
	s_delay_alu instid0(VALU_DEP_3)
	v_lshlrev_b32_e32 v6, 2, v6
	s_waitcnt lgkmcnt(4)
	v_add_f32_e32 v4, v4, v8
	ds_load_b32 v5, v5
	v_add_nc_u32_e32 v8, 43, v10
	ds_load_b32 v6, v6
	s_waitcnt lgkmcnt(5)
	v_dual_add_f32 v4, v4, v9 :: v_dual_lshlrev_b32 v7, 2, v7
	v_add_nc_u32_e32 v9, 44, v10
	v_and_or_b32 v8, v8, 63, v2
	ds_load_b32 v7, v7
	s_waitcnt lgkmcnt(5)
	v_add_f32_e32 v4, v4, v13
	v_and_or_b32 v9, v9, 63, v2
	v_and_or_b32 v13, v14, 63, v2
	v_lshlrev_b32_e32 v8, 2, v8
	v_add_nc_u32_e32 v14, 53, v10
	s_waitcnt lgkmcnt(4)
	v_dual_add_f32 v4, v4, v11 :: v_dual_add_nc_u32 v11, 46, v10
	v_lshlrev_b32_e32 v9, 2, v9
	s_waitcnt lgkmcnt(3)
	s_delay_alu instid0(VALU_DEP_2) | instskip(SKIP_3) | instid1(VALU_DEP_3)
	v_dual_add_f32 v4, v4, v12 :: v_dual_lshlrev_b32 v13, 2, v13
	v_add_nc_u32_e32 v12, 47, v10
	v_and_or_b32 v11, v11, 63, v2
	s_waitcnt lgkmcnt(2)
	v_add_f32_e32 v4, v4, v5
	s_delay_alu instid0(VALU_DEP_3) | instskip(NEXT) | instid1(VALU_DEP_3)
	v_and_or_b32 v12, v12, 63, v2
	v_lshlrev_b32_e32 v11, 2, v11
	v_add_nc_u32_e32 v5, 48, v10
	s_waitcnt lgkmcnt(1)
	v_add_f32_e32 v4, v4, v6
	v_lshlrev_b32_e32 v12, 2, v12
	ds_load_b32 v8, v8
	ds_load_b32 v9, v9
	;; [unrolled: 1-line block ×5, first 2 shown]
	v_add_nc_u32_e32 v6, 49, v10
	v_and_or_b32 v5, v5, 63, v2
	s_waitcnt lgkmcnt(5)
	v_dual_add_f32 v4, v4, v7 :: v_dual_add_nc_u32 v7, 50, v10
	s_delay_alu instid0(VALU_DEP_3) | instskip(NEXT) | instid1(VALU_DEP_3)
	v_and_or_b32 v6, v6, 63, v2
	v_lshlrev_b32_e32 v5, 2, v5
	s_delay_alu instid0(VALU_DEP_3) | instskip(NEXT) | instid1(VALU_DEP_3)
	v_and_or_b32 v7, v7, 63, v2
	v_lshlrev_b32_e32 v6, 2, v6
	ds_load_b32 v5, v5
	v_lshlrev_b32_e32 v7, 2, v7
	ds_load_b32 v6, v6
	s_waitcnt lgkmcnt(6)
	v_add_f32_e32 v4, v4, v8
	v_add_nc_u32_e32 v8, 51, v10
	ds_load_b32 v7, v7
	s_waitcnt lgkmcnt(6)
	v_dual_add_f32 v4, v4, v9 :: v_dual_add_nc_u32 v9, 52, v10
	v_and_or_b32 v8, v8, 63, v2
	s_waitcnt lgkmcnt(5)
	s_delay_alu instid0(VALU_DEP_2) | instskip(NEXT) | instid1(VALU_DEP_3)
	v_add_f32_e32 v4, v4, v13
	v_and_or_b32 v9, v9, 63, v2
	v_and_or_b32 v13, v14, 63, v2
	v_lshlrev_b32_e32 v8, 2, v8
	v_add_nc_u32_e32 v14, 61, v10
	s_waitcnt lgkmcnt(4)
	v_dual_add_f32 v4, v4, v11 :: v_dual_add_nc_u32 v11, 54, v10
	v_lshlrev_b32_e32 v9, 2, v9
	s_waitcnt lgkmcnt(3)
	s_delay_alu instid0(VALU_DEP_2) | instskip(SKIP_3) | instid1(VALU_DEP_3)
	v_dual_add_f32 v4, v4, v12 :: v_dual_lshlrev_b32 v13, 2, v13
	v_add_nc_u32_e32 v12, 55, v10
	v_and_or_b32 v11, v11, 63, v2
	s_waitcnt lgkmcnt(2)
	v_add_f32_e32 v4, v4, v5
	s_delay_alu instid0(VALU_DEP_3) | instskip(NEXT) | instid1(VALU_DEP_3)
	v_and_or_b32 v12, v12, 63, v2
	v_lshlrev_b32_e32 v11, 2, v11
	v_add_nc_u32_e32 v5, 56, v10
	s_waitcnt lgkmcnt(1)
	v_add_f32_e32 v4, v4, v6
	v_lshlrev_b32_e32 v12, 2, v12
	ds_load_b32 v8, v8
	ds_load_b32 v9, v9
	;; [unrolled: 1-line block ×5, first 2 shown]
	v_add_nc_u32_e32 v6, 57, v10
	v_and_or_b32 v5, v5, 63, v2
	s_waitcnt lgkmcnt(5)
	v_dual_add_f32 v4, v4, v7 :: v_dual_add_nc_u32 v7, 58, v10
	s_delay_alu instid0(VALU_DEP_3) | instskip(NEXT) | instid1(VALU_DEP_3)
	v_and_or_b32 v6, v6, 63, v2
	v_lshlrev_b32_e32 v5, 2, v5
	s_delay_alu instid0(VALU_DEP_3) | instskip(NEXT) | instid1(VALU_DEP_3)
	v_and_or_b32 v7, v7, 63, v2
	v_lshlrev_b32_e32 v6, 2, v6
	ds_load_b32 v5, v5
	v_lshlrev_b32_e32 v7, 2, v7
	ds_load_b32 v6, v6
	s_waitcnt lgkmcnt(6)
	v_add_f32_e32 v4, v4, v8
	v_add_nc_u32_e32 v8, 59, v10
	ds_load_b32 v7, v7
	s_waitcnt lgkmcnt(6)
	v_dual_add_f32 v4, v4, v9 :: v_dual_add_nc_u32 v9, 60, v10
	v_and_or_b32 v8, v8, 63, v2
	s_waitcnt lgkmcnt(5)
	s_delay_alu instid0(VALU_DEP_2) | instskip(NEXT) | instid1(VALU_DEP_3)
	v_add_f32_e32 v4, v4, v13
	v_and_or_b32 v9, v9, 63, v2
	s_delay_alu instid0(VALU_DEP_3) | instskip(SKIP_1) | instid1(VALU_DEP_3)
	v_lshlrev_b32_e32 v8, 2, v8
	s_waitcnt lgkmcnt(4)
	v_dual_add_f32 v4, v4, v11 :: v_dual_add_nc_u32 v11, 62, v10
	v_add_nc_u32_e32 v10, -1, v10
	s_waitcnt lgkmcnt(3)
	s_delay_alu instid0(VALU_DEP_2)
	v_dual_add_f32 v4, v4, v12 :: v_dual_lshlrev_b32 v9, 2, v9
	v_and_or_b32 v12, v14, 63, v2
	v_and_or_b32 v11, v11, 63, v2
	;; [unrolled: 1-line block ×3, first 2 shown]
	s_waitcnt lgkmcnt(2)
	v_add_f32_e32 v4, v4, v5
	v_lshlrev_b32_e32 v10, 2, v12
	v_lshlrev_b32_e32 v11, 2, v11
	;; [unrolled: 1-line block ×3, first 2 shown]
	ds_load_b32 v8, v8
	ds_load_b32 v9, v9
	;; [unrolled: 1-line block ×5, first 2 shown]
	s_waitcnt lgkmcnt(6)
	v_add_f32_e32 v4, v4, v6
	s_waitcnt lgkmcnt(5)
	s_delay_alu instid0(VALU_DEP_1) | instskip(SKIP_1) | instid1(VALU_DEP_1)
	v_add_f32_e32 v4, v4, v7
	s_waitcnt lgkmcnt(4)
	v_add_f32_e32 v4, v4, v8
	s_waitcnt lgkmcnt(3)
	s_delay_alu instid0(VALU_DEP_1) | instskip(SKIP_1) | instid1(VALU_DEP_1)
	v_add_f32_e32 v4, v4, v9
	;; [unrolled: 5-line block ×3, first 2 shown]
	s_waitcnt lgkmcnt(0)
	v_add_f32_e32 v2, v4, v2
	s_delay_alu instid0(VALU_DEP_1)
	v_mul_f32_e32 v4, s18, v2
.LBB232_10:                             ; =>This Inner Loop Header: Depth=1
	s_waitcnt vmcnt(0)
	s_delay_alu instid0(VALU_DEP_1)
	v_add_f32_e32 v2, v3, v4
	global_atomic_cmpswap_b32 v2, v[0:1], v[2:3], off glc
	s_waitcnt vmcnt(0)
	v_cmp_eq_u32_e32 vcc_lo, v2, v3
	v_mov_b32_e32 v3, v2
	s_or_b32 s3, vcc_lo, s3
	s_delay_alu instid0(SALU_CYCLE_1)
	s_and_not1_b32 exec_lo, exec_lo, s3
	s_cbranch_execnz .LBB232_10
.LBB232_11:
	s_endpgm
	.section	.rodata,"a",@progbits
	.p2align	6, 0x0
	.amdhsa_kernel _ZL36rocblas_gemvt_double_buffered_kernelILb1ELi128ELi8ELi8EPKfS1_KPfEviiT4_lPKT3_lilS7_lilPT5_lili
		.amdhsa_group_segment_fixed_size 32768
		.amdhsa_private_segment_fixed_size 0
		.amdhsa_kernarg_size 384
		.amdhsa_user_sgpr_count 13
		.amdhsa_user_sgpr_dispatch_ptr 0
		.amdhsa_user_sgpr_queue_ptr 0
		.amdhsa_user_sgpr_kernarg_segment_ptr 1
		.amdhsa_user_sgpr_dispatch_id 0
		.amdhsa_user_sgpr_private_segment_size 0
		.amdhsa_wavefront_size32 1
		.amdhsa_uses_dynamic_stack 0
		.amdhsa_enable_private_segment 0
		.amdhsa_system_sgpr_workgroup_id_x 1
		.amdhsa_system_sgpr_workgroup_id_y 1
		.amdhsa_system_sgpr_workgroup_id_z 1
		.amdhsa_system_sgpr_workgroup_info 0
		.amdhsa_system_vgpr_workitem_id 1
		.amdhsa_next_free_vgpr 69
		.amdhsa_next_free_sgpr 26
		.amdhsa_reserve_vcc 1
		.amdhsa_float_round_mode_32 0
		.amdhsa_float_round_mode_16_64 0
		.amdhsa_float_denorm_mode_32 3
		.amdhsa_float_denorm_mode_16_64 3
		.amdhsa_dx10_clamp 1
		.amdhsa_ieee_mode 1
		.amdhsa_fp16_overflow 0
		.amdhsa_workgroup_processor_mode 1
		.amdhsa_memory_ordered 1
		.amdhsa_forward_progress 0
		.amdhsa_shared_vgpr_count 0
		.amdhsa_exception_fp_ieee_invalid_op 0
		.amdhsa_exception_fp_denorm_src 0
		.amdhsa_exception_fp_ieee_div_zero 0
		.amdhsa_exception_fp_ieee_overflow 0
		.amdhsa_exception_fp_ieee_underflow 0
		.amdhsa_exception_fp_ieee_inexact 0
		.amdhsa_exception_int_div_zero 0
	.end_amdhsa_kernel
	.section	.text._ZL36rocblas_gemvt_double_buffered_kernelILb1ELi128ELi8ELi8EPKfS1_KPfEviiT4_lPKT3_lilS7_lilPT5_lili,"axG",@progbits,_ZL36rocblas_gemvt_double_buffered_kernelILb1ELi128ELi8ELi8EPKfS1_KPfEviiT4_lPKT3_lilS7_lilPT5_lili,comdat
.Lfunc_end232:
	.size	_ZL36rocblas_gemvt_double_buffered_kernelILb1ELi128ELi8ELi8EPKfS1_KPfEviiT4_lPKT3_lilS7_lilPT5_lili, .Lfunc_end232-_ZL36rocblas_gemvt_double_buffered_kernelILb1ELi128ELi8ELi8EPKfS1_KPfEviiT4_lPKT3_lilS7_lilPT5_lili
                                        ; -- End function
	.section	.AMDGPU.csdata,"",@progbits
; Kernel info:
; codeLenInByte = 4548
; NumSgprs: 28
; NumVgprs: 69
; ScratchSize: 0
; MemoryBound: 0
; FloatMode: 240
; IeeeMode: 1
; LDSByteSize: 32768 bytes/workgroup (compile time only)
; SGPRBlocks: 3
; VGPRBlocks: 8
; NumSGPRsForWavesPerEU: 28
; NumVGPRsForWavesPerEU: 69
; Occupancy: 16
; WaveLimiterHint : 1
; COMPUTE_PGM_RSRC2:SCRATCH_EN: 0
; COMPUTE_PGM_RSRC2:USER_SGPR: 13
; COMPUTE_PGM_RSRC2:TRAP_HANDLER: 0
; COMPUTE_PGM_RSRC2:TGID_X_EN: 1
; COMPUTE_PGM_RSRC2:TGID_Y_EN: 1
; COMPUTE_PGM_RSRC2:TGID_Z_EN: 1
; COMPUTE_PGM_RSRC2:TIDIG_COMP_CNT: 1
	.section	.text._ZL36rocblas_gemvt_double_buffered_kernelILb1ELi128ELi8ELi8EPKffKPfEviiT4_lPKT3_lilS7_lilPT5_lili,"axG",@progbits,_ZL36rocblas_gemvt_double_buffered_kernelILb1ELi128ELi8ELi8EPKffKPfEviiT4_lPKT3_lilS7_lilPT5_lili,comdat
	.globl	_ZL36rocblas_gemvt_double_buffered_kernelILb1ELi128ELi8ELi8EPKffKPfEviiT4_lPKT3_lilS7_lilPT5_lili ; -- Begin function _ZL36rocblas_gemvt_double_buffered_kernelILb1ELi128ELi8ELi8EPKffKPfEviiT4_lPKT3_lilS7_lilPT5_lili
	.p2align	8
	.type	_ZL36rocblas_gemvt_double_buffered_kernelILb1ELi128ELi8ELi8EPKffKPfEviiT4_lPKT3_lilS7_lilPT5_lili,@function
_ZL36rocblas_gemvt_double_buffered_kernelILb1ELi128ELi8ELi8EPKffKPfEviiT4_lPKT3_lilS7_lilPT5_lili: ; @_ZL36rocblas_gemvt_double_buffered_kernelILb1ELi128ELi8ELi8EPKffKPfEviiT4_lPKT3_lilS7_lilPT5_lili
; %bb.0:
	s_load_b32 s20, s[0:1], 0x8
	s_waitcnt lgkmcnt(0)
	v_cmp_eq_f32_e64 s2, s20, 0
	s_delay_alu instid0(VALU_DEP_1)
	s_and_b32 vcc_lo, exec_lo, s2
	s_cbranch_vccnz .LBB233_11
; %bb.1:
	s_clause 0x1
	s_load_b32 s2, s[0:1], 0x84
	s_load_b32 s3, s[0:1], 0x0
	s_mov_b32 s8, s15
	s_waitcnt lgkmcnt(0)
	v_cvt_f32_u32_e32 v1, s2
	s_ashr_i32 s5, s3, 31
	s_sub_i32 s6, 0, s2
	s_lshr_b32 s5, s5, 25
	s_delay_alu instid0(SALU_CYCLE_1) | instskip(SKIP_4) | instid1(VALU_DEP_1)
	s_add_i32 s3, s3, s5
	v_rcp_iflag_f32_e32 v1, v1
	s_ashr_i32 s3, s3, 7
	s_waitcnt_depctr 0xfff
	v_mul_f32_e32 v1, 0x4f7ffffe, v1
	v_cvt_u32_f32_e32 v1, v1
	s_delay_alu instid0(VALU_DEP_1) | instskip(NEXT) | instid1(VALU_DEP_1)
	v_readfirstlane_b32 s4, v1
	s_mul_i32 s6, s6, s4
	s_delay_alu instid0(SALU_CYCLE_1) | instskip(NEXT) | instid1(SALU_CYCLE_1)
	s_mul_hi_u32 s5, s4, s6
	s_add_i32 s4, s4, s5
	s_delay_alu instid0(SALU_CYCLE_1) | instskip(NEXT) | instid1(SALU_CYCLE_1)
	s_mul_hi_u32 s4, s3, s4
	s_mul_i32 s5, s4, s2
	s_add_i32 s6, s4, 1
	s_sub_i32 s5, s3, s5
	s_delay_alu instid0(SALU_CYCLE_1)
	s_sub_i32 s7, s5, s2
	s_cmp_ge_u32 s5, s2
	s_cselect_b32 s4, s6, s4
	s_cselect_b32 s5, s7, s5
	s_add_i32 s6, s4, 1
	s_cmp_ge_u32 s5, s2
	s_cselect_b32 s12, s6, s4
	s_delay_alu instid0(SALU_CYCLE_1) | instskip(NEXT) | instid1(SALU_CYCLE_1)
	s_mul_i32 s2, s12, s2
	s_sub_i32 s15, s3, s2
	s_delay_alu instid0(SALU_CYCLE_1) | instskip(SKIP_1) | instid1(SALU_CYCLE_1)
	s_cmp_lt_u32 s14, s15
	s_cselect_b32 s2, -1, 0
	s_cmp_lg_u32 s2, 0
	s_addc_u32 s21, s12, 0
	s_delay_alu instid0(SALU_CYCLE_1)
	s_cmp_eq_u32 s21, 0
	s_cbranch_scc1 .LBB233_11
; %bb.2:
	s_load_b128 s[4:7], s[0:1], 0x58
	s_mov_b32 s9, 0
	v_dual_mov_b32 v35, 0 :: v_dual_and_b32 v10, 0x3ff, v0
	s_lshl_b64 s[10:11], s[8:9], 3
	v_bfe_u32 v11, v0, 10, 10
	v_dual_mov_b32 v36, 0 :: v_dual_mov_b32 v1, 0
	s_delay_alu instid0(VALU_DEP_3) | instskip(NEXT) | instid1(VALU_DEP_3)
	v_dual_mov_b32 v37, 0 :: v_dual_and_b32 v0, 63, v10
	v_lshl_add_u32 v2, v11, 7, v10
	v_mov_b32_e32 v38, 0
	v_mov_b32_e32 v40, 0
	s_delay_alu instid0(VALU_DEP_4) | instskip(NEXT) | instid1(VALU_DEP_4)
	v_dual_mov_b32 v41, 0 :: v_dual_lshlrev_b32 v12, 2, v0
	v_lshrrev_b32_e32 v13, 3, v2
	s_delay_alu instid0(VALU_DEP_1)
	v_dual_mov_b32 v39, 0 :: v_dual_and_b32 v14, 0x7ff8, v13
	s_waitcnt lgkmcnt(0)
	s_add_u32 s2, s4, s10
	s_addc_u32 s3, s5, s11
	s_load_b64 s[4:5], s[2:3], 0x0
	s_lshl_b32 s2, s13, 7
	s_delay_alu instid0(SALU_CYCLE_1)
	s_ashr_i32 s3, s2, 31
	s_cmp_lt_i32 s21, 1
	s_cbranch_scc1 .LBB233_8
; %bb.3:
	v_cvt_f64_i32_e32 v[3:4], s14
	v_cvt_f64_u32_e32 v[5:6], s15
	s_mul_i32 s12, s12, s14
	s_clause 0x2
	s_load_b32 s14, s[0:1], 0x28
	s_load_b128 s[16:19], s[0:1], 0x18
	s_load_b128 s[24:27], s[0:1], 0x38
	v_cvt_f64_u32_e32 v[7:8], s12
	v_lshrrev_b32_e32 v2, 1, v2
	s_delay_alu instid0(VALU_DEP_1)
	v_dual_mov_b32 v1, 0 :: v_dual_and_b32 v2, 0x1ffe0, v2
	s_waitcnt lgkmcnt(0)
	s_ashr_i32 s15, s14, 31
	s_add_u32 s16, s16, s10
	s_addc_u32 s17, s17, s11
	s_load_b32 s12, s[0:1], 0x48
	s_load_b64 s[16:17], s[16:17], 0x0
	s_add_u32 s10, s24, s10
	s_addc_u32 s11, s25, s11
	s_lshl_b64 s[18:19], s[18:19], 2
	s_load_b64 s[10:11], s[10:11], 0x0
	s_delay_alu instid0(VALU_DEP_4)
	v_min_f64 v[3:4], v[3:4], v[5:6]
	s_waitcnt lgkmcnt(0)
	s_ashr_i32 s13, s12, 31
	s_add_u32 s23, s16, s18
	s_addc_u32 s24, s17, s19
	s_lshl_b64 s[16:17], s[26:27], 2
	s_mul_hi_i32 s19, s14, s2
	s_add_u32 s8, s10, s16
	s_addc_u32 s22, s11, s17
	s_delay_alu instid0(VALU_DEP_1) | instskip(NEXT) | instid1(VALU_DEP_1)
	v_add_f64 v[3:4], v[3:4], v[7:8]
	v_cvt_i32_f64_e32 v5, v[3:4]
	v_mad_i64_i32 v[3:4], null, s14, v14, v[0:1]
	s_delay_alu instid0(VALU_DEP_1) | instskip(NEXT) | instid1(VALU_DEP_3)
	v_lshlrev_b64 v[3:4], 2, v[3:4]
	v_readfirstlane_b32 s18, v5
	s_delay_alu instid0(VALU_DEP_1) | instskip(SKIP_2) | instid1(SALU_CYCLE_1)
	s_lshl_b32 s10, s18, 7
	s_mul_i32 s18, s14, s2
	s_ashr_i32 s11, s10, 31
	s_lshl_b64 s[16:17], s[10:11], 2
	s_lshl_b64 s[10:11], s[18:19], 2
	s_add_u32 s18, s23, s16
	s_addc_u32 s19, s24, s17
	s_add_u32 s10, s18, s10
	s_addc_u32 s11, s19, s11
	v_add_co_u32 v3, vcc_lo, s10, v3
	v_add_co_ci_u32_e32 v4, vcc_lo, s11, v4, vcc_lo
	s_lshl_b64 s[10:11], s[14:15], 2
	s_lshl_b64 s[24:25], s[2:3], 2
	s_delay_alu instid0(VALU_DEP_2) | instskip(NEXT) | instid1(VALU_DEP_2)
	v_add_co_u32 v5, vcc_lo, v3, s10
	v_add_co_ci_u32_e32 v6, vcc_lo, s11, v4, vcc_lo
	s_clause 0x1
	global_load_b32 v21, v[3:4], off
	global_load_b32 v22, v[5:6], off
	v_add_co_u32 v7, vcc_lo, v5, s10
	v_add_co_ci_u32_e32 v8, vcc_lo, s11, v6, vcc_lo
	v_add_co_u32 v35, s3, v2, s24
	s_delay_alu instid0(VALU_DEP_3) | instskip(NEXT) | instid1(VALU_DEP_3)
	v_add_co_u32 v15, vcc_lo, v7, s10
	v_add_co_ci_u32_e32 v16, vcc_lo, s11, v8, vcc_lo
	global_load_b32 v23, v[7:8], off
	v_add_co_u32 v17, vcc_lo, v15, s10
	v_add_co_ci_u32_e32 v18, vcc_lo, s11, v16, vcc_lo
	v_add_co_ci_u32_e64 v36, null, 0, s25, s3
	s_delay_alu instid0(VALU_DEP_3) | instskip(NEXT) | instid1(VALU_DEP_3)
	v_add_co_u32 v19, vcc_lo, v17, s10
	v_add_co_ci_u32_e32 v20, vcc_lo, s11, v18, vcc_lo
	v_or_b32_e32 v37, s16, v12
	s_delay_alu instid0(VALU_DEP_3) | instskip(NEXT) | instid1(VALU_DEP_3)
	v_add_co_u32 v3, vcc_lo, v19, s10
	v_add_co_ci_u32_e32 v4, vcc_lo, s11, v20, vcc_lo
	s_delay_alu instid0(VALU_DEP_3) | instskip(NEXT) | instid1(VALU_DEP_3)
	v_or_b32_e32 v38, 0x100, v37
	v_add_co_u32 v5, vcc_lo, v3, s10
	s_delay_alu instid0(VALU_DEP_3)
	v_add_co_ci_u32_e32 v6, vcc_lo, s11, v4, vcc_lo
	global_load_b32 v26, v[15:16], off
	global_load_b32 v27, v[17:18], off
	;; [unrolled: 1-line block ×5, first 2 shown]
	v_add_co_u32 v4, vcc_lo, v35, 4
	v_add_co_ci_u32_e32 v5, vcc_lo, 0, v36, vcc_lo
	v_add_co_u32 v6, vcc_lo, v35, 8
	s_delay_alu instid0(VALU_DEP_3) | instskip(SKIP_1) | instid1(VALU_DEP_4)
	v_mad_u64_u32 v[2:3], null, v4, s14, s[18:19]
	v_mul_lo_u32 v4, v4, s15
	v_mul_lo_u32 v5, v5, s14
	s_delay_alu instid0(VALU_DEP_4)
	v_mul_lo_u32 v8, v6, s15
	v_mul_lo_u32 v39, v37, s13
	s_mul_i32 s3, s17, s12
	v_mov_b32_e32 v41, v1
	v_mov_b32_e32 v40, v1
	v_add3_u32 v7, v5, v3, v4
	v_add_co_ci_u32_e32 v5, vcc_lo, 0, v36, vcc_lo
	v_add_co_u32 v9, vcc_lo, v35, 12
	v_mad_u64_u32 v[3:4], null, v6, s14, s[18:19]
	v_add_co_ci_u32_e32 v15, vcc_lo, 0, v36, vcc_lo
	s_delay_alu instid0(VALU_DEP_4) | instskip(NEXT) | instid1(VALU_DEP_4)
	v_mul_lo_u32 v17, v5, s14
	v_mad_u64_u32 v[5:6], null, v9, s14, s[18:19]
	s_delay_alu instid0(VALU_DEP_3)
	v_mul_lo_u32 v18, v15, s14
	v_add_co_u32 v15, vcc_lo, 0x200, v2
	v_mul_lo_u32 v9, v9, s15
	v_add_co_ci_u32_e32 v16, vcc_lo, 0, v7, vcc_lo
	v_add3_u32 v2, v17, v4, v8
	v_add_co_u32 v4, vcc_lo, v35, 16
	v_add_co_ci_u32_e32 v8, vcc_lo, 0, v36, vcc_lo
	v_add3_u32 v9, v18, v6, v9
	s_delay_alu instid0(VALU_DEP_3) | instskip(SKIP_1) | instid1(VALU_DEP_4)
	v_mad_u64_u32 v[6:7], null, v4, s14, s[18:19]
	v_mul_lo_u32 v4, v4, s15
	v_mul_lo_u32 v8, v8, s14
	v_add_co_u32 v17, vcc_lo, 0x200, v3
	v_add_co_ci_u32_e32 v18, vcc_lo, 0, v2, vcc_lo
	v_add_co_u32 v19, vcc_lo, 0x200, v5
	v_add_co_ci_u32_e32 v20, vcc_lo, 0, v9, vcc_lo
	v_add_co_u32 v5, vcc_lo, v35, 20
	v_add3_u32 v7, v8, v7, v4
	v_add_co_ci_u32_e32 v4, vcc_lo, 0, v36, vcc_lo
	v_add_co_u32 v9, vcc_lo, v35, 24
	v_add_co_ci_u32_e32 v24, vcc_lo, 0, v36, vcc_lo
	v_mad_u64_u32 v[2:3], null, v5, s14, s[18:19]
	v_mul_lo_u32 v8, v5, s15
	s_delay_alu instid0(VALU_DEP_3)
	v_mul_lo_u32 v32, v24, s14
	v_add_co_u32 v24, vcc_lo, 0x200, v6
	v_mul_lo_u32 v31, v4, s14
	v_mad_u64_u32 v[4:5], null, v9, s14, s[18:19]
	v_mul_lo_u32 v9, v9, s15
	v_add_co_ci_u32_e32 v25, vcc_lo, 0, v7, vcc_lo
	v_add_co_u32 v6, vcc_lo, v35, 28
	v_add_co_ci_u32_e32 v7, vcc_lo, 0, v36, vcc_lo
	v_add3_u32 v3, v31, v3, v8
	v_add3_u32 v5, v32, v5, v9
	s_delay_alu instid0(VALU_DEP_4)
	v_mad_u64_u32 v[8:9], null, v6, s14, s[18:19]
	v_mul_lo_u32 v6, v6, s15
	v_mul_lo_u32 v7, v7, s14
	v_add_co_u32 v31, vcc_lo, 0x200, v2
	v_add_co_ci_u32_e32 v32, vcc_lo, 0, v3, vcc_lo
	v_add_co_u32 v33, vcc_lo, 0x200, v4
	v_add_co_ci_u32_e32 v34, vcc_lo, 0, v5, vcc_lo
	v_add3_u32 v9, v7, v9, v6
	v_mad_u64_u32 v[2:3], null, v35, s14, s[18:19]
	v_mul_lo_u32 v35, v35, s15
	v_mul_lo_u32 v36, v36, s14
	v_mad_u64_u32 v[4:5], null, v37, s12, 0
	v_mul_lo_u32 v37, v38, s13
	v_mad_u64_u32 v[6:7], null, v38, s12, 0
	v_add_co_u32 v42, vcc_lo, 0x200, v8
	v_add_co_ci_u32_e32 v43, vcc_lo, 0, v9, vcc_lo
	v_add3_u32 v3, v36, v3, v35
	v_add3_u32 v5, v5, v39, s3
	v_add3_u32 v7, v7, v37, s3
	v_mov_b32_e32 v39, v1
	v_mov_b32_e32 v37, v1
	;; [unrolled: 1-line block ×5, first 2 shown]
	s_add_i32 s3, s21, -1
	s_lshl_b64 s[12:13], s[12:13], 9
	s_waitcnt vmcnt(6)
	v_dual_mov_b32 v44, v21 :: v_dual_mov_b32 v45, v22
	s_waitcnt vmcnt(4)
	v_dual_mov_b32 v46, v23 :: v_dual_mov_b32 v47, v26
	;; [unrolled: 2-line block ×4, first 2 shown]
.LBB233_4:                              ; =>This Inner Loop Header: Depth=1
	v_add_co_u32 v8, vcc_lo, v2, v12
	v_add_co_ci_u32_e32 v9, vcc_lo, 0, v3, vcc_lo
	s_cmp_lg_u32 s3, s9
	s_delay_alu instid0(VALU_DEP_2) | instskip(NEXT) | instid1(VALU_DEP_2)
	v_add_co_u32 v52, vcc_lo, 0x100, v8
	v_add_co_ci_u32_e32 v54, vcc_lo, 0, v9, vcc_lo
	s_delay_alu instid0(VALU_DEP_2) | instskip(NEXT) | instid1(VALU_DEP_2)
	v_add_co_u32 v53, vcc_lo, v52, s10
	v_add_co_ci_u32_e32 v54, vcc_lo, s11, v54, vcc_lo
	s_delay_alu instid0(VALU_DEP_2) | instskip(NEXT) | instid1(VALU_DEP_2)
	v_add_co_u32 v55, vcc_lo, v53, s10
	v_add_co_ci_u32_e32 v56, vcc_lo, s11, v54, vcc_lo
	s_delay_alu instid0(VALU_DEP_2) | instskip(NEXT) | instid1(VALU_DEP_2)
	v_add_co_u32 v57, vcc_lo, v55, s10
	v_add_co_ci_u32_e32 v58, vcc_lo, s11, v56, vcc_lo
	s_delay_alu instid0(VALU_DEP_2) | instskip(NEXT) | instid1(VALU_DEP_2)
	v_add_co_u32 v59, vcc_lo, v57, s10
	v_add_co_ci_u32_e32 v60, vcc_lo, s11, v58, vcc_lo
	s_delay_alu instid0(VALU_DEP_2) | instskip(NEXT) | instid1(VALU_DEP_2)
	v_add_co_u32 v61, vcc_lo, v59, s10
	v_add_co_ci_u32_e32 v62, vcc_lo, s11, v60, vcc_lo
	s_delay_alu instid0(VALU_DEP_2) | instskip(NEXT) | instid1(VALU_DEP_2)
	v_add_co_u32 v63, vcc_lo, v61, s10
	v_add_co_ci_u32_e32 v64, vcc_lo, s11, v62, vcc_lo
	v_add_co_u32 v65, vcc_lo, s8, v4
	v_add_co_ci_u32_e32 v66, vcc_lo, s22, v5, vcc_lo
	s_delay_alu instid0(VALU_DEP_4) | instskip(NEXT) | instid1(VALU_DEP_4)
	v_add_co_u32 v67, vcc_lo, v63, s10
	v_add_co_ci_u32_e32 v68, vcc_lo, s11, v64, vcc_lo
	s_clause 0x4
	global_load_b32 v52, v[8:9], off offset:256
	global_load_b32 v53, v[53:54], off
	global_load_b32 v54, v[55:56], off
	;; [unrolled: 1-line block ×8, first 2 shown]
	s_cbranch_scc0 .LBB233_6
; %bb.5:                                ;   in Loop: Header=BB233_4 Depth=1
	v_add_co_u32 v45, vcc_lo, v15, v12
	v_add_co_ci_u32_e32 v46, vcc_lo, 0, v16, vcc_lo
	v_add_co_u32 v47, vcc_lo, v17, v12
	v_add_co_ci_u32_e32 v48, vcc_lo, 0, v18, vcc_lo
	global_load_b32 v44, v[8:9], off offset:512
	global_load_b32 v45, v[45:46], off
	global_load_b32 v46, v[47:48], off
	v_add_co_u32 v8, vcc_lo, v19, v12
	v_add_co_ci_u32_e32 v9, vcc_lo, 0, v20, vcc_lo
	v_add_co_u32 v48, vcc_lo, v24, v12
	v_add_co_ci_u32_e32 v49, vcc_lo, 0, v25, vcc_lo
	;; [unrolled: 2-line block ×5, first 2 shown]
	global_load_b32 v47, v[8:9], off
	global_load_b32 v48, v[48:49], off
	global_load_b32 v49, v[50:51], off
	global_load_b32 v50, v[61:62], off
	global_load_b32 v51, v[63:64], off
.LBB233_6:                              ;   in Loop: Header=BB233_4 Depth=1
	v_add_co_u32 v8, vcc_lo, s8, v6
	v_add_co_ci_u32_e32 v9, vcc_lo, s22, v7, vcc_lo
	v_add_co_u32 v15, vcc_lo, 0x200, v15
	v_add_co_ci_u32_e32 v16, vcc_lo, 0, v16, vcc_lo
	global_load_b32 v8, v[8:9], off
	v_add_co_u32 v17, vcc_lo, 0x200, v17
	v_add_co_ci_u32_e32 v18, vcc_lo, 0, v18, vcc_lo
	v_add_co_u32 v19, vcc_lo, 0x200, v19
	v_add_co_ci_u32_e32 v20, vcc_lo, 0, v20, vcc_lo
	;; [unrolled: 2-line block ×5, first 2 shown]
	s_waitcnt vmcnt(1)
	v_fmac_f32_e32 v1, v21, v60
	v_fmac_f32_e32 v41, v22, v60
	;; [unrolled: 1-line block ×8, first 2 shown]
	v_add_co_u32 v42, vcc_lo, 0x200, v42
	v_add_co_ci_u32_e32 v43, vcc_lo, 0, v43, vcc_lo
	v_add_co_u32 v2, vcc_lo, 0x200, v2
	s_add_i32 s9, s9, 1
	v_add_co_ci_u32_e32 v3, vcc_lo, 0, v3, vcc_lo
	s_add_u32 s8, s8, s12
	s_addc_u32 s22, s22, s13
	s_cmp_ge_i32 s9, s21
	s_waitcnt vmcnt(0)
	v_fmac_f32_e32 v1, v52, v8
	v_fmac_f32_e32 v41, v53, v8
	;; [unrolled: 1-line block ×8, first 2 shown]
	s_cbranch_scc1 .LBB233_8
; %bb.7:                                ;   in Loop: Header=BB233_4 Depth=1
	v_dual_mov_b32 v21, v44 :: v_dual_mov_b32 v22, v45
	v_dual_mov_b32 v23, v46 :: v_dual_mov_b32 v26, v47
	;; [unrolled: 1-line block ×4, first 2 shown]
	s_branch .LBB233_4
.LBB233_8:
	v_lshlrev_b32_e32 v2, 8, v13
	v_lshl_or_b32 v3, v14, 8, v12
	s_mov_b32 s3, 0
	s_mov_b32 s8, exec_lo
	s_delay_alu instid0(VALU_DEP_2)
	v_or3_b32 v2, v2, v12, 0x700
	ds_store_2addr_stride64_b32 v3, v1, v41 offset1:1
	ds_store_2addr_stride64_b32 v3, v39, v40 offset0:2 offset1:3
	ds_store_2addr_stride64_b32 v3, v37, v38 offset0:4 offset1:5
	ds_store_b32 v3, v36 offset:1536
	ds_store_b32 v2, v35
	s_waitcnt lgkmcnt(0)
	s_barrier
	buffer_gl0_inv
	v_cmpx_eq_u32_e32 0, v11
	s_cbranch_execz .LBB233_11
; %bb.9:
	v_lshlrev_b32_e32 v2, 6, v10
	v_add_nc_u32_e32 v1, 1, v10
	v_add_nc_u32_e32 v5, 4, v10
	;; [unrolled: 1-line block ×4, first 2 shown]
	v_or_b32_e32 v4, v0, v2
	v_add_nc_u32_e32 v0, 2, v10
	v_and_or_b32 v1, v1, 63, v2
	v_add_nc_u32_e32 v9, 7, v10
	v_add_nc_u32_e32 v11, 8, v10
	v_lshlrev_b32_e32 v6, 2, v4
	v_and_or_b32 v0, v0, 63, v2
	v_add_nc_u32_e32 v12, 9, v10
	v_add_nc_u32_e32 v13, 10, v10
	;; [unrolled: 1-line block ×3, first 2 shown]
	ds_load_b32 v6, v6
	v_lshlrev_b32_e32 v1, 2, v1
	v_lshlrev_b32_e32 v0, 2, v0
	v_add_nc_u32_e32 v15, 13, v10
	v_add_nc_u32_e32 v16, 14, v10
	;; [unrolled: 1-line block ×3, first 2 shown]
	ds_load_b32 v1, v1
	ds_load_b32 v0, v0
	s_load_b32 s8, s[0:1], 0x68
	s_lshl_b64 s[0:1], s[6:7], 2
	v_xor_b32_e32 v4, 32, v4
	s_add_u32 s0, s4, s0
	s_addc_u32 s1, s5, s1
	s_delay_alu instid0(VALU_DEP_1) | instskip(SKIP_2) | instid1(VALU_DEP_1)
	v_lshlrev_b32_e32 v4, 2, v4
	s_waitcnt lgkmcnt(0)
	v_add_f32_e32 v6, 0, v6
	v_add_f32_e32 v1, v6, v1
	v_add_nc_u32_e32 v3, 3, v10
	v_and_or_b32 v5, v5, 63, v2
	v_and_or_b32 v7, v7, 63, v2
	;; [unrolled: 1-line block ×3, first 2 shown]
	v_add_f32_e32 v0, v1, v0
	v_and_or_b32 v3, v3, 63, v2
	v_and_or_b32 v9, v9, 63, v2
	v_lshlrev_b32_e32 v5, 2, v5
	v_lshlrev_b32_e32 v7, 2, v7
	;; [unrolled: 1-line block ×5, first 2 shown]
	v_and_or_b32 v1, v11, 63, v2
	ds_load_b32 v3, v3
	ds_load_b32 v5, v5
	;; [unrolled: 1-line block ×5, first 2 shown]
	v_and_or_b32 v12, v12, 63, v2
	v_lshlrev_b32_e32 v1, 2, v1
	v_and_or_b32 v13, v13, 63, v2
	v_add_nc_u32_e32 v6, 12, v10
	v_add_nc_u32_e32 v11, 16, v10
	v_lshlrev_b32_e32 v12, 2, v12
	ds_load_b32 v1, v1
	v_lshlrev_b32_e32 v13, 2, v13
	v_and_or_b32 v6, v6, 63, v2
	s_mul_hi_i32 s5, s8, s2
	s_mul_i32 s4, s8, s2
	s_delay_alu instid0(SALU_CYCLE_1) | instskip(NEXT) | instid1(VALU_DEP_1)
	s_lshl_b64 s[4:5], s[4:5], 2
	v_lshlrev_b32_e32 v6, 2, v6
	s_add_u32 s0, s0, s4
	s_waitcnt lgkmcnt(5)
	v_add_f32_e32 v0, v0, v3
	v_and_or_b32 v3, v14, 63, v2
	v_and_or_b32 v14, v16, 63, v2
	s_addc_u32 s1, s1, s5
	v_add_nc_u32_e32 v16, 22, v10
	s_waitcnt lgkmcnt(4)
	v_add_f32_e32 v0, v0, v5
	v_and_or_b32 v5, v15, 63, v2
	v_lshlrev_b32_e32 v3, 2, v3
	s_waitcnt lgkmcnt(3)
	s_delay_alu instid0(VALU_DEP_3)
	v_dual_add_f32 v0, v0, v7 :: v_dual_add_nc_u32 v15, 20, v10
	ds_load_b32 v7, v12
	s_waitcnt lgkmcnt(3)
	v_dual_add_f32 v0, v0, v8 :: v_dual_lshlrev_b32 v5, 2, v5
	ds_load_b32 v8, v13
	v_and_or_b32 v12, v17, 63, v2
	v_lshlrev_b32_e32 v13, 2, v14
	v_add_nc_u32_e32 v14, 19, v10
	s_waitcnt lgkmcnt(3)
	v_add_f32_e32 v0, v0, v9
	v_lshlrev_b32_e32 v12, 2, v12
	ds_load_b32 v3, v3
	ds_load_b32 v6, v6
	;; [unrolled: 1-line block ×5, first 2 shown]
	s_waitcnt lgkmcnt(7)
	v_dual_add_f32 v0, v0, v1 :: v_dual_add_nc_u32 v13, 18, v10
	s_waitcnt lgkmcnt(6)
	s_delay_alu instid0(VALU_DEP_1) | instskip(NEXT) | instid1(VALU_DEP_1)
	v_dual_add_f32 v0, v0, v7 :: v_dual_add_nc_u32 v1, 17, v10
	v_and_or_b32 v1, v1, 63, v2
	s_waitcnt lgkmcnt(5)
	s_delay_alu instid0(VALU_DEP_2)
	v_dual_add_f32 v0, v0, v8 :: v_dual_add_nc_u32 v7, 21, v10
	v_and_or_b32 v8, v11, 63, v2
	v_and_or_b32 v11, v13, 63, v2
	;; [unrolled: 1-line block ×3, first 2 shown]
	v_lshlrev_b32_e32 v14, 2, v1
	s_waitcnt lgkmcnt(4)
	v_add_f32_e32 v0, v0, v3
	v_and_or_b32 v3, v15, 63, v2
	v_lshlrev_b32_e32 v8, 2, v8
	v_lshlrev_b32_e32 v11, 2, v11
	v_and_or_b32 v7, v7, 63, v2
	s_waitcnt lgkmcnt(3)
	v_add_f32_e32 v6, v0, v6
	v_mad_i64_i32 v[0:1], null, s8, v10, 0
	v_lshlrev_b32_e32 v15, 2, v3
	v_lshlrev_b32_e32 v13, 2, v13
	s_waitcnt lgkmcnt(2)
	v_add_f32_e32 v3, v6, v5
	ds_load_b32 v5, v8
	ds_load_b32 v6, v14
	ds_load_b32 v11, v11
	v_lshlrev_b32_e32 v7, 2, v7
	v_lshlrev_b64 v[0:1], 2, v[0:1]
	s_waitcnt lgkmcnt(4)
	v_add_f32_e32 v3, v3, v9
	v_and_or_b32 v9, v16, 63, v2
	s_delay_alu instid0(VALU_DEP_3) | instskip(SKIP_1) | instid1(VALU_DEP_3)
	v_add_co_u32 v0, vcc_lo, s0, v0
	s_waitcnt lgkmcnt(3)
	v_dual_add_f32 v8, v3, v12 :: v_dual_add_nc_u32 v3, 23, v10
	v_add_co_ci_u32_e32 v1, vcc_lo, s1, v1, vcc_lo
	v_lshlrev_b32_e32 v9, 2, v9
	s_delay_alu instid0(VALU_DEP_3)
	v_and_or_b32 v12, v3, 63, v2
	global_load_b32 v3, v[0:1], off
	s_waitcnt lgkmcnt(2)
	v_dual_add_f32 v5, v8, v5 :: v_dual_add_nc_u32 v8, 25, v10
	v_lshlrev_b32_e32 v12, 2, v12
	ds_load_b32 v13, v13
	ds_load_b32 v14, v15
	;; [unrolled: 1-line block ×5, first 2 shown]
	s_waitcnt lgkmcnt(6)
	v_add_f32_e32 v5, v5, v6
	s_waitcnt lgkmcnt(5)
	s_delay_alu instid0(VALU_DEP_1) | instskip(NEXT) | instid1(VALU_DEP_1)
	v_dual_add_f32 v5, v5, v11 :: v_dual_add_nc_u32 v6, 24, v10
	v_and_or_b32 v6, v6, 63, v2
	v_add_nc_u32_e32 v11, 26, v10
	s_waitcnt lgkmcnt(4)
	s_delay_alu instid0(VALU_DEP_2)
	v_dual_add_f32 v5, v5, v13 :: v_dual_lshlrev_b32 v6, 2, v6
	v_add_nc_u32_e32 v13, 27, v10
	ds_load_b32 v6, v6
	s_waitcnt lgkmcnt(4)
	v_add_f32_e32 v5, v5, v14
	s_waitcnt lgkmcnt(3)
	s_delay_alu instid0(VALU_DEP_1)
	v_dual_add_f32 v5, v5, v7 :: v_dual_add_nc_u32 v14, 28, v10
	v_and_or_b32 v7, v8, 63, v2
	v_and_or_b32 v8, v11, 63, v2
	v_and_or_b32 v11, v13, 63, v2
	v_add_nc_u32_e32 v13, 31, v10
	s_waitcnt lgkmcnt(2)
	v_add_f32_e32 v5, v5, v9
	v_lshlrev_b32_e32 v7, 2, v7
	v_lshlrev_b32_e32 v8, 2, v8
	v_lshlrev_b32_e32 v9, 2, v11
	v_add_nc_u32_e32 v11, 29, v10
	s_waitcnt lgkmcnt(1)
	v_add_f32_e32 v5, v5, v12
	ds_load_b32 v7, v7
	ds_load_b32 v8, v8
	v_add_nc_u32_e32 v12, 30, v10
	v_and_or_b32 v14, v14, 63, v2
	v_and_or_b32 v11, v11, 63, v2
	;; [unrolled: 1-line block ×3, first 2 shown]
	s_waitcnt lgkmcnt(2)
	v_add_f32_e32 v5, v5, v6
	v_and_or_b32 v12, v12, 63, v2
	v_lshlrev_b32_e32 v14, 2, v14
	v_lshlrev_b32_e32 v11, 2, v11
	;; [unrolled: 1-line block ×3, first 2 shown]
	v_add_nc_u32_e32 v6, 33, v10
	v_lshlrev_b32_e32 v12, 2, v12
	ds_load_b32 v9, v9
	ds_load_b32 v14, v14
	;; [unrolled: 1-line block ×6, first 2 shown]
	v_and_or_b32 v6, v6, 63, v2
	s_waitcnt lgkmcnt(7)
	v_add_f32_e32 v5, v5, v7
	v_add_nc_u32_e32 v7, 34, v10
	s_waitcnt lgkmcnt(6)
	s_delay_alu instid0(VALU_DEP_2) | instskip(NEXT) | instid1(VALU_DEP_2)
	v_dual_add_f32 v5, v5, v8 :: v_dual_lshlrev_b32 v6, 2, v6
	v_and_or_b32 v7, v7, 63, v2
	v_add_nc_u32_e32 v8, 35, v10
	ds_load_b32 v6, v6
	s_waitcnt lgkmcnt(6)
	v_add_f32_e32 v5, v5, v9
	v_add_nc_u32_e32 v9, 36, v10
	v_lshlrev_b32_e32 v7, 2, v7
	v_and_or_b32 v8, v8, 63, v2
	s_waitcnt lgkmcnt(5)
	v_add_f32_e32 v5, v5, v14
	v_add_nc_u32_e32 v14, 37, v10
	v_and_or_b32 v9, v9, 63, v2
	ds_load_b32 v7, v7
	s_waitcnt lgkmcnt(5)
	v_dual_add_f32 v5, v5, v11 :: v_dual_lshlrev_b32 v8, 2, v8
	v_add_nc_u32_e32 v11, 38, v10
	v_lshlrev_b32_e32 v9, 2, v9
	s_waitcnt lgkmcnt(4)
	s_delay_alu instid0(VALU_DEP_3) | instskip(NEXT) | instid1(VALU_DEP_3)
	v_dual_add_f32 v5, v5, v12 :: v_dual_add_nc_u32 v12, 39, v10
	v_and_or_b32 v11, v11, 63, v2
	s_waitcnt lgkmcnt(3)
	s_delay_alu instid0(VALU_DEP_2)
	v_add_f32_e32 v5, v5, v13
	v_and_or_b32 v13, v14, 63, v2
	v_and_or_b32 v12, v12, 63, v2
	v_lshlrev_b32_e32 v11, 2, v11
	v_add_nc_u32_e32 v14, 45, v10
	s_waitcnt lgkmcnt(2)
	v_dual_add_f32 v4, v5, v4 :: v_dual_lshlrev_b32 v13, 2, v13
	v_lshlrev_b32_e32 v12, 2, v12
	ds_load_b32 v8, v8
	ds_load_b32 v9, v9
	;; [unrolled: 1-line block ×5, first 2 shown]
	s_waitcnt lgkmcnt(6)
	v_add_f32_e32 v4, v4, v6
	v_add_nc_u32_e32 v5, 40, v10
	v_add_nc_u32_e32 v6, 41, v10
	s_waitcnt lgkmcnt(5)
	s_delay_alu instid0(VALU_DEP_3) | instskip(NEXT) | instid1(VALU_DEP_3)
	v_add_f32_e32 v4, v4, v7
	v_and_or_b32 v5, v5, 63, v2
	v_add_nc_u32_e32 v7, 42, v10
	v_and_or_b32 v6, v6, 63, v2
	s_delay_alu instid0(VALU_DEP_3) | instskip(NEXT) | instid1(VALU_DEP_3)
	v_lshlrev_b32_e32 v5, 2, v5
	v_and_or_b32 v7, v7, 63, v2
	s_delay_alu instid0(VALU_DEP_3)
	v_lshlrev_b32_e32 v6, 2, v6
	s_waitcnt lgkmcnt(4)
	v_add_f32_e32 v4, v4, v8
	ds_load_b32 v5, v5
	v_add_nc_u32_e32 v8, 43, v10
	ds_load_b32 v6, v6
	s_waitcnt lgkmcnt(5)
	v_dual_add_f32 v4, v4, v9 :: v_dual_lshlrev_b32 v7, 2, v7
	v_add_nc_u32_e32 v9, 44, v10
	v_and_or_b32 v8, v8, 63, v2
	ds_load_b32 v7, v7
	s_waitcnt lgkmcnt(5)
	v_add_f32_e32 v4, v4, v13
	v_and_or_b32 v9, v9, 63, v2
	v_and_or_b32 v13, v14, 63, v2
	v_lshlrev_b32_e32 v8, 2, v8
	v_add_nc_u32_e32 v14, 53, v10
	s_waitcnt lgkmcnt(4)
	v_dual_add_f32 v4, v4, v11 :: v_dual_add_nc_u32 v11, 46, v10
	v_lshlrev_b32_e32 v9, 2, v9
	s_waitcnt lgkmcnt(3)
	s_delay_alu instid0(VALU_DEP_2) | instskip(SKIP_3) | instid1(VALU_DEP_3)
	v_dual_add_f32 v4, v4, v12 :: v_dual_lshlrev_b32 v13, 2, v13
	v_add_nc_u32_e32 v12, 47, v10
	v_and_or_b32 v11, v11, 63, v2
	s_waitcnt lgkmcnt(2)
	v_add_f32_e32 v4, v4, v5
	s_delay_alu instid0(VALU_DEP_3) | instskip(NEXT) | instid1(VALU_DEP_3)
	v_and_or_b32 v12, v12, 63, v2
	v_lshlrev_b32_e32 v11, 2, v11
	v_add_nc_u32_e32 v5, 48, v10
	s_waitcnt lgkmcnt(1)
	v_add_f32_e32 v4, v4, v6
	v_lshlrev_b32_e32 v12, 2, v12
	ds_load_b32 v8, v8
	ds_load_b32 v9, v9
	;; [unrolled: 1-line block ×5, first 2 shown]
	v_add_nc_u32_e32 v6, 49, v10
	v_and_or_b32 v5, v5, 63, v2
	s_waitcnt lgkmcnt(5)
	v_dual_add_f32 v4, v4, v7 :: v_dual_add_nc_u32 v7, 50, v10
	s_delay_alu instid0(VALU_DEP_3) | instskip(NEXT) | instid1(VALU_DEP_3)
	v_and_or_b32 v6, v6, 63, v2
	v_lshlrev_b32_e32 v5, 2, v5
	s_delay_alu instid0(VALU_DEP_3) | instskip(NEXT) | instid1(VALU_DEP_3)
	v_and_or_b32 v7, v7, 63, v2
	v_lshlrev_b32_e32 v6, 2, v6
	ds_load_b32 v5, v5
	v_lshlrev_b32_e32 v7, 2, v7
	ds_load_b32 v6, v6
	s_waitcnt lgkmcnt(6)
	v_add_f32_e32 v4, v4, v8
	v_add_nc_u32_e32 v8, 51, v10
	ds_load_b32 v7, v7
	s_waitcnt lgkmcnt(6)
	v_dual_add_f32 v4, v4, v9 :: v_dual_add_nc_u32 v9, 52, v10
	v_and_or_b32 v8, v8, 63, v2
	s_waitcnt lgkmcnt(5)
	s_delay_alu instid0(VALU_DEP_2) | instskip(NEXT) | instid1(VALU_DEP_3)
	v_add_f32_e32 v4, v4, v13
	v_and_or_b32 v9, v9, 63, v2
	v_and_or_b32 v13, v14, 63, v2
	v_lshlrev_b32_e32 v8, 2, v8
	v_add_nc_u32_e32 v14, 61, v10
	s_waitcnt lgkmcnt(4)
	v_dual_add_f32 v4, v4, v11 :: v_dual_add_nc_u32 v11, 54, v10
	v_lshlrev_b32_e32 v9, 2, v9
	s_waitcnt lgkmcnt(3)
	s_delay_alu instid0(VALU_DEP_2) | instskip(SKIP_3) | instid1(VALU_DEP_3)
	v_dual_add_f32 v4, v4, v12 :: v_dual_lshlrev_b32 v13, 2, v13
	v_add_nc_u32_e32 v12, 55, v10
	v_and_or_b32 v11, v11, 63, v2
	s_waitcnt lgkmcnt(2)
	v_add_f32_e32 v4, v4, v5
	s_delay_alu instid0(VALU_DEP_3) | instskip(NEXT) | instid1(VALU_DEP_3)
	v_and_or_b32 v12, v12, 63, v2
	v_lshlrev_b32_e32 v11, 2, v11
	v_add_nc_u32_e32 v5, 56, v10
	s_waitcnt lgkmcnt(1)
	v_add_f32_e32 v4, v4, v6
	v_lshlrev_b32_e32 v12, 2, v12
	ds_load_b32 v8, v8
	ds_load_b32 v9, v9
	;; [unrolled: 1-line block ×5, first 2 shown]
	v_add_nc_u32_e32 v6, 57, v10
	v_and_or_b32 v5, v5, 63, v2
	s_waitcnt lgkmcnt(5)
	v_dual_add_f32 v4, v4, v7 :: v_dual_add_nc_u32 v7, 58, v10
	s_delay_alu instid0(VALU_DEP_3) | instskip(NEXT) | instid1(VALU_DEP_3)
	v_and_or_b32 v6, v6, 63, v2
	v_lshlrev_b32_e32 v5, 2, v5
	s_delay_alu instid0(VALU_DEP_3) | instskip(NEXT) | instid1(VALU_DEP_3)
	v_and_or_b32 v7, v7, 63, v2
	v_lshlrev_b32_e32 v6, 2, v6
	ds_load_b32 v5, v5
	v_lshlrev_b32_e32 v7, 2, v7
	ds_load_b32 v6, v6
	s_waitcnt lgkmcnt(6)
	v_add_f32_e32 v4, v4, v8
	v_add_nc_u32_e32 v8, 59, v10
	ds_load_b32 v7, v7
	s_waitcnt lgkmcnt(6)
	v_dual_add_f32 v4, v4, v9 :: v_dual_add_nc_u32 v9, 60, v10
	v_and_or_b32 v8, v8, 63, v2
	s_waitcnt lgkmcnt(5)
	s_delay_alu instid0(VALU_DEP_2) | instskip(NEXT) | instid1(VALU_DEP_3)
	v_add_f32_e32 v4, v4, v13
	v_and_or_b32 v9, v9, 63, v2
	s_delay_alu instid0(VALU_DEP_3) | instskip(SKIP_1) | instid1(VALU_DEP_3)
	v_lshlrev_b32_e32 v8, 2, v8
	s_waitcnt lgkmcnt(4)
	v_dual_add_f32 v4, v4, v11 :: v_dual_add_nc_u32 v11, 62, v10
	v_add_nc_u32_e32 v10, -1, v10
	s_waitcnt lgkmcnt(3)
	s_delay_alu instid0(VALU_DEP_2)
	v_dual_add_f32 v4, v4, v12 :: v_dual_lshlrev_b32 v9, 2, v9
	v_and_or_b32 v12, v14, 63, v2
	v_and_or_b32 v11, v11, 63, v2
	;; [unrolled: 1-line block ×3, first 2 shown]
	s_waitcnt lgkmcnt(2)
	v_add_f32_e32 v4, v4, v5
	v_lshlrev_b32_e32 v10, 2, v12
	v_lshlrev_b32_e32 v11, 2, v11
	;; [unrolled: 1-line block ×3, first 2 shown]
	ds_load_b32 v8, v8
	ds_load_b32 v9, v9
	ds_load_b32 v10, v10
	ds_load_b32 v11, v11
	ds_load_b32 v2, v2
	s_waitcnt lgkmcnt(6)
	v_add_f32_e32 v4, v4, v6
	s_waitcnt lgkmcnt(5)
	s_delay_alu instid0(VALU_DEP_1) | instskip(SKIP_1) | instid1(VALU_DEP_1)
	v_add_f32_e32 v4, v4, v7
	s_waitcnt lgkmcnt(4)
	v_add_f32_e32 v4, v4, v8
	s_waitcnt lgkmcnt(3)
	s_delay_alu instid0(VALU_DEP_1) | instskip(SKIP_1) | instid1(VALU_DEP_1)
	v_add_f32_e32 v4, v4, v9
	;; [unrolled: 5-line block ×3, first 2 shown]
	s_waitcnt lgkmcnt(0)
	v_add_f32_e32 v2, v4, v2
	s_delay_alu instid0(VALU_DEP_1)
	v_mul_f32_e32 v4, s20, v2
.LBB233_10:                             ; =>This Inner Loop Header: Depth=1
	s_waitcnt vmcnt(0)
	s_delay_alu instid0(VALU_DEP_1)
	v_add_f32_e32 v2, v3, v4
	global_atomic_cmpswap_b32 v2, v[0:1], v[2:3], off glc
	s_waitcnt vmcnt(0)
	v_cmp_eq_u32_e32 vcc_lo, v2, v3
	v_mov_b32_e32 v3, v2
	s_or_b32 s3, vcc_lo, s3
	s_delay_alu instid0(SALU_CYCLE_1)
	s_and_not1_b32 exec_lo, exec_lo, s3
	s_cbranch_execnz .LBB233_10
.LBB233_11:
	s_endpgm
	.section	.rodata,"a",@progbits
	.p2align	6, 0x0
	.amdhsa_kernel _ZL36rocblas_gemvt_double_buffered_kernelILb1ELi128ELi8ELi8EPKffKPfEviiT4_lPKT3_lilS7_lilPT5_lili
		.amdhsa_group_segment_fixed_size 32768
		.amdhsa_private_segment_fixed_size 0
		.amdhsa_kernarg_size 384
		.amdhsa_user_sgpr_count 13
		.amdhsa_user_sgpr_dispatch_ptr 0
		.amdhsa_user_sgpr_queue_ptr 0
		.amdhsa_user_sgpr_kernarg_segment_ptr 1
		.amdhsa_user_sgpr_dispatch_id 0
		.amdhsa_user_sgpr_private_segment_size 0
		.amdhsa_wavefront_size32 1
		.amdhsa_uses_dynamic_stack 0
		.amdhsa_enable_private_segment 0
		.amdhsa_system_sgpr_workgroup_id_x 1
		.amdhsa_system_sgpr_workgroup_id_y 1
		.amdhsa_system_sgpr_workgroup_id_z 1
		.amdhsa_system_sgpr_workgroup_info 0
		.amdhsa_system_vgpr_workitem_id 1
		.amdhsa_next_free_vgpr 69
		.amdhsa_next_free_sgpr 28
		.amdhsa_reserve_vcc 1
		.amdhsa_float_round_mode_32 0
		.amdhsa_float_round_mode_16_64 0
		.amdhsa_float_denorm_mode_32 3
		.amdhsa_float_denorm_mode_16_64 3
		.amdhsa_dx10_clamp 1
		.amdhsa_ieee_mode 1
		.amdhsa_fp16_overflow 0
		.amdhsa_workgroup_processor_mode 1
		.amdhsa_memory_ordered 1
		.amdhsa_forward_progress 0
		.amdhsa_shared_vgpr_count 0
		.amdhsa_exception_fp_ieee_invalid_op 0
		.amdhsa_exception_fp_denorm_src 0
		.amdhsa_exception_fp_ieee_div_zero 0
		.amdhsa_exception_fp_ieee_overflow 0
		.amdhsa_exception_fp_ieee_underflow 0
		.amdhsa_exception_fp_ieee_inexact 0
		.amdhsa_exception_int_div_zero 0
	.end_amdhsa_kernel
	.section	.text._ZL36rocblas_gemvt_double_buffered_kernelILb1ELi128ELi8ELi8EPKffKPfEviiT4_lPKT3_lilS7_lilPT5_lili,"axG",@progbits,_ZL36rocblas_gemvt_double_buffered_kernelILb1ELi128ELi8ELi8EPKffKPfEviiT4_lPKT3_lilS7_lilPT5_lili,comdat
.Lfunc_end233:
	.size	_ZL36rocblas_gemvt_double_buffered_kernelILb1ELi128ELi8ELi8EPKffKPfEviiT4_lPKT3_lilS7_lilPT5_lili, .Lfunc_end233-_ZL36rocblas_gemvt_double_buffered_kernelILb1ELi128ELi8ELi8EPKffKPfEviiT4_lPKT3_lilS7_lilPT5_lili
                                        ; -- End function
	.section	.AMDGPU.csdata,"",@progbits
; Kernel info:
; codeLenInByte = 4504
; NumSgprs: 30
; NumVgprs: 69
; ScratchSize: 0
; MemoryBound: 0
; FloatMode: 240
; IeeeMode: 1
; LDSByteSize: 32768 bytes/workgroup (compile time only)
; SGPRBlocks: 3
; VGPRBlocks: 8
; NumSGPRsForWavesPerEU: 30
; NumVGPRsForWavesPerEU: 69
; Occupancy: 16
; WaveLimiterHint : 1
; COMPUTE_PGM_RSRC2:SCRATCH_EN: 0
; COMPUTE_PGM_RSRC2:USER_SGPR: 13
; COMPUTE_PGM_RSRC2:TRAP_HANDLER: 0
; COMPUTE_PGM_RSRC2:TGID_X_EN: 1
; COMPUTE_PGM_RSRC2:TGID_Y_EN: 1
; COMPUTE_PGM_RSRC2:TGID_Z_EN: 1
; COMPUTE_PGM_RSRC2:TIDIG_COMP_CNT: 1
	.section	.text._ZL20rocblas_gemvt_kernelILb1ELi256EPKfS1_KPfEviiT2_lPKT1_lilS7_lilS4_lPT3_lili,"axG",@progbits,_ZL20rocblas_gemvt_kernelILb1ELi256EPKfS1_KPfEviiT2_lPKT1_lilS7_lilS4_lPT3_lili,comdat
	.globl	_ZL20rocblas_gemvt_kernelILb1ELi256EPKfS1_KPfEviiT2_lPKT1_lilS7_lilS4_lPT3_lili ; -- Begin function _ZL20rocblas_gemvt_kernelILb1ELi256EPKfS1_KPfEviiT2_lPKT1_lilS7_lilS4_lPT3_lili
	.p2align	8
	.type	_ZL20rocblas_gemvt_kernelILb1ELi256EPKfS1_KPfEviiT2_lPKT1_lilS7_lilS4_lPT3_lili,@function
_ZL20rocblas_gemvt_kernelILb1ELi256EPKfS1_KPfEviiT2_lPKT1_lilS7_lilS4_lPT3_lili: ; @_ZL20rocblas_gemvt_kernelILb1ELi256EPKfS1_KPfEviiT2_lPKT1_lilS7_lilS4_lPT3_lili
; %bb.0:
	s_clause 0x1
	s_load_b256 s[16:23], s[0:1], 0x8
	s_load_b256 s[4:11], s[0:1], 0x58
	s_waitcnt lgkmcnt(0)
	s_mul_i32 s3, s15, s19
	s_mul_hi_u32 s13, s15, s18
	s_mul_i32 s12, s15, s18
	s_add_i32 s13, s13, s3
	s_mul_i32 s3, s15, s7
	s_lshl_b64 s[12:13], s[12:13], 2
	s_mul_hi_u32 s7, s15, s6
	s_add_u32 s12, s16, s12
	s_addc_u32 s13, s17, s13
	s_add_i32 s7, s7, s3
	s_mul_i32 s6, s15, s6
	s_delay_alu instid0(SALU_CYCLE_1) | instskip(NEXT) | instid1(SALU_CYCLE_1)
	s_lshl_b64 s[6:7], s[6:7], 2
	s_add_u32 s4, s4, s6
	s_addc_u32 s5, s5, s7
	s_load_b32 s13, s[12:13], 0x0
	s_load_b32 s12, s[4:5], 0x0
	s_waitcnt lgkmcnt(0)
	v_cmp_eq_f32_e64 s16, s13, 0
	v_cmp_eq_f32_e64 s3, s12, 1.0
	s_delay_alu instid0(VALU_DEP_1) | instskip(NEXT) | instid1(SALU_CYCLE_1)
	s_and_b32 s3, s16, s3
	s_and_b32 vcc_lo, exec_lo, s3
	s_mov_b32 s3, 0
	s_cbranch_vccnz .LBB234_40
; %bb.1:
	s_mov_b32 s2, s15
	v_cmp_neq_f32_e64 s15, s13, 0
	s_mov_b64 s[4:5], 0
	s_and_b32 vcc_lo, exec_lo, s16
	s_mov_b64 s[6:7], 0
	s_cbranch_vccnz .LBB234_3
; %bb.2:
	s_lshl_b64 s[6:7], s[2:3], 3
	s_delay_alu instid0(SALU_CYCLE_1)
	s_add_u32 s6, s20, s6
	s_addc_u32 s7, s21, s7
	s_lshl_b64 s[18:19], s[22:23], 2
	s_load_b64 s[6:7], s[6:7], 0x0
	s_waitcnt lgkmcnt(0)
	s_add_u32 s6, s6, s18
	s_addc_u32 s7, s7, s19
.LBB234_3:
	s_and_not1_b32 vcc_lo, exec_lo, s15
	s_cbranch_vccnz .LBB234_5
; %bb.4:
	s_load_b128 s[20:23], s[0:1], 0x38
	s_lshl_b64 s[4:5], s[2:3], 3
	s_waitcnt lgkmcnt(0)
	s_add_u32 s4, s20, s4
	s_addc_u32 s5, s21, s5
	s_lshl_b64 s[18:19], s[22:23], 2
	s_load_b64 s[4:5], s[4:5], 0x0
	s_waitcnt lgkmcnt(0)
	s_add_u32 s4, s4, s18
	s_addc_u32 s5, s5, s19
.LBB234_5:
	s_lshl_b64 s[2:3], s[2:3], 3
	s_delay_alu instid0(SALU_CYCLE_1)
	s_add_u32 s2, s8, s2
	s_addc_u32 s3, s9, s3
	s_lshl_b64 s[10:11], s[10:11], 2
	s_load_b64 s[8:9], s[2:3], 0x0
	s_load_b32 s15, s[0:1], 0x78
	v_cmp_eq_u32_e64 s2, 0, v0
	s_waitcnt lgkmcnt(0)
	s_add_u32 s10, s8, s10
	s_addc_u32 s11, s9, s11
	s_and_not1_b32 vcc_lo, exec_lo, s16
	s_cbranch_vccnz .LBB234_10
; %bb.6:
	s_mov_b32 s3, 0
	s_mov_b32 s16, 0
                                        ; implicit-def: $vgpr1
                                        ; implicit-def: $sgpr8_sgpr9
	s_and_saveexec_b32 s17, s2
	s_cbranch_execz .LBB234_11
; %bb.7:
	v_cmp_eq_f32_e64 s2, s12, 0
	v_mov_b32_e32 v1, 0
	s_mul_hi_i32 s9, s15, s14
	s_mul_i32 s8, s15, s14
	s_delay_alu instid0(VALU_DEP_2)
	s_and_b32 vcc_lo, exec_lo, s2
	s_cbranch_vccnz .LBB234_9
; %bb.8:
	s_lshl_b64 s[18:19], s[8:9], 2
	s_delay_alu instid0(SALU_CYCLE_1)
	s_add_u32 s18, s10, s18
	s_addc_u32 s19, s11, s19
	s_load_b32 s2, s[18:19], 0x0
	s_waitcnt lgkmcnt(0)
	v_mul_f32_e64 v1, s12, s2
.LBB234_9:
	s_mov_b32 s16, exec_lo
	s_or_b32 exec_lo, exec_lo, s17
	s_delay_alu instid0(SALU_CYCLE_1)
	s_and_b32 vcc_lo, exec_lo, s3
	s_cbranch_vccnz .LBB234_12
	s_branch .LBB234_38
.LBB234_10:
	s_mov_b32 s16, 0
                                        ; implicit-def: $vgpr1
                                        ; implicit-def: $sgpr8_sgpr9
	s_cbranch_execnz .LBB234_12
	s_branch .LBB234_38
.LBB234_11:
	s_or_b32 exec_lo, exec_lo, s17
	s_delay_alu instid0(SALU_CYCLE_1)
	s_and_b32 vcc_lo, exec_lo, s3
	s_cbranch_vccz .LBB234_38
.LBB234_12:
	s_clause 0x2
	s_load_b32 s2, s[0:1], 0x28
	s_load_b32 s3, s[0:1], 0x0
	;; [unrolled: 1-line block ×3, first 2 shown]
	v_mov_b32_e32 v7, 0
	s_waitcnt lgkmcnt(0)
	s_mul_hi_i32 s9, s2, s14
	v_cmp_gt_i32_e32 vcc_lo, s3, v0
	s_mul_i32 s8, s2, s14
	s_delay_alu instid0(SALU_CYCLE_1) | instskip(NEXT) | instid1(SALU_CYCLE_1)
	s_lshl_b64 s[8:9], s[8:9], 2
	s_add_u32 s1, s8, s6
	v_cndmask_b32_e32 v1, 0, v0, vcc_lo
	s_addc_u32 s2, s9, s7
	s_ashr_i32 s6, s3, 31
	s_mov_b32 s8, 0
	s_lshr_b32 s6, s6, 24
	v_lshlrev_b32_e32 v1, 2, v1
	s_add_i32 s6, s3, s6
	s_delay_alu instid0(VALU_DEP_1) | instskip(NEXT) | instid1(VALU_DEP_1)
	v_add_co_u32 v1, s1, s1, v1
	v_add_co_ci_u32_e64 v2, null, s2, 0, s1
	s_and_b32 s2, s6, 0xffffff00
	s_cmpk_lt_i32 s3, 0x100
	s_cbranch_scc1 .LBB234_15
; %bb.13:
	v_mad_i64_i32 v[3:4], null, s0, v0, 0
	v_dual_mov_b32 v7, 0 :: v_dual_mov_b32 v6, v2
	v_mov_b32_e32 v5, v1
	s_ashr_i32 s1, s0, 31
	s_delay_alu instid0(SALU_CYCLE_1) | instskip(NEXT) | instid1(VALU_DEP_3)
	s_lshl_b64 s[6:7], s[0:1], 10
	v_lshlrev_b64 v[3:4], 2, v[3:4]
	s_delay_alu instid0(VALU_DEP_1) | instskip(NEXT) | instid1(VALU_DEP_2)
	v_add_co_u32 v3, vcc_lo, s4, v3
	v_add_co_ci_u32_e32 v4, vcc_lo, s5, v4, vcc_lo
.LBB234_14:                             ; =>This Inner Loop Header: Depth=1
	flat_load_b32 v8, v[5:6]
	flat_load_b32 v9, v[3:4]
	v_add_co_u32 v3, vcc_lo, v3, s6
	v_add_co_ci_u32_e32 v4, vcc_lo, s7, v4, vcc_lo
	v_add_co_u32 v5, vcc_lo, 0x400, v5
	v_add_co_ci_u32_e32 v6, vcc_lo, 0, v6, vcc_lo
	s_addk_i32 s8, 0x100
	s_delay_alu instid0(SALU_CYCLE_1)
	s_cmp_ge_i32 s8, s2
	s_waitcnt vmcnt(0) lgkmcnt(0)
	v_fmac_f32_e32 v7, v8, v9
	s_cbranch_scc0 .LBB234_14
.LBB234_15:
	v_add_nc_u32_e32 v3, s2, v0
	s_mov_b32 s1, exec_lo
	s_delay_alu instid0(VALU_DEP_1)
	v_cmpx_gt_i32_e64 s3, v3
	s_cbranch_execz .LBB234_17
; %bb.16:
	v_mad_i64_i32 v[4:5], null, s0, v3, 0
	s_ashr_i32 s3, s2, 31
	s_delay_alu instid0(SALU_CYCLE_1) | instskip(NEXT) | instid1(SALU_CYCLE_1)
	s_lshl_b64 s[2:3], s[2:3], 2
	v_add_co_u32 v1, vcc_lo, v1, s2
	s_delay_alu instid0(VALU_DEP_2) | instskip(SKIP_1) | instid1(VALU_DEP_2)
	v_lshlrev_b64 v[3:4], 2, v[4:5]
	v_add_co_ci_u32_e32 v2, vcc_lo, s3, v2, vcc_lo
	v_add_co_u32 v3, vcc_lo, s4, v3
	s_delay_alu instid0(VALU_DEP_3)
	v_add_co_ci_u32_e32 v4, vcc_lo, s5, v4, vcc_lo
	flat_load_b32 v1, v[1:2]
	flat_load_b32 v2, v[3:4]
	s_waitcnt vmcnt(0) lgkmcnt(0)
	v_fmac_f32_e32 v7, v1, v2
.LBB234_17:
	s_or_b32 exec_lo, exec_lo, s1
	v_lshlrev_b32_e32 v1, 2, v0
	s_mov_b32 s0, exec_lo
	ds_store_b32 v1, v7
	s_waitcnt lgkmcnt(0)
	s_barrier
	buffer_gl0_inv
	v_cmpx_gt_u32_e32 0x80, v0
	s_cbranch_execz .LBB234_19
; %bb.18:
	ds_load_2addr_stride64_b32 v[2:3], v1 offset1:2
	s_waitcnt lgkmcnt(0)
	v_add_f32_e32 v2, v3, v2
	ds_store_b32 v1, v2
.LBB234_19:
	s_or_b32 exec_lo, exec_lo, s0
	s_delay_alu instid0(SALU_CYCLE_1)
	s_mov_b32 s0, exec_lo
	s_waitcnt lgkmcnt(0)
	s_barrier
	buffer_gl0_inv
	v_cmpx_gt_u32_e32 64, v0
	s_cbranch_execz .LBB234_21
; %bb.20:
	ds_load_2addr_stride64_b32 v[2:3], v1 offset1:1
	s_waitcnt lgkmcnt(0)
	v_add_f32_e32 v2, v3, v2
	ds_store_b32 v1, v2
.LBB234_21:
	s_or_b32 exec_lo, exec_lo, s0
	s_delay_alu instid0(SALU_CYCLE_1)
	s_mov_b32 s0, exec_lo
	s_waitcnt lgkmcnt(0)
	s_barrier
	buffer_gl0_inv
	v_cmpx_gt_u32_e32 32, v0
	s_cbranch_execz .LBB234_23
; %bb.22:
	ds_load_2addr_b32 v[2:3], v1 offset1:32
	s_waitcnt lgkmcnt(0)
	v_add_f32_e32 v2, v3, v2
	ds_store_b32 v1, v2
.LBB234_23:
	s_or_b32 exec_lo, exec_lo, s0
	s_delay_alu instid0(SALU_CYCLE_1)
	s_mov_b32 s0, exec_lo
	s_waitcnt lgkmcnt(0)
	s_barrier
	buffer_gl0_inv
	v_cmpx_gt_u32_e32 16, v0
	s_cbranch_execz .LBB234_25
; %bb.24:
	ds_load_2addr_b32 v[2:3], v1 offset1:16
	s_waitcnt lgkmcnt(0)
	v_add_f32_e32 v2, v3, v2
	ds_store_b32 v1, v2
.LBB234_25:
	;; [unrolled: 14-line block ×5, first 2 shown]
	s_or_b32 exec_lo, exec_lo, s0
	v_cmp_eq_u32_e32 vcc_lo, 0, v0
	s_waitcnt lgkmcnt(0)
	s_barrier
	buffer_gl0_inv
	s_and_saveexec_b32 s0, vcc_lo
	s_cbranch_execz .LBB234_33
; %bb.32:
	v_mov_b32_e32 v2, 0
	ds_load_b64 v[0:1], v2
	s_waitcnt lgkmcnt(0)
	v_add_f32_e32 v0, v1, v0
	ds_store_b32 v2, v0
.LBB234_33:
	s_or_b32 exec_lo, exec_lo, s0
	s_waitcnt lgkmcnt(0)
	s_barrier
	buffer_gl0_inv
                                        ; implicit-def: $vgpr1
                                        ; implicit-def: $sgpr8_sgpr9
	s_and_saveexec_b32 s0, vcc_lo
	s_cbranch_execz .LBB234_37
; %bb.34:
	v_mov_b32_e32 v0, 0
	v_cmp_eq_f32_e64 s1, s12, 0
	s_mul_hi_i32 s9, s15, s14
	s_mul_i32 s8, s15, s14
	ds_load_b32 v0, v0
	s_and_b32 vcc_lo, exec_lo, s1
	s_waitcnt lgkmcnt(0)
	v_mul_f32_e32 v1, s13, v0
	s_cbranch_vccnz .LBB234_36
; %bb.35:
	s_lshl_b64 s[2:3], s[8:9], 2
	s_delay_alu instid0(SALU_CYCLE_1)
	s_add_u32 s2, s10, s2
	s_addc_u32 s3, s11, s3
	s_load_b32 s1, s[2:3], 0x0
	s_waitcnt lgkmcnt(0)
	v_fmac_f32_e64 v1, s12, s1
.LBB234_36:
	s_or_b32 s16, s16, exec_lo
.LBB234_37:
	s_or_b32 exec_lo, exec_lo, s0
.LBB234_38:
	s_and_saveexec_b32 s0, s16
	s_cbranch_execz .LBB234_40
; %bb.39:
	s_lshl_b64 s[0:1], s[8:9], 2
	v_mov_b32_e32 v0, 0
	s_add_u32 s0, s10, s0
	s_addc_u32 s1, s11, s1
	global_store_b32 v0, v1, s[0:1]
.LBB234_40:
	s_nop 0
	s_sendmsg sendmsg(MSG_DEALLOC_VGPRS)
	s_endpgm
	.section	.rodata,"a",@progbits
	.p2align	6, 0x0
	.amdhsa_kernel _ZL20rocblas_gemvt_kernelILb1ELi256EPKfS1_KPfEviiT2_lPKT1_lilS7_lilS4_lPT3_lili
		.amdhsa_group_segment_fixed_size 1024
		.amdhsa_private_segment_fixed_size 0
		.amdhsa_kernarg_size 140
		.amdhsa_user_sgpr_count 14
		.amdhsa_user_sgpr_dispatch_ptr 0
		.amdhsa_user_sgpr_queue_ptr 0
		.amdhsa_user_sgpr_kernarg_segment_ptr 1
		.amdhsa_user_sgpr_dispatch_id 0
		.amdhsa_user_sgpr_private_segment_size 0
		.amdhsa_wavefront_size32 1
		.amdhsa_uses_dynamic_stack 0
		.amdhsa_enable_private_segment 0
		.amdhsa_system_sgpr_workgroup_id_x 1
		.amdhsa_system_sgpr_workgroup_id_y 0
		.amdhsa_system_sgpr_workgroup_id_z 1
		.amdhsa_system_sgpr_workgroup_info 0
		.amdhsa_system_vgpr_workitem_id 0
		.amdhsa_next_free_vgpr 10
		.amdhsa_next_free_sgpr 24
		.amdhsa_reserve_vcc 1
		.amdhsa_float_round_mode_32 0
		.amdhsa_float_round_mode_16_64 0
		.amdhsa_float_denorm_mode_32 3
		.amdhsa_float_denorm_mode_16_64 3
		.amdhsa_dx10_clamp 1
		.amdhsa_ieee_mode 1
		.amdhsa_fp16_overflow 0
		.amdhsa_workgroup_processor_mode 1
		.amdhsa_memory_ordered 1
		.amdhsa_forward_progress 0
		.amdhsa_shared_vgpr_count 0
		.amdhsa_exception_fp_ieee_invalid_op 0
		.amdhsa_exception_fp_denorm_src 0
		.amdhsa_exception_fp_ieee_div_zero 0
		.amdhsa_exception_fp_ieee_overflow 0
		.amdhsa_exception_fp_ieee_underflow 0
		.amdhsa_exception_fp_ieee_inexact 0
		.amdhsa_exception_int_div_zero 0
	.end_amdhsa_kernel
	.section	.text._ZL20rocblas_gemvt_kernelILb1ELi256EPKfS1_KPfEviiT2_lPKT1_lilS7_lilS4_lPT3_lili,"axG",@progbits,_ZL20rocblas_gemvt_kernelILb1ELi256EPKfS1_KPfEviiT2_lPKT1_lilS7_lilS4_lPT3_lili,comdat
.Lfunc_end234:
	.size	_ZL20rocblas_gemvt_kernelILb1ELi256EPKfS1_KPfEviiT2_lPKT1_lilS7_lilS4_lPT3_lili, .Lfunc_end234-_ZL20rocblas_gemvt_kernelILb1ELi256EPKfS1_KPfEviiT2_lPKT1_lilS7_lilS4_lPT3_lili
                                        ; -- End function
	.section	.AMDGPU.csdata,"",@progbits
; Kernel info:
; codeLenInByte = 1472
; NumSgprs: 26
; NumVgprs: 10
; ScratchSize: 0
; MemoryBound: 0
; FloatMode: 240
; IeeeMode: 1
; LDSByteSize: 1024 bytes/workgroup (compile time only)
; SGPRBlocks: 3
; VGPRBlocks: 1
; NumSGPRsForWavesPerEU: 26
; NumVGPRsForWavesPerEU: 10
; Occupancy: 16
; WaveLimiterHint : 1
; COMPUTE_PGM_RSRC2:SCRATCH_EN: 0
; COMPUTE_PGM_RSRC2:USER_SGPR: 14
; COMPUTE_PGM_RSRC2:TRAP_HANDLER: 0
; COMPUTE_PGM_RSRC2:TGID_X_EN: 1
; COMPUTE_PGM_RSRC2:TGID_Y_EN: 0
; COMPUTE_PGM_RSRC2:TGID_Z_EN: 1
; COMPUTE_PGM_RSRC2:TIDIG_COMP_CNT: 0
	.section	.text._ZL20rocblas_gemvt_kernelILb1ELi256EPKffKPfEviiT2_lPKT1_lilS7_lilS4_lPT3_lili,"axG",@progbits,_ZL20rocblas_gemvt_kernelILb1ELi256EPKffKPfEviiT2_lPKT1_lilS7_lilS4_lPT3_lili,comdat
	.globl	_ZL20rocblas_gemvt_kernelILb1ELi256EPKffKPfEviiT2_lPKT1_lilS7_lilS4_lPT3_lili ; -- Begin function _ZL20rocblas_gemvt_kernelILb1ELi256EPKffKPfEviiT2_lPKT1_lilS7_lilS4_lPT3_lili
	.p2align	8
	.type	_ZL20rocblas_gemvt_kernelILb1ELi256EPKffKPfEviiT2_lPKT1_lilS7_lilS4_lPT3_lili,@function
_ZL20rocblas_gemvt_kernelILb1ELi256EPKffKPfEviiT2_lPKT1_lilS7_lilS4_lPT3_lili: ; @_ZL20rocblas_gemvt_kernelILb1ELi256EPKffKPfEviiT2_lPKT1_lilS7_lilS4_lPT3_lili
; %bb.0:
	s_clause 0x1
	s_load_b32 s11, s[0:1], 0x8
	s_load_b32 s10, s[0:1], 0x58
	s_waitcnt lgkmcnt(0)
	v_cmp_eq_f32_e64 s8, s11, 0
	v_cmp_eq_f32_e64 s3, s10, 1.0
	s_delay_alu instid0(VALU_DEP_1) | instskip(NEXT) | instid1(SALU_CYCLE_1)
	s_and_b32 s3, s8, s3
	s_and_b32 vcc_lo, exec_lo, s3
	s_cbranch_vccnz .LBB235_43
; %bb.1:
	v_cmp_neq_f32_e64 s4, s11, 0
	s_mov_b32 s2, s15
	s_delay_alu instid0(VALU_DEP_1)
	s_and_b32 vcc_lo, exec_lo, s4
	s_cbranch_vccnz .LBB235_3
; %bb.2:
	s_mov_b32 s3, 0
	s_mov_b64 s[6:7], 0
	s_cbranch_execz .LBB235_4
	s_branch .LBB235_5
.LBB235_3:
	s_mov_b32 s3, -1
                                        ; implicit-def: $sgpr6_sgpr7
.LBB235_4:
	s_load_b128 s[16:19], s[0:1], 0x18
	s_mov_b32 s3, 0
	s_delay_alu instid0(SALU_CYCLE_1)
	s_lshl_b64 s[6:7], s[2:3], 3
	s_waitcnt lgkmcnt(0)
	s_add_u32 s6, s16, s6
	s_addc_u32 s7, s17, s7
	s_lshl_b64 s[12:13], s[18:19], 2
	s_load_b64 s[6:7], s[6:7], 0x0
	s_waitcnt lgkmcnt(0)
	s_add_u32 s6, s6, s12
	s_addc_u32 s7, s7, s13
.LBB235_5:
	s_and_not1_b32 vcc_lo, exec_lo, s4
	s_cbranch_vccnz .LBB235_7
; %bb.6:
	s_load_b128 s[16:19], s[0:1], 0x38
	s_lshl_b64 s[4:5], s[2:3], 3
	s_waitcnt lgkmcnt(0)
	s_add_u32 s4, s16, s4
	s_addc_u32 s5, s17, s5
	s_lshl_b64 s[12:13], s[18:19], 2
	s_load_b64 s[4:5], s[4:5], 0x0
	s_waitcnt lgkmcnt(0)
	s_add_u32 s4, s4, s12
	s_addc_u32 s5, s5, s13
	s_branch .LBB235_8
.LBB235_7:
	s_mov_b64 s[4:5], 0
.LBB235_8:
	s_clause 0x1
	s_load_b128 s[16:19], s[0:1], 0x68
	s_load_b32 s15, s[0:1], 0x78
	s_lshl_b64 s[2:3], s[2:3], 3
	s_waitcnt lgkmcnt(0)
	s_add_u32 s2, s16, s2
	s_addc_u32 s3, s17, s3
	s_lshl_b64 s[16:17], s[18:19], 2
	s_load_b64 s[12:13], s[2:3], 0x0
	v_cmp_eq_u32_e64 s2, 0, v0
	s_waitcnt lgkmcnt(0)
	s_add_u32 s12, s12, s16
	s_addc_u32 s13, s13, s17
	s_and_not1_b32 vcc_lo, exec_lo, s8
	s_cbranch_vccnz .LBB235_13
; %bb.9:
	s_mov_b32 s3, 0
	s_mov_b32 s16, 0
                                        ; implicit-def: $vgpr1
                                        ; implicit-def: $sgpr8_sgpr9
	s_and_saveexec_b32 s17, s2
	s_cbranch_execz .LBB235_14
; %bb.10:
	v_cmp_eq_f32_e64 s2, s10, 0
	v_mov_b32_e32 v1, 0
	s_mul_hi_i32 s9, s15, s14
	s_mul_i32 s8, s15, s14
	s_delay_alu instid0(VALU_DEP_2)
	s_and_b32 vcc_lo, exec_lo, s2
	s_cbranch_vccnz .LBB235_12
; %bb.11:
	s_lshl_b64 s[18:19], s[8:9], 2
	s_delay_alu instid0(SALU_CYCLE_1)
	s_add_u32 s18, s12, s18
	s_addc_u32 s19, s13, s19
	s_load_b32 s2, s[18:19], 0x0
	s_waitcnt lgkmcnt(0)
	v_mul_f32_e64 v1, s2, s10
.LBB235_12:
	s_mov_b32 s16, exec_lo
	s_or_b32 exec_lo, exec_lo, s17
	s_delay_alu instid0(SALU_CYCLE_1)
	s_and_b32 vcc_lo, exec_lo, s3
	s_cbranch_vccnz .LBB235_15
	s_branch .LBB235_41
.LBB235_13:
	s_mov_b32 s16, 0
                                        ; implicit-def: $vgpr1
                                        ; implicit-def: $sgpr8_sgpr9
	s_cbranch_execnz .LBB235_15
	s_branch .LBB235_41
.LBB235_14:
	s_or_b32 exec_lo, exec_lo, s17
	s_delay_alu instid0(SALU_CYCLE_1)
	s_and_b32 vcc_lo, exec_lo, s3
	s_cbranch_vccz .LBB235_41
.LBB235_15:
	s_clause 0x2
	s_load_b32 s2, s[0:1], 0x28
	s_load_b32 s3, s[0:1], 0x0
	;; [unrolled: 1-line block ×3, first 2 shown]
	v_mov_b32_e32 v7, 0
	s_waitcnt lgkmcnt(0)
	s_mul_hi_i32 s9, s2, s14
	v_cmp_gt_i32_e32 vcc_lo, s3, v0
	s_mul_i32 s8, s2, s14
	s_delay_alu instid0(SALU_CYCLE_1) | instskip(NEXT) | instid1(SALU_CYCLE_1)
	s_lshl_b64 s[8:9], s[8:9], 2
	s_add_u32 s1, s8, s6
	v_cndmask_b32_e32 v1, 0, v0, vcc_lo
	s_addc_u32 s2, s9, s7
	s_ashr_i32 s6, s3, 31
	s_mov_b32 s8, 0
	s_lshr_b32 s6, s6, 24
	v_lshlrev_b32_e32 v1, 2, v1
	s_add_i32 s6, s3, s6
	s_delay_alu instid0(VALU_DEP_1) | instskip(NEXT) | instid1(VALU_DEP_1)
	v_add_co_u32 v1, s1, s1, v1
	v_add_co_ci_u32_e64 v2, null, s2, 0, s1
	s_and_b32 s2, s6, 0xffffff00
	s_cmpk_lt_i32 s3, 0x100
	s_cbranch_scc1 .LBB235_18
; %bb.16:
	v_mad_i64_i32 v[3:4], null, s0, v0, 0
	v_dual_mov_b32 v7, 0 :: v_dual_mov_b32 v6, v2
	v_mov_b32_e32 v5, v1
	s_ashr_i32 s1, s0, 31
	s_delay_alu instid0(SALU_CYCLE_1) | instskip(NEXT) | instid1(VALU_DEP_3)
	s_lshl_b64 s[6:7], s[0:1], 10
	v_lshlrev_b64 v[3:4], 2, v[3:4]
	s_delay_alu instid0(VALU_DEP_1) | instskip(NEXT) | instid1(VALU_DEP_2)
	v_add_co_u32 v3, vcc_lo, s4, v3
	v_add_co_ci_u32_e32 v4, vcc_lo, s5, v4, vcc_lo
.LBB235_17:                             ; =>This Inner Loop Header: Depth=1
	flat_load_b32 v8, v[5:6]
	flat_load_b32 v9, v[3:4]
	v_add_co_u32 v3, vcc_lo, v3, s6
	v_add_co_ci_u32_e32 v4, vcc_lo, s7, v4, vcc_lo
	v_add_co_u32 v5, vcc_lo, 0x400, v5
	v_add_co_ci_u32_e32 v6, vcc_lo, 0, v6, vcc_lo
	s_addk_i32 s8, 0x100
	s_delay_alu instid0(SALU_CYCLE_1)
	s_cmp_ge_i32 s8, s2
	s_waitcnt vmcnt(0) lgkmcnt(0)
	v_fmac_f32_e32 v7, v8, v9
	s_cbranch_scc0 .LBB235_17
.LBB235_18:
	v_add_nc_u32_e32 v3, s2, v0
	s_mov_b32 s1, exec_lo
	s_delay_alu instid0(VALU_DEP_1)
	v_cmpx_gt_i32_e64 s3, v3
	s_cbranch_execz .LBB235_20
; %bb.19:
	v_mad_i64_i32 v[4:5], null, s0, v3, 0
	s_ashr_i32 s3, s2, 31
	s_delay_alu instid0(SALU_CYCLE_1) | instskip(NEXT) | instid1(SALU_CYCLE_1)
	s_lshl_b64 s[2:3], s[2:3], 2
	v_add_co_u32 v1, vcc_lo, v1, s2
	s_delay_alu instid0(VALU_DEP_2) | instskip(SKIP_1) | instid1(VALU_DEP_2)
	v_lshlrev_b64 v[3:4], 2, v[4:5]
	v_add_co_ci_u32_e32 v2, vcc_lo, s3, v2, vcc_lo
	v_add_co_u32 v3, vcc_lo, s4, v3
	s_delay_alu instid0(VALU_DEP_3)
	v_add_co_ci_u32_e32 v4, vcc_lo, s5, v4, vcc_lo
	flat_load_b32 v1, v[1:2]
	flat_load_b32 v2, v[3:4]
	s_waitcnt vmcnt(0) lgkmcnt(0)
	v_fmac_f32_e32 v7, v1, v2
.LBB235_20:
	s_or_b32 exec_lo, exec_lo, s1
	v_lshlrev_b32_e32 v1, 2, v0
	s_mov_b32 s0, exec_lo
	ds_store_b32 v1, v7
	s_waitcnt lgkmcnt(0)
	s_barrier
	buffer_gl0_inv
	v_cmpx_gt_u32_e32 0x80, v0
	s_cbranch_execz .LBB235_22
; %bb.21:
	ds_load_2addr_stride64_b32 v[2:3], v1 offset1:2
	s_waitcnt lgkmcnt(0)
	v_add_f32_e32 v2, v3, v2
	ds_store_b32 v1, v2
.LBB235_22:
	s_or_b32 exec_lo, exec_lo, s0
	s_delay_alu instid0(SALU_CYCLE_1)
	s_mov_b32 s0, exec_lo
	s_waitcnt lgkmcnt(0)
	s_barrier
	buffer_gl0_inv
	v_cmpx_gt_u32_e32 64, v0
	s_cbranch_execz .LBB235_24
; %bb.23:
	ds_load_2addr_stride64_b32 v[2:3], v1 offset1:1
	s_waitcnt lgkmcnt(0)
	v_add_f32_e32 v2, v3, v2
	ds_store_b32 v1, v2
.LBB235_24:
	s_or_b32 exec_lo, exec_lo, s0
	s_delay_alu instid0(SALU_CYCLE_1)
	s_mov_b32 s0, exec_lo
	s_waitcnt lgkmcnt(0)
	s_barrier
	buffer_gl0_inv
	v_cmpx_gt_u32_e32 32, v0
	s_cbranch_execz .LBB235_26
; %bb.25:
	ds_load_2addr_b32 v[2:3], v1 offset1:32
	s_waitcnt lgkmcnt(0)
	v_add_f32_e32 v2, v3, v2
	ds_store_b32 v1, v2
.LBB235_26:
	s_or_b32 exec_lo, exec_lo, s0
	s_delay_alu instid0(SALU_CYCLE_1)
	s_mov_b32 s0, exec_lo
	s_waitcnt lgkmcnt(0)
	s_barrier
	buffer_gl0_inv
	v_cmpx_gt_u32_e32 16, v0
	s_cbranch_execz .LBB235_28
; %bb.27:
	ds_load_2addr_b32 v[2:3], v1 offset1:16
	s_waitcnt lgkmcnt(0)
	v_add_f32_e32 v2, v3, v2
	ds_store_b32 v1, v2
.LBB235_28:
	;; [unrolled: 14-line block ×5, first 2 shown]
	s_or_b32 exec_lo, exec_lo, s0
	v_cmp_eq_u32_e32 vcc_lo, 0, v0
	s_waitcnt lgkmcnt(0)
	s_barrier
	buffer_gl0_inv
	s_and_saveexec_b32 s0, vcc_lo
	s_cbranch_execz .LBB235_36
; %bb.35:
	v_mov_b32_e32 v2, 0
	ds_load_b64 v[0:1], v2
	s_waitcnt lgkmcnt(0)
	v_add_f32_e32 v0, v1, v0
	ds_store_b32 v2, v0
.LBB235_36:
	s_or_b32 exec_lo, exec_lo, s0
	s_waitcnt lgkmcnt(0)
	s_barrier
	buffer_gl0_inv
                                        ; implicit-def: $vgpr1
                                        ; implicit-def: $sgpr8_sgpr9
	s_and_saveexec_b32 s0, vcc_lo
	s_cbranch_execz .LBB235_40
; %bb.37:
	v_mov_b32_e32 v0, 0
	v_cmp_eq_f32_e64 s1, s10, 0
	s_mul_hi_i32 s9, s15, s14
	s_mul_i32 s8, s15, s14
	ds_load_b32 v0, v0
	s_and_b32 vcc_lo, exec_lo, s1
	s_waitcnt lgkmcnt(0)
	v_mul_f32_e32 v1, s11, v0
	s_cbranch_vccnz .LBB235_39
; %bb.38:
	s_lshl_b64 s[2:3], s[8:9], 2
	s_delay_alu instid0(SALU_CYCLE_1)
	s_add_u32 s2, s12, s2
	s_addc_u32 s3, s13, s3
	s_load_b32 s1, s[2:3], 0x0
	s_waitcnt lgkmcnt(0)
	v_fmac_f32_e64 v1, s1, s10
.LBB235_39:
	s_or_b32 s16, s16, exec_lo
.LBB235_40:
	s_or_b32 exec_lo, exec_lo, s0
.LBB235_41:
	s_and_saveexec_b32 s0, s16
	s_cbranch_execz .LBB235_43
; %bb.42:
	s_lshl_b64 s[0:1], s[8:9], 2
	v_mov_b32_e32 v0, 0
	s_add_u32 s0, s12, s0
	s_addc_u32 s1, s13, s1
	global_store_b32 v0, v1, s[0:1]
.LBB235_43:
	s_nop 0
	s_sendmsg sendmsg(MSG_DEALLOC_VGPRS)
	s_endpgm
	.section	.rodata,"a",@progbits
	.p2align	6, 0x0
	.amdhsa_kernel _ZL20rocblas_gemvt_kernelILb1ELi256EPKffKPfEviiT2_lPKT1_lilS7_lilS4_lPT3_lili
		.amdhsa_group_segment_fixed_size 1024
		.amdhsa_private_segment_fixed_size 0
		.amdhsa_kernarg_size 140
		.amdhsa_user_sgpr_count 14
		.amdhsa_user_sgpr_dispatch_ptr 0
		.amdhsa_user_sgpr_queue_ptr 0
		.amdhsa_user_sgpr_kernarg_segment_ptr 1
		.amdhsa_user_sgpr_dispatch_id 0
		.amdhsa_user_sgpr_private_segment_size 0
		.amdhsa_wavefront_size32 1
		.amdhsa_uses_dynamic_stack 0
		.amdhsa_enable_private_segment 0
		.amdhsa_system_sgpr_workgroup_id_x 1
		.amdhsa_system_sgpr_workgroup_id_y 0
		.amdhsa_system_sgpr_workgroup_id_z 1
		.amdhsa_system_sgpr_workgroup_info 0
		.amdhsa_system_vgpr_workitem_id 0
		.amdhsa_next_free_vgpr 10
		.amdhsa_next_free_sgpr 20
		.amdhsa_reserve_vcc 1
		.amdhsa_float_round_mode_32 0
		.amdhsa_float_round_mode_16_64 0
		.amdhsa_float_denorm_mode_32 3
		.amdhsa_float_denorm_mode_16_64 3
		.amdhsa_dx10_clamp 1
		.amdhsa_ieee_mode 1
		.amdhsa_fp16_overflow 0
		.amdhsa_workgroup_processor_mode 1
		.amdhsa_memory_ordered 1
		.amdhsa_forward_progress 0
		.amdhsa_shared_vgpr_count 0
		.amdhsa_exception_fp_ieee_invalid_op 0
		.amdhsa_exception_fp_denorm_src 0
		.amdhsa_exception_fp_ieee_div_zero 0
		.amdhsa_exception_fp_ieee_overflow 0
		.amdhsa_exception_fp_ieee_underflow 0
		.amdhsa_exception_fp_ieee_inexact 0
		.amdhsa_exception_int_div_zero 0
	.end_amdhsa_kernel
	.section	.text._ZL20rocblas_gemvt_kernelILb1ELi256EPKffKPfEviiT2_lPKT1_lilS7_lilS4_lPT3_lili,"axG",@progbits,_ZL20rocblas_gemvt_kernelILb1ELi256EPKffKPfEviiT2_lPKT1_lilS7_lilS4_lPT3_lili,comdat
.Lfunc_end235:
	.size	_ZL20rocblas_gemvt_kernelILb1ELi256EPKffKPfEviiT2_lPKT1_lilS7_lilS4_lPT3_lili, .Lfunc_end235-_ZL20rocblas_gemvt_kernelILb1ELi256EPKffKPfEviiT2_lPKT1_lilS7_lilS4_lPT3_lili
                                        ; -- End function
	.section	.AMDGPU.csdata,"",@progbits
; Kernel info:
; codeLenInByte = 1440
; NumSgprs: 22
; NumVgprs: 10
; ScratchSize: 0
; MemoryBound: 0
; FloatMode: 240
; IeeeMode: 1
; LDSByteSize: 1024 bytes/workgroup (compile time only)
; SGPRBlocks: 2
; VGPRBlocks: 1
; NumSGPRsForWavesPerEU: 22
; NumVGPRsForWavesPerEU: 10
; Occupancy: 16
; WaveLimiterHint : 1
; COMPUTE_PGM_RSRC2:SCRATCH_EN: 0
; COMPUTE_PGM_RSRC2:USER_SGPR: 14
; COMPUTE_PGM_RSRC2:TRAP_HANDLER: 0
; COMPUTE_PGM_RSRC2:TGID_X_EN: 1
; COMPUTE_PGM_RSRC2:TGID_Y_EN: 0
; COMPUTE_PGM_RSRC2:TGID_Z_EN: 1
; COMPUTE_PGM_RSRC2:TIDIG_COMP_CNT: 0
	.section	.text._ZL32rocblas_gemvt_warp_reduce_kernelILb1ELi1024EiPKfS1_KPfEviiT3_lPKT2_lT1_lS7_lS8_lS4_lPT4_lS8_li,"axG",@progbits,_ZL32rocblas_gemvt_warp_reduce_kernelILb1ELi1024EiPKfS1_KPfEviiT3_lPKT2_lT1_lS7_lS8_lS4_lPT4_lS8_li,comdat
	.globl	_ZL32rocblas_gemvt_warp_reduce_kernelILb1ELi1024EiPKfS1_KPfEviiT3_lPKT2_lT1_lS7_lS8_lS4_lPT4_lS8_li ; -- Begin function _ZL32rocblas_gemvt_warp_reduce_kernelILb1ELi1024EiPKfS1_KPfEviiT3_lPKT2_lT1_lS7_lS8_lS4_lPT4_lS8_li
	.p2align	8
	.type	_ZL32rocblas_gemvt_warp_reduce_kernelILb1ELi1024EiPKfS1_KPfEviiT3_lPKT2_lT1_lS7_lS8_lS4_lPT4_lS8_li,@function
_ZL32rocblas_gemvt_warp_reduce_kernelILb1ELi1024EiPKfS1_KPfEviiT3_lPKT2_lT1_lS7_lS8_lS4_lPT4_lS8_li: ; @_ZL32rocblas_gemvt_warp_reduce_kernelILb1ELi1024EiPKfS1_KPfEviiT3_lPKT2_lT1_lS7_lS8_lS4_lPT4_lS8_li
; %bb.0:
	s_clause 0x1
	s_load_b256 s[16:23], s[0:1], 0x8
	s_load_b256 s[4:11], s[0:1], 0x58
	s_mov_b32 s2, s15
	s_waitcnt lgkmcnt(0)
	s_mul_i32 s3, s15, s19
	s_mul_hi_u32 s13, s15, s18
	s_mul_i32 s12, s15, s18
	s_add_i32 s13, s13, s3
	s_mul_i32 s3, s15, s7
	s_lshl_b64 s[12:13], s[12:13], 2
	s_mul_hi_u32 s7, s15, s6
	s_add_u32 s12, s16, s12
	s_addc_u32 s13, s17, s13
	s_add_i32 s7, s7, s3
	s_mul_i32 s6, s15, s6
	s_delay_alu instid0(SALU_CYCLE_1) | instskip(NEXT) | instid1(SALU_CYCLE_1)
	s_lshl_b64 s[6:7], s[6:7], 2
	s_add_u32 s4, s4, s6
	s_addc_u32 s5, s5, s7
	s_load_b32 s13, s[12:13], 0x0
	s_load_b32 s12, s[4:5], 0x0
	s_waitcnt lgkmcnt(0)
	v_cmp_eq_f32_e64 s15, s13, 0
	v_cmp_eq_f32_e64 s3, s12, 1.0
	s_delay_alu instid0(VALU_DEP_1) | instskip(NEXT) | instid1(SALU_CYCLE_1)
	s_and_b32 s3, s15, s3
	s_and_b32 vcc_lo, exec_lo, s3
	s_mov_b32 s3, 0
	s_cbranch_vccnz .LBB236_33
; %bb.1:
	v_cmp_neq_f32_e64 s16, s13, 0
	s_mov_b64 s[4:5], 0
	s_and_b32 vcc_lo, exec_lo, s15
	s_mov_b64 s[6:7], 0
	s_cbranch_vccnz .LBB236_3
; %bb.2:
	s_lshl_b64 s[6:7], s[2:3], 3
	s_delay_alu instid0(SALU_CYCLE_1)
	s_add_u32 s6, s20, s6
	s_addc_u32 s7, s21, s7
	s_lshl_b64 s[18:19], s[22:23], 2
	s_load_b64 s[6:7], s[6:7], 0x0
	s_waitcnt lgkmcnt(0)
	s_add_u32 s6, s6, s18
	s_addc_u32 s7, s7, s19
.LBB236_3:
	s_and_not1_b32 vcc_lo, exec_lo, s16
	s_cbranch_vccnz .LBB236_5
; %bb.4:
	s_load_b128 s[16:19], s[0:1], 0x38
	s_lshl_b64 s[4:5], s[2:3], 3
	s_waitcnt lgkmcnt(0)
	s_add_u32 s4, s16, s4
	s_addc_u32 s5, s17, s5
	s_lshl_b64 s[16:17], s[18:19], 2
	s_load_b64 s[4:5], s[4:5], 0x0
	s_waitcnt lgkmcnt(0)
	s_add_u32 s4, s4, s16
	s_addc_u32 s5, s5, s17
.LBB236_5:
	s_lshl_b64 s[2:3], s[2:3], 3
	s_delay_alu instid0(SALU_CYCLE_1)
	s_add_u32 s2, s8, s2
	s_addc_u32 s3, s9, s3
	s_lshl_b64 s[10:11], s[10:11], 2
	s_load_b64 s[8:9], s[2:3], 0x0
	s_load_b32 s16, s[0:1], 0x78
	v_cmp_eq_u32_e64 s2, 0, v0
	s_waitcnt lgkmcnt(0)
	s_add_u32 s10, s8, s10
	s_addc_u32 s11, s9, s11
	s_and_not1_b32 vcc_lo, exec_lo, s15
	s_cbranch_vccnz .LBB236_10
; %bb.6:
	s_mov_b32 s3, 0
	s_mov_b32 s15, 0
                                        ; implicit-def: $vgpr1
                                        ; implicit-def: $sgpr8_sgpr9
	s_and_saveexec_b32 s17, s2
	s_cbranch_execz .LBB236_11
; %bb.7:
	v_cmp_eq_f32_e64 s2, s12, 0
	v_mov_b32_e32 v1, 0
	s_mul_i32 s8, s14, s16
	s_delay_alu instid0(SALU_CYCLE_1) | instskip(NEXT) | instid1(VALU_DEP_2)
	s_ashr_i32 s9, s8, 31
	s_and_b32 vcc_lo, exec_lo, s2
	s_cbranch_vccnz .LBB236_9
; %bb.8:
	s_lshl_b64 s[18:19], s[8:9], 2
	s_delay_alu instid0(SALU_CYCLE_1)
	s_add_u32 s18, s10, s18
	s_addc_u32 s19, s11, s19
	s_load_b32 s2, s[18:19], 0x0
	s_waitcnt lgkmcnt(0)
	v_mul_f32_e64 v1, s12, s2
.LBB236_9:
	s_mov_b32 s15, exec_lo
	s_or_b32 exec_lo, exec_lo, s17
	s_delay_alu instid0(SALU_CYCLE_1)
	s_and_b32 vcc_lo, exec_lo, s3
	s_cbranch_vccnz .LBB236_12
	s_branch .LBB236_31
.LBB236_10:
	s_mov_b32 s15, 0
                                        ; implicit-def: $vgpr1
                                        ; implicit-def: $sgpr8_sgpr9
	s_cbranch_execnz .LBB236_12
	s_branch .LBB236_31
.LBB236_11:
	s_or_b32 exec_lo, exec_lo, s17
	s_delay_alu instid0(SALU_CYCLE_1)
	s_and_b32 vcc_lo, exec_lo, s3
	s_cbranch_vccz .LBB236_31
.LBB236_12:
	s_clause 0x2
	s_load_b32 s2, s[0:1], 0x28
	s_load_b32 s3, s[0:1], 0x0
	;; [unrolled: 1-line block ×3, first 2 shown]
	v_mov_b32_e32 v7, 0
	s_waitcnt lgkmcnt(0)
	s_mul_i32 s8, s14, s2
	v_cmp_gt_i32_e32 vcc_lo, s3, v0
	s_ashr_i32 s9, s8, 31
	s_delay_alu instid0(SALU_CYCLE_1)
	s_lshl_b64 s[8:9], s[8:9], 2
	v_cndmask_b32_e32 v1, 0, v0, vcc_lo
	s_add_u32 s0, s8, s6
	s_addc_u32 s6, s9, s7
	s_ashr_i32 s2, s3, 31
	s_mov_b32 s7, 0
	v_lshlrev_b32_e32 v1, 2, v1
	s_lshr_b32 s2, s2, 22
	s_delay_alu instid0(SALU_CYCLE_1) | instskip(NEXT) | instid1(SALU_CYCLE_1)
	s_add_i32 s2, s3, s2
	s_and_b32 s2, s2, 0xfffffc00
	s_delay_alu instid0(VALU_DEP_1) | instskip(NEXT) | instid1(VALU_DEP_1)
	v_add_co_u32 v1, s0, s0, v1
	v_add_co_ci_u32_e64 v2, null, s6, 0, s0
	s_mov_b32 s6, exec_lo
	v_cmpx_gt_i32_e64 s2, v0
	s_cbranch_execz .LBB236_16
; %bb.13:
	v_mul_lo_u32 v3, v0, s1
	v_dual_mov_b32 v7, 0 :: v_dual_mov_b32 v6, v2
	v_dual_mov_b32 v5, v1 :: v_dual_mov_b32 v8, v0
	s_lshl_b32 s8, s1, 10
	.p2align	6
.LBB236_14:                             ; =>This Inner Loop Header: Depth=1
	s_delay_alu instid0(VALU_DEP_3) | instskip(NEXT) | instid1(VALU_DEP_1)
	v_ashrrev_i32_e32 v4, 31, v3
	v_lshlrev_b64 v[9:10], 2, v[3:4]
	v_add_nc_u32_e32 v3, s8, v3
	s_delay_alu instid0(VALU_DEP_2) | instskip(NEXT) | instid1(VALU_DEP_3)
	v_add_co_u32 v9, vcc_lo, s4, v9
	v_add_co_ci_u32_e32 v10, vcc_lo, s5, v10, vcc_lo
	flat_load_b32 v4, v[5:6]
	flat_load_b32 v9, v[9:10]
	v_add_nc_u32_e32 v8, 0x400, v8
	v_add_co_u32 v5, vcc_lo, 0x1000, v5
	v_add_co_ci_u32_e32 v6, vcc_lo, 0, v6, vcc_lo
	s_waitcnt vmcnt(0) lgkmcnt(0)
	v_fmac_f32_e32 v7, v4, v9
	v_cmp_le_i32_e64 s0, s2, v8
	s_delay_alu instid0(VALU_DEP_1) | instskip(NEXT) | instid1(SALU_CYCLE_1)
	s_or_b32 s7, s0, s7
	s_and_not1_b32 exec_lo, exec_lo, s7
	s_cbranch_execnz .LBB236_14
; %bb.15:
	s_or_b32 exec_lo, exec_lo, s7
.LBB236_16:
	s_delay_alu instid0(SALU_CYCLE_1) | instskip(SKIP_2) | instid1(VALU_DEP_1)
	s_or_b32 exec_lo, exec_lo, s6
	v_or_b32_e32 v3, s2, v0
	s_mov_b32 s0, exec_lo
	v_cmpx_gt_i32_e64 s3, v3
	s_cbranch_execz .LBB236_18
; %bb.17:
	v_mul_lo_u32 v3, v3, s1
	s_ashr_i32 s3, s2, 31
	s_delay_alu instid0(SALU_CYCLE_1) | instskip(NEXT) | instid1(SALU_CYCLE_1)
	s_lshl_b64 s[2:3], s[2:3], 2
	v_add_co_u32 v1, vcc_lo, v1, s2
	v_add_co_ci_u32_e32 v2, vcc_lo, s3, v2, vcc_lo
	s_delay_alu instid0(VALU_DEP_3) | instskip(NEXT) | instid1(VALU_DEP_1)
	v_ashrrev_i32_e32 v4, 31, v3
	v_lshlrev_b64 v[3:4], 2, v[3:4]
	s_delay_alu instid0(VALU_DEP_1) | instskip(NEXT) | instid1(VALU_DEP_2)
	v_add_co_u32 v3, vcc_lo, s4, v3
	v_add_co_ci_u32_e32 v4, vcc_lo, s5, v4, vcc_lo
	flat_load_b32 v1, v[1:2]
	flat_load_b32 v2, v[3:4]
	s_waitcnt vmcnt(0) lgkmcnt(0)
	v_fmac_f32_e32 v7, v1, v2
.LBB236_18:
	s_or_b32 exec_lo, exec_lo, s0
	v_and_b32_e32 v6, 31, v0
	v_cmp_gt_u32_e32 vcc_lo, 32, v0
	s_delay_alu instid0(VALU_DEP_2)
	v_lshlrev_b32_e32 v1, 2, v6
	s_and_saveexec_b32 s0, vcc_lo
	s_cbranch_execz .LBB236_20
; %bb.19:
	v_mov_b32_e32 v2, 0
	ds_store_b32 v1, v2
.LBB236_20:
	s_or_b32 exec_lo, exec_lo, s0
	v_mbcnt_lo_u32_b32 v8, -1, 0
	s_mov_b32 s1, exec_lo
	s_waitcnt lgkmcnt(0)
	s_barrier
	buffer_gl0_inv
	v_cmp_gt_u32_e64 s0, 16, v8
	s_delay_alu instid0(VALU_DEP_1) | instskip(SKIP_1) | instid1(VALU_DEP_2)
	v_cndmask_b32_e64 v2, 0, 1, s0
	v_cmp_gt_u32_e64 s0, 24, v8
	v_lshlrev_b32_e32 v2, 4, v2
	s_delay_alu instid0(VALU_DEP_2) | instskip(SKIP_1) | instid1(VALU_DEP_3)
	v_cndmask_b32_e64 v3, 0, 1, s0
	v_cmp_gt_u32_e64 s0, 28, v8
	v_add_lshl_u32 v2, v2, v8, 2
	s_delay_alu instid0(VALU_DEP_3)
	v_lshlrev_b32_e32 v3, 3, v3
	ds_bpermute_b32 v4, v2, v7
	v_add_lshl_u32 v3, v3, v8, 2
	s_waitcnt lgkmcnt(0)
	v_add_f32_e32 v5, v7, v4
	v_cndmask_b32_e64 v4, 0, 1, s0
	v_cmp_gt_u32_e64 s0, 30, v8
	ds_bpermute_b32 v7, v3, v5
	s_waitcnt lgkmcnt(0)
	v_dual_add_f32 v7, v5, v7 :: v_dual_lshlrev_b32 v4, 2, v4
	s_delay_alu instid0(VALU_DEP_1)
	v_add_lshl_u32 v4, v4, v8, 2
	v_cndmask_b32_e64 v5, 0, 1, s0
	v_cmp_ne_u32_e64 s0, 31, v8
	ds_bpermute_b32 v9, v4, v7
	v_lshlrev_b32_e32 v5, 1, v5
	v_add_co_ci_u32_e64 v10, s0, 0, v8, s0
	s_delay_alu instid0(VALU_DEP_2)
	v_add_lshl_u32 v5, v5, v8, 2
	s_waitcnt lgkmcnt(0)
	v_add_f32_e32 v7, v7, v9
	ds_bpermute_b32 v9, v5, v7
	s_waitcnt lgkmcnt(0)
	v_dual_add_f32 v8, v7, v9 :: v_dual_lshlrev_b32 v7, 2, v10
	ds_bpermute_b32 v9, v7, v8
	v_cmpx_eq_u32_e32 0, v6
	s_cbranch_execz .LBB236_22
; %bb.21:
	v_lshrrev_b32_e32 v6, 3, v0
	s_waitcnt lgkmcnt(0)
	v_add_f32_e32 v8, v8, v9
	s_delay_alu instid0(VALU_DEP_2)
	v_and_b32_e32 v6, 0x7c, v6
	ds_store_b32 v6, v8
.LBB236_22:
	s_or_b32 exec_lo, exec_lo, s1
	v_mov_b32_e32 v6, 0
	s_waitcnt lgkmcnt(0)
	s_barrier
	buffer_gl0_inv
	s_and_saveexec_b32 s0, vcc_lo
	s_cbranch_execz .LBB236_24
; %bb.23:
	ds_load_b32 v6, v1
.LBB236_24:
	s_or_b32 exec_lo, exec_lo, s0
	s_and_saveexec_b32 s0, vcc_lo
	s_cbranch_execz .LBB236_26
; %bb.25:
	s_waitcnt lgkmcnt(0)
	ds_bpermute_b32 v1, v2, v6
	s_waitcnt lgkmcnt(0)
	v_add_f32_e32 v1, v6, v1
	ds_bpermute_b32 v2, v3, v1
	s_waitcnt lgkmcnt(0)
	v_add_f32_e32 v1, v1, v2
	;; [unrolled: 3-line block ×5, first 2 shown]
.LBB236_26:
	s_or_b32 exec_lo, exec_lo, s0
	s_delay_alu instid0(SALU_CYCLE_1)
	s_mov_b32 s0, exec_lo
                                        ; implicit-def: $vgpr1
                                        ; implicit-def: $sgpr8_sgpr9
	v_cmpx_eq_u32_e32 0, v0
	s_cbranch_execz .LBB236_30
; %bb.27:
	v_cmp_eq_f32_e64 s1, s12, 0
	s_waitcnt lgkmcnt(0)
	v_mul_f32_e32 v1, s13, v6
	s_mul_i32 s8, s14, s16
	s_delay_alu instid0(SALU_CYCLE_1)
	s_ashr_i32 s9, s8, 31
	s_and_b32 vcc_lo, exec_lo, s1
	s_cbranch_vccnz .LBB236_29
; %bb.28:
	s_lshl_b64 s[2:3], s[8:9], 2
	s_delay_alu instid0(SALU_CYCLE_1)
	s_add_u32 s2, s10, s2
	s_addc_u32 s3, s11, s3
	s_load_b32 s1, s[2:3], 0x0
	s_waitcnt lgkmcnt(0)
	v_fmac_f32_e64 v1, s12, s1
.LBB236_29:
	s_or_b32 s15, s15, exec_lo
.LBB236_30:
	s_or_b32 exec_lo, exec_lo, s0
.LBB236_31:
	s_and_saveexec_b32 s0, s15
	s_cbranch_execz .LBB236_33
; %bb.32:
	s_lshl_b64 s[0:1], s[8:9], 2
	v_mov_b32_e32 v0, 0
	s_add_u32 s0, s10, s0
	s_addc_u32 s1, s11, s1
	global_store_b32 v0, v1, s[0:1]
.LBB236_33:
	s_nop 0
	s_sendmsg sendmsg(MSG_DEALLOC_VGPRS)
	s_endpgm
	.section	.rodata,"a",@progbits
	.p2align	6, 0x0
	.amdhsa_kernel _ZL32rocblas_gemvt_warp_reduce_kernelILb1ELi1024EiPKfS1_KPfEviiT3_lPKT2_lT1_lS7_lS8_lS4_lPT4_lS8_li
		.amdhsa_group_segment_fixed_size 128
		.amdhsa_private_segment_fixed_size 0
		.amdhsa_kernarg_size 140
		.amdhsa_user_sgpr_count 14
		.amdhsa_user_sgpr_dispatch_ptr 0
		.amdhsa_user_sgpr_queue_ptr 0
		.amdhsa_user_sgpr_kernarg_segment_ptr 1
		.amdhsa_user_sgpr_dispatch_id 0
		.amdhsa_user_sgpr_private_segment_size 0
		.amdhsa_wavefront_size32 1
		.amdhsa_uses_dynamic_stack 0
		.amdhsa_enable_private_segment 0
		.amdhsa_system_sgpr_workgroup_id_x 1
		.amdhsa_system_sgpr_workgroup_id_y 0
		.amdhsa_system_sgpr_workgroup_id_z 1
		.amdhsa_system_sgpr_workgroup_info 0
		.amdhsa_system_vgpr_workitem_id 0
		.amdhsa_next_free_vgpr 11
		.amdhsa_next_free_sgpr 24
		.amdhsa_reserve_vcc 1
		.amdhsa_float_round_mode_32 0
		.amdhsa_float_round_mode_16_64 0
		.amdhsa_float_denorm_mode_32 3
		.amdhsa_float_denorm_mode_16_64 3
		.amdhsa_dx10_clamp 1
		.amdhsa_ieee_mode 1
		.amdhsa_fp16_overflow 0
		.amdhsa_workgroup_processor_mode 1
		.amdhsa_memory_ordered 1
		.amdhsa_forward_progress 0
		.amdhsa_shared_vgpr_count 0
		.amdhsa_exception_fp_ieee_invalid_op 0
		.amdhsa_exception_fp_denorm_src 0
		.amdhsa_exception_fp_ieee_div_zero 0
		.amdhsa_exception_fp_ieee_overflow 0
		.amdhsa_exception_fp_ieee_underflow 0
		.amdhsa_exception_fp_ieee_inexact 0
		.amdhsa_exception_int_div_zero 0
	.end_amdhsa_kernel
	.section	.text._ZL32rocblas_gemvt_warp_reduce_kernelILb1ELi1024EiPKfS1_KPfEviiT3_lPKT2_lT1_lS7_lS8_lS4_lPT4_lS8_li,"axG",@progbits,_ZL32rocblas_gemvt_warp_reduce_kernelILb1ELi1024EiPKfS1_KPfEviiT3_lPKT2_lT1_lS7_lS8_lS4_lPT4_lS8_li,comdat
.Lfunc_end236:
	.size	_ZL32rocblas_gemvt_warp_reduce_kernelILb1ELi1024EiPKfS1_KPfEviiT3_lPKT2_lT1_lS7_lS8_lS4_lPT4_lS8_li, .Lfunc_end236-_ZL32rocblas_gemvt_warp_reduce_kernelILb1ELi1024EiPKfS1_KPfEviiT3_lPKT2_lT1_lS7_lS8_lS4_lPT4_lS8_li
                                        ; -- End function
	.section	.AMDGPU.csdata,"",@progbits
; Kernel info:
; codeLenInByte = 1472
; NumSgprs: 26
; NumVgprs: 11
; ScratchSize: 0
; MemoryBound: 0
; FloatMode: 240
; IeeeMode: 1
; LDSByteSize: 128 bytes/workgroup (compile time only)
; SGPRBlocks: 3
; VGPRBlocks: 1
; NumSGPRsForWavesPerEU: 26
; NumVGPRsForWavesPerEU: 11
; Occupancy: 16
; WaveLimiterHint : 1
; COMPUTE_PGM_RSRC2:SCRATCH_EN: 0
; COMPUTE_PGM_RSRC2:USER_SGPR: 14
; COMPUTE_PGM_RSRC2:TRAP_HANDLER: 0
; COMPUTE_PGM_RSRC2:TGID_X_EN: 1
; COMPUTE_PGM_RSRC2:TGID_Y_EN: 0
; COMPUTE_PGM_RSRC2:TGID_Z_EN: 1
; COMPUTE_PGM_RSRC2:TIDIG_COMP_CNT: 0
	.section	.text._ZL32rocblas_gemvt_warp_reduce_kernelILb1ELi1024ElPKfS1_KPfEviiT3_lPKT2_lT1_lS7_lS8_lS4_lPT4_lS8_li,"axG",@progbits,_ZL32rocblas_gemvt_warp_reduce_kernelILb1ELi1024ElPKfS1_KPfEviiT3_lPKT2_lT1_lS7_lS8_lS4_lPT4_lS8_li,comdat
	.globl	_ZL32rocblas_gemvt_warp_reduce_kernelILb1ELi1024ElPKfS1_KPfEviiT3_lPKT2_lT1_lS7_lS8_lS4_lPT4_lS8_li ; -- Begin function _ZL32rocblas_gemvt_warp_reduce_kernelILb1ELi1024ElPKfS1_KPfEviiT3_lPKT2_lT1_lS7_lS8_lS4_lPT4_lS8_li
	.p2align	8
	.type	_ZL32rocblas_gemvt_warp_reduce_kernelILb1ELi1024ElPKfS1_KPfEviiT3_lPKT2_lT1_lS7_lS8_lS4_lPT4_lS8_li,@function
_ZL32rocblas_gemvt_warp_reduce_kernelILb1ELi1024ElPKfS1_KPfEviiT3_lPKT2_lT1_lS7_lS8_lS4_lPT4_lS8_li: ; @_ZL32rocblas_gemvt_warp_reduce_kernelILb1ELi1024ElPKfS1_KPfEviiT3_lPKT2_lT1_lS7_lS8_lS4_lPT4_lS8_li
; %bb.0:
	s_clause 0x1
	s_load_b256 s[16:23], s[0:1], 0x8
	s_load_b256 s[4:11], s[0:1], 0x58
	s_mov_b32 s2, s15
	s_waitcnt lgkmcnt(0)
	s_mul_i32 s3, s15, s19
	s_mul_hi_u32 s13, s15, s18
	s_mul_i32 s12, s15, s18
	s_add_i32 s13, s13, s3
	s_mul_i32 s3, s15, s7
	s_lshl_b64 s[12:13], s[12:13], 2
	s_mul_hi_u32 s7, s15, s6
	s_add_u32 s12, s16, s12
	s_addc_u32 s13, s17, s13
	s_add_i32 s7, s7, s3
	s_mul_i32 s6, s15, s6
	s_delay_alu instid0(SALU_CYCLE_1) | instskip(NEXT) | instid1(SALU_CYCLE_1)
	s_lshl_b64 s[6:7], s[6:7], 2
	s_add_u32 s4, s4, s6
	s_addc_u32 s5, s5, s7
	s_load_b32 s28, s[12:13], 0x0
	s_load_b32 s15, s[4:5], 0x0
	s_waitcnt lgkmcnt(0)
	v_cmp_eq_f32_e64 s29, s28, 0
	v_cmp_eq_f32_e64 s3, s15, 1.0
	s_delay_alu instid0(VALU_DEP_1) | instskip(NEXT) | instid1(SALU_CYCLE_1)
	s_and_b32 s3, s29, s3
	s_and_b32 vcc_lo, exec_lo, s3
	s_mov_b32 s3, 0
	s_cbranch_vccnz .LBB237_33
; %bb.1:
	s_clause 0x1
	s_load_b64 s[24:25], s[0:1], 0x28
	s_load_b64 s[12:13], s[0:1], 0x78
	v_cmp_neq_f32_e64 s30, s28, 0
	s_mov_b64 s[16:17], 0
	s_and_b32 vcc_lo, exec_lo, s29
	s_mov_b64 s[26:27], 0
	s_cbranch_vccnz .LBB237_3
; %bb.2:
	s_lshl_b64 s[4:5], s[2:3], 3
	s_delay_alu instid0(SALU_CYCLE_1)
	s_add_u32 s4, s20, s4
	s_addc_u32 s5, s21, s5
	s_lshl_b64 s[6:7], s[22:23], 2
	s_load_b64 s[4:5], s[4:5], 0x0
	s_waitcnt lgkmcnt(0)
	s_add_u32 s26, s4, s6
	s_addc_u32 s27, s5, s7
.LBB237_3:
	s_clause 0x1
	s_load_b128 s[4:7], s[0:1], 0x38
	s_load_b64 s[18:19], s[0:1], 0x48
	s_and_not1_b32 vcc_lo, exec_lo, s30
	s_cbranch_vccnz .LBB237_5
; %bb.4:
	s_lshl_b64 s[16:17], s[2:3], 3
	s_waitcnt lgkmcnt(0)
	s_add_u32 s4, s4, s16
	s_addc_u32 s5, s5, s17
	s_lshl_b64 s[6:7], s[6:7], 2
	s_load_b64 s[4:5], s[4:5], 0x0
	s_waitcnt lgkmcnt(0)
	s_add_u32 s16, s4, s6
	s_addc_u32 s17, s5, s7
.LBB237_5:
	s_lshl_b64 s[2:3], s[2:3], 3
	s_delay_alu instid0(SALU_CYCLE_1)
	s_add_u32 s2, s8, s2
	s_addc_u32 s3, s9, s3
	s_waitcnt lgkmcnt(0)
	s_lshl_b64 s[6:7], s[10:11], 2
	s_load_b64 s[4:5], s[2:3], 0x0
	v_cmp_eq_u32_e64 s2, 0, v0
	s_waitcnt lgkmcnt(0)
	s_add_u32 s6, s4, s6
	s_addc_u32 s7, s5, s7
	s_and_not1_b32 vcc_lo, exec_lo, s29
	s_cbranch_vccnz .LBB237_10
; %bb.6:
	s_mov_b32 s3, 0
	s_mov_b32 s8, 0
                                        ; implicit-def: $vgpr1
                                        ; implicit-def: $sgpr4_sgpr5
	s_and_saveexec_b32 s9, s2
	s_cbranch_execz .LBB237_11
; %bb.7:
	v_cmp_eq_f32_e64 s2, s15, 0
	s_mul_i32 s4, s14, s13
	s_mul_hi_u32 s5, s14, s12
	s_ashr_i32 s8, s14, 31
	v_mov_b32_e32 v1, 0
	s_add_i32 s4, s5, s4
	s_mul_i32 s8, s8, s12
	s_and_b32 vcc_lo, exec_lo, s2
	s_add_i32 s5, s4, s8
	s_mul_i32 s4, s14, s12
	s_cbranch_vccnz .LBB237_9
; %bb.8:
	s_lshl_b64 s[10:11], s[4:5], 2
	s_delay_alu instid0(SALU_CYCLE_1)
	s_add_u32 s10, s6, s10
	s_addc_u32 s11, s7, s11
	s_load_b32 s2, s[10:11], 0x0
	s_waitcnt lgkmcnt(0)
	v_mul_f32_e64 v1, s15, s2
.LBB237_9:
	s_mov_b32 s8, exec_lo
	s_or_b32 exec_lo, exec_lo, s9
	s_delay_alu instid0(SALU_CYCLE_1)
	s_and_b32 vcc_lo, exec_lo, s3
	s_cbranch_vccnz .LBB237_12
	s_branch .LBB237_31
.LBB237_10:
	s_mov_b32 s8, 0
                                        ; implicit-def: $vgpr1
                                        ; implicit-def: $sgpr4_sgpr5
	s_cbranch_execnz .LBB237_12
	s_branch .LBB237_31
.LBB237_11:
	s_or_b32 exec_lo, exec_lo, s9
	s_delay_alu instid0(SALU_CYCLE_1)
	s_and_b32 vcc_lo, exec_lo, s3
	s_cbranch_vccz .LBB237_31
.LBB237_12:
	s_load_b32 s3, s[0:1], 0x0
	s_mul_i32 s0, s14, s25
	s_mul_hi_u32 s2, s14, s24
	s_ashr_i32 s1, s14, 31
	s_add_i32 s0, s2, s0
	s_mul_i32 s2, s1, s24
	s_mul_i32 s4, s14, s24
	s_add_i32 s5, s0, s2
	v_mov_b32_e32 v7, 0
	s_lshl_b64 s[4:5], s[4:5], 2
	s_mov_b32 s10, 0
	s_add_u32 s0, s4, s26
	s_addc_u32 s4, s5, s27
	s_mov_b32 s9, exec_lo
	s_waitcnt lgkmcnt(0)
	v_cmp_gt_i32_e32 vcc_lo, s3, v0
	s_ashr_i32 s2, s3, 31
	s_delay_alu instid0(SALU_CYCLE_1) | instskip(NEXT) | instid1(SALU_CYCLE_1)
	s_lshr_b32 s2, s2, 22
	s_add_i32 s2, s3, s2
	v_cndmask_b32_e32 v1, 0, v0, vcc_lo
	s_and_b32 s2, s2, 0xfffffc00
	s_delay_alu instid0(VALU_DEP_1) | instskip(NEXT) | instid1(VALU_DEP_1)
	v_lshlrev_b32_e32 v1, 2, v1
	v_add_co_u32 v1, s0, s0, v1
	s_delay_alu instid0(VALU_DEP_1)
	v_add_co_ci_u32_e64 v2, null, s4, 0, s0
	v_cmpx_gt_i32_e64 s2, v0
	s_cbranch_execz .LBB237_16
; %bb.13:
	v_mad_u64_u32 v[3:4], null, s18, v0, 0
	v_mov_b32_e32 v8, v0
	s_lshl_b64 s[4:5], s[18:19], 12
	v_mov_b32_e32 v7, 0
	s_delay_alu instid0(VALU_DEP_3) | instskip(NEXT) | instid1(VALU_DEP_1)
	v_mad_u64_u32 v[5:6], null, s19, v0, v[4:5]
	v_mov_b32_e32 v4, v5
	s_delay_alu instid0(VALU_DEP_1) | instskip(SKIP_1) | instid1(VALU_DEP_2)
	v_lshlrev_b64 v[5:6], 2, v[3:4]
	v_dual_mov_b32 v4, v2 :: v_dual_mov_b32 v3, v1
	v_add_co_u32 v5, vcc_lo, s16, v5
	s_delay_alu instid0(VALU_DEP_3)
	v_add_co_ci_u32_e32 v6, vcc_lo, s17, v6, vcc_lo
	.p2align	6
.LBB237_14:                             ; =>This Inner Loop Header: Depth=1
	flat_load_b32 v9, v[3:4]
	flat_load_b32 v10, v[5:6]
	v_add_nc_u32_e32 v8, 0x400, v8
	v_add_co_u32 v3, vcc_lo, 0x1000, v3
	v_add_co_ci_u32_e32 v4, vcc_lo, 0, v4, vcc_lo
	v_add_co_u32 v5, vcc_lo, v5, s4
	v_add_co_ci_u32_e32 v6, vcc_lo, s5, v6, vcc_lo
	s_waitcnt vmcnt(0) lgkmcnt(0)
	v_fmac_f32_e32 v7, v9, v10
	v_cmp_le_i32_e64 s0, s2, v8
	s_delay_alu instid0(VALU_DEP_1) | instskip(NEXT) | instid1(SALU_CYCLE_1)
	s_or_b32 s10, s0, s10
	s_and_not1_b32 exec_lo, exec_lo, s10
	s_cbranch_execnz .LBB237_14
; %bb.15:
	s_or_b32 exec_lo, exec_lo, s10
.LBB237_16:
	s_delay_alu instid0(SALU_CYCLE_1) | instskip(SKIP_2) | instid1(VALU_DEP_1)
	s_or_b32 exec_lo, exec_lo, s9
	v_or_b32_e32 v3, s2, v0
	s_mov_b32 s0, exec_lo
	v_cmpx_gt_i32_e64 s3, v3
	s_cbranch_execz .LBB237_18
; %bb.17:
	v_ashrrev_i32_e32 v6, 31, v3
	v_mul_lo_u32 v8, v3, s19
	v_mad_u64_u32 v[4:5], null, v3, s18, 0
	s_ashr_i32 s3, s2, 31
	s_delay_alu instid0(VALU_DEP_3) | instskip(SKIP_1) | instid1(SALU_CYCLE_1)
	v_mul_lo_u32 v3, v6, s18
	s_lshl_b64 s[2:3], s[2:3], 2
	v_add_co_u32 v1, vcc_lo, v1, s2
	v_add_co_ci_u32_e32 v2, vcc_lo, s3, v2, vcc_lo
	s_delay_alu instid0(VALU_DEP_3) | instskip(NEXT) | instid1(VALU_DEP_1)
	v_add3_u32 v5, v5, v8, v3
	v_lshlrev_b64 v[3:4], 2, v[4:5]
	s_delay_alu instid0(VALU_DEP_1) | instskip(NEXT) | instid1(VALU_DEP_2)
	v_add_co_u32 v3, vcc_lo, s16, v3
	v_add_co_ci_u32_e32 v4, vcc_lo, s17, v4, vcc_lo
	flat_load_b32 v1, v[1:2]
	flat_load_b32 v2, v[3:4]
	s_waitcnt vmcnt(0) lgkmcnt(0)
	v_fmac_f32_e32 v7, v1, v2
.LBB237_18:
	s_or_b32 exec_lo, exec_lo, s0
	v_and_b32_e32 v6, 31, v0
	v_cmp_gt_u32_e32 vcc_lo, 32, v0
	s_delay_alu instid0(VALU_DEP_2)
	v_lshlrev_b32_e32 v1, 2, v6
	s_and_saveexec_b32 s0, vcc_lo
	s_cbranch_execz .LBB237_20
; %bb.19:
	v_mov_b32_e32 v2, 0
	ds_store_b32 v1, v2
.LBB237_20:
	s_or_b32 exec_lo, exec_lo, s0
	v_mbcnt_lo_u32_b32 v8, -1, 0
	s_mov_b32 s2, exec_lo
	s_waitcnt lgkmcnt(0)
	s_barrier
	buffer_gl0_inv
	v_cmp_gt_u32_e64 s0, 16, v8
	s_delay_alu instid0(VALU_DEP_1) | instskip(SKIP_1) | instid1(VALU_DEP_2)
	v_cndmask_b32_e64 v2, 0, 1, s0
	v_cmp_gt_u32_e64 s0, 24, v8
	v_lshlrev_b32_e32 v2, 4, v2
	s_delay_alu instid0(VALU_DEP_2) | instskip(SKIP_1) | instid1(VALU_DEP_3)
	v_cndmask_b32_e64 v3, 0, 1, s0
	v_cmp_gt_u32_e64 s0, 28, v8
	v_add_lshl_u32 v2, v2, v8, 2
	s_delay_alu instid0(VALU_DEP_3)
	v_lshlrev_b32_e32 v3, 3, v3
	ds_bpermute_b32 v4, v2, v7
	v_add_lshl_u32 v3, v3, v8, 2
	s_waitcnt lgkmcnt(0)
	v_add_f32_e32 v5, v7, v4
	v_cndmask_b32_e64 v4, 0, 1, s0
	v_cmp_gt_u32_e64 s0, 30, v8
	ds_bpermute_b32 v7, v3, v5
	s_waitcnt lgkmcnt(0)
	v_dual_add_f32 v7, v5, v7 :: v_dual_lshlrev_b32 v4, 2, v4
	s_delay_alu instid0(VALU_DEP_1)
	v_add_lshl_u32 v4, v4, v8, 2
	v_cndmask_b32_e64 v5, 0, 1, s0
	v_cmp_ne_u32_e64 s0, 31, v8
	ds_bpermute_b32 v9, v4, v7
	v_lshlrev_b32_e32 v5, 1, v5
	v_add_co_ci_u32_e64 v10, s0, 0, v8, s0
	s_delay_alu instid0(VALU_DEP_2)
	v_add_lshl_u32 v5, v5, v8, 2
	s_waitcnt lgkmcnt(0)
	v_add_f32_e32 v7, v7, v9
	ds_bpermute_b32 v9, v5, v7
	s_waitcnt lgkmcnt(0)
	v_dual_add_f32 v8, v7, v9 :: v_dual_lshlrev_b32 v7, 2, v10
	ds_bpermute_b32 v9, v7, v8
	v_cmpx_eq_u32_e32 0, v6
	s_cbranch_execz .LBB237_22
; %bb.21:
	v_lshrrev_b32_e32 v6, 3, v0
	s_waitcnt lgkmcnt(0)
	v_add_f32_e32 v8, v8, v9
	s_delay_alu instid0(VALU_DEP_2)
	v_and_b32_e32 v6, 0x7c, v6
	ds_store_b32 v6, v8
.LBB237_22:
	s_or_b32 exec_lo, exec_lo, s2
	v_mov_b32_e32 v6, 0
	s_waitcnt lgkmcnt(0)
	s_barrier
	buffer_gl0_inv
	s_and_saveexec_b32 s0, vcc_lo
	s_cbranch_execz .LBB237_24
; %bb.23:
	ds_load_b32 v6, v1
.LBB237_24:
	s_or_b32 exec_lo, exec_lo, s0
	s_and_saveexec_b32 s0, vcc_lo
	s_cbranch_execz .LBB237_26
; %bb.25:
	s_waitcnt lgkmcnt(0)
	ds_bpermute_b32 v1, v2, v6
	s_waitcnt lgkmcnt(0)
	v_add_f32_e32 v1, v6, v1
	ds_bpermute_b32 v2, v3, v1
	s_waitcnt lgkmcnt(0)
	v_add_f32_e32 v1, v1, v2
	;; [unrolled: 3-line block ×5, first 2 shown]
.LBB237_26:
	s_or_b32 exec_lo, exec_lo, s0
	s_delay_alu instid0(SALU_CYCLE_1)
	s_mov_b32 s0, exec_lo
                                        ; implicit-def: $vgpr1
                                        ; implicit-def: $sgpr4_sgpr5
	v_cmpx_eq_u32_e32 0, v0
	s_cbranch_execz .LBB237_30
; %bb.27:
	v_cmp_eq_f32_e64 s4, s15, 0
	s_mul_i32 s2, s14, s13
	s_mul_hi_u32 s3, s14, s12
	s_waitcnt lgkmcnt(0)
	v_mul_f32_e32 v1, s28, v6
	s_add_i32 s2, s3, s2
	s_mul_i32 s1, s1, s12
	s_and_b32 vcc_lo, exec_lo, s4
	s_add_i32 s5, s2, s1
	s_mul_i32 s4, s14, s12
	s_cbranch_vccnz .LBB237_29
; %bb.28:
	s_lshl_b64 s[2:3], s[4:5], 2
	s_delay_alu instid0(SALU_CYCLE_1)
	s_add_u32 s2, s6, s2
	s_addc_u32 s3, s7, s3
	s_load_b32 s1, s[2:3], 0x0
	s_waitcnt lgkmcnt(0)
	v_fmac_f32_e64 v1, s15, s1
.LBB237_29:
	s_or_b32 s8, s8, exec_lo
.LBB237_30:
	s_or_b32 exec_lo, exec_lo, s0
.LBB237_31:
	s_and_saveexec_b32 s0, s8
	s_cbranch_execz .LBB237_33
; %bb.32:
	s_lshl_b64 s[0:1], s[4:5], 2
	v_mov_b32_e32 v0, 0
	s_add_u32 s0, s6, s0
	s_addc_u32 s1, s7, s1
	global_store_b32 v0, v1, s[0:1]
.LBB237_33:
	s_nop 0
	s_sendmsg sendmsg(MSG_DEALLOC_VGPRS)
	s_endpgm
	.section	.rodata,"a",@progbits
	.p2align	6, 0x0
	.amdhsa_kernel _ZL32rocblas_gemvt_warp_reduce_kernelILb1ELi1024ElPKfS1_KPfEviiT3_lPKT2_lT1_lS7_lS8_lS4_lPT4_lS8_li
		.amdhsa_group_segment_fixed_size 128
		.amdhsa_private_segment_fixed_size 0
		.amdhsa_kernarg_size 140
		.amdhsa_user_sgpr_count 14
		.amdhsa_user_sgpr_dispatch_ptr 0
		.amdhsa_user_sgpr_queue_ptr 0
		.amdhsa_user_sgpr_kernarg_segment_ptr 1
		.amdhsa_user_sgpr_dispatch_id 0
		.amdhsa_user_sgpr_private_segment_size 0
		.amdhsa_wavefront_size32 1
		.amdhsa_uses_dynamic_stack 0
		.amdhsa_enable_private_segment 0
		.amdhsa_system_sgpr_workgroup_id_x 1
		.amdhsa_system_sgpr_workgroup_id_y 0
		.amdhsa_system_sgpr_workgroup_id_z 1
		.amdhsa_system_sgpr_workgroup_info 0
		.amdhsa_system_vgpr_workitem_id 0
		.amdhsa_next_free_vgpr 11
		.amdhsa_next_free_sgpr 31
		.amdhsa_reserve_vcc 1
		.amdhsa_float_round_mode_32 0
		.amdhsa_float_round_mode_16_64 0
		.amdhsa_float_denorm_mode_32 3
		.amdhsa_float_denorm_mode_16_64 3
		.amdhsa_dx10_clamp 1
		.amdhsa_ieee_mode 1
		.amdhsa_fp16_overflow 0
		.amdhsa_workgroup_processor_mode 1
		.amdhsa_memory_ordered 1
		.amdhsa_forward_progress 0
		.amdhsa_shared_vgpr_count 0
		.amdhsa_exception_fp_ieee_invalid_op 0
		.amdhsa_exception_fp_denorm_src 0
		.amdhsa_exception_fp_ieee_div_zero 0
		.amdhsa_exception_fp_ieee_overflow 0
		.amdhsa_exception_fp_ieee_underflow 0
		.amdhsa_exception_fp_ieee_inexact 0
		.amdhsa_exception_int_div_zero 0
	.end_amdhsa_kernel
	.section	.text._ZL32rocblas_gemvt_warp_reduce_kernelILb1ELi1024ElPKfS1_KPfEviiT3_lPKT2_lT1_lS7_lS8_lS4_lPT4_lS8_li,"axG",@progbits,_ZL32rocblas_gemvt_warp_reduce_kernelILb1ELi1024ElPKfS1_KPfEviiT3_lPKT2_lT1_lS7_lS8_lS4_lPT4_lS8_li,comdat
.Lfunc_end237:
	.size	_ZL32rocblas_gemvt_warp_reduce_kernelILb1ELi1024ElPKfS1_KPfEviiT3_lPKT2_lT1_lS7_lS8_lS4_lPT4_lS8_li, .Lfunc_end237-_ZL32rocblas_gemvt_warp_reduce_kernelILb1ELi1024ElPKfS1_KPfEviiT3_lPKT2_lT1_lS7_lS8_lS4_lPT4_lS8_li
                                        ; -- End function
	.section	.AMDGPU.csdata,"",@progbits
; Kernel info:
; codeLenInByte = 1572
; NumSgprs: 33
; NumVgprs: 11
; ScratchSize: 0
; MemoryBound: 0
; FloatMode: 240
; IeeeMode: 1
; LDSByteSize: 128 bytes/workgroup (compile time only)
; SGPRBlocks: 4
; VGPRBlocks: 1
; NumSGPRsForWavesPerEU: 33
; NumVGPRsForWavesPerEU: 11
; Occupancy: 16
; WaveLimiterHint : 1
; COMPUTE_PGM_RSRC2:SCRATCH_EN: 0
; COMPUTE_PGM_RSRC2:USER_SGPR: 14
; COMPUTE_PGM_RSRC2:TRAP_HANDLER: 0
; COMPUTE_PGM_RSRC2:TGID_X_EN: 1
; COMPUTE_PGM_RSRC2:TGID_Y_EN: 0
; COMPUTE_PGM_RSRC2:TGID_Z_EN: 1
; COMPUTE_PGM_RSRC2:TIDIG_COMP_CNT: 0
	.section	.text._ZL32rocblas_gemvt_warp_reduce_kernelILb1ELi1024EiPKffKPfEviiT3_lPKT2_lT1_lS7_lS8_lS4_lPT4_lS8_li,"axG",@progbits,_ZL32rocblas_gemvt_warp_reduce_kernelILb1ELi1024EiPKffKPfEviiT3_lPKT2_lT1_lS7_lS8_lS4_lPT4_lS8_li,comdat
	.globl	_ZL32rocblas_gemvt_warp_reduce_kernelILb1ELi1024EiPKffKPfEviiT3_lPKT2_lT1_lS7_lS8_lS4_lPT4_lS8_li ; -- Begin function _ZL32rocblas_gemvt_warp_reduce_kernelILb1ELi1024EiPKffKPfEviiT3_lPKT2_lT1_lS7_lS8_lS4_lPT4_lS8_li
	.p2align	8
	.type	_ZL32rocblas_gemvt_warp_reduce_kernelILb1ELi1024EiPKffKPfEviiT3_lPKT2_lT1_lS7_lS8_lS4_lPT4_lS8_li,@function
_ZL32rocblas_gemvt_warp_reduce_kernelILb1ELi1024EiPKffKPfEviiT3_lPKT2_lT1_lS7_lS8_lS4_lPT4_lS8_li: ; @_ZL32rocblas_gemvt_warp_reduce_kernelILb1ELi1024EiPKffKPfEviiT3_lPKT2_lT1_lS7_lS8_lS4_lPT4_lS8_li
; %bb.0:
	s_clause 0x1
	s_load_b32 s11, s[0:1], 0x8
	s_load_b32 s10, s[0:1], 0x58
	s_waitcnt lgkmcnt(0)
	v_cmp_eq_f32_e64 s8, s11, 0
	v_cmp_eq_f32_e64 s3, s10, 1.0
	s_delay_alu instid0(VALU_DEP_1) | instskip(NEXT) | instid1(SALU_CYCLE_1)
	s_and_b32 s3, s8, s3
	s_and_b32 vcc_lo, exec_lo, s3
	s_cbranch_vccnz .LBB238_36
; %bb.1:
	v_cmp_neq_f32_e64 s4, s11, 0
	s_mov_b32 s2, s15
	s_delay_alu instid0(VALU_DEP_1)
	s_and_b32 vcc_lo, exec_lo, s4
	s_cbranch_vccnz .LBB238_3
; %bb.2:
	s_mov_b32 s3, 0
	s_mov_b64 s[6:7], 0
	s_cbranch_execz .LBB238_4
	s_branch .LBB238_5
.LBB238_3:
	s_mov_b32 s3, -1
                                        ; implicit-def: $sgpr6_sgpr7
.LBB238_4:
	s_load_b128 s[16:19], s[0:1], 0x18
	s_mov_b32 s3, 0
	s_delay_alu instid0(SALU_CYCLE_1)
	s_lshl_b64 s[6:7], s[2:3], 3
	s_waitcnt lgkmcnt(0)
	s_add_u32 s6, s16, s6
	s_addc_u32 s7, s17, s7
	s_lshl_b64 s[12:13], s[18:19], 2
	s_load_b64 s[6:7], s[6:7], 0x0
	s_waitcnt lgkmcnt(0)
	s_add_u32 s6, s6, s12
	s_addc_u32 s7, s7, s13
.LBB238_5:
	s_and_not1_b32 vcc_lo, exec_lo, s4
	s_cbranch_vccnz .LBB238_7
; %bb.6:
	s_load_b128 s[16:19], s[0:1], 0x38
	s_lshl_b64 s[4:5], s[2:3], 3
	s_waitcnt lgkmcnt(0)
	s_add_u32 s4, s16, s4
	s_addc_u32 s5, s17, s5
	s_lshl_b64 s[12:13], s[18:19], 2
	s_load_b64 s[4:5], s[4:5], 0x0
	s_waitcnt lgkmcnt(0)
	s_add_u32 s4, s4, s12
	s_addc_u32 s5, s5, s13
	s_branch .LBB238_8
.LBB238_7:
	s_mov_b64 s[4:5], 0
.LBB238_8:
	s_clause 0x1
	s_load_b128 s[16:19], s[0:1], 0x68
	s_load_b32 s15, s[0:1], 0x78
	s_lshl_b64 s[2:3], s[2:3], 3
	s_waitcnt lgkmcnt(0)
	s_add_u32 s2, s16, s2
	s_addc_u32 s3, s17, s3
	s_lshl_b64 s[16:17], s[18:19], 2
	s_load_b64 s[12:13], s[2:3], 0x0
	v_cmp_eq_u32_e64 s2, 0, v0
	s_waitcnt lgkmcnt(0)
	s_add_u32 s12, s12, s16
	s_addc_u32 s13, s13, s17
	s_and_not1_b32 vcc_lo, exec_lo, s8
	s_cbranch_vccnz .LBB238_13
; %bb.9:
	s_mov_b32 s3, 0
	s_mov_b32 s16, 0
                                        ; implicit-def: $vgpr1
                                        ; implicit-def: $sgpr8_sgpr9
	s_and_saveexec_b32 s17, s2
	s_cbranch_execz .LBB238_14
; %bb.10:
	v_cmp_eq_f32_e64 s2, s10, 0
	v_mov_b32_e32 v1, 0
	s_mul_i32 s8, s14, s15
	s_delay_alu instid0(SALU_CYCLE_1) | instskip(NEXT) | instid1(VALU_DEP_2)
	s_ashr_i32 s9, s8, 31
	s_and_b32 vcc_lo, exec_lo, s2
	s_cbranch_vccnz .LBB238_12
; %bb.11:
	s_lshl_b64 s[18:19], s[8:9], 2
	s_delay_alu instid0(SALU_CYCLE_1)
	s_add_u32 s18, s12, s18
	s_addc_u32 s19, s13, s19
	s_load_b32 s2, s[18:19], 0x0
	s_waitcnt lgkmcnt(0)
	v_mul_f32_e64 v1, s2, s10
.LBB238_12:
	s_mov_b32 s16, exec_lo
	s_or_b32 exec_lo, exec_lo, s17
	s_delay_alu instid0(SALU_CYCLE_1)
	s_and_b32 vcc_lo, exec_lo, s3
	s_cbranch_vccnz .LBB238_15
	s_branch .LBB238_34
.LBB238_13:
	s_mov_b32 s16, 0
                                        ; implicit-def: $vgpr1
                                        ; implicit-def: $sgpr8_sgpr9
	s_cbranch_execnz .LBB238_15
	s_branch .LBB238_34
.LBB238_14:
	s_or_b32 exec_lo, exec_lo, s17
	s_delay_alu instid0(SALU_CYCLE_1)
	s_and_b32 vcc_lo, exec_lo, s3
	s_cbranch_vccz .LBB238_34
.LBB238_15:
	s_clause 0x2
	s_load_b32 s2, s[0:1], 0x28
	s_load_b32 s3, s[0:1], 0x0
	;; [unrolled: 1-line block ×3, first 2 shown]
	v_mov_b32_e32 v7, 0
	s_waitcnt lgkmcnt(0)
	s_mul_i32 s8, s14, s2
	v_cmp_gt_i32_e32 vcc_lo, s3, v0
	s_ashr_i32 s9, s8, 31
	s_delay_alu instid0(SALU_CYCLE_1)
	s_lshl_b64 s[8:9], s[8:9], 2
	v_cndmask_b32_e32 v1, 0, v0, vcc_lo
	s_add_u32 s0, s8, s6
	s_addc_u32 s6, s9, s7
	s_ashr_i32 s2, s3, 31
	s_mov_b32 s7, 0
	v_lshlrev_b32_e32 v1, 2, v1
	s_lshr_b32 s2, s2, 22
	s_delay_alu instid0(SALU_CYCLE_1) | instskip(NEXT) | instid1(SALU_CYCLE_1)
	s_add_i32 s2, s3, s2
	s_and_b32 s2, s2, 0xfffffc00
	s_delay_alu instid0(VALU_DEP_1) | instskip(NEXT) | instid1(VALU_DEP_1)
	v_add_co_u32 v1, s0, s0, v1
	v_add_co_ci_u32_e64 v2, null, s6, 0, s0
	s_mov_b32 s6, exec_lo
	v_cmpx_gt_i32_e64 s2, v0
	s_cbranch_execz .LBB238_19
; %bb.16:
	v_mul_lo_u32 v3, v0, s1
	v_dual_mov_b32 v7, 0 :: v_dual_mov_b32 v6, v2
	v_dual_mov_b32 v5, v1 :: v_dual_mov_b32 v8, v0
	s_lshl_b32 s8, s1, 10
	.p2align	6
.LBB238_17:                             ; =>This Inner Loop Header: Depth=1
	s_delay_alu instid0(VALU_DEP_3) | instskip(NEXT) | instid1(VALU_DEP_1)
	v_ashrrev_i32_e32 v4, 31, v3
	v_lshlrev_b64 v[9:10], 2, v[3:4]
	v_add_nc_u32_e32 v3, s8, v3
	s_delay_alu instid0(VALU_DEP_2) | instskip(NEXT) | instid1(VALU_DEP_3)
	v_add_co_u32 v9, vcc_lo, s4, v9
	v_add_co_ci_u32_e32 v10, vcc_lo, s5, v10, vcc_lo
	flat_load_b32 v4, v[5:6]
	flat_load_b32 v9, v[9:10]
	v_add_nc_u32_e32 v8, 0x400, v8
	v_add_co_u32 v5, vcc_lo, 0x1000, v5
	v_add_co_ci_u32_e32 v6, vcc_lo, 0, v6, vcc_lo
	s_waitcnt vmcnt(0) lgkmcnt(0)
	v_fmac_f32_e32 v7, v4, v9
	v_cmp_le_i32_e64 s0, s2, v8
	s_delay_alu instid0(VALU_DEP_1) | instskip(NEXT) | instid1(SALU_CYCLE_1)
	s_or_b32 s7, s0, s7
	s_and_not1_b32 exec_lo, exec_lo, s7
	s_cbranch_execnz .LBB238_17
; %bb.18:
	s_or_b32 exec_lo, exec_lo, s7
.LBB238_19:
	s_delay_alu instid0(SALU_CYCLE_1) | instskip(SKIP_2) | instid1(VALU_DEP_1)
	s_or_b32 exec_lo, exec_lo, s6
	v_or_b32_e32 v3, s2, v0
	s_mov_b32 s0, exec_lo
	v_cmpx_gt_i32_e64 s3, v3
	s_cbranch_execz .LBB238_21
; %bb.20:
	v_mul_lo_u32 v3, v3, s1
	s_ashr_i32 s3, s2, 31
	s_delay_alu instid0(SALU_CYCLE_1) | instskip(NEXT) | instid1(SALU_CYCLE_1)
	s_lshl_b64 s[2:3], s[2:3], 2
	v_add_co_u32 v1, vcc_lo, v1, s2
	v_add_co_ci_u32_e32 v2, vcc_lo, s3, v2, vcc_lo
	s_delay_alu instid0(VALU_DEP_3) | instskip(NEXT) | instid1(VALU_DEP_1)
	v_ashrrev_i32_e32 v4, 31, v3
	v_lshlrev_b64 v[3:4], 2, v[3:4]
	s_delay_alu instid0(VALU_DEP_1) | instskip(NEXT) | instid1(VALU_DEP_2)
	v_add_co_u32 v3, vcc_lo, s4, v3
	v_add_co_ci_u32_e32 v4, vcc_lo, s5, v4, vcc_lo
	flat_load_b32 v1, v[1:2]
	flat_load_b32 v2, v[3:4]
	s_waitcnt vmcnt(0) lgkmcnt(0)
	v_fmac_f32_e32 v7, v1, v2
.LBB238_21:
	s_or_b32 exec_lo, exec_lo, s0
	v_and_b32_e32 v6, 31, v0
	v_cmp_gt_u32_e32 vcc_lo, 32, v0
	s_delay_alu instid0(VALU_DEP_2)
	v_lshlrev_b32_e32 v1, 2, v6
	s_and_saveexec_b32 s0, vcc_lo
	s_cbranch_execz .LBB238_23
; %bb.22:
	v_mov_b32_e32 v2, 0
	ds_store_b32 v1, v2
.LBB238_23:
	s_or_b32 exec_lo, exec_lo, s0
	v_mbcnt_lo_u32_b32 v8, -1, 0
	s_mov_b32 s1, exec_lo
	s_waitcnt lgkmcnt(0)
	s_barrier
	buffer_gl0_inv
	v_cmp_gt_u32_e64 s0, 16, v8
	s_delay_alu instid0(VALU_DEP_1) | instskip(SKIP_1) | instid1(VALU_DEP_2)
	v_cndmask_b32_e64 v2, 0, 1, s0
	v_cmp_gt_u32_e64 s0, 24, v8
	v_lshlrev_b32_e32 v2, 4, v2
	s_delay_alu instid0(VALU_DEP_2) | instskip(SKIP_1) | instid1(VALU_DEP_3)
	v_cndmask_b32_e64 v3, 0, 1, s0
	v_cmp_gt_u32_e64 s0, 28, v8
	v_add_lshl_u32 v2, v2, v8, 2
	s_delay_alu instid0(VALU_DEP_3)
	v_lshlrev_b32_e32 v3, 3, v3
	ds_bpermute_b32 v4, v2, v7
	v_add_lshl_u32 v3, v3, v8, 2
	s_waitcnt lgkmcnt(0)
	v_add_f32_e32 v5, v7, v4
	v_cndmask_b32_e64 v4, 0, 1, s0
	v_cmp_gt_u32_e64 s0, 30, v8
	ds_bpermute_b32 v7, v3, v5
	s_waitcnt lgkmcnt(0)
	v_dual_add_f32 v7, v5, v7 :: v_dual_lshlrev_b32 v4, 2, v4
	s_delay_alu instid0(VALU_DEP_1)
	v_add_lshl_u32 v4, v4, v8, 2
	v_cndmask_b32_e64 v5, 0, 1, s0
	v_cmp_ne_u32_e64 s0, 31, v8
	ds_bpermute_b32 v9, v4, v7
	v_lshlrev_b32_e32 v5, 1, v5
	v_add_co_ci_u32_e64 v10, s0, 0, v8, s0
	s_delay_alu instid0(VALU_DEP_2)
	v_add_lshl_u32 v5, v5, v8, 2
	s_waitcnt lgkmcnt(0)
	v_add_f32_e32 v7, v7, v9
	ds_bpermute_b32 v9, v5, v7
	s_waitcnt lgkmcnt(0)
	v_dual_add_f32 v8, v7, v9 :: v_dual_lshlrev_b32 v7, 2, v10
	ds_bpermute_b32 v9, v7, v8
	v_cmpx_eq_u32_e32 0, v6
	s_cbranch_execz .LBB238_25
; %bb.24:
	v_lshrrev_b32_e32 v6, 3, v0
	s_waitcnt lgkmcnt(0)
	v_add_f32_e32 v8, v8, v9
	s_delay_alu instid0(VALU_DEP_2)
	v_and_b32_e32 v6, 0x7c, v6
	ds_store_b32 v6, v8
.LBB238_25:
	s_or_b32 exec_lo, exec_lo, s1
	v_mov_b32_e32 v6, 0
	s_waitcnt lgkmcnt(0)
	s_barrier
	buffer_gl0_inv
	s_and_saveexec_b32 s0, vcc_lo
	s_cbranch_execz .LBB238_27
; %bb.26:
	ds_load_b32 v6, v1
.LBB238_27:
	s_or_b32 exec_lo, exec_lo, s0
	s_and_saveexec_b32 s0, vcc_lo
	s_cbranch_execz .LBB238_29
; %bb.28:
	s_waitcnt lgkmcnt(0)
	ds_bpermute_b32 v1, v2, v6
	s_waitcnt lgkmcnt(0)
	v_add_f32_e32 v1, v6, v1
	ds_bpermute_b32 v2, v3, v1
	s_waitcnt lgkmcnt(0)
	v_add_f32_e32 v1, v1, v2
	;; [unrolled: 3-line block ×5, first 2 shown]
.LBB238_29:
	s_or_b32 exec_lo, exec_lo, s0
	s_delay_alu instid0(SALU_CYCLE_1)
	s_mov_b32 s0, exec_lo
                                        ; implicit-def: $vgpr1
                                        ; implicit-def: $sgpr8_sgpr9
	v_cmpx_eq_u32_e32 0, v0
	s_cbranch_execz .LBB238_33
; %bb.30:
	v_cmp_eq_f32_e64 s1, s10, 0
	s_waitcnt lgkmcnt(0)
	v_mul_f32_e32 v1, s11, v6
	s_mul_i32 s8, s14, s15
	s_delay_alu instid0(SALU_CYCLE_1)
	s_ashr_i32 s9, s8, 31
	s_and_b32 vcc_lo, exec_lo, s1
	s_cbranch_vccnz .LBB238_32
; %bb.31:
	s_lshl_b64 s[2:3], s[8:9], 2
	s_delay_alu instid0(SALU_CYCLE_1)
	s_add_u32 s2, s12, s2
	s_addc_u32 s3, s13, s3
	s_load_b32 s1, s[2:3], 0x0
	s_waitcnt lgkmcnt(0)
	v_fmac_f32_e64 v1, s1, s10
.LBB238_32:
	s_or_b32 s16, s16, exec_lo
.LBB238_33:
	s_or_b32 exec_lo, exec_lo, s0
.LBB238_34:
	s_and_saveexec_b32 s0, s16
	s_cbranch_execz .LBB238_36
; %bb.35:
	s_lshl_b64 s[0:1], s[8:9], 2
	v_mov_b32_e32 v0, 0
	s_add_u32 s0, s12, s0
	s_addc_u32 s1, s13, s1
	global_store_b32 v0, v1, s[0:1]
.LBB238_36:
	s_nop 0
	s_sendmsg sendmsg(MSG_DEALLOC_VGPRS)
	s_endpgm
	.section	.rodata,"a",@progbits
	.p2align	6, 0x0
	.amdhsa_kernel _ZL32rocblas_gemvt_warp_reduce_kernelILb1ELi1024EiPKffKPfEviiT3_lPKT2_lT1_lS7_lS8_lS4_lPT4_lS8_li
		.amdhsa_group_segment_fixed_size 128
		.amdhsa_private_segment_fixed_size 0
		.amdhsa_kernarg_size 140
		.amdhsa_user_sgpr_count 14
		.amdhsa_user_sgpr_dispatch_ptr 0
		.amdhsa_user_sgpr_queue_ptr 0
		.amdhsa_user_sgpr_kernarg_segment_ptr 1
		.amdhsa_user_sgpr_dispatch_id 0
		.amdhsa_user_sgpr_private_segment_size 0
		.amdhsa_wavefront_size32 1
		.amdhsa_uses_dynamic_stack 0
		.amdhsa_enable_private_segment 0
		.amdhsa_system_sgpr_workgroup_id_x 1
		.amdhsa_system_sgpr_workgroup_id_y 0
		.amdhsa_system_sgpr_workgroup_id_z 1
		.amdhsa_system_sgpr_workgroup_info 0
		.amdhsa_system_vgpr_workitem_id 0
		.amdhsa_next_free_vgpr 11
		.amdhsa_next_free_sgpr 20
		.amdhsa_reserve_vcc 1
		.amdhsa_float_round_mode_32 0
		.amdhsa_float_round_mode_16_64 0
		.amdhsa_float_denorm_mode_32 3
		.amdhsa_float_denorm_mode_16_64 3
		.amdhsa_dx10_clamp 1
		.amdhsa_ieee_mode 1
		.amdhsa_fp16_overflow 0
		.amdhsa_workgroup_processor_mode 1
		.amdhsa_memory_ordered 1
		.amdhsa_forward_progress 0
		.amdhsa_shared_vgpr_count 0
		.amdhsa_exception_fp_ieee_invalid_op 0
		.amdhsa_exception_fp_denorm_src 0
		.amdhsa_exception_fp_ieee_div_zero 0
		.amdhsa_exception_fp_ieee_overflow 0
		.amdhsa_exception_fp_ieee_underflow 0
		.amdhsa_exception_fp_ieee_inexact 0
		.amdhsa_exception_int_div_zero 0
	.end_amdhsa_kernel
	.section	.text._ZL32rocblas_gemvt_warp_reduce_kernelILb1ELi1024EiPKffKPfEviiT3_lPKT2_lT1_lS7_lS8_lS4_lPT4_lS8_li,"axG",@progbits,_ZL32rocblas_gemvt_warp_reduce_kernelILb1ELi1024EiPKffKPfEviiT3_lPKT2_lT1_lS7_lS8_lS4_lPT4_lS8_li,comdat
.Lfunc_end238:
	.size	_ZL32rocblas_gemvt_warp_reduce_kernelILb1ELi1024EiPKffKPfEviiT3_lPKT2_lT1_lS7_lS8_lS4_lPT4_lS8_li, .Lfunc_end238-_ZL32rocblas_gemvt_warp_reduce_kernelILb1ELi1024EiPKffKPfEviiT3_lPKT2_lT1_lS7_lS8_lS4_lPT4_lS8_li
                                        ; -- End function
	.section	.AMDGPU.csdata,"",@progbits
; Kernel info:
; codeLenInByte = 1440
; NumSgprs: 22
; NumVgprs: 11
; ScratchSize: 0
; MemoryBound: 0
; FloatMode: 240
; IeeeMode: 1
; LDSByteSize: 128 bytes/workgroup (compile time only)
; SGPRBlocks: 2
; VGPRBlocks: 1
; NumSGPRsForWavesPerEU: 22
; NumVGPRsForWavesPerEU: 11
; Occupancy: 16
; WaveLimiterHint : 1
; COMPUTE_PGM_RSRC2:SCRATCH_EN: 0
; COMPUTE_PGM_RSRC2:USER_SGPR: 14
; COMPUTE_PGM_RSRC2:TRAP_HANDLER: 0
; COMPUTE_PGM_RSRC2:TGID_X_EN: 1
; COMPUTE_PGM_RSRC2:TGID_Y_EN: 0
; COMPUTE_PGM_RSRC2:TGID_Z_EN: 1
; COMPUTE_PGM_RSRC2:TIDIG_COMP_CNT: 0
	.section	.text._ZL32rocblas_gemvt_warp_reduce_kernelILb1ELi1024ElPKffKPfEviiT3_lPKT2_lT1_lS7_lS8_lS4_lPT4_lS8_li,"axG",@progbits,_ZL32rocblas_gemvt_warp_reduce_kernelILb1ELi1024ElPKffKPfEviiT3_lPKT2_lT1_lS7_lS8_lS4_lPT4_lS8_li,comdat
	.globl	_ZL32rocblas_gemvt_warp_reduce_kernelILb1ELi1024ElPKffKPfEviiT3_lPKT2_lT1_lS7_lS8_lS4_lPT4_lS8_li ; -- Begin function _ZL32rocblas_gemvt_warp_reduce_kernelILb1ELi1024ElPKffKPfEviiT3_lPKT2_lT1_lS7_lS8_lS4_lPT4_lS8_li
	.p2align	8
	.type	_ZL32rocblas_gemvt_warp_reduce_kernelILb1ELi1024ElPKffKPfEviiT3_lPKT2_lT1_lS7_lS8_lS4_lPT4_lS8_li,@function
_ZL32rocblas_gemvt_warp_reduce_kernelILb1ELi1024ElPKffKPfEviiT3_lPKT2_lT1_lS7_lS8_lS4_lPT4_lS8_li: ; @_ZL32rocblas_gemvt_warp_reduce_kernelILb1ELi1024ElPKffKPfEviiT3_lPKT2_lT1_lS7_lS8_lS4_lPT4_lS8_li
; %bb.0:
	s_mov_b32 s2, s15
	s_clause 0x1
	s_load_b32 s18, s[0:1], 0x8
	s_load_b32 s15, s[0:1], 0x58
	s_waitcnt lgkmcnt(0)
	v_cmp_eq_f32_e64 s16, s18, 0
	v_cmp_eq_f32_e64 s3, s15, 1.0
	s_delay_alu instid0(VALU_DEP_1) | instskip(NEXT) | instid1(SALU_CYCLE_1)
	s_and_b32 s3, s16, s3
	s_and_b32 vcc_lo, exec_lo, s3
	s_cbranch_vccnz .LBB239_36
; %bb.1:
	s_clause 0x1
	s_load_b128 s[4:7], s[0:1], 0x18
	s_load_b64 s[10:11], s[0:1], 0x28
	v_cmp_neq_f32_e64 s17, s18, 0
	s_delay_alu instid0(VALU_DEP_1)
	s_and_b32 vcc_lo, exec_lo, s17
	s_cbranch_vccnz .LBB239_3
; %bb.2:
	s_mov_b32 s3, 0
	s_mov_b64 s[12:13], 0
	s_cbranch_execz .LBB239_4
	s_branch .LBB239_5
.LBB239_3:
	s_mov_b32 s3, -1
                                        ; implicit-def: $sgpr12_sgpr13
.LBB239_4:
	s_mov_b32 s3, 0
	s_delay_alu instid0(SALU_CYCLE_1)
	s_lshl_b64 s[8:9], s[2:3], 3
	s_waitcnt lgkmcnt(0)
	s_add_u32 s4, s4, s8
	s_addc_u32 s5, s5, s9
	s_lshl_b64 s[6:7], s[6:7], 2
	s_load_b64 s[4:5], s[4:5], 0x0
	s_waitcnt lgkmcnt(0)
	s_add_u32 s12, s4, s6
	s_addc_u32 s13, s5, s7
.LBB239_5:
	s_waitcnt lgkmcnt(0)
	s_clause 0x1
	s_load_b128 s[4:7], s[0:1], 0x38
	s_load_b64 s[8:9], s[0:1], 0x48
	s_and_not1_b32 vcc_lo, exec_lo, s17
	s_cbranch_vccnz .LBB239_7
; %bb.6:
	s_lshl_b64 s[20:21], s[2:3], 3
	s_waitcnt lgkmcnt(0)
	s_add_u32 s4, s4, s20
	s_addc_u32 s5, s5, s21
	s_lshl_b64 s[6:7], s[6:7], 2
	s_load_b64 s[4:5], s[4:5], 0x0
	s_waitcnt lgkmcnt(0)
	s_add_u32 s6, s4, s6
	s_addc_u32 s7, s5, s7
	s_branch .LBB239_8
.LBB239_7:
	s_waitcnt lgkmcnt(0)
	s_mov_b64 s[6:7], 0
.LBB239_8:
	s_clause 0x1
	s_load_b128 s[20:23], s[0:1], 0x68
	s_load_b64 s[4:5], s[0:1], 0x78
	s_lshl_b64 s[2:3], s[2:3], 3
	s_waitcnt lgkmcnt(0)
	s_add_u32 s2, s20, s2
	s_addc_u32 s3, s21, s3
	s_lshl_b64 s[22:23], s[22:23], 2
	s_load_b64 s[20:21], s[2:3], 0x0
	v_cmp_eq_u32_e64 s2, 0, v0
	s_waitcnt lgkmcnt(0)
	s_add_u32 s19, s20, s22
	s_addc_u32 s20, s21, s23
	s_and_not1_b32 vcc_lo, exec_lo, s16
	s_cbranch_vccnz .LBB239_13
; %bb.9:
	s_mov_b32 s3, 0
	s_mov_b32 s21, 0
                                        ; implicit-def: $vgpr1
                                        ; implicit-def: $sgpr16_sgpr17
	s_and_saveexec_b32 s22, s2
	s_cbranch_execz .LBB239_14
; %bb.10:
	v_cmp_eq_f32_e64 s2, s15, 0
	s_mul_i32 s16, s14, s5
	s_mul_hi_u32 s17, s14, s4
	s_ashr_i32 s21, s14, 31
	v_mov_b32_e32 v1, 0
	s_add_i32 s16, s17, s16
	s_mul_i32 s21, s21, s4
	s_and_b32 vcc_lo, exec_lo, s2
	s_add_i32 s17, s16, s21
	s_mul_i32 s16, s14, s4
	s_cbranch_vccnz .LBB239_12
; %bb.11:
	s_lshl_b64 s[24:25], s[16:17], 2
	s_delay_alu instid0(SALU_CYCLE_1)
	s_add_u32 s24, s19, s24
	s_addc_u32 s25, s20, s25
	s_load_b32 s2, s[24:25], 0x0
	s_waitcnt lgkmcnt(0)
	v_mul_f32_e64 v1, s2, s15
.LBB239_12:
	s_mov_b32 s21, exec_lo
	s_or_b32 exec_lo, exec_lo, s22
	s_delay_alu instid0(SALU_CYCLE_1)
	s_and_b32 vcc_lo, exec_lo, s3
	s_cbranch_vccnz .LBB239_15
	s_branch .LBB239_34
.LBB239_13:
	s_mov_b32 s21, 0
                                        ; implicit-def: $vgpr1
                                        ; implicit-def: $sgpr16_sgpr17
	s_cbranch_execnz .LBB239_15
	s_branch .LBB239_34
.LBB239_14:
	s_or_b32 exec_lo, exec_lo, s22
	s_delay_alu instid0(SALU_CYCLE_1)
	s_and_b32 vcc_lo, exec_lo, s3
	s_cbranch_vccz .LBB239_34
.LBB239_15:
	s_load_b32 s3, s[0:1], 0x0
	s_mul_i32 s0, s14, s11
	s_mul_hi_u32 s2, s14, s10
	s_ashr_i32 s1, s14, 31
	s_add_i32 s0, s2, s0
	s_mul_i32 s2, s1, s10
	s_mul_i32 s10, s14, s10
	s_add_i32 s11, s0, s2
	v_mov_b32_e32 v7, 0
	s_lshl_b64 s[10:11], s[10:11], 2
	s_delay_alu instid0(SALU_CYCLE_1)
	s_add_u32 s0, s10, s12
	s_addc_u32 s10, s11, s13
	s_mov_b32 s13, 0
	s_mov_b32 s12, exec_lo
	s_waitcnt lgkmcnt(0)
	v_cmp_gt_i32_e32 vcc_lo, s3, v0
	s_ashr_i32 s2, s3, 31
	s_delay_alu instid0(SALU_CYCLE_1) | instskip(NEXT) | instid1(SALU_CYCLE_1)
	s_lshr_b32 s2, s2, 22
	s_add_i32 s2, s3, s2
	v_cndmask_b32_e32 v1, 0, v0, vcc_lo
	s_and_b32 s2, s2, 0xfffffc00
	s_delay_alu instid0(VALU_DEP_1) | instskip(NEXT) | instid1(VALU_DEP_1)
	v_lshlrev_b32_e32 v1, 2, v1
	v_add_co_u32 v1, s0, s0, v1
	s_delay_alu instid0(VALU_DEP_1)
	v_add_co_ci_u32_e64 v2, null, s10, 0, s0
	v_cmpx_gt_i32_e64 s2, v0
	s_cbranch_execz .LBB239_19
; %bb.16:
	v_mad_u64_u32 v[3:4], null, s8, v0, 0
	v_mov_b32_e32 v8, v0
	s_lshl_b64 s[10:11], s[8:9], 12
	v_mov_b32_e32 v7, 0
	s_delay_alu instid0(VALU_DEP_3) | instskip(NEXT) | instid1(VALU_DEP_1)
	v_mad_u64_u32 v[5:6], null, s9, v0, v[4:5]
	v_mov_b32_e32 v4, v5
	s_delay_alu instid0(VALU_DEP_1) | instskip(SKIP_1) | instid1(VALU_DEP_2)
	v_lshlrev_b64 v[5:6], 2, v[3:4]
	v_dual_mov_b32 v4, v2 :: v_dual_mov_b32 v3, v1
	v_add_co_u32 v5, vcc_lo, s6, v5
	s_delay_alu instid0(VALU_DEP_3)
	v_add_co_ci_u32_e32 v6, vcc_lo, s7, v6, vcc_lo
	.p2align	6
.LBB239_17:                             ; =>This Inner Loop Header: Depth=1
	flat_load_b32 v9, v[3:4]
	flat_load_b32 v10, v[5:6]
	v_add_nc_u32_e32 v8, 0x400, v8
	v_add_co_u32 v3, vcc_lo, 0x1000, v3
	v_add_co_ci_u32_e32 v4, vcc_lo, 0, v4, vcc_lo
	v_add_co_u32 v5, vcc_lo, v5, s10
	v_add_co_ci_u32_e32 v6, vcc_lo, s11, v6, vcc_lo
	s_waitcnt vmcnt(0) lgkmcnt(0)
	v_fmac_f32_e32 v7, v9, v10
	v_cmp_le_i32_e64 s0, s2, v8
	s_delay_alu instid0(VALU_DEP_1) | instskip(NEXT) | instid1(SALU_CYCLE_1)
	s_or_b32 s13, s0, s13
	s_and_not1_b32 exec_lo, exec_lo, s13
	s_cbranch_execnz .LBB239_17
; %bb.18:
	s_or_b32 exec_lo, exec_lo, s13
.LBB239_19:
	s_delay_alu instid0(SALU_CYCLE_1) | instskip(SKIP_2) | instid1(VALU_DEP_1)
	s_or_b32 exec_lo, exec_lo, s12
	v_or_b32_e32 v3, s2, v0
	s_mov_b32 s0, exec_lo
	v_cmpx_gt_i32_e64 s3, v3
	s_cbranch_execz .LBB239_21
; %bb.20:
	v_ashrrev_i32_e32 v6, 31, v3
	v_mul_lo_u32 v8, v3, s9
	v_mad_u64_u32 v[4:5], null, v3, s8, 0
	s_ashr_i32 s3, s2, 31
	s_delay_alu instid0(VALU_DEP_3) | instskip(SKIP_1) | instid1(SALU_CYCLE_1)
	v_mul_lo_u32 v3, v6, s8
	s_lshl_b64 s[2:3], s[2:3], 2
	v_add_co_u32 v1, vcc_lo, v1, s2
	v_add_co_ci_u32_e32 v2, vcc_lo, s3, v2, vcc_lo
	s_delay_alu instid0(VALU_DEP_3) | instskip(NEXT) | instid1(VALU_DEP_1)
	v_add3_u32 v5, v5, v8, v3
	v_lshlrev_b64 v[3:4], 2, v[4:5]
	s_delay_alu instid0(VALU_DEP_1) | instskip(NEXT) | instid1(VALU_DEP_2)
	v_add_co_u32 v3, vcc_lo, s6, v3
	v_add_co_ci_u32_e32 v4, vcc_lo, s7, v4, vcc_lo
	flat_load_b32 v1, v[1:2]
	flat_load_b32 v2, v[3:4]
	s_waitcnt vmcnt(0) lgkmcnt(0)
	v_fmac_f32_e32 v7, v1, v2
.LBB239_21:
	s_or_b32 exec_lo, exec_lo, s0
	v_and_b32_e32 v6, 31, v0
	v_cmp_gt_u32_e32 vcc_lo, 32, v0
	s_delay_alu instid0(VALU_DEP_2)
	v_lshlrev_b32_e32 v1, 2, v6
	s_and_saveexec_b32 s0, vcc_lo
	s_cbranch_execz .LBB239_23
; %bb.22:
	v_mov_b32_e32 v2, 0
	ds_store_b32 v1, v2
.LBB239_23:
	s_or_b32 exec_lo, exec_lo, s0
	v_mbcnt_lo_u32_b32 v8, -1, 0
	s_mov_b32 s2, exec_lo
	s_waitcnt lgkmcnt(0)
	s_barrier
	buffer_gl0_inv
	v_cmp_gt_u32_e64 s0, 16, v8
	s_delay_alu instid0(VALU_DEP_1) | instskip(SKIP_1) | instid1(VALU_DEP_2)
	v_cndmask_b32_e64 v2, 0, 1, s0
	v_cmp_gt_u32_e64 s0, 24, v8
	v_lshlrev_b32_e32 v2, 4, v2
	s_delay_alu instid0(VALU_DEP_2) | instskip(SKIP_1) | instid1(VALU_DEP_3)
	v_cndmask_b32_e64 v3, 0, 1, s0
	v_cmp_gt_u32_e64 s0, 28, v8
	v_add_lshl_u32 v2, v2, v8, 2
	s_delay_alu instid0(VALU_DEP_3)
	v_lshlrev_b32_e32 v3, 3, v3
	ds_bpermute_b32 v4, v2, v7
	v_add_lshl_u32 v3, v3, v8, 2
	s_waitcnt lgkmcnt(0)
	v_add_f32_e32 v5, v7, v4
	v_cndmask_b32_e64 v4, 0, 1, s0
	v_cmp_gt_u32_e64 s0, 30, v8
	ds_bpermute_b32 v7, v3, v5
	s_waitcnt lgkmcnt(0)
	v_dual_add_f32 v7, v5, v7 :: v_dual_lshlrev_b32 v4, 2, v4
	s_delay_alu instid0(VALU_DEP_1)
	v_add_lshl_u32 v4, v4, v8, 2
	v_cndmask_b32_e64 v5, 0, 1, s0
	v_cmp_ne_u32_e64 s0, 31, v8
	ds_bpermute_b32 v9, v4, v7
	v_lshlrev_b32_e32 v5, 1, v5
	v_add_co_ci_u32_e64 v10, s0, 0, v8, s0
	s_delay_alu instid0(VALU_DEP_2)
	v_add_lshl_u32 v5, v5, v8, 2
	s_waitcnt lgkmcnt(0)
	v_add_f32_e32 v7, v7, v9
	ds_bpermute_b32 v9, v5, v7
	s_waitcnt lgkmcnt(0)
	v_dual_add_f32 v8, v7, v9 :: v_dual_lshlrev_b32 v7, 2, v10
	ds_bpermute_b32 v9, v7, v8
	v_cmpx_eq_u32_e32 0, v6
	s_cbranch_execz .LBB239_25
; %bb.24:
	v_lshrrev_b32_e32 v6, 3, v0
	s_waitcnt lgkmcnt(0)
	v_add_f32_e32 v8, v8, v9
	s_delay_alu instid0(VALU_DEP_2)
	v_and_b32_e32 v6, 0x7c, v6
	ds_store_b32 v6, v8
.LBB239_25:
	s_or_b32 exec_lo, exec_lo, s2
	v_mov_b32_e32 v6, 0
	s_waitcnt lgkmcnt(0)
	s_barrier
	buffer_gl0_inv
	s_and_saveexec_b32 s0, vcc_lo
	s_cbranch_execz .LBB239_27
; %bb.26:
	ds_load_b32 v6, v1
.LBB239_27:
	s_or_b32 exec_lo, exec_lo, s0
	s_and_saveexec_b32 s0, vcc_lo
	s_cbranch_execz .LBB239_29
; %bb.28:
	s_waitcnt lgkmcnt(0)
	ds_bpermute_b32 v1, v2, v6
	s_waitcnt lgkmcnt(0)
	v_add_f32_e32 v1, v6, v1
	ds_bpermute_b32 v2, v3, v1
	s_waitcnt lgkmcnt(0)
	v_add_f32_e32 v1, v1, v2
	;; [unrolled: 3-line block ×5, first 2 shown]
.LBB239_29:
	s_or_b32 exec_lo, exec_lo, s0
	s_delay_alu instid0(SALU_CYCLE_1)
	s_mov_b32 s0, exec_lo
                                        ; implicit-def: $vgpr1
                                        ; implicit-def: $sgpr16_sgpr17
	v_cmpx_eq_u32_e32 0, v0
	s_cbranch_execz .LBB239_33
; %bb.30:
	s_mul_i32 s2, s14, s5
	v_cmp_eq_f32_e64 s5, s15, 0
	s_mul_hi_u32 s3, s14, s4
	s_waitcnt lgkmcnt(0)
	v_mul_f32_e32 v1, s18, v6
	s_add_i32 s2, s3, s2
	s_mul_i32 s1, s1, s4
	s_and_b32 vcc_lo, exec_lo, s5
	s_add_i32 s17, s2, s1
	s_mul_i32 s16, s14, s4
	s_cbranch_vccnz .LBB239_32
; %bb.31:
	s_lshl_b64 s[2:3], s[16:17], 2
	s_delay_alu instid0(SALU_CYCLE_1)
	s_add_u32 s2, s19, s2
	s_addc_u32 s3, s20, s3
	s_load_b32 s1, s[2:3], 0x0
	s_waitcnt lgkmcnt(0)
	v_fmac_f32_e64 v1, s1, s15
.LBB239_32:
	s_or_b32 s21, s21, exec_lo
.LBB239_33:
	s_or_b32 exec_lo, exec_lo, s0
.LBB239_34:
	s_and_saveexec_b32 s0, s21
	s_cbranch_execz .LBB239_36
; %bb.35:
	s_lshl_b64 s[0:1], s[16:17], 2
	v_mov_b32_e32 v0, 0
	s_add_u32 s0, s19, s0
	s_addc_u32 s1, s20, s1
	global_store_b32 v0, v1, s[0:1]
.LBB239_36:
	s_nop 0
	s_sendmsg sendmsg(MSG_DEALLOC_VGPRS)
	s_endpgm
	.section	.rodata,"a",@progbits
	.p2align	6, 0x0
	.amdhsa_kernel _ZL32rocblas_gemvt_warp_reduce_kernelILb1ELi1024ElPKffKPfEviiT3_lPKT2_lT1_lS7_lS8_lS4_lPT4_lS8_li
		.amdhsa_group_segment_fixed_size 128
		.amdhsa_private_segment_fixed_size 0
		.amdhsa_kernarg_size 140
		.amdhsa_user_sgpr_count 14
		.amdhsa_user_sgpr_dispatch_ptr 0
		.amdhsa_user_sgpr_queue_ptr 0
		.amdhsa_user_sgpr_kernarg_segment_ptr 1
		.amdhsa_user_sgpr_dispatch_id 0
		.amdhsa_user_sgpr_private_segment_size 0
		.amdhsa_wavefront_size32 1
		.amdhsa_uses_dynamic_stack 0
		.amdhsa_enable_private_segment 0
		.amdhsa_system_sgpr_workgroup_id_x 1
		.amdhsa_system_sgpr_workgroup_id_y 0
		.amdhsa_system_sgpr_workgroup_id_z 1
		.amdhsa_system_sgpr_workgroup_info 0
		.amdhsa_system_vgpr_workitem_id 0
		.amdhsa_next_free_vgpr 11
		.amdhsa_next_free_sgpr 26
		.amdhsa_reserve_vcc 1
		.amdhsa_float_round_mode_32 0
		.amdhsa_float_round_mode_16_64 0
		.amdhsa_float_denorm_mode_32 3
		.amdhsa_float_denorm_mode_16_64 3
		.amdhsa_dx10_clamp 1
		.amdhsa_ieee_mode 1
		.amdhsa_fp16_overflow 0
		.amdhsa_workgroup_processor_mode 1
		.amdhsa_memory_ordered 1
		.amdhsa_forward_progress 0
		.amdhsa_shared_vgpr_count 0
		.amdhsa_exception_fp_ieee_invalid_op 0
		.amdhsa_exception_fp_denorm_src 0
		.amdhsa_exception_fp_ieee_div_zero 0
		.amdhsa_exception_fp_ieee_overflow 0
		.amdhsa_exception_fp_ieee_underflow 0
		.amdhsa_exception_fp_ieee_inexact 0
		.amdhsa_exception_int_div_zero 0
	.end_amdhsa_kernel
	.section	.text._ZL32rocblas_gemvt_warp_reduce_kernelILb1ELi1024ElPKffKPfEviiT3_lPKT2_lT1_lS7_lS8_lS4_lPT4_lS8_li,"axG",@progbits,_ZL32rocblas_gemvt_warp_reduce_kernelILb1ELi1024ElPKffKPfEviiT3_lPKT2_lT1_lS7_lS8_lS4_lPT4_lS8_li,comdat
.Lfunc_end239:
	.size	_ZL32rocblas_gemvt_warp_reduce_kernelILb1ELi1024ElPKffKPfEviiT3_lPKT2_lT1_lS7_lS8_lS4_lPT4_lS8_li, .Lfunc_end239-_ZL32rocblas_gemvt_warp_reduce_kernelILb1ELi1024ElPKffKPfEviiT3_lPKT2_lT1_lS7_lS8_lS4_lPT4_lS8_li
                                        ; -- End function
	.section	.AMDGPU.csdata,"",@progbits
; Kernel info:
; codeLenInByte = 1548
; NumSgprs: 28
; NumVgprs: 11
; ScratchSize: 0
; MemoryBound: 0
; FloatMode: 240
; IeeeMode: 1
; LDSByteSize: 128 bytes/workgroup (compile time only)
; SGPRBlocks: 3
; VGPRBlocks: 1
; NumSGPRsForWavesPerEU: 28
; NumVGPRsForWavesPerEU: 11
; Occupancy: 16
; WaveLimiterHint : 1
; COMPUTE_PGM_RSRC2:SCRATCH_EN: 0
; COMPUTE_PGM_RSRC2:USER_SGPR: 14
; COMPUTE_PGM_RSRC2:TRAP_HANDLER: 0
; COMPUTE_PGM_RSRC2:TGID_X_EN: 1
; COMPUTE_PGM_RSRC2:TGID_Y_EN: 0
; COMPUTE_PGM_RSRC2:TGID_Z_EN: 1
; COMPUTE_PGM_RSRC2:TIDIG_COMP_CNT: 0
	.section	.text._ZL34rocblas_gemvn_sm_mn_batched_kernelILi32ELi24EPKdS1_KPdEviiT2_lPKT1_lilS7_lilS4_lPT3_lili,"axG",@progbits,_ZL34rocblas_gemvn_sm_mn_batched_kernelILi32ELi24EPKdS1_KPdEviiT2_lPKT1_lilS7_lilS4_lPT3_lili,comdat
	.globl	_ZL34rocblas_gemvn_sm_mn_batched_kernelILi32ELi24EPKdS1_KPdEviiT2_lPKT1_lilS7_lilS4_lPT3_lili ; -- Begin function _ZL34rocblas_gemvn_sm_mn_batched_kernelILi32ELi24EPKdS1_KPdEviiT2_lPKT1_lilS7_lilS4_lPT3_lili
	.p2align	8
	.type	_ZL34rocblas_gemvn_sm_mn_batched_kernelILi32ELi24EPKdS1_KPdEviiT2_lPKT1_lilS7_lilS4_lPT3_lili,@function
_ZL34rocblas_gemvn_sm_mn_batched_kernelILi32ELi24EPKdS1_KPdEviiT2_lPKT1_lilS7_lilS4_lPT3_lili: ; @_ZL34rocblas_gemvn_sm_mn_batched_kernelILi32ELi24EPKdS1_KPdEviiT2_lPKT1_lilS7_lilS4_lPT3_lili
; %bb.0:
	s_endpgm
	.section	.rodata,"a",@progbits
	.p2align	6, 0x0
	.amdhsa_kernel _ZL34rocblas_gemvn_sm_mn_batched_kernelILi32ELi24EPKdS1_KPdEviiT2_lPKT1_lilS7_lilS4_lPT3_lili
		.amdhsa_group_segment_fixed_size 0
		.amdhsa_private_segment_fixed_size 0
		.amdhsa_kernarg_size 140
		.amdhsa_user_sgpr_count 15
		.amdhsa_user_sgpr_dispatch_ptr 0
		.amdhsa_user_sgpr_queue_ptr 0
		.amdhsa_user_sgpr_kernarg_segment_ptr 1
		.amdhsa_user_sgpr_dispatch_id 0
		.amdhsa_user_sgpr_private_segment_size 0
		.amdhsa_wavefront_size32 1
		.amdhsa_uses_dynamic_stack 0
		.amdhsa_enable_private_segment 0
		.amdhsa_system_sgpr_workgroup_id_x 1
		.amdhsa_system_sgpr_workgroup_id_y 0
		.amdhsa_system_sgpr_workgroup_id_z 0
		.amdhsa_system_sgpr_workgroup_info 0
		.amdhsa_system_vgpr_workitem_id 0
		.amdhsa_next_free_vgpr 1
		.amdhsa_next_free_sgpr 1
		.amdhsa_reserve_vcc 0
		.amdhsa_float_round_mode_32 0
		.amdhsa_float_round_mode_16_64 0
		.amdhsa_float_denorm_mode_32 3
		.amdhsa_float_denorm_mode_16_64 3
		.amdhsa_dx10_clamp 1
		.amdhsa_ieee_mode 1
		.amdhsa_fp16_overflow 0
		.amdhsa_workgroup_processor_mode 1
		.amdhsa_memory_ordered 1
		.amdhsa_forward_progress 0
		.amdhsa_shared_vgpr_count 0
		.amdhsa_exception_fp_ieee_invalid_op 0
		.amdhsa_exception_fp_denorm_src 0
		.amdhsa_exception_fp_ieee_div_zero 0
		.amdhsa_exception_fp_ieee_overflow 0
		.amdhsa_exception_fp_ieee_underflow 0
		.amdhsa_exception_fp_ieee_inexact 0
		.amdhsa_exception_int_div_zero 0
	.end_amdhsa_kernel
	.section	.text._ZL34rocblas_gemvn_sm_mn_batched_kernelILi32ELi24EPKdS1_KPdEviiT2_lPKT1_lilS7_lilS4_lPT3_lili,"axG",@progbits,_ZL34rocblas_gemvn_sm_mn_batched_kernelILi32ELi24EPKdS1_KPdEviiT2_lPKT1_lilS7_lilS4_lPT3_lili,comdat
.Lfunc_end240:
	.size	_ZL34rocblas_gemvn_sm_mn_batched_kernelILi32ELi24EPKdS1_KPdEviiT2_lPKT1_lilS7_lilS4_lPT3_lili, .Lfunc_end240-_ZL34rocblas_gemvn_sm_mn_batched_kernelILi32ELi24EPKdS1_KPdEviiT2_lPKT1_lilS7_lilS4_lPT3_lili
                                        ; -- End function
	.section	.AMDGPU.csdata,"",@progbits
; Kernel info:
; codeLenInByte = 4
; NumSgprs: 0
; NumVgprs: 0
; ScratchSize: 0
; MemoryBound: 0
; FloatMode: 240
; IeeeMode: 1
; LDSByteSize: 0 bytes/workgroup (compile time only)
; SGPRBlocks: 0
; VGPRBlocks: 0
; NumSGPRsForWavesPerEU: 1
; NumVGPRsForWavesPerEU: 1
; Occupancy: 12
; WaveLimiterHint : 0
; COMPUTE_PGM_RSRC2:SCRATCH_EN: 0
; COMPUTE_PGM_RSRC2:USER_SGPR: 15
; COMPUTE_PGM_RSRC2:TRAP_HANDLER: 0
; COMPUTE_PGM_RSRC2:TGID_X_EN: 1
; COMPUTE_PGM_RSRC2:TGID_Y_EN: 0
; COMPUTE_PGM_RSRC2:TGID_Z_EN: 0
; COMPUTE_PGM_RSRC2:TIDIG_COMP_CNT: 0
	.section	.text._ZL34rocblas_gemvn_sm_mn_batched_kernelILi32ELi24EPKddKPdEviiT2_lPKT1_lilS7_lilS4_lPT3_lili,"axG",@progbits,_ZL34rocblas_gemvn_sm_mn_batched_kernelILi32ELi24EPKddKPdEviiT2_lPKT1_lilS7_lilS4_lPT3_lili,comdat
	.globl	_ZL34rocblas_gemvn_sm_mn_batched_kernelILi32ELi24EPKddKPdEviiT2_lPKT1_lilS7_lilS4_lPT3_lili ; -- Begin function _ZL34rocblas_gemvn_sm_mn_batched_kernelILi32ELi24EPKddKPdEviiT2_lPKT1_lilS7_lilS4_lPT3_lili
	.p2align	8
	.type	_ZL34rocblas_gemvn_sm_mn_batched_kernelILi32ELi24EPKddKPdEviiT2_lPKT1_lilS7_lilS4_lPT3_lili,@function
_ZL34rocblas_gemvn_sm_mn_batched_kernelILi32ELi24EPKddKPdEviiT2_lPKT1_lilS7_lilS4_lPT3_lili: ; @_ZL34rocblas_gemvn_sm_mn_batched_kernelILi32ELi24EPKddKPdEviiT2_lPKT1_lilS7_lilS4_lPT3_lili
; %bb.0:
	s_endpgm
	.section	.rodata,"a",@progbits
	.p2align	6, 0x0
	.amdhsa_kernel _ZL34rocblas_gemvn_sm_mn_batched_kernelILi32ELi24EPKddKPdEviiT2_lPKT1_lilS7_lilS4_lPT3_lili
		.amdhsa_group_segment_fixed_size 0
		.amdhsa_private_segment_fixed_size 0
		.amdhsa_kernarg_size 140
		.amdhsa_user_sgpr_count 15
		.amdhsa_user_sgpr_dispatch_ptr 0
		.amdhsa_user_sgpr_queue_ptr 0
		.amdhsa_user_sgpr_kernarg_segment_ptr 1
		.amdhsa_user_sgpr_dispatch_id 0
		.amdhsa_user_sgpr_private_segment_size 0
		.amdhsa_wavefront_size32 1
		.amdhsa_uses_dynamic_stack 0
		.amdhsa_enable_private_segment 0
		.amdhsa_system_sgpr_workgroup_id_x 1
		.amdhsa_system_sgpr_workgroup_id_y 0
		.amdhsa_system_sgpr_workgroup_id_z 0
		.amdhsa_system_sgpr_workgroup_info 0
		.amdhsa_system_vgpr_workitem_id 0
		.amdhsa_next_free_vgpr 1
		.amdhsa_next_free_sgpr 1
		.amdhsa_reserve_vcc 0
		.amdhsa_float_round_mode_32 0
		.amdhsa_float_round_mode_16_64 0
		.amdhsa_float_denorm_mode_32 3
		.amdhsa_float_denorm_mode_16_64 3
		.amdhsa_dx10_clamp 1
		.amdhsa_ieee_mode 1
		.amdhsa_fp16_overflow 0
		.amdhsa_workgroup_processor_mode 1
		.amdhsa_memory_ordered 1
		.amdhsa_forward_progress 0
		.amdhsa_shared_vgpr_count 0
		.amdhsa_exception_fp_ieee_invalid_op 0
		.amdhsa_exception_fp_denorm_src 0
		.amdhsa_exception_fp_ieee_div_zero 0
		.amdhsa_exception_fp_ieee_overflow 0
		.amdhsa_exception_fp_ieee_underflow 0
		.amdhsa_exception_fp_ieee_inexact 0
		.amdhsa_exception_int_div_zero 0
	.end_amdhsa_kernel
	.section	.text._ZL34rocblas_gemvn_sm_mn_batched_kernelILi32ELi24EPKddKPdEviiT2_lPKT1_lilS7_lilS4_lPT3_lili,"axG",@progbits,_ZL34rocblas_gemvn_sm_mn_batched_kernelILi32ELi24EPKddKPdEviiT2_lPKT1_lilS7_lilS4_lPT3_lili,comdat
.Lfunc_end241:
	.size	_ZL34rocblas_gemvn_sm_mn_batched_kernelILi32ELi24EPKddKPdEviiT2_lPKT1_lilS7_lilS4_lPT3_lili, .Lfunc_end241-_ZL34rocblas_gemvn_sm_mn_batched_kernelILi32ELi24EPKddKPdEviiT2_lPKT1_lilS7_lilS4_lPT3_lili
                                        ; -- End function
	.section	.AMDGPU.csdata,"",@progbits
; Kernel info:
; codeLenInByte = 4
; NumSgprs: 0
; NumVgprs: 0
; ScratchSize: 0
; MemoryBound: 0
; FloatMode: 240
; IeeeMode: 1
; LDSByteSize: 0 bytes/workgroup (compile time only)
; SGPRBlocks: 0
; VGPRBlocks: 0
; NumSGPRsForWavesPerEU: 1
; NumVGPRsForWavesPerEU: 1
; Occupancy: 12
; WaveLimiterHint : 0
; COMPUTE_PGM_RSRC2:SCRATCH_EN: 0
; COMPUTE_PGM_RSRC2:USER_SGPR: 15
; COMPUTE_PGM_RSRC2:TRAP_HANDLER: 0
; COMPUTE_PGM_RSRC2:TGID_X_EN: 1
; COMPUTE_PGM_RSRC2:TGID_Y_EN: 0
; COMPUTE_PGM_RSRC2:TGID_Z_EN: 0
; COMPUTE_PGM_RSRC2:TIDIG_COMP_CNT: 0
	.section	.text._ZL20rocblas_gemvn_kernelILi64ELi4EiPKdS1_KPdEviiT3_lPKT2_lT1_lS7_lS8_lS4_lPT4_lS8_li,"axG",@progbits,_ZL20rocblas_gemvn_kernelILi64ELi4EiPKdS1_KPdEviiT3_lPKT2_lT1_lS7_lS8_lS4_lPT4_lS8_li,comdat
	.globl	_ZL20rocblas_gemvn_kernelILi64ELi4EiPKdS1_KPdEviiT3_lPKT2_lT1_lS7_lS8_lS4_lPT4_lS8_li ; -- Begin function _ZL20rocblas_gemvn_kernelILi64ELi4EiPKdS1_KPdEviiT3_lPKT2_lT1_lS7_lS8_lS4_lPT4_lS8_li
	.p2align	8
	.type	_ZL20rocblas_gemvn_kernelILi64ELi4EiPKdS1_KPdEviiT3_lPKT2_lT1_lS7_lS8_lS4_lPT4_lS8_li,@function
_ZL20rocblas_gemvn_kernelILi64ELi4EiPKdS1_KPdEviiT3_lPKT2_lT1_lS7_lS8_lS4_lPT4_lS8_li: ; @_ZL20rocblas_gemvn_kernelILi64ELi4EiPKdS1_KPdEviiT3_lPKT2_lT1_lS7_lS8_lS4_lPT4_lS8_li
; %bb.0:
	s_load_b64 s[4:5], s[0:1], 0x9c
	s_waitcnt lgkmcnt(0)
	s_lshr_b32 s3, s4, 16
	s_and_b32 s4, s4, 0xffff
	s_and_b32 s5, s5, 0xffff
	s_mul_i32 s3, s3, s4
	s_delay_alu instid0(SALU_CYCLE_1) | instskip(NEXT) | instid1(SALU_CYCLE_1)
	s_mul_i32 s3, s3, s5
	s_cmpk_lg_i32 s3, 0x100
	s_cbranch_scc1 .LBB242_55
; %bb.1:
	s_clause 0x1
	s_load_b256 s[16:23], s[0:1], 0x8
	s_load_b256 s[4:11], s[0:1], 0x58
	s_mov_b32 s2, s15
	s_waitcnt lgkmcnt(0)
	s_mul_i32 s3, s15, s19
	s_mul_hi_u32 s13, s15, s18
	s_mul_i32 s12, s15, s18
	s_add_i32 s13, s13, s3
	s_mul_i32 s3, s15, s7
	s_lshl_b64 s[12:13], s[12:13], 3
	s_mul_hi_u32 s7, s15, s6
	s_add_u32 s12, s16, s12
	s_addc_u32 s13, s17, s13
	s_add_i32 s7, s7, s3
	s_mul_i32 s6, s15, s6
	s_delay_alu instid0(SALU_CYCLE_1) | instskip(NEXT) | instid1(SALU_CYCLE_1)
	s_lshl_b64 s[6:7], s[6:7], 3
	s_add_u32 s4, s4, s6
	s_addc_u32 s5, s5, s7
	s_load_b64 s[6:7], s[12:13], 0x0
	s_load_b64 s[4:5], s[4:5], 0x0
	s_mov_b64 s[12:13], 0
	s_waitcnt lgkmcnt(0)
	v_cmp_eq_f64_e64 s19, s[6:7], 0
	v_cmp_eq_f64_e64 s3, s[4:5], 1.0
	s_delay_alu instid0(VALU_DEP_1) | instskip(NEXT) | instid1(SALU_CYCLE_1)
	s_and_b32 s3, s19, s3
	s_and_b32 vcc_lo, exec_lo, s3
	s_cbranch_vccnz .LBB242_55
; %bb.2:
	v_cmp_neq_f64_e64 s15, s[6:7], 0
	s_and_b32 vcc_lo, exec_lo, s19
	s_mov_b32 s3, 0
	s_cbranch_vccnz .LBB242_4
; %bb.3:
	s_lshl_b64 s[12:13], s[2:3], 3
	s_delay_alu instid0(SALU_CYCLE_1)
	s_add_u32 s12, s20, s12
	s_addc_u32 s13, s21, s13
	s_lshl_b64 s[16:17], s[22:23], 3
	s_load_b64 s[12:13], s[12:13], 0x0
	s_waitcnt lgkmcnt(0)
	s_add_u32 s12, s12, s16
	s_addc_u32 s13, s13, s17
.LBB242_4:
	s_delay_alu instid0(VALU_DEP_1)
	s_and_not1_b32 vcc_lo, exec_lo, s15
	s_cbranch_vccnz .LBB242_6
; %bb.5:
	s_load_b128 s[20:23], s[0:1], 0x38
	s_lshl_b64 s[16:17], s[2:3], 3
	s_waitcnt lgkmcnt(0)
	s_add_u32 s16, s20, s16
	s_addc_u32 s17, s21, s17
	s_lshl_b64 s[20:21], s[22:23], 3
	s_load_b64 s[16:17], s[16:17], 0x0
	s_waitcnt lgkmcnt(0)
	s_add_u32 s16, s16, s20
	s_addc_u32 s17, s17, s21
	s_branch .LBB242_7
.LBB242_6:
	s_mov_b64 s[16:17], 0
.LBB242_7:
	s_lshl_b64 s[2:3], s[2:3], 3
	v_and_b32_e32 v1, 0x3ff, v0
	s_add_u32 s2, s8, s2
	s_addc_u32 s3, s9, s3
	v_bfe_u32 v0, v0, 10, 10
	s_load_b64 s[20:21], s[2:3], 0x0
	s_clause 0x1
	s_load_b64 s[8:9], s[0:1], 0x0
	s_load_b32 s18, s[0:1], 0x78
	s_lshl_b64 s[22:23], s[10:11], 3
	v_lshl_add_u32 v53, v0, 6, v1
	s_delay_alu instid0(VALU_DEP_1)
	v_cmp_gt_u32_e64 s2, 0x100, v53
	s_waitcnt lgkmcnt(0)
	s_add_u32 s11, s20, s22
	s_addc_u32 s15, s21, s23
	s_and_not1_b32 vcc_lo, exec_lo, s19
	s_cbranch_vccnz .LBB242_14
; %bb.8:
	s_mov_b32 s3, 0
	s_mov_b32 s19, 0
                                        ; implicit-def: $vgpr4_vgpr5
                                        ; implicit-def: $vgpr2_vgpr3
	s_and_saveexec_b32 s10, s2
	s_cbranch_execz .LBB242_15
; %bb.9:
	v_lshl_or_b32 v6, s14, 8, v53
	v_mov_b32_e32 v7, 0
	s_ashr_i32 s21, s8, 31
	s_mov_b32 s20, s8
	s_mov_b32 s2, exec_lo
                                        ; implicit-def: $vgpr4_vgpr5
                                        ; implicit-def: $vgpr2_vgpr3
	s_delay_alu instid0(VALU_DEP_1)
	v_cmpx_gt_i64_e64 s[20:21], v[6:7]
	s_cbranch_execz .LBB242_13
; %bb.10:
	v_cmp_eq_f64_e64 s19, s[4:5], 0
	v_mad_u64_u32 v[2:3], null, s18, v6, 0
	s_ashr_i32 s20, s18, 31
	s_delay_alu instid0(VALU_DEP_1) | instid1(SALU_CYCLE_1)
	v_mad_u64_u32 v[4:5], null, s20, v6, v[3:4]
	s_delay_alu instid0(VALU_DEP_1)
	v_dual_mov_b32 v3, v4 :: v_dual_mov_b32 v4, 0
	v_mov_b32_e32 v5, 0
	s_and_b32 vcc_lo, exec_lo, s19
	s_cbranch_vccnz .LBB242_12
; %bb.11:
	s_delay_alu instid0(VALU_DEP_2) | instskip(NEXT) | instid1(VALU_DEP_1)
	v_lshlrev_b64 v[4:5], 3, v[2:3]
	v_add_co_u32 v4, vcc_lo, s11, v4
	s_delay_alu instid0(VALU_DEP_2)
	v_add_co_ci_u32_e32 v5, vcc_lo, s15, v5, vcc_lo
	global_load_b64 v[4:5], v[4:5], off
	s_waitcnt vmcnt(0)
	v_mul_f64 v[4:5], s[4:5], v[4:5]
.LBB242_12:
	s_mov_b32 s19, exec_lo
.LBB242_13:
	s_or_b32 exec_lo, exec_lo, s2
	s_delay_alu instid0(SALU_CYCLE_1) | instskip(SKIP_1) | instid1(SALU_CYCLE_1)
	s_and_b32 s19, s19, exec_lo
	s_or_b32 exec_lo, exec_lo, s10
	s_and_b32 vcc_lo, exec_lo, s3
	s_cbranch_vccnz .LBB242_16
	s_branch .LBB242_53
.LBB242_14:
	s_mov_b32 s19, 0
                                        ; implicit-def: $vgpr4_vgpr5
                                        ; implicit-def: $vgpr2_vgpr3
	s_cbranch_execnz .LBB242_16
	s_branch .LBB242_53
.LBB242_15:
	s_or_b32 exec_lo, exec_lo, s10
	s_delay_alu instid0(SALU_CYCLE_1)
	s_and_b32 vcc_lo, exec_lo, s3
	s_cbranch_vccz .LBB242_53
.LBB242_16:
	s_clause 0x1
	s_load_b32 s20, s[0:1], 0x28
	s_load_b32 s10, s[0:1], 0x48
	v_dual_mov_b32 v8, 0 :: v_dual_lshlrev_b32 v55, 2, v0
	s_lshl_b32 s14, s14, 8
	s_delay_alu instid0(SALU_CYCLE_1) | instskip(SKIP_1) | instid1(VALU_DEP_2)
	v_dual_mov_b32 v9, 0 :: v_dual_add_nc_u32 v54, s14, v1
	s_ashr_i32 s0, s9, 31
	v_mov_b32_e32 v6, v8
	s_lshr_b32 s0, s0, 28
	s_delay_alu instid0(VALU_DEP_2)
	v_dual_mov_b32 v7, v9 :: v_dual_mov_b32 v4, v8
	v_dual_mov_b32 v5, v9 :: v_dual_mov_b32 v2, v8
	v_mov_b32_e32 v3, v9
	s_add_i32 s0, s9, s0
	s_mov_b32 s22, exec_lo
	s_and_b32 s21, s0, -16
	s_delay_alu instid0(SALU_CYCLE_1)
	v_cmpx_gt_i32_e64 s21, v55
	s_cbranch_execz .LBB242_28
; %bb.17:
	s_waitcnt lgkmcnt(0)
	v_mul_lo_u32 v3, s20, v55
	v_dual_mov_b32 v8, 0 :: v_dual_add_nc_u32 v5, 0xc0, v54
	v_dual_mov_b32 v9, 0 :: v_dual_add_nc_u32 v2, 64, v54
	v_add_nc_u32_e32 v4, 0x80, v54
	s_delay_alu instid0(VALU_DEP_3) | instskip(SKIP_1) | instid1(VALU_DEP_4)
	v_cmp_gt_i32_e64 s2, s8, v5
	v_mul_lo_u32 v5, v0, s10
	v_cmp_gt_i32_e64 s0, s8, v2
	v_add_nc_u32_e32 v2, 2, v55
	v_mov_b32_e32 v6, v8
	v_add3_u32 v56, v3, s20, v1
	v_mul_lo_u32 v3, v0, s20
	v_mov_b32_e32 v7, v9
	v_cmp_gt_i32_e64 s1, s8, v4
	v_add_nc_u32_e32 v4, 3, v55
	v_mad_u64_u32 v[10:11], null, s20, v2, v[1:2]
	v_lshlrev_b32_e32 v60, 2, v5
	v_cmp_gt_i32_e32 vcc_lo, s8, v54
	s_delay_alu instid0(VALU_DEP_4)
	v_mad_u64_u32 v[11:12], null, s20, v4, v[1:2]
	v_mul_lo_u32 v59, s10, v4
	v_mov_b32_e32 v4, v8
	v_mad_u64_u32 v[12:13], null, s10, v55, s[10:11]
	v_mov_b32_e32 v5, v9
	v_mul_lo_u32 v58, s10, v2
	v_lshl_add_u32 v57, v3, 2, v1
	v_dual_mov_b32 v2, v8 :: v_dual_mov_b32 v3, v9
	s_lshl_b32 s23, s20, 4
	s_lshl_b32 s25, s10, 4
	s_mov_b32 s24, 0
	s_mov_b32 s26, 0
	s_branch .LBB242_22
.LBB242_18:                             ;   in Loop: Header=BB242_22 Depth=1
	s_or_b32 exec_lo, exec_lo, s29
	s_waitcnt vmcnt(3) lgkmcnt(3)
	v_fma_f64 v[4:5], v[13:14], v[45:46], v[4:5]
	s_waitcnt vmcnt(2) lgkmcnt(2)
	s_delay_alu instid0(VALU_DEP_1) | instskip(SKIP_1) | instid1(VALU_DEP_1)
	v_fma_f64 v[4:5], v[15:16], v[47:48], v[4:5]
	s_waitcnt vmcnt(1) lgkmcnt(1)
	v_fma_f64 v[4:5], v[17:18], v[49:50], v[4:5]
	s_waitcnt vmcnt(0) lgkmcnt(0)
	s_delay_alu instid0(VALU_DEP_1)
	v_fma_f64 v[4:5], v[19:20], v[51:52], v[4:5]
.LBB242_19:                             ;   in Loop: Header=BB242_22 Depth=1
	s_or_b32 exec_lo, exec_lo, s28
	s_waitcnt vmcnt(3) lgkmcnt(3)
	v_fma_f64 v[6:7], v[13:14], v[37:38], v[6:7]
	s_waitcnt vmcnt(2) lgkmcnt(2)
	s_delay_alu instid0(VALU_DEP_1) | instskip(SKIP_1) | instid1(VALU_DEP_1)
	v_fma_f64 v[6:7], v[15:16], v[39:40], v[6:7]
	s_waitcnt vmcnt(1) lgkmcnt(1)
	v_fma_f64 v[6:7], v[17:18], v[41:42], v[6:7]
	s_waitcnt vmcnt(0) lgkmcnt(0)
	s_delay_alu instid0(VALU_DEP_1)
	v_fma_f64 v[6:7], v[19:20], v[43:44], v[6:7]
.LBB242_20:                             ;   in Loop: Header=BB242_22 Depth=1
	s_or_b32 exec_lo, exec_lo, s3
	s_waitcnt vmcnt(3) lgkmcnt(3)
	v_fma_f64 v[8:9], v[13:14], v[21:22], v[8:9]
	s_waitcnt vmcnt(2) lgkmcnt(2)
	s_delay_alu instid0(VALU_DEP_1) | instskip(SKIP_1) | instid1(VALU_DEP_1)
	v_fma_f64 v[8:9], v[15:16], v[23:24], v[8:9]
	s_waitcnt vmcnt(1) lgkmcnt(1)
	v_fma_f64 v[8:9], v[17:18], v[25:26], v[8:9]
	s_waitcnt vmcnt(0) lgkmcnt(0)
	s_delay_alu instid0(VALU_DEP_1)
	v_fma_f64 v[8:9], v[19:20], v[27:28], v[8:9]
.LBB242_21:                             ;   in Loop: Header=BB242_22 Depth=1
	s_or_b32 exec_lo, exec_lo, s27
	v_add_nc_u32_e32 v55, 16, v55
	v_add_nc_u32_e32 v56, s23, v56
	;; [unrolled: 1-line block ×5, first 2 shown]
	v_cmp_le_i32_e64 s3, s21, v55
	s_add_i32 s26, s26, s25
	s_delay_alu instid0(VALU_DEP_1) | instskip(NEXT) | instid1(SALU_CYCLE_1)
	s_or_b32 s24, s3, s24
	s_and_not1_b32 exec_lo, exec_lo, s24
	s_cbranch_execz .LBB242_27
.LBB242_22:                             ; =>This Inner Loop Header: Depth=1
	s_and_saveexec_b32 s27, vcc_lo
	s_cbranch_execz .LBB242_21
; %bb.23:                               ;   in Loop: Header=BB242_22 Depth=1
	v_add_nc_u32_e32 v13, s26, v60
	v_add_nc_u32_e32 v15, s26, v12
	;; [unrolled: 1-line block ×5, first 2 shown]
	v_ashrrev_i32_e32 v14, 31, v13
	v_ashrrev_i32_e32 v16, 31, v15
	;; [unrolled: 1-line block ×4, first 2 shown]
	v_add_nc_u32_e32 v23, s14, v56
	v_lshlrev_b64 v[13:14], 3, v[13:14]
	v_lshlrev_b64 v[15:16], 3, v[15:16]
	;; [unrolled: 1-line block ×3, first 2 shown]
	v_ashrrev_i32_e32 v22, 31, v21
	v_lshlrev_b64 v[19:20], 3, v[19:20]
	v_ashrrev_i32_e32 v24, 31, v23
	v_add_co_u32 v13, s3, s16, v13
	s_delay_alu instid0(VALU_DEP_1)
	v_add_co_ci_u32_e64 v14, s3, s17, v14, s3
	v_add_co_u32 v15, s3, s16, v15
	v_add_nc_u32_e32 v25, s14, v10
	v_add_co_ci_u32_e64 v16, s3, s17, v16, s3
	v_add_co_u32 v17, s3, s16, v17
	v_lshlrev_b64 v[21:22], 3, v[21:22]
	v_add_nc_u32_e32 v27, s14, v11
	v_add_co_ci_u32_e64 v18, s3, s17, v18, s3
	v_add_co_u32 v19, s3, s16, v19
	v_lshlrev_b64 v[23:24], 3, v[23:24]
	v_ashrrev_i32_e32 v26, 31, v25
	v_add_co_ci_u32_e64 v20, s3, s17, v20, s3
	v_add_co_u32 v29, s3, s12, v21
	v_ashrrev_i32_e32 v28, 31, v27
	v_add_co_ci_u32_e64 v30, s3, s13, v22, s3
	v_lshlrev_b64 v[21:22], 3, v[25:26]
	v_add_co_u32 v31, s3, s12, v23
	s_delay_alu instid0(VALU_DEP_1) | instskip(SKIP_1) | instid1(VALU_DEP_4)
	v_add_co_ci_u32_e64 v32, s3, s13, v24, s3
	v_lshlrev_b64 v[23:24], 3, v[27:28]
	v_add_co_u32 v33, s3, s12, v21
	s_delay_alu instid0(VALU_DEP_1) | instskip(NEXT) | instid1(VALU_DEP_3)
	v_add_co_ci_u32_e64 v34, s3, s13, v22, s3
	v_add_co_u32 v35, s3, s12, v23
	s_delay_alu instid0(VALU_DEP_1)
	v_add_co_ci_u32_e64 v36, s3, s13, v24, s3
	s_clause 0x3
	flat_load_b64 v[13:14], v[13:14]
	flat_load_b64 v[15:16], v[15:16]
	;; [unrolled: 1-line block ×4, first 2 shown]
	s_clause 0x3
	flat_load_b64 v[21:22], v[29:30]
	flat_load_b64 v[23:24], v[31:32]
	;; [unrolled: 1-line block ×4, first 2 shown]
	s_and_saveexec_b32 s3, s0
	s_cbranch_execz .LBB242_20
; %bb.24:                               ;   in Loop: Header=BB242_22 Depth=1
	s_clause 0x3
	flat_load_b64 v[37:38], v[29:30] offset:512
	flat_load_b64 v[39:40], v[31:32] offset:512
	flat_load_b64 v[41:42], v[33:34] offset:512
	flat_load_b64 v[43:44], v[35:36] offset:512
	s_and_saveexec_b32 s28, s1
	s_cbranch_execz .LBB242_19
; %bb.25:                               ;   in Loop: Header=BB242_22 Depth=1
	s_clause 0x3
	flat_load_b64 v[45:46], v[29:30] offset:1024
	flat_load_b64 v[47:48], v[31:32] offset:1024
	flat_load_b64 v[49:50], v[33:34] offset:1024
	flat_load_b64 v[51:52], v[35:36] offset:1024
	;; [unrolled: 8-line block ×3, first 2 shown]
	s_waitcnt vmcnt(3) lgkmcnt(3)
	v_fma_f64 v[2:3], v[13:14], v[29:30], v[2:3]
	s_waitcnt vmcnt(2) lgkmcnt(2)
	s_delay_alu instid0(VALU_DEP_1) | instskip(SKIP_1) | instid1(VALU_DEP_1)
	v_fma_f64 v[2:3], v[15:16], v[31:32], v[2:3]
	s_waitcnt vmcnt(1) lgkmcnt(1)
	v_fma_f64 v[2:3], v[17:18], v[33:34], v[2:3]
	s_waitcnt vmcnt(0) lgkmcnt(0)
	s_delay_alu instid0(VALU_DEP_1)
	v_fma_f64 v[2:3], v[19:20], v[35:36], v[2:3]
	s_branch .LBB242_18
.LBB242_27:
	s_or_b32 exec_lo, exec_lo, s24
.LBB242_28:
	s_delay_alu instid0(SALU_CYCLE_1) | instskip(SKIP_1) | instid1(SALU_CYCLE_1)
	s_or_b32 exec_lo, exec_lo, s22
	s_sub_i32 s0, s9, s21
	s_cmp_lt_i32 s0, 1
	s_cbranch_scc1 .LBB242_46
; %bb.29:
	v_mov_b32_e32 v14, 0
	v_mov_b32_e32 v15, 0
	v_cmp_gt_i32_e32 vcc_lo, s9, v55
	v_or_b32_e32 v20, 1, v55
	s_delay_alu instid0(VALU_DEP_4) | instskip(NEXT) | instid1(VALU_DEP_4)
	v_mov_b32_e32 v12, v14
	v_dual_mov_b32 v10, v14 :: v_dual_mov_b32 v11, v15
	v_dual_mov_b32 v17, v15 :: v_dual_mov_b32 v16, v14
	v_mov_b32_e32 v13, v15
	s_and_saveexec_b32 s1, vcc_lo
	s_cbranch_execz .LBB242_37
; %bb.30:
	s_waitcnt lgkmcnt(0)
	v_mul_lo_u32 v10, v55, s10
	v_mov_b32_e32 v12, 0
	v_mov_b32_e32 v13, 0
	s_mov_b32 s2, exec_lo
	s_delay_alu instid0(VALU_DEP_1) | instskip(NEXT) | instid1(VALU_DEP_4)
	v_dual_mov_b32 v17, v13 :: v_dual_mov_b32 v16, v12
	v_ashrrev_i32_e32 v11, 31, v10
	v_dual_mov_b32 v15, v13 :: v_dual_mov_b32 v14, v12
	s_delay_alu instid0(VALU_DEP_2) | instskip(NEXT) | instid1(VALU_DEP_1)
	v_lshlrev_b64 v[10:11], 3, v[10:11]
	v_add_co_u32 v10, s0, s16, v10
	s_delay_alu instid0(VALU_DEP_1)
	v_add_co_ci_u32_e64 v11, s0, s17, v11, s0
	flat_load_b64 v[10:11], v[10:11]
	v_cmpx_gt_i32_e64 s9, v20
	s_cbranch_execz .LBB242_36
; %bb.31:
	v_mul_lo_u32 v12, v20, s10
	v_mov_b32_e32 v16, 0
	v_mov_b32_e32 v17, 0
	v_or_b32_e32 v18, 2, v55
	s_delay_alu instid0(VALU_DEP_3) | instskip(SKIP_1) | instid1(VALU_DEP_3)
	v_mov_b32_e32 v14, v16
	s_mov_b32 s3, exec_lo
	v_mov_b32_e32 v15, v17
	v_ashrrev_i32_e32 v13, 31, v12
	s_delay_alu instid0(VALU_DEP_1) | instskip(NEXT) | instid1(VALU_DEP_1)
	v_lshlrev_b64 v[12:13], 3, v[12:13]
	v_add_co_u32 v12, s0, s16, v12
	s_delay_alu instid0(VALU_DEP_1)
	v_add_co_ci_u32_e64 v13, s0, s17, v13, s0
	flat_load_b64 v[12:13], v[12:13]
	v_cmpx_gt_i32_e64 s9, v18
	s_cbranch_execz .LBB242_35
; %bb.32:
	v_mul_lo_u32 v14, v18, s10
	v_or_b32_e32 v18, 3, v55
	s_mov_b32 s21, exec_lo
	s_delay_alu instid0(VALU_DEP_2) | instskip(NEXT) | instid1(VALU_DEP_1)
	v_ashrrev_i32_e32 v15, 31, v14
	v_lshlrev_b64 v[14:15], 3, v[14:15]
	s_delay_alu instid0(VALU_DEP_1) | instskip(NEXT) | instid1(VALU_DEP_1)
	v_add_co_u32 v14, s0, s16, v14
	v_add_co_ci_u32_e64 v15, s0, s17, v15, s0
	flat_load_b64 v[16:17], v[14:15]
	v_mov_b32_e32 v14, 0
	v_mov_b32_e32 v15, 0
	v_cmpx_gt_i32_e64 s9, v18
	s_cbranch_execz .LBB242_34
; %bb.33:
	v_mul_lo_u32 v14, v18, s10
	s_delay_alu instid0(VALU_DEP_1) | instskip(NEXT) | instid1(VALU_DEP_1)
	v_ashrrev_i32_e32 v15, 31, v14
	v_lshlrev_b64 v[14:15], 3, v[14:15]
	s_delay_alu instid0(VALU_DEP_1) | instskip(NEXT) | instid1(VALU_DEP_1)
	v_add_co_u32 v14, s0, s16, v14
	v_add_co_ci_u32_e64 v15, s0, s17, v15, s0
	flat_load_b64 v[14:15], v[14:15]
.LBB242_34:
	s_or_b32 exec_lo, exec_lo, s21
.LBB242_35:
	s_delay_alu instid0(SALU_CYCLE_1)
	s_or_b32 exec_lo, exec_lo, s3
.LBB242_36:
	s_delay_alu instid0(SALU_CYCLE_1)
	s_or_b32 exec_lo, exec_lo, s2
.LBB242_37:
	s_delay_alu instid0(SALU_CYCLE_1) | instskip(NEXT) | instid1(SALU_CYCLE_1)
	s_or_b32 exec_lo, exec_lo, s1
	s_mov_b32 s1, exec_lo
	v_cmpx_gt_i32_e64 s8, v54
	s_cbranch_execz .LBB242_45
; %bb.38:
	s_waitcnt lgkmcnt(0)
	v_mul_lo_u32 v18, v55, s20
	v_mul_lo_u32 v21, v20, s20
	v_or_b32_e32 v22, 2, v55
	s_mov_b32 s0, exec_lo
	s_delay_alu instid0(VALU_DEP_1) | instskip(NEXT) | instid1(VALU_DEP_4)
	v_mul_lo_u32 v23, v22, s20
	v_cndmask_b32_e32 v18, 0, v18, vcc_lo
	s_delay_alu instid0(VALU_DEP_1) | instskip(NEXT) | instid1(VALU_DEP_1)
	v_add_nc_u32_e32 v18, v18, v54
	v_ashrrev_i32_e32 v19, 31, v18
	s_delay_alu instid0(VALU_DEP_1) | instskip(NEXT) | instid1(VALU_DEP_1)
	v_lshlrev_b64 v[18:19], 3, v[18:19]
	v_add_co_u32 v18, vcc_lo, s12, v18
	s_delay_alu instid0(VALU_DEP_2) | instskip(SKIP_3) | instid1(VALU_DEP_1)
	v_add_co_ci_u32_e32 v19, vcc_lo, s13, v19, vcc_lo
	v_cmp_gt_i32_e32 vcc_lo, s9, v20
	flat_load_b64 v[28:29], v[18:19]
	v_cndmask_b32_e32 v20, 0, v21, vcc_lo
	v_add_nc_u32_e32 v20, v20, v54
	s_delay_alu instid0(VALU_DEP_1) | instskip(NEXT) | instid1(VALU_DEP_1)
	v_ashrrev_i32_e32 v21, 31, v20
	v_lshlrev_b64 v[20:21], 3, v[20:21]
	s_delay_alu instid0(VALU_DEP_1) | instskip(NEXT) | instid1(VALU_DEP_2)
	v_add_co_u32 v20, vcc_lo, s12, v20
	v_add_co_ci_u32_e32 v21, vcc_lo, s13, v21, vcc_lo
	v_cmp_gt_i32_e32 vcc_lo, s9, v22
	flat_load_b64 v[30:31], v[20:21]
	v_cndmask_b32_e32 v22, 0, v23, vcc_lo
	s_delay_alu instid0(VALU_DEP_1) | instskip(NEXT) | instid1(VALU_DEP_1)
	v_add_nc_u32_e32 v22, v22, v54
	v_ashrrev_i32_e32 v23, 31, v22
	s_delay_alu instid0(VALU_DEP_1) | instskip(NEXT) | instid1(VALU_DEP_1)
	v_lshlrev_b64 v[22:23], 3, v[22:23]
	v_add_co_u32 v24, vcc_lo, s12, v22
	s_delay_alu instid0(VALU_DEP_2) | instskip(SKIP_4) | instid1(VALU_DEP_2)
	v_add_co_ci_u32_e32 v25, vcc_lo, s13, v23, vcc_lo
	v_or_b32_e32 v22, 3, v55
	flat_load_b64 v[32:33], v[24:25]
	v_mul_lo_u32 v23, v22, s20
	v_cmp_gt_i32_e32 vcc_lo, s9, v22
	v_cndmask_b32_e32 v22, 0, v23, vcc_lo
	s_delay_alu instid0(VALU_DEP_1) | instskip(NEXT) | instid1(VALU_DEP_1)
	v_add_nc_u32_e32 v22, v22, v54
	v_ashrrev_i32_e32 v23, 31, v22
	s_delay_alu instid0(VALU_DEP_1) | instskip(NEXT) | instid1(VALU_DEP_1)
	v_lshlrev_b64 v[22:23], 3, v[22:23]
	v_add_co_u32 v26, vcc_lo, s12, v22
	s_delay_alu instid0(VALU_DEP_2)
	v_add_co_ci_u32_e32 v27, vcc_lo, s13, v23, vcc_lo
	flat_load_b64 v[22:23], v[26:27]
	s_waitcnt vmcnt(3) lgkmcnt(3)
	v_fma_f64 v[8:9], v[10:11], v[28:29], v[8:9]
	v_add_nc_u32_e32 v28, 64, v54
	s_waitcnt vmcnt(2) lgkmcnt(2)
	s_delay_alu instid0(VALU_DEP_2) | instskip(SKIP_1) | instid1(VALU_DEP_1)
	v_fma_f64 v[8:9], v[12:13], v[30:31], v[8:9]
	s_waitcnt vmcnt(1) lgkmcnt(1)
	v_fma_f64 v[8:9], v[16:17], v[32:33], v[8:9]
	v_cmpx_gt_i32_e64 s8, v28
	s_cbranch_execz .LBB242_44
; %bb.39:
	s_clause 0x3
	flat_load_b64 v[30:31], v[18:19] offset:512
	flat_load_b64 v[32:33], v[20:21] offset:512
	;; [unrolled: 1-line block ×4, first 2 shown]
	s_mov_b32 s2, exec_lo
	s_waitcnt vmcnt(3) lgkmcnt(3)
	v_fma_f64 v[6:7], v[10:11], v[30:31], v[6:7]
	v_add_nc_u32_e32 v30, 0x80, v54
	s_waitcnt vmcnt(2) lgkmcnt(2)
	s_delay_alu instid0(VALU_DEP_2) | instskip(SKIP_1) | instid1(VALU_DEP_1)
	v_fma_f64 v[6:7], v[12:13], v[32:33], v[6:7]
	s_waitcnt vmcnt(1) lgkmcnt(1)
	v_fma_f64 v[6:7], v[16:17], v[34:35], v[6:7]
	v_cmpx_gt_i32_e64 s8, v30
	s_cbranch_execz .LBB242_43
; %bb.40:
	s_clause 0x3
	flat_load_b64 v[32:33], v[18:19] offset:1024
	flat_load_b64 v[34:35], v[20:21] offset:1024
	;; [unrolled: 1-line block ×4, first 2 shown]
	s_mov_b32 s3, exec_lo
	s_waitcnt vmcnt(3) lgkmcnt(3)
	v_fma_f64 v[4:5], v[10:11], v[32:33], v[4:5]
	v_add_nc_u32_e32 v32, 0xc0, v54
	s_waitcnt vmcnt(2) lgkmcnt(2)
	s_delay_alu instid0(VALU_DEP_2) | instskip(SKIP_1) | instid1(VALU_DEP_1)
	v_fma_f64 v[4:5], v[12:13], v[34:35], v[4:5]
	s_waitcnt vmcnt(1) lgkmcnt(1)
	v_fma_f64 v[4:5], v[16:17], v[36:37], v[4:5]
	v_cmpx_gt_i32_e64 s8, v32
	s_cbranch_execz .LBB242_42
; %bb.41:
	s_clause 0x3
	flat_load_b64 v[18:19], v[18:19] offset:1536
	flat_load_b64 v[20:21], v[20:21] offset:1536
	;; [unrolled: 1-line block ×4, first 2 shown]
	s_waitcnt vmcnt(3) lgkmcnt(3)
	v_fma_f64 v[2:3], v[10:11], v[18:19], v[2:3]
	s_waitcnt vmcnt(2) lgkmcnt(2)
	s_delay_alu instid0(VALU_DEP_1) | instskip(SKIP_1) | instid1(VALU_DEP_1)
	v_fma_f64 v[2:3], v[12:13], v[20:21], v[2:3]
	s_waitcnt vmcnt(1) lgkmcnt(1)
	v_fma_f64 v[2:3], v[16:17], v[24:25], v[2:3]
	s_waitcnt vmcnt(0) lgkmcnt(0)
	s_delay_alu instid0(VALU_DEP_1)
	v_fma_f64 v[2:3], v[14:15], v[26:27], v[2:3]
.LBB242_42:
	s_or_b32 exec_lo, exec_lo, s3
	s_waitcnt vmcnt(0) lgkmcnt(0)
	s_delay_alu instid0(VALU_DEP_2)
	v_fma_f64 v[4:5], v[14:15], v[30:31], v[4:5]
.LBB242_43:
	s_or_b32 exec_lo, exec_lo, s2
	s_waitcnt vmcnt(0) lgkmcnt(0)
	s_delay_alu instid0(VALU_DEP_2)
	v_fma_f64 v[6:7], v[14:15], v[28:29], v[6:7]
.LBB242_44:
	s_or_b32 exec_lo, exec_lo, s0
	s_waitcnt vmcnt(0) lgkmcnt(0)
	s_delay_alu instid0(VALU_DEP_2)
	v_fma_f64 v[8:9], v[14:15], v[22:23], v[8:9]
.LBB242_45:
	s_or_b32 exec_lo, exec_lo, s1
.LBB242_46:
	v_lshlrev_b32_e32 v0, 8, v0
	s_mov_b32 s0, exec_lo
	s_delay_alu instid0(VALU_DEP_1)
	v_add_lshl_u32 v0, v0, v1, 3
	ds_store_2addr_stride64_b64 v0, v[8:9], v[6:7] offset1:1
	ds_store_2addr_stride64_b64 v0, v[4:5], v[2:3] offset0:2 offset1:3
	s_waitcnt vmcnt(0) lgkmcnt(0)
	s_barrier
	buffer_gl0_inv
                                        ; implicit-def: $vgpr4_vgpr5
                                        ; implicit-def: $vgpr2_vgpr3
	v_cmpx_gt_u32_e32 0x100, v53
	s_cbranch_execz .LBB242_52
; %bb.47:
	v_lshlrev_b32_e32 v7, 3, v53
	v_or_b32_e32 v6, s14, v53
	s_mov_b32 s2, s19
	s_mov_b32 s1, exec_lo
	ds_load_2addr_stride64_b64 v[0:3], v7 offset1:4
	s_waitcnt lgkmcnt(0)
	v_add_f64 v[4:5], v[0:1], v[2:3]
	ds_load_2addr_stride64_b64 v[0:3], v7 offset0:8 offset1:12
	s_waitcnt lgkmcnt(0)
	v_add_f64 v[0:1], v[0:1], v[4:5]
                                        ; implicit-def: $vgpr4_vgpr5
	s_delay_alu instid0(VALU_DEP_1)
	v_add_f64 v[0:1], v[2:3], v[0:1]
                                        ; implicit-def: $vgpr2_vgpr3
	ds_store_b64 v7, v[0:1]
	v_cmpx_gt_i32_e64 s8, v6
	s_cbranch_execz .LBB242_51
; %bb.48:
	v_cmp_eq_f64_e64 s2, s[4:5], 0
	v_mul_f64 v[4:5], s[6:7], v[0:1]
	v_mul_lo_u32 v2, v6, s18
	s_delay_alu instid0(VALU_DEP_1) | instskip(NEXT) | instid1(VALU_DEP_4)
	v_ashrrev_i32_e32 v3, 31, v2
	s_and_b32 vcc_lo, exec_lo, s2
	s_cbranch_vccnz .LBB242_50
; %bb.49:
	s_delay_alu instid0(VALU_DEP_1) | instskip(NEXT) | instid1(VALU_DEP_1)
	v_lshlrev_b64 v[0:1], 3, v[2:3]
	v_add_co_u32 v0, vcc_lo, s11, v0
	s_delay_alu instid0(VALU_DEP_2)
	v_add_co_ci_u32_e32 v1, vcc_lo, s15, v1, vcc_lo
	global_load_b64 v[0:1], v[0:1], off
	s_waitcnt vmcnt(0)
	v_fma_f64 v[4:5], s[4:5], v[0:1], v[4:5]
.LBB242_50:
	s_or_b32 s2, s19, exec_lo
.LBB242_51:
	s_or_b32 exec_lo, exec_lo, s1
	s_delay_alu instid0(SALU_CYCLE_1) | instskip(SKIP_1) | instid1(SALU_CYCLE_1)
	s_and_not1_b32 s1, s19, exec_lo
	s_and_b32 s2, s2, exec_lo
	s_or_b32 s19, s1, s2
.LBB242_52:
	s_or_b32 exec_lo, exec_lo, s0
.LBB242_53:
	s_and_saveexec_b32 s0, s19
	s_cbranch_execz .LBB242_55
; %bb.54:
	v_lshlrev_b64 v[0:1], 3, v[2:3]
	s_delay_alu instid0(VALU_DEP_1) | instskip(NEXT) | instid1(VALU_DEP_2)
	v_add_co_u32 v0, vcc_lo, s11, v0
	v_add_co_ci_u32_e32 v1, vcc_lo, s15, v1, vcc_lo
	global_store_b64 v[0:1], v[4:5], off
.LBB242_55:
	s_nop 0
	s_sendmsg sendmsg(MSG_DEALLOC_VGPRS)
	s_endpgm
	.section	.rodata,"a",@progbits
	.p2align	6, 0x0
	.amdhsa_kernel _ZL20rocblas_gemvn_kernelILi64ELi4EiPKdS1_KPdEviiT3_lPKT2_lT1_lS7_lS8_lS4_lPT4_lS8_li
		.amdhsa_group_segment_fixed_size 8192
		.amdhsa_private_segment_fixed_size 0
		.amdhsa_kernarg_size 400
		.amdhsa_user_sgpr_count 14
		.amdhsa_user_sgpr_dispatch_ptr 0
		.amdhsa_user_sgpr_queue_ptr 0
		.amdhsa_user_sgpr_kernarg_segment_ptr 1
		.amdhsa_user_sgpr_dispatch_id 0
		.amdhsa_user_sgpr_private_segment_size 0
		.amdhsa_wavefront_size32 1
		.amdhsa_uses_dynamic_stack 0
		.amdhsa_enable_private_segment 0
		.amdhsa_system_sgpr_workgroup_id_x 1
		.amdhsa_system_sgpr_workgroup_id_y 0
		.amdhsa_system_sgpr_workgroup_id_z 1
		.amdhsa_system_sgpr_workgroup_info 0
		.amdhsa_system_vgpr_workitem_id 1
		.amdhsa_next_free_vgpr 61
		.amdhsa_next_free_sgpr 30
		.amdhsa_reserve_vcc 1
		.amdhsa_float_round_mode_32 0
		.amdhsa_float_round_mode_16_64 0
		.amdhsa_float_denorm_mode_32 3
		.amdhsa_float_denorm_mode_16_64 3
		.amdhsa_dx10_clamp 1
		.amdhsa_ieee_mode 1
		.amdhsa_fp16_overflow 0
		.amdhsa_workgroup_processor_mode 1
		.amdhsa_memory_ordered 1
		.amdhsa_forward_progress 0
		.amdhsa_shared_vgpr_count 0
		.amdhsa_exception_fp_ieee_invalid_op 0
		.amdhsa_exception_fp_denorm_src 0
		.amdhsa_exception_fp_ieee_div_zero 0
		.amdhsa_exception_fp_ieee_overflow 0
		.amdhsa_exception_fp_ieee_underflow 0
		.amdhsa_exception_fp_ieee_inexact 0
		.amdhsa_exception_int_div_zero 0
	.end_amdhsa_kernel
	.section	.text._ZL20rocblas_gemvn_kernelILi64ELi4EiPKdS1_KPdEviiT3_lPKT2_lT1_lS7_lS8_lS4_lPT4_lS8_li,"axG",@progbits,_ZL20rocblas_gemvn_kernelILi64ELi4EiPKdS1_KPdEviiT3_lPKT2_lT1_lS7_lS8_lS4_lPT4_lS8_li,comdat
.Lfunc_end242:
	.size	_ZL20rocblas_gemvn_kernelILi64ELi4EiPKdS1_KPdEviiT3_lPKT2_lT1_lS7_lS8_lS4_lPT4_lS8_li, .Lfunc_end242-_ZL20rocblas_gemvn_kernelILi64ELi4EiPKdS1_KPdEviiT3_lPKT2_lT1_lS7_lS8_lS4_lPT4_lS8_li
                                        ; -- End function
	.section	.AMDGPU.csdata,"",@progbits
; Kernel info:
; codeLenInByte = 3180
; NumSgprs: 32
; NumVgprs: 61
; ScratchSize: 0
; MemoryBound: 0
; FloatMode: 240
; IeeeMode: 1
; LDSByteSize: 8192 bytes/workgroup (compile time only)
; SGPRBlocks: 3
; VGPRBlocks: 7
; NumSGPRsForWavesPerEU: 32
; NumVGPRsForWavesPerEU: 61
; Occupancy: 16
; WaveLimiterHint : 1
; COMPUTE_PGM_RSRC2:SCRATCH_EN: 0
; COMPUTE_PGM_RSRC2:USER_SGPR: 14
; COMPUTE_PGM_RSRC2:TRAP_HANDLER: 0
; COMPUTE_PGM_RSRC2:TGID_X_EN: 1
; COMPUTE_PGM_RSRC2:TGID_Y_EN: 0
; COMPUTE_PGM_RSRC2:TGID_Z_EN: 1
; COMPUTE_PGM_RSRC2:TIDIG_COMP_CNT: 1
	.section	.text._ZL20rocblas_gemvn_kernelILi64ELi4ElPKdS1_KPdEviiT3_lPKT2_lT1_lS7_lS8_lS4_lPT4_lS8_li,"axG",@progbits,_ZL20rocblas_gemvn_kernelILi64ELi4ElPKdS1_KPdEviiT3_lPKT2_lT1_lS7_lS8_lS4_lPT4_lS8_li,comdat
	.globl	_ZL20rocblas_gemvn_kernelILi64ELi4ElPKdS1_KPdEviiT3_lPKT2_lT1_lS7_lS8_lS4_lPT4_lS8_li ; -- Begin function _ZL20rocblas_gemvn_kernelILi64ELi4ElPKdS1_KPdEviiT3_lPKT2_lT1_lS7_lS8_lS4_lPT4_lS8_li
	.p2align	8
	.type	_ZL20rocblas_gemvn_kernelILi64ELi4ElPKdS1_KPdEviiT3_lPKT2_lT1_lS7_lS8_lS4_lPT4_lS8_li,@function
_ZL20rocblas_gemvn_kernelILi64ELi4ElPKdS1_KPdEviiT3_lPKT2_lT1_lS7_lS8_lS4_lPT4_lS8_li: ; @_ZL20rocblas_gemvn_kernelILi64ELi4ElPKdS1_KPdEviiT3_lPKT2_lT1_lS7_lS8_lS4_lPT4_lS8_li
; %bb.0:
	s_load_b64 s[4:5], s[0:1], 0x9c
	s_waitcnt lgkmcnt(0)
	s_lshr_b32 s3, s4, 16
	s_and_b32 s4, s4, 0xffff
	s_and_b32 s5, s5, 0xffff
	s_mul_i32 s3, s3, s4
	s_delay_alu instid0(SALU_CYCLE_1) | instskip(NEXT) | instid1(SALU_CYCLE_1)
	s_mul_i32 s3, s3, s5
	s_cmpk_lg_i32 s3, 0x100
	s_cbranch_scc1 .LBB243_55
; %bb.1:
	s_clause 0x1
	s_load_b256 s[16:23], s[0:1], 0x8
	s_load_b256 s[4:11], s[0:1], 0x58
	s_mov_b32 s2, s15
	s_mov_b64 s[24:25], 0
	s_waitcnt lgkmcnt(0)
	s_mul_i32 s3, s15, s19
	s_mul_hi_u32 s13, s15, s18
	s_mul_i32 s12, s15, s18
	s_add_i32 s13, s13, s3
	s_mul_i32 s3, s15, s7
	s_lshl_b64 s[12:13], s[12:13], 3
	s_mul_hi_u32 s7, s15, s6
	s_add_u32 s12, s16, s12
	s_addc_u32 s13, s17, s13
	s_add_i32 s7, s7, s3
	s_mul_i32 s6, s15, s6
	s_delay_alu instid0(SALU_CYCLE_1) | instskip(NEXT) | instid1(SALU_CYCLE_1)
	s_lshl_b64 s[6:7], s[6:7], 3
	s_add_u32 s4, s4, s6
	s_addc_u32 s5, s5, s7
	s_load_b64 s[16:17], s[12:13], 0x0
	s_load_b64 s[12:13], s[4:5], 0x0
	s_waitcnt lgkmcnt(0)
	v_cmp_eq_f64_e64 s15, s[16:17], 0
	v_cmp_eq_f64_e64 s3, s[12:13], 1.0
	s_delay_alu instid0(VALU_DEP_1) | instskip(NEXT) | instid1(SALU_CYCLE_1)
	s_and_b32 s3, s15, s3
	s_and_b32 vcc_lo, exec_lo, s3
	s_cbranch_vccnz .LBB243_55
; %bb.2:
	v_cmp_neq_f64_e64 s28, s[16:17], 0
	s_clause 0x1
	s_load_b64 s[26:27], s[0:1], 0x28
	s_load_b64 s[18:19], s[0:1], 0x78
	s_and_b32 vcc_lo, exec_lo, s15
	s_mov_b32 s3, 0
	s_cbranch_vccnz .LBB243_4
; %bb.3:
	s_lshl_b64 s[4:5], s[2:3], 3
	s_delay_alu instid0(SALU_CYCLE_1)
	s_add_u32 s4, s20, s4
	s_addc_u32 s5, s21, s5
	s_lshl_b64 s[6:7], s[22:23], 3
	s_load_b64 s[4:5], s[4:5], 0x0
	s_waitcnt lgkmcnt(0)
	s_add_u32 s24, s4, s6
	s_addc_u32 s25, s5, s7
.LBB243_4:
	s_clause 0x1
	s_load_b128 s[4:7], s[0:1], 0x38
	s_load_b64 s[20:21], s[0:1], 0x48
	s_delay_alu instid0(VALU_DEP_1)
	s_and_not1_b32 vcc_lo, exec_lo, s28
	s_cbranch_vccnz .LBB243_6
; %bb.5:
	s_lshl_b64 s[22:23], s[2:3], 3
	s_waitcnt lgkmcnt(0)
	s_add_u32 s4, s4, s22
	s_addc_u32 s5, s5, s23
	s_lshl_b64 s[6:7], s[6:7], 3
	s_load_b64 s[4:5], s[4:5], 0x0
	s_waitcnt lgkmcnt(0)
	s_add_u32 s22, s4, s6
	s_addc_u32 s23, s5, s7
	s_branch .LBB243_7
.LBB243_6:
	s_mov_b64 s[22:23], 0
.LBB243_7:
	s_lshl_b64 s[2:3], s[2:3], 3
	v_and_b32_e32 v61, 0x3ff, v0
	s_add_u32 s2, s8, s2
	s_addc_u32 s3, s9, s3
	v_bfe_u32 v62, v0, 10, 10
	s_load_b64 s[2:3], s[2:3], 0x0
	s_waitcnt lgkmcnt(0)
	s_load_b64 s[6:7], s[0:1], 0x0
	s_lshl_b64 s[8:9], s[10:11], 3
	v_lshl_add_u32 v60, v62, 6, v61
	s_delay_alu instid0(VALU_DEP_1)
	v_cmp_gt_u32_e64 s0, 0x100, v60
	s_add_u32 s5, s2, s8
	s_addc_u32 s28, s3, s9
	s_and_not1_b32 vcc_lo, exec_lo, s15
	s_cbranch_vccnz .LBB243_14
; %bb.8:
	s_mov_b32 s1, 0
	s_mov_b32 s29, 0
                                        ; implicit-def: $vgpr2_vgpr3
                                        ; implicit-def: $vgpr0_vgpr1
	s_and_saveexec_b32 s2, s0
	s_cbranch_execz .LBB243_15
; %bb.9:
	v_lshl_or_b32 v4, s14, 8, v60
	v_mov_b32_e32 v5, 0
	s_waitcnt lgkmcnt(0)
	s_ashr_i32 s9, s6, 31
	s_mov_b32 s8, s6
	s_mov_b32 s3, 0
	s_mov_b32 s0, exec_lo
                                        ; implicit-def: $vgpr2_vgpr3
                                        ; implicit-def: $vgpr0_vgpr1
	v_cmpx_gt_i64_e64 s[8:9], v[4:5]
	s_cbranch_execz .LBB243_13
; %bb.10:
	v_cmp_eq_f64_e64 s3, s[12:13], 0
	v_mad_u64_u32 v[0:1], null, v4, s18, 0
	s_delay_alu instid0(VALU_DEP_1) | instskip(NEXT) | instid1(VALU_DEP_1)
	v_mad_u64_u32 v[2:3], null, v4, s19, v[1:2]
	v_dual_mov_b32 v1, v2 :: v_dual_mov_b32 v2, 0
	v_mov_b32_e32 v3, 0
	s_and_b32 vcc_lo, exec_lo, s3
	s_cbranch_vccnz .LBB243_12
; %bb.11:
	s_delay_alu instid0(VALU_DEP_2) | instskip(NEXT) | instid1(VALU_DEP_1)
	v_lshlrev_b64 v[2:3], 3, v[0:1]
	v_add_co_u32 v2, vcc_lo, s5, v2
	s_delay_alu instid0(VALU_DEP_2)
	v_add_co_ci_u32_e32 v3, vcc_lo, s28, v3, vcc_lo
	global_load_b64 v[2:3], v[2:3], off
	s_waitcnt vmcnt(0)
	v_mul_f64 v[2:3], s[12:13], v[2:3]
.LBB243_12:
	s_mov_b32 s3, exec_lo
.LBB243_13:
	s_or_b32 exec_lo, exec_lo, s0
	s_delay_alu instid0(SALU_CYCLE_1) | instskip(SKIP_1) | instid1(SALU_CYCLE_1)
	s_and_b32 s29, s3, exec_lo
	s_or_b32 exec_lo, exec_lo, s2
	s_and_b32 vcc_lo, exec_lo, s1
	s_cbranch_vccnz .LBB243_16
	s_branch .LBB243_53
.LBB243_14:
	s_mov_b32 s29, 0
                                        ; implicit-def: $vgpr2_vgpr3
                                        ; implicit-def: $vgpr0_vgpr1
	s_cbranch_execnz .LBB243_16
	s_branch .LBB243_53
.LBB243_15:
	s_or_b32 exec_lo, exec_lo, s2
	s_delay_alu instid0(SALU_CYCLE_1)
	s_and_b32 vcc_lo, exec_lo, s1
	s_cbranch_vccz .LBB243_53
.LBB243_16:
	v_dual_mov_b32 v8, 0 :: v_dual_lshlrev_b32 v63, 2, v62
	s_lshl_b32 s30, s14, 8
	s_delay_alu instid0(SALU_CYCLE_1)
	v_dual_mov_b32 v9, 0 :: v_dual_add_nc_u32 v0, s30, v61
	s_waitcnt lgkmcnt(0)
	s_ashr_i32 s0, s7, 31
	v_mov_b32_e32 v6, v8
	s_lshr_b32 s0, s0, 28
	v_dual_mov_b32 v7, v9 :: v_dual_mov_b32 v4, v8
	v_dual_mov_b32 v5, v9 :: v_dual_mov_b32 v2, v8
	v_mov_b32_e32 v3, v9
	s_add_i32 s0, s7, s0
	s_mov_b32 s33, exec_lo
	s_and_b32 s31, s0, -16
	s_delay_alu instid0(SALU_CYCLE_1)
	v_cmpx_gt_i32_e64 s31, v63
	s_cbranch_execz .LBB243_28
; %bb.17:
	v_lshlrev_b32_e32 v25, 2, v62
	v_mad_u64_u32 v[4:5], null, s20, v62, 0
	v_mad_u64_u32 v[6:7], null, s26, v62, 0
	s_delay_alu instid0(VALU_DEP_3)
	v_or_b32_e32 v22, 3, v25
	v_ashrrev_i32_e32 v1, 31, v0
	v_add_nc_u32_e32 v8, 64, v0
	v_add_nc_u32_e32 v10, 0xc0, v0
	v_or_b32_e32 v26, 2, v25
	v_mad_u64_u32 v[2:3], null, s26, v22, 0
	v_mad_u64_u32 v[16:17], null, s20, v22, 0
	v_add_nc_u32_e32 v9, 0x80, v0
	v_cmp_gt_i32_e64 s2, s6, v10
	v_lshlrev_b64 v[10:11], 3, v[0:1]
	v_mov_b32_e32 v1, v7
	v_cmp_gt_i32_e64 s0, s6, v8
	v_cmp_gt_i32_e64 s1, s6, v9
	v_mad_u64_u32 v[8:9], null, s27, v22, v[3:4]
	v_mad_u64_u32 v[12:13], null, s21, v62, v[5:6]
	;; [unrolled: 1-line block ×4, first 2 shown]
	s_delay_alu instid0(VALU_DEP_4)
	v_mov_b32_e32 v3, v8
	v_cmp_gt_i32_e32 vcc_lo, s6, v0
	v_mov_b32_e32 v5, v12
	s_lshl_b64 s[8:9], s[26:27], 7
	v_mov_b32_e32 v7, v13
	v_lshlrev_b64 v[1:2], 3, v[2:3]
	s_lshl_b64 s[10:11], s[20:21], 7
	v_lshlrev_b64 v[12:13], 5, v[4:5]
	s_mov_b32 s34, 0
	s_mov_b64 s[14:15], s[22:23]
	s_delay_alu instid0(VALU_DEP_2) | instskip(NEXT) | instid1(VALU_DEP_1)
	v_add_co_u32 v1, s3, s24, v1
	v_add_co_ci_u32_e64 v64, s3, s25, v2, s3
	v_mov_b32_e32 v2, v15
	v_mad_u64_u32 v[8:9], null, s20, v25, s[20:21]
	v_mad_u64_u32 v[4:5], null, s26, v25, s[26:27]
	s_delay_alu instid0(VALU_DEP_2) | instskip(NEXT) | instid1(VALU_DEP_1)
	v_mov_b32_e32 v3, v9
	v_mad_u64_u32 v[18:19], null, s27, v26, v[2:3]
	v_mov_b32_e32 v2, v17
	s_delay_alu instid0(VALU_DEP_4) | instskip(NEXT) | instid1(VALU_DEP_2)
	v_mad_u64_u32 v[19:20], null, s21, v25, v[3:4]
	v_mad_u64_u32 v[20:21], null, s21, v22, v[2:3]
	;; [unrolled: 1-line block ×3, first 2 shown]
	v_dual_mov_b32 v2, v5 :: v_dual_mov_b32 v15, v18
	s_delay_alu instid0(VALU_DEP_4) | instskip(NEXT) | instid1(VALU_DEP_4)
	v_mov_b32_e32 v9, v19
	v_mov_b32_e32 v17, v20
	s_delay_alu instid0(VALU_DEP_3) | instskip(SKIP_1) | instid1(VALU_DEP_3)
	v_mad_u64_u32 v[23:24], null, s27, v25, v[2:3]
	v_mov_b32_e32 v2, v22
	v_lshlrev_b64 v[16:17], 3, v[16:17]
	s_delay_alu instid0(VALU_DEP_2) | instskip(NEXT) | instid1(VALU_DEP_1)
	v_mad_u64_u32 v[18:19], null, s21, v26, v[2:3]
	v_mov_b32_e32 v22, v18
	v_lshlrev_b64 v[6:7], 5, v[6:7]
	s_delay_alu instid0(VALU_DEP_2) | instskip(NEXT) | instid1(VALU_DEP_2)
	v_lshlrev_b64 v[18:19], 3, v[21:22]
	v_add_co_u32 v65, s3, s24, v6
	s_delay_alu instid0(VALU_DEP_1)
	v_add_co_ci_u32_e64 v66, s3, s25, v7, s3
	v_lshlrev_b64 v[6:7], 3, v[14:15]
	v_lshlrev_b64 v[14:15], 3, v[8:9]
	v_mov_b32_e32 v8, 0
	v_mov_b32_e32 v9, 0
	;; [unrolled: 1-line block ×3, first 2 shown]
	v_add_co_u32 v67, s3, s24, v6
	s_delay_alu instid0(VALU_DEP_1) | instskip(SKIP_1) | instid1(VALU_DEP_4)
	v_add_co_ci_u32_e64 v68, s3, s25, v7, s3
	v_mov_b32_e32 v6, v8
	v_lshlrev_b64 v[2:3], 3, v[4:5]
	v_dual_mov_b32 v7, v9 :: v_dual_mov_b32 v4, v8
	v_mov_b32_e32 v5, v9
	s_delay_alu instid0(VALU_DEP_3) | instskip(NEXT) | instid1(VALU_DEP_1)
	v_add_co_u32 v69, s3, s24, v2
	v_add_co_ci_u32_e64 v70, s3, s25, v3, s3
	v_dual_mov_b32 v2, v8 :: v_dual_mov_b32 v3, v9
	s_branch .LBB243_22
.LBB243_18:                             ;   in Loop: Header=BB243_22 Depth=1
	s_or_b32 exec_lo, exec_lo, s36
	s_waitcnt vmcnt(3) lgkmcnt(3)
	v_fma_f64 v[4:5], v[20:21], v[52:53], v[4:5]
	s_waitcnt vmcnt(2) lgkmcnt(2)
	s_delay_alu instid0(VALU_DEP_1) | instskip(SKIP_1) | instid1(VALU_DEP_1)
	v_fma_f64 v[4:5], v[22:23], v[54:55], v[4:5]
	s_waitcnt vmcnt(1) lgkmcnt(1)
	v_fma_f64 v[4:5], v[24:25], v[56:57], v[4:5]
	s_waitcnt vmcnt(0) lgkmcnt(0)
	s_delay_alu instid0(VALU_DEP_1)
	v_fma_f64 v[4:5], v[26:27], v[58:59], v[4:5]
.LBB243_19:                             ;   in Loop: Header=BB243_22 Depth=1
	s_or_b32 exec_lo, exec_lo, s35
	s_waitcnt vmcnt(3) lgkmcnt(3)
	v_fma_f64 v[6:7], v[20:21], v[44:45], v[6:7]
	s_waitcnt vmcnt(2) lgkmcnt(2)
	s_delay_alu instid0(VALU_DEP_1) | instskip(SKIP_1) | instid1(VALU_DEP_1)
	v_fma_f64 v[6:7], v[22:23], v[46:47], v[6:7]
	s_waitcnt vmcnt(1) lgkmcnt(1)
	v_fma_f64 v[6:7], v[24:25], v[48:49], v[6:7]
	s_waitcnt vmcnt(0) lgkmcnt(0)
	s_delay_alu instid0(VALU_DEP_1)
	v_fma_f64 v[6:7], v[26:27], v[50:51], v[6:7]
.LBB243_20:                             ;   in Loop: Header=BB243_22 Depth=1
	s_or_b32 exec_lo, exec_lo, s3
	s_waitcnt vmcnt(3) lgkmcnt(3)
	v_fma_f64 v[8:9], v[20:21], v[28:29], v[8:9]
	s_waitcnt vmcnt(2) lgkmcnt(2)
	s_delay_alu instid0(VALU_DEP_1) | instskip(SKIP_1) | instid1(VALU_DEP_1)
	v_fma_f64 v[8:9], v[22:23], v[30:31], v[8:9]
	s_waitcnt vmcnt(1) lgkmcnt(1)
	v_fma_f64 v[8:9], v[24:25], v[32:33], v[8:9]
	s_waitcnt vmcnt(0) lgkmcnt(0)
	s_delay_alu instid0(VALU_DEP_1)
	v_fma_f64 v[8:9], v[26:27], v[34:35], v[8:9]
.LBB243_21:                             ;   in Loop: Header=BB243_22 Depth=1
	s_or_b32 exec_lo, exec_lo, s4
	v_add_co_u32 v1, s3, v1, s8
	s_delay_alu instid0(VALU_DEP_1) | instskip(SKIP_4) | instid1(VALU_DEP_1)
	v_add_co_ci_u32_e64 v64, s3, s9, v64, s3
	v_add_co_u32 v65, s3, v65, s8
	v_add_nc_u32_e32 v63, 16, v63
	v_add_co_ci_u32_e64 v66, s3, s9, v66, s3
	v_add_co_u32 v67, s3, v67, s8
	v_add_co_ci_u32_e64 v68, s3, s9, v68, s3
	s_delay_alu instid0(VALU_DEP_4) | instskip(SKIP_1) | instid1(VALU_DEP_1)
	v_cmp_le_i32_e64 s3, s31, v63
	v_add_co_u32 v69, s4, v69, s8
	v_add_co_ci_u32_e64 v70, s4, s9, v70, s4
	s_add_u32 s14, s14, s10
	s_addc_u32 s15, s15, s11
	s_or_b32 s34, s3, s34
	s_delay_alu instid0(SALU_CYCLE_1)
	s_and_not1_b32 exec_lo, exec_lo, s34
	s_cbranch_execz .LBB243_27
.LBB243_22:                             ; =>This Inner Loop Header: Depth=1
	s_and_saveexec_b32 s4, vcc_lo
	s_cbranch_execz .LBB243_21
; %bb.23:                               ;   in Loop: Header=BB243_22 Depth=1
	v_add_co_u32 v20, s3, s14, v12
	s_delay_alu instid0(VALU_DEP_1) | instskip(SKIP_1) | instid1(VALU_DEP_1)
	v_add_co_ci_u32_e64 v21, s3, s15, v13, s3
	v_add_co_u32 v22, s3, s14, v14
	v_add_co_ci_u32_e64 v23, s3, s15, v15, s3
	v_add_co_u32 v24, s3, s14, v18
	s_delay_alu instid0(VALU_DEP_1) | instskip(SKIP_1) | instid1(VALU_DEP_1)
	v_add_co_ci_u32_e64 v25, s3, s15, v19, s3
	v_add_co_u32 v26, s3, s14, v16
	v_add_co_ci_u32_e64 v27, s3, s15, v17, s3
	v_add_co_u32 v36, s3, v65, v10
	s_delay_alu instid0(VALU_DEP_1) | instskip(SKIP_1) | instid1(VALU_DEP_1)
	v_add_co_ci_u32_e64 v37, s3, v66, v11, s3
	v_add_co_u32 v38, s3, v69, v10
	v_add_co_ci_u32_e64 v39, s3, v70, v11, s3
	v_add_co_u32 v40, s3, v67, v10
	s_delay_alu instid0(VALU_DEP_1) | instskip(SKIP_1) | instid1(VALU_DEP_1)
	v_add_co_ci_u32_e64 v41, s3, v68, v11, s3
	v_add_co_u32 v42, s3, v1, v10
	v_add_co_ci_u32_e64 v43, s3, v64, v11, s3
	s_clause 0x3
	flat_load_b64 v[20:21], v[20:21]
	flat_load_b64 v[22:23], v[22:23]
	;; [unrolled: 1-line block ×8, first 2 shown]
	s_and_saveexec_b32 s3, s0
	s_cbranch_execz .LBB243_20
; %bb.24:                               ;   in Loop: Header=BB243_22 Depth=1
	flat_load_b64 v[44:45], v[36:37] offset:512
	flat_load_b64 v[46:47], v[38:39] offset:512
	flat_load_b64 v[48:49], v[40:41] offset:512
	flat_load_b64 v[50:51], v[42:43] offset:512
	s_and_saveexec_b32 s35, s1
	s_cbranch_execz .LBB243_19
; %bb.25:                               ;   in Loop: Header=BB243_22 Depth=1
	flat_load_b64 v[52:53], v[36:37] offset:1024
	flat_load_b64 v[54:55], v[38:39] offset:1024
	flat_load_b64 v[56:57], v[40:41] offset:1024
	flat_load_b64 v[58:59], v[42:43] offset:1024
	;; [unrolled: 7-line block ×3, first 2 shown]
	s_waitcnt vmcnt(3) lgkmcnt(3)
	v_fma_f64 v[2:3], v[20:21], v[36:37], v[2:3]
	s_waitcnt vmcnt(2) lgkmcnt(2)
	s_delay_alu instid0(VALU_DEP_1) | instskip(SKIP_1) | instid1(VALU_DEP_1)
	v_fma_f64 v[2:3], v[22:23], v[38:39], v[2:3]
	s_waitcnt vmcnt(1) lgkmcnt(1)
	v_fma_f64 v[2:3], v[24:25], v[40:41], v[2:3]
	s_waitcnt vmcnt(0) lgkmcnt(0)
	s_delay_alu instid0(VALU_DEP_1)
	v_fma_f64 v[2:3], v[26:27], v[42:43], v[2:3]
	s_branch .LBB243_18
.LBB243_27:
	s_or_b32 exec_lo, exec_lo, s34
.LBB243_28:
	s_delay_alu instid0(SALU_CYCLE_1) | instskip(SKIP_1) | instid1(SALU_CYCLE_1)
	s_or_b32 exec_lo, exec_lo, s33
	s_sub_i32 s0, s7, s31
	s_cmp_lt_i32 s0, 1
	s_cbranch_scc1 .LBB243_46
; %bb.29:
	v_mov_b32_e32 v14, 0
	v_mov_b32_e32 v15, 0
	v_cmp_gt_i32_e32 vcc_lo, s7, v63
	v_or_b32_e32 v20, 1, v63
	s_delay_alu instid0(VALU_DEP_4) | instskip(NEXT) | instid1(VALU_DEP_4)
	v_mov_b32_e32 v12, v14
	v_dual_mov_b32 v10, v14 :: v_dual_mov_b32 v11, v15
	v_dual_mov_b32 v17, v15 :: v_dual_mov_b32 v16, v14
	v_mov_b32_e32 v13, v15
	s_and_saveexec_b32 s1, vcc_lo
	s_cbranch_execz .LBB243_37
; %bb.30:
	v_mad_u64_u32 v[10:11], null, v63, s20, 0
	s_mov_b32 s2, exec_lo
	s_delay_alu instid0(VALU_DEP_1) | instskip(NEXT) | instid1(VALU_DEP_1)
	v_mov_b32_e32 v1, v11
	v_mad_u64_u32 v[11:12], null, v63, s21, v[1:2]
	v_mov_b32_e32 v12, 0
	v_mov_b32_e32 v13, 0
	s_delay_alu instid0(VALU_DEP_1) | instskip(NEXT) | instid1(VALU_DEP_4)
	v_dual_mov_b32 v17, v13 :: v_dual_mov_b32 v16, v12
	v_lshlrev_b64 v[10:11], 3, v[10:11]
	v_dual_mov_b32 v15, v13 :: v_dual_mov_b32 v14, v12
	s_delay_alu instid0(VALU_DEP_2) | instskip(NEXT) | instid1(VALU_DEP_1)
	v_add_co_u32 v10, s0, s22, v10
	v_add_co_ci_u32_e64 v11, s0, s23, v11, s0
	flat_load_b64 v[10:11], v[10:11]
	v_cmpx_gt_i32_e64 s7, v20
	s_cbranch_execz .LBB243_36
; %bb.31:
	v_mad_u64_u32 v[12:13], null, v20, s20, 0
	s_mov_b32 s3, exec_lo
	v_mov_b32_e32 v16, 0
	v_mov_b32_e32 v17, 0
	s_delay_alu instid0(VALU_DEP_3) | instskip(NEXT) | instid1(VALU_DEP_1)
	v_mov_b32_e32 v1, v13
	v_mad_u64_u32 v[13:14], null, v20, s21, v[1:2]
	v_or_b32_e32 v1, 2, v63
	s_delay_alu instid0(VALU_DEP_4) | instskip(NEXT) | instid1(VALU_DEP_3)
	v_dual_mov_b32 v14, v16 :: v_dual_mov_b32 v15, v17
	v_lshlrev_b64 v[12:13], 3, v[12:13]
	s_delay_alu instid0(VALU_DEP_1) | instskip(NEXT) | instid1(VALU_DEP_1)
	v_add_co_u32 v12, s0, s22, v12
	v_add_co_ci_u32_e64 v13, s0, s23, v13, s0
	flat_load_b64 v[12:13], v[12:13]
	v_cmpx_gt_i32_e64 s7, v1
	s_cbranch_execz .LBB243_35
; %bb.32:
	v_mad_u64_u32 v[14:15], null, v1, s20, 0
	s_mov_b32 s4, exec_lo
	s_delay_alu instid0(VALU_DEP_1) | instskip(SKIP_1) | instid1(VALU_DEP_2)
	v_mad_u64_u32 v[16:17], null, v1, s21, v[15:16]
	v_or_b32_e32 v1, 3, v63
	v_mov_b32_e32 v15, v16
	s_delay_alu instid0(VALU_DEP_1) | instskip(NEXT) | instid1(VALU_DEP_1)
	v_lshlrev_b64 v[14:15], 3, v[14:15]
	v_add_co_u32 v14, s0, s22, v14
	s_delay_alu instid0(VALU_DEP_1)
	v_add_co_ci_u32_e64 v15, s0, s23, v15, s0
	flat_load_b64 v[16:17], v[14:15]
	v_mov_b32_e32 v14, 0
	v_mov_b32_e32 v15, 0
	v_cmpx_gt_i32_e64 s7, v1
	s_cbranch_execz .LBB243_34
; %bb.33:
	v_mad_u64_u32 v[14:15], null, v1, s20, 0
	s_waitcnt vmcnt(0) lgkmcnt(0)
	s_delay_alu instid0(VALU_DEP_1) | instskip(NEXT) | instid1(VALU_DEP_1)
	v_mad_u64_u32 v[18:19], null, v1, s21, v[15:16]
	v_mov_b32_e32 v15, v18
	s_delay_alu instid0(VALU_DEP_1) | instskip(NEXT) | instid1(VALU_DEP_1)
	v_lshlrev_b64 v[14:15], 3, v[14:15]
	v_add_co_u32 v14, s0, s22, v14
	s_delay_alu instid0(VALU_DEP_1)
	v_add_co_ci_u32_e64 v15, s0, s23, v15, s0
	flat_load_b64 v[14:15], v[14:15]
.LBB243_34:
	s_or_b32 exec_lo, exec_lo, s4
.LBB243_35:
	s_delay_alu instid0(SALU_CYCLE_1)
	s_or_b32 exec_lo, exec_lo, s3
.LBB243_36:
	s_delay_alu instid0(SALU_CYCLE_1)
	s_or_b32 exec_lo, exec_lo, s2
.LBB243_37:
	s_delay_alu instid0(SALU_CYCLE_1) | instskip(NEXT) | instid1(SALU_CYCLE_1)
	s_or_b32 exec_lo, exec_lo, s1
	s_mov_b32 s1, exec_lo
	v_cmpx_gt_i32_e64 s6, v0
	s_cbranch_execz .LBB243_45
; %bb.38:
	v_mad_u64_u32 v[18:19], null, v63, s26, 0
	v_mad_u64_u32 v[24:25], null, v20, s26, 0
	v_or_b32_e32 v27, 2, v63
	v_or_b32_e32 v36, 3, v63
	s_mov_b32 s0, exec_lo
	s_delay_alu instid0(VALU_DEP_4) | instskip(NEXT) | instid1(VALU_DEP_1)
	v_dual_mov_b32 v1, v19 :: v_dual_cndmask_b32 v18, 0, v18
	v_mad_u64_u32 v[21:22], null, v63, s27, v[1:2]
	v_ashrrev_i32_e32 v1, 31, v0
	s_delay_alu instid0(VALU_DEP_1) | instskip(NEXT) | instid1(VALU_DEP_3)
	v_lshlrev_b64 v[22:23], 3, v[0:1]
	v_cndmask_b32_e32 v19, 0, v21, vcc_lo
	s_delay_alu instid0(VALU_DEP_1) | instskip(NEXT) | instid1(VALU_DEP_1)
	v_lshlrev_b64 v[18:19], 3, v[18:19]
	v_add_co_u32 v1, vcc_lo, s24, v18
	s_delay_alu instid0(VALU_DEP_2) | instskip(NEXT) | instid1(VALU_DEP_2)
	v_add_co_ci_u32_e32 v19, vcc_lo, s25, v19, vcc_lo
	v_add_co_u32 v18, vcc_lo, v1, v22
	s_delay_alu instid0(VALU_DEP_2) | instskip(SKIP_4) | instid1(VALU_DEP_1)
	v_add_co_ci_u32_e32 v19, vcc_lo, v19, v23, vcc_lo
	v_mov_b32_e32 v1, v25
	v_cmp_gt_i32_e32 vcc_lo, s7, v20
	flat_load_b64 v[28:29], v[18:19]
	v_mad_u64_u32 v[25:26], null, v20, s27, v[1:2]
	v_dual_cndmask_b32 v20, 0, v24 :: v_dual_cndmask_b32 v21, 0, v25
	v_mad_u64_u32 v[24:25], null, v27, s26, 0
	s_delay_alu instid0(VALU_DEP_2) | instskip(NEXT) | instid1(VALU_DEP_1)
	v_lshlrev_b64 v[20:21], 3, v[20:21]
	v_add_co_u32 v1, vcc_lo, s24, v20
	s_delay_alu instid0(VALU_DEP_2) | instskip(NEXT) | instid1(VALU_DEP_2)
	v_add_co_ci_u32_e32 v21, vcc_lo, s25, v21, vcc_lo
	v_add_co_u32 v20, vcc_lo, v1, v22
	s_delay_alu instid0(VALU_DEP_2)
	v_add_co_ci_u32_e32 v21, vcc_lo, v21, v23, vcc_lo
	v_mov_b32_e32 v1, v25
	v_cmp_gt_i32_e32 vcc_lo, s7, v27
	flat_load_b64 v[30:31], v[20:21]
	v_mad_u64_u32 v[25:26], null, v27, s27, v[1:2]
	v_cndmask_b32_e32 v24, 0, v24, vcc_lo
	v_mad_u64_u32 v[26:27], null, v36, s26, 0
	s_delay_alu instid0(VALU_DEP_3) | instskip(NEXT) | instid1(VALU_DEP_1)
	v_cndmask_b32_e32 v25, 0, v25, vcc_lo
	v_lshlrev_b64 v[24:25], 3, v[24:25]
	s_delay_alu instid0(VALU_DEP_1) | instskip(NEXT) | instid1(VALU_DEP_2)
	v_add_co_u32 v1, vcc_lo, s24, v24
	v_add_co_ci_u32_e32 v25, vcc_lo, s25, v25, vcc_lo
	s_delay_alu instid0(VALU_DEP_2) | instskip(NEXT) | instid1(VALU_DEP_2)
	v_add_co_u32 v24, vcc_lo, v1, v22
	v_add_co_ci_u32_e32 v25, vcc_lo, v25, v23, vcc_lo
	v_mov_b32_e32 v1, v27
	v_cmp_gt_i32_e32 vcc_lo, s7, v36
	flat_load_b64 v[32:33], v[24:25]
	v_mad_u64_u32 v[34:35], null, v36, s27, v[1:2]
	v_cndmask_b32_e32 v26, 0, v26, vcc_lo
	s_delay_alu instid0(VALU_DEP_2) | instskip(NEXT) | instid1(VALU_DEP_1)
	v_cndmask_b32_e32 v27, 0, v34, vcc_lo
	v_lshlrev_b64 v[26:27], 3, v[26:27]
	s_delay_alu instid0(VALU_DEP_1) | instskip(NEXT) | instid1(VALU_DEP_2)
	v_add_co_u32 v1, vcc_lo, s24, v26
	v_add_co_ci_u32_e32 v27, vcc_lo, s25, v27, vcc_lo
	s_delay_alu instid0(VALU_DEP_2) | instskip(NEXT) | instid1(VALU_DEP_2)
	v_add_co_u32 v26, vcc_lo, v1, v22
	v_add_co_ci_u32_e32 v27, vcc_lo, v27, v23, vcc_lo
	v_add_nc_u32_e32 v1, 64, v0
	flat_load_b64 v[22:23], v[26:27]
	s_waitcnt vmcnt(3) lgkmcnt(3)
	v_fma_f64 v[8:9], v[10:11], v[28:29], v[8:9]
	s_waitcnt vmcnt(2) lgkmcnt(2)
	s_delay_alu instid0(VALU_DEP_1) | instskip(SKIP_1) | instid1(VALU_DEP_1)
	v_fma_f64 v[8:9], v[12:13], v[30:31], v[8:9]
	s_waitcnt vmcnt(1) lgkmcnt(1)
	v_fma_f64 v[8:9], v[16:17], v[32:33], v[8:9]
	v_cmpx_gt_i32_e64 s6, v1
	s_cbranch_execz .LBB243_44
; %bb.39:
	s_clause 0x3
	flat_load_b64 v[30:31], v[18:19] offset:512
	flat_load_b64 v[32:33], v[20:21] offset:512
	;; [unrolled: 1-line block ×4, first 2 shown]
	v_add_nc_u32_e32 v1, 0x80, v0
	s_mov_b32 s2, exec_lo
	s_waitcnt vmcnt(3) lgkmcnt(3)
	v_fma_f64 v[6:7], v[10:11], v[30:31], v[6:7]
	s_waitcnt vmcnt(2) lgkmcnt(2)
	s_delay_alu instid0(VALU_DEP_1) | instskip(SKIP_1) | instid1(VALU_DEP_1)
	v_fma_f64 v[6:7], v[12:13], v[32:33], v[6:7]
	s_waitcnt vmcnt(1) lgkmcnt(1)
	v_fma_f64 v[6:7], v[16:17], v[34:35], v[6:7]
	v_cmpx_gt_i32_e64 s6, v1
	s_cbranch_execz .LBB243_43
; %bb.40:
	s_clause 0x3
	flat_load_b64 v[32:33], v[18:19] offset:1024
	flat_load_b64 v[34:35], v[20:21] offset:1024
	flat_load_b64 v[36:37], v[24:25] offset:1024
	flat_load_b64 v[30:31], v[26:27] offset:1024
	v_add_nc_u32_e32 v0, 0xc0, v0
	s_mov_b32 s3, exec_lo
	s_waitcnt vmcnt(3) lgkmcnt(3)
	v_fma_f64 v[4:5], v[10:11], v[32:33], v[4:5]
	s_waitcnt vmcnt(2) lgkmcnt(2)
	s_delay_alu instid0(VALU_DEP_1) | instskip(SKIP_1) | instid1(VALU_DEP_1)
	v_fma_f64 v[4:5], v[12:13], v[34:35], v[4:5]
	s_waitcnt vmcnt(1) lgkmcnt(1)
	v_fma_f64 v[4:5], v[16:17], v[36:37], v[4:5]
	v_cmpx_gt_i32_e64 s6, v0
	s_cbranch_execz .LBB243_42
; %bb.41:
	s_clause 0x3
	flat_load_b64 v[0:1], v[18:19] offset:1536
	flat_load_b64 v[18:19], v[20:21] offset:1536
	;; [unrolled: 1-line block ×4, first 2 shown]
	s_waitcnt vmcnt(3) lgkmcnt(3)
	v_fma_f64 v[0:1], v[10:11], v[0:1], v[2:3]
	s_waitcnt vmcnt(2) lgkmcnt(2)
	s_delay_alu instid0(VALU_DEP_1) | instskip(SKIP_1) | instid1(VALU_DEP_1)
	v_fma_f64 v[0:1], v[12:13], v[18:19], v[0:1]
	s_waitcnt vmcnt(1) lgkmcnt(1)
	v_fma_f64 v[0:1], v[16:17], v[20:21], v[0:1]
	s_waitcnt vmcnt(0) lgkmcnt(0)
	s_delay_alu instid0(VALU_DEP_1)
	v_fma_f64 v[2:3], v[14:15], v[24:25], v[0:1]
.LBB243_42:
	s_or_b32 exec_lo, exec_lo, s3
	s_waitcnt vmcnt(0) lgkmcnt(0)
	s_delay_alu instid0(VALU_DEP_2)
	v_fma_f64 v[4:5], v[14:15], v[30:31], v[4:5]
.LBB243_43:
	s_or_b32 exec_lo, exec_lo, s2
	s_waitcnt vmcnt(0) lgkmcnt(0)
	s_delay_alu instid0(VALU_DEP_2)
	v_fma_f64 v[6:7], v[14:15], v[28:29], v[6:7]
.LBB243_44:
	s_or_b32 exec_lo, exec_lo, s0
	s_waitcnt vmcnt(0) lgkmcnt(0)
	s_delay_alu instid0(VALU_DEP_2)
	v_fma_f64 v[8:9], v[14:15], v[22:23], v[8:9]
.LBB243_45:
	s_or_b32 exec_lo, exec_lo, s1
.LBB243_46:
	v_lshlrev_b32_e32 v0, 8, v62
	s_mov_b32 s0, exec_lo
	s_delay_alu instid0(VALU_DEP_1)
	v_add_lshl_u32 v0, v0, v61, 3
	ds_store_2addr_stride64_b64 v0, v[8:9], v[6:7] offset1:1
	ds_store_2addr_stride64_b64 v0, v[4:5], v[2:3] offset0:2 offset1:3
	s_waitcnt vmcnt(0) lgkmcnt(0)
	s_barrier
	buffer_gl0_inv
                                        ; implicit-def: $vgpr2_vgpr3
                                        ; implicit-def: $vgpr0_vgpr1
	v_cmpx_gt_u32_e32 0x100, v60
	s_cbranch_execz .LBB243_52
; %bb.47:
	v_lshlrev_b32_e32 v7, 3, v60
	v_or_b32_e32 v6, s30, v60
	s_mov_b32 s2, s29
	s_mov_b32 s1, exec_lo
	ds_load_2addr_stride64_b64 v[0:3], v7 offset1:4
	s_waitcnt lgkmcnt(0)
	v_add_f64 v[4:5], v[0:1], v[2:3]
	ds_load_2addr_stride64_b64 v[0:3], v7 offset0:8 offset1:12
	s_waitcnt lgkmcnt(0)
	v_add_f64 v[0:1], v[0:1], v[4:5]
	s_delay_alu instid0(VALU_DEP_1)
	v_add_f64 v[4:5], v[2:3], v[0:1]
                                        ; implicit-def: $vgpr2_vgpr3
                                        ; implicit-def: $vgpr0_vgpr1
	ds_store_b64 v7, v[4:5]
	v_cmpx_gt_i32_e64 s6, v6
	s_cbranch_execz .LBB243_51
; %bb.48:
	v_cmp_eq_f64_e64 s2, s[12:13], 0
	v_mul_f64 v[2:3], s[16:17], v[4:5]
	v_ashrrev_i32_e32 v0, 31, v6
	v_mul_lo_u32 v4, v6, s19
	s_delay_alu instid0(VALU_DEP_2) | instskip(SKIP_1) | instid1(VALU_DEP_1)
	v_mul_lo_u32 v5, v0, s18
	v_mad_u64_u32 v[0:1], null, v6, s18, 0
	v_add3_u32 v1, v1, v4, v5
	s_and_b32 vcc_lo, exec_lo, s2
	s_cbranch_vccnz .LBB243_50
; %bb.49:
	s_delay_alu instid0(VALU_DEP_1) | instskip(NEXT) | instid1(VALU_DEP_1)
	v_lshlrev_b64 v[4:5], 3, v[0:1]
	v_add_co_u32 v4, vcc_lo, s5, v4
	s_delay_alu instid0(VALU_DEP_2)
	v_add_co_ci_u32_e32 v5, vcc_lo, s28, v5, vcc_lo
	global_load_b64 v[4:5], v[4:5], off
	s_waitcnt vmcnt(0)
	v_fma_f64 v[2:3], s[12:13], v[4:5], v[2:3]
.LBB243_50:
	s_or_b32 s2, s29, exec_lo
.LBB243_51:
	s_or_b32 exec_lo, exec_lo, s1
	s_delay_alu instid0(SALU_CYCLE_1) | instskip(SKIP_1) | instid1(SALU_CYCLE_1)
	s_and_not1_b32 s1, s29, exec_lo
	s_and_b32 s2, s2, exec_lo
	s_or_b32 s29, s1, s2
.LBB243_52:
	s_or_b32 exec_lo, exec_lo, s0
.LBB243_53:
	s_and_saveexec_b32 s0, s29
	s_cbranch_execz .LBB243_55
; %bb.54:
	v_lshlrev_b64 v[0:1], 3, v[0:1]
	s_delay_alu instid0(VALU_DEP_1) | instskip(NEXT) | instid1(VALU_DEP_2)
	v_add_co_u32 v0, vcc_lo, s5, v0
	v_add_co_ci_u32_e32 v1, vcc_lo, s28, v1, vcc_lo
	global_store_b64 v[0:1], v[2:3], off
.LBB243_55:
	s_nop 0
	s_sendmsg sendmsg(MSG_DEALLOC_VGPRS)
	s_endpgm
	.section	.rodata,"a",@progbits
	.p2align	6, 0x0
	.amdhsa_kernel _ZL20rocblas_gemvn_kernelILi64ELi4ElPKdS1_KPdEviiT3_lPKT2_lT1_lS7_lS8_lS4_lPT4_lS8_li
		.amdhsa_group_segment_fixed_size 8192
		.amdhsa_private_segment_fixed_size 0
		.amdhsa_kernarg_size 400
		.amdhsa_user_sgpr_count 14
		.amdhsa_user_sgpr_dispatch_ptr 0
		.amdhsa_user_sgpr_queue_ptr 0
		.amdhsa_user_sgpr_kernarg_segment_ptr 1
		.amdhsa_user_sgpr_dispatch_id 0
		.amdhsa_user_sgpr_private_segment_size 0
		.amdhsa_wavefront_size32 1
		.amdhsa_uses_dynamic_stack 0
		.amdhsa_enable_private_segment 0
		.amdhsa_system_sgpr_workgroup_id_x 1
		.amdhsa_system_sgpr_workgroup_id_y 0
		.amdhsa_system_sgpr_workgroup_id_z 1
		.amdhsa_system_sgpr_workgroup_info 0
		.amdhsa_system_vgpr_workitem_id 1
		.amdhsa_next_free_vgpr 71
		.amdhsa_next_free_sgpr 37
		.amdhsa_reserve_vcc 1
		.amdhsa_float_round_mode_32 0
		.amdhsa_float_round_mode_16_64 0
		.amdhsa_float_denorm_mode_32 3
		.amdhsa_float_denorm_mode_16_64 3
		.amdhsa_dx10_clamp 1
		.amdhsa_ieee_mode 1
		.amdhsa_fp16_overflow 0
		.amdhsa_workgroup_processor_mode 1
		.amdhsa_memory_ordered 1
		.amdhsa_forward_progress 0
		.amdhsa_shared_vgpr_count 0
		.amdhsa_exception_fp_ieee_invalid_op 0
		.amdhsa_exception_fp_denorm_src 0
		.amdhsa_exception_fp_ieee_div_zero 0
		.amdhsa_exception_fp_ieee_overflow 0
		.amdhsa_exception_fp_ieee_underflow 0
		.amdhsa_exception_fp_ieee_inexact 0
		.amdhsa_exception_int_div_zero 0
	.end_amdhsa_kernel
	.section	.text._ZL20rocblas_gemvn_kernelILi64ELi4ElPKdS1_KPdEviiT3_lPKT2_lT1_lS7_lS8_lS4_lPT4_lS8_li,"axG",@progbits,_ZL20rocblas_gemvn_kernelILi64ELi4ElPKdS1_KPdEviiT3_lPKT2_lT1_lS7_lS8_lS4_lPT4_lS8_li,comdat
.Lfunc_end243:
	.size	_ZL20rocblas_gemvn_kernelILi64ELi4ElPKdS1_KPdEviiT3_lPKT2_lT1_lS7_lS8_lS4_lPT4_lS8_li, .Lfunc_end243-_ZL20rocblas_gemvn_kernelILi64ELi4ElPKdS1_KPdEviiT3_lPKT2_lT1_lS7_lS8_lS4_lPT4_lS8_li
                                        ; -- End function
	.section	.AMDGPU.csdata,"",@progbits
; Kernel info:
; codeLenInByte = 3532
; NumSgprs: 39
; NumVgprs: 71
; ScratchSize: 0
; MemoryBound: 1
; FloatMode: 240
; IeeeMode: 1
; LDSByteSize: 8192 bytes/workgroup (compile time only)
; SGPRBlocks: 4
; VGPRBlocks: 8
; NumSGPRsForWavesPerEU: 39
; NumVGPRsForWavesPerEU: 71
; Occupancy: 16
; WaveLimiterHint : 1
; COMPUTE_PGM_RSRC2:SCRATCH_EN: 0
; COMPUTE_PGM_RSRC2:USER_SGPR: 14
; COMPUTE_PGM_RSRC2:TRAP_HANDLER: 0
; COMPUTE_PGM_RSRC2:TGID_X_EN: 1
; COMPUTE_PGM_RSRC2:TGID_Y_EN: 0
; COMPUTE_PGM_RSRC2:TGID_Z_EN: 1
; COMPUTE_PGM_RSRC2:TIDIG_COMP_CNT: 1
	.section	.text._ZL20rocblas_gemvn_kernelILi64ELi4EiPKddKPdEviiT3_lPKT2_lT1_lS7_lS8_lS4_lPT4_lS8_li,"axG",@progbits,_ZL20rocblas_gemvn_kernelILi64ELi4EiPKddKPdEviiT3_lPKT2_lT1_lS7_lS8_lS4_lPT4_lS8_li,comdat
	.globl	_ZL20rocblas_gemvn_kernelILi64ELi4EiPKddKPdEviiT3_lPKT2_lT1_lS7_lS8_lS4_lPT4_lS8_li ; -- Begin function _ZL20rocblas_gemvn_kernelILi64ELi4EiPKddKPdEviiT3_lPKT2_lT1_lS7_lS8_lS4_lPT4_lS8_li
	.p2align	8
	.type	_ZL20rocblas_gemvn_kernelILi64ELi4EiPKddKPdEviiT3_lPKT2_lT1_lS7_lS8_lS4_lPT4_lS8_li,@function
_ZL20rocblas_gemvn_kernelILi64ELi4EiPKddKPdEviiT3_lPKT2_lT1_lS7_lS8_lS4_lPT4_lS8_li: ; @_ZL20rocblas_gemvn_kernelILi64ELi4EiPKddKPdEviiT3_lPKT2_lT1_lS7_lS8_lS4_lPT4_lS8_li
; %bb.0:
	s_load_b64 s[4:5], s[0:1], 0x9c
	s_waitcnt lgkmcnt(0)
	s_lshr_b32 s3, s4, 16
	s_and_b32 s4, s4, 0xffff
	s_and_b32 s5, s5, 0xffff
	s_mul_i32 s3, s3, s4
	s_delay_alu instid0(SALU_CYCLE_1) | instskip(NEXT) | instid1(SALU_CYCLE_1)
	s_mul_i32 s3, s3, s5
	s_cmpk_lg_i32 s3, 0x100
	s_cbranch_scc1 .LBB244_57
; %bb.1:
	s_clause 0x1
	s_load_b64 s[6:7], s[0:1], 0x8
	s_load_b64 s[4:5], s[0:1], 0x58
	s_waitcnt lgkmcnt(0)
	v_cmp_eq_f64_e64 s16, s[6:7], 0
	v_cmp_eq_f64_e64 s3, s[4:5], 1.0
	s_delay_alu instid0(VALU_DEP_1) | instskip(NEXT) | instid1(SALU_CYCLE_1)
	s_and_b32 s3, s16, s3
	s_and_b32 vcc_lo, exec_lo, s3
	s_cbranch_vccnz .LBB244_57
; %bb.2:
	v_cmp_neq_f64_e64 s8, s[6:7], 0
	s_mov_b32 s2, s15
	s_delay_alu instid0(VALU_DEP_1)
	s_and_b32 vcc_lo, exec_lo, s8
	s_cbranch_vccnz .LBB244_4
; %bb.3:
	s_mov_b32 s3, 0
	s_mov_b64 s[10:11], 0
	s_cbranch_execz .LBB244_5
	s_branch .LBB244_6
.LBB244_4:
	s_mov_b32 s3, -1
                                        ; implicit-def: $sgpr10_sgpr11
.LBB244_5:
	s_load_b128 s[20:23], s[0:1], 0x18
	s_mov_b32 s3, 0
	s_delay_alu instid0(SALU_CYCLE_1)
	s_lshl_b64 s[10:11], s[2:3], 3
	s_waitcnt lgkmcnt(0)
	s_add_u32 s10, s20, s10
	s_addc_u32 s11, s21, s11
	s_lshl_b64 s[12:13], s[22:23], 3
	s_load_b64 s[10:11], s[10:11], 0x0
	s_waitcnt lgkmcnt(0)
	s_add_u32 s10, s10, s12
	s_addc_u32 s11, s11, s13
.LBB244_6:
	s_and_not1_b32 vcc_lo, exec_lo, s8
	s_cbranch_vccnz .LBB244_8
; %bb.7:
	s_load_b128 s[20:23], s[0:1], 0x38
	s_lshl_b64 s[8:9], s[2:3], 3
	s_waitcnt lgkmcnt(0)
	s_add_u32 s8, s20, s8
	s_addc_u32 s9, s21, s9
	s_lshl_b64 s[12:13], s[22:23], 3
	s_load_b64 s[8:9], s[8:9], 0x0
	s_waitcnt lgkmcnt(0)
	s_add_u32 s12, s8, s12
	s_addc_u32 s13, s9, s13
	s_branch .LBB244_9
.LBB244_8:
	s_mov_b64 s[12:13], 0
.LBB244_9:
	s_load_b128 s[20:23], s[0:1], 0x68
	s_lshl_b64 s[2:3], s[2:3], 3
	v_and_b32_e32 v1, 0x3ff, v0
	v_bfe_u32 v0, v0, 10, 10
	s_delay_alu instid0(VALU_DEP_1)
	v_lshl_add_u32 v53, v0, 6, v1
	s_waitcnt lgkmcnt(0)
	s_add_u32 s2, s20, s2
	s_addc_u32 s3, s21, s3
	s_lshl_b64 s[22:23], s[22:23], 3
	s_load_b64 s[20:21], s[2:3], 0x0
	s_clause 0x1
	s_load_b64 s[8:9], s[0:1], 0x0
	s_load_b32 s18, s[0:1], 0x78
	v_cmp_gt_u32_e64 s2, 0x100, v53
	s_waitcnt lgkmcnt(0)
	s_add_u32 s15, s20, s22
	s_addc_u32 s17, s21, s23
	s_and_not1_b32 vcc_lo, exec_lo, s16
	s_cbranch_vccnz .LBB244_16
; %bb.10:
	s_mov_b32 s3, 0
	s_mov_b32 s19, 0
                                        ; implicit-def: $vgpr4_vgpr5
                                        ; implicit-def: $vgpr2_vgpr3
	s_and_saveexec_b32 s16, s2
	s_cbranch_execz .LBB244_17
; %bb.11:
	v_lshl_or_b32 v6, s14, 8, v53
	v_mov_b32_e32 v7, 0
	s_ashr_i32 s21, s8, 31
	s_mov_b32 s20, s8
	s_mov_b32 s2, exec_lo
                                        ; implicit-def: $vgpr4_vgpr5
                                        ; implicit-def: $vgpr2_vgpr3
	s_delay_alu instid0(VALU_DEP_1)
	v_cmpx_gt_i64_e64 s[20:21], v[6:7]
	s_cbranch_execz .LBB244_15
; %bb.12:
	v_cmp_eq_f64_e64 s19, s[4:5], 0
	v_mad_u64_u32 v[2:3], null, s18, v6, 0
	s_ashr_i32 s20, s18, 31
	s_delay_alu instid0(VALU_DEP_1) | instid1(SALU_CYCLE_1)
	v_mad_u64_u32 v[4:5], null, s20, v6, v[3:4]
	s_delay_alu instid0(VALU_DEP_1)
	v_dual_mov_b32 v3, v4 :: v_dual_mov_b32 v4, 0
	v_mov_b32_e32 v5, 0
	s_and_b32 vcc_lo, exec_lo, s19
	s_cbranch_vccnz .LBB244_14
; %bb.13:
	s_delay_alu instid0(VALU_DEP_2) | instskip(NEXT) | instid1(VALU_DEP_1)
	v_lshlrev_b64 v[4:5], 3, v[2:3]
	v_add_co_u32 v4, vcc_lo, s15, v4
	s_delay_alu instid0(VALU_DEP_2)
	v_add_co_ci_u32_e32 v5, vcc_lo, s17, v5, vcc_lo
	global_load_b64 v[4:5], v[4:5], off
	s_waitcnt vmcnt(0)
	v_mul_f64 v[4:5], v[4:5], s[4:5]
.LBB244_14:
	s_mov_b32 s19, exec_lo
.LBB244_15:
	s_or_b32 exec_lo, exec_lo, s2
	s_delay_alu instid0(SALU_CYCLE_1) | instskip(SKIP_1) | instid1(SALU_CYCLE_1)
	s_and_b32 s19, s19, exec_lo
	s_or_b32 exec_lo, exec_lo, s16
	s_and_b32 vcc_lo, exec_lo, s3
	s_cbranch_vccnz .LBB244_18
	s_branch .LBB244_55
.LBB244_16:
	s_mov_b32 s19, 0
                                        ; implicit-def: $vgpr4_vgpr5
                                        ; implicit-def: $vgpr2_vgpr3
	s_cbranch_execnz .LBB244_18
	s_branch .LBB244_55
.LBB244_17:
	s_or_b32 exec_lo, exec_lo, s16
	s_delay_alu instid0(SALU_CYCLE_1)
	s_and_b32 vcc_lo, exec_lo, s3
	s_cbranch_vccz .LBB244_55
.LBB244_18:
	s_clause 0x1
	s_load_b32 s20, s[0:1], 0x28
	s_load_b32 s16, s[0:1], 0x48
	v_dual_mov_b32 v8, 0 :: v_dual_lshlrev_b32 v55, 2, v0
	s_lshl_b32 s14, s14, 8
	s_delay_alu instid0(SALU_CYCLE_1) | instskip(SKIP_1) | instid1(VALU_DEP_2)
	v_dual_mov_b32 v9, 0 :: v_dual_add_nc_u32 v54, s14, v1
	s_ashr_i32 s0, s9, 31
	v_mov_b32_e32 v6, v8
	s_lshr_b32 s0, s0, 28
	s_delay_alu instid0(VALU_DEP_2)
	v_dual_mov_b32 v7, v9 :: v_dual_mov_b32 v4, v8
	v_dual_mov_b32 v5, v9 :: v_dual_mov_b32 v2, v8
	v_mov_b32_e32 v3, v9
	s_add_i32 s0, s9, s0
	s_mov_b32 s22, exec_lo
	s_and_b32 s21, s0, -16
	s_delay_alu instid0(SALU_CYCLE_1)
	v_cmpx_gt_i32_e64 s21, v55
	s_cbranch_execz .LBB244_30
; %bb.19:
	s_waitcnt lgkmcnt(0)
	v_mul_lo_u32 v3, s20, v55
	v_dual_mov_b32 v8, 0 :: v_dual_add_nc_u32 v5, 0xc0, v54
	v_dual_mov_b32 v9, 0 :: v_dual_add_nc_u32 v2, 64, v54
	v_add_nc_u32_e32 v4, 0x80, v54
	s_delay_alu instid0(VALU_DEP_3) | instskip(SKIP_1) | instid1(VALU_DEP_4)
	v_cmp_gt_i32_e64 s2, s8, v5
	v_mul_lo_u32 v5, v0, s16
	v_cmp_gt_i32_e64 s0, s8, v2
	v_add_nc_u32_e32 v2, 2, v55
	v_mov_b32_e32 v6, v8
	v_add3_u32 v56, v3, s20, v1
	v_mul_lo_u32 v3, v0, s20
	v_mov_b32_e32 v7, v9
	v_cmp_gt_i32_e64 s1, s8, v4
	v_add_nc_u32_e32 v4, 3, v55
	v_mad_u64_u32 v[10:11], null, s20, v2, v[1:2]
	v_lshlrev_b32_e32 v60, 2, v5
	v_cmp_gt_i32_e32 vcc_lo, s8, v54
	s_delay_alu instid0(VALU_DEP_4)
	v_mad_u64_u32 v[11:12], null, s20, v4, v[1:2]
	v_mul_lo_u32 v59, s16, v4
	v_mov_b32_e32 v4, v8
	v_mad_u64_u32 v[12:13], null, s16, v55, s[16:17]
	v_mov_b32_e32 v5, v9
	v_mul_lo_u32 v58, s16, v2
	v_lshl_add_u32 v57, v3, 2, v1
	v_dual_mov_b32 v2, v8 :: v_dual_mov_b32 v3, v9
	s_lshl_b32 s23, s20, 4
	s_lshl_b32 s25, s16, 4
	s_mov_b32 s24, 0
	s_mov_b32 s26, 0
	s_branch .LBB244_24
.LBB244_20:                             ;   in Loop: Header=BB244_24 Depth=1
	s_or_b32 exec_lo, exec_lo, s29
	s_waitcnt vmcnt(3) lgkmcnt(3)
	v_fma_f64 v[4:5], v[13:14], v[45:46], v[4:5]
	s_waitcnt vmcnt(2) lgkmcnt(2)
	s_delay_alu instid0(VALU_DEP_1) | instskip(SKIP_1) | instid1(VALU_DEP_1)
	v_fma_f64 v[4:5], v[15:16], v[47:48], v[4:5]
	s_waitcnt vmcnt(1) lgkmcnt(1)
	v_fma_f64 v[4:5], v[17:18], v[49:50], v[4:5]
	s_waitcnt vmcnt(0) lgkmcnt(0)
	s_delay_alu instid0(VALU_DEP_1)
	v_fma_f64 v[4:5], v[19:20], v[51:52], v[4:5]
.LBB244_21:                             ;   in Loop: Header=BB244_24 Depth=1
	s_or_b32 exec_lo, exec_lo, s28
	s_waitcnt vmcnt(3) lgkmcnt(3)
	v_fma_f64 v[6:7], v[13:14], v[37:38], v[6:7]
	s_waitcnt vmcnt(2) lgkmcnt(2)
	s_delay_alu instid0(VALU_DEP_1) | instskip(SKIP_1) | instid1(VALU_DEP_1)
	v_fma_f64 v[6:7], v[15:16], v[39:40], v[6:7]
	s_waitcnt vmcnt(1) lgkmcnt(1)
	v_fma_f64 v[6:7], v[17:18], v[41:42], v[6:7]
	s_waitcnt vmcnt(0) lgkmcnt(0)
	s_delay_alu instid0(VALU_DEP_1)
	v_fma_f64 v[6:7], v[19:20], v[43:44], v[6:7]
.LBB244_22:                             ;   in Loop: Header=BB244_24 Depth=1
	s_or_b32 exec_lo, exec_lo, s3
	s_waitcnt vmcnt(3) lgkmcnt(3)
	v_fma_f64 v[8:9], v[13:14], v[21:22], v[8:9]
	s_waitcnt vmcnt(2) lgkmcnt(2)
	s_delay_alu instid0(VALU_DEP_1) | instskip(SKIP_1) | instid1(VALU_DEP_1)
	v_fma_f64 v[8:9], v[15:16], v[23:24], v[8:9]
	s_waitcnt vmcnt(1) lgkmcnt(1)
	v_fma_f64 v[8:9], v[17:18], v[25:26], v[8:9]
	s_waitcnt vmcnt(0) lgkmcnt(0)
	s_delay_alu instid0(VALU_DEP_1)
	v_fma_f64 v[8:9], v[19:20], v[27:28], v[8:9]
.LBB244_23:                             ;   in Loop: Header=BB244_24 Depth=1
	s_or_b32 exec_lo, exec_lo, s27
	v_add_nc_u32_e32 v55, 16, v55
	v_add_nc_u32_e32 v56, s23, v56
	;; [unrolled: 1-line block ×5, first 2 shown]
	v_cmp_le_i32_e64 s3, s21, v55
	s_add_i32 s26, s26, s25
	s_delay_alu instid0(VALU_DEP_1) | instskip(NEXT) | instid1(SALU_CYCLE_1)
	s_or_b32 s24, s3, s24
	s_and_not1_b32 exec_lo, exec_lo, s24
	s_cbranch_execz .LBB244_29
.LBB244_24:                             ; =>This Inner Loop Header: Depth=1
	s_and_saveexec_b32 s27, vcc_lo
	s_cbranch_execz .LBB244_23
; %bb.25:                               ;   in Loop: Header=BB244_24 Depth=1
	v_add_nc_u32_e32 v13, s26, v60
	v_add_nc_u32_e32 v15, s26, v12
	;; [unrolled: 1-line block ×5, first 2 shown]
	v_ashrrev_i32_e32 v14, 31, v13
	v_ashrrev_i32_e32 v16, 31, v15
	;; [unrolled: 1-line block ×4, first 2 shown]
	v_add_nc_u32_e32 v23, s14, v56
	v_lshlrev_b64 v[13:14], 3, v[13:14]
	v_lshlrev_b64 v[15:16], 3, v[15:16]
	;; [unrolled: 1-line block ×3, first 2 shown]
	v_ashrrev_i32_e32 v22, 31, v21
	v_lshlrev_b64 v[19:20], 3, v[19:20]
	v_ashrrev_i32_e32 v24, 31, v23
	v_add_co_u32 v13, s3, s12, v13
	s_delay_alu instid0(VALU_DEP_1)
	v_add_co_ci_u32_e64 v14, s3, s13, v14, s3
	v_add_co_u32 v15, s3, s12, v15
	v_add_nc_u32_e32 v25, s14, v10
	v_add_co_ci_u32_e64 v16, s3, s13, v16, s3
	v_add_co_u32 v17, s3, s12, v17
	v_lshlrev_b64 v[21:22], 3, v[21:22]
	v_add_nc_u32_e32 v27, s14, v11
	v_add_co_ci_u32_e64 v18, s3, s13, v18, s3
	v_add_co_u32 v19, s3, s12, v19
	v_lshlrev_b64 v[23:24], 3, v[23:24]
	v_ashrrev_i32_e32 v26, 31, v25
	v_add_co_ci_u32_e64 v20, s3, s13, v20, s3
	v_add_co_u32 v29, s3, s10, v21
	v_ashrrev_i32_e32 v28, 31, v27
	v_add_co_ci_u32_e64 v30, s3, s11, v22, s3
	v_lshlrev_b64 v[21:22], 3, v[25:26]
	v_add_co_u32 v31, s3, s10, v23
	s_delay_alu instid0(VALU_DEP_1) | instskip(SKIP_1) | instid1(VALU_DEP_4)
	v_add_co_ci_u32_e64 v32, s3, s11, v24, s3
	v_lshlrev_b64 v[23:24], 3, v[27:28]
	v_add_co_u32 v33, s3, s10, v21
	s_delay_alu instid0(VALU_DEP_1) | instskip(NEXT) | instid1(VALU_DEP_3)
	v_add_co_ci_u32_e64 v34, s3, s11, v22, s3
	v_add_co_u32 v35, s3, s10, v23
	s_delay_alu instid0(VALU_DEP_1)
	v_add_co_ci_u32_e64 v36, s3, s11, v24, s3
	s_clause 0x3
	flat_load_b64 v[13:14], v[13:14]
	flat_load_b64 v[15:16], v[15:16]
	;; [unrolled: 1-line block ×4, first 2 shown]
	s_clause 0x3
	flat_load_b64 v[21:22], v[29:30]
	flat_load_b64 v[23:24], v[31:32]
	flat_load_b64 v[25:26], v[33:34]
	flat_load_b64 v[27:28], v[35:36]
	s_and_saveexec_b32 s3, s0
	s_cbranch_execz .LBB244_22
; %bb.26:                               ;   in Loop: Header=BB244_24 Depth=1
	s_clause 0x3
	flat_load_b64 v[37:38], v[29:30] offset:512
	flat_load_b64 v[39:40], v[31:32] offset:512
	flat_load_b64 v[41:42], v[33:34] offset:512
	flat_load_b64 v[43:44], v[35:36] offset:512
	s_and_saveexec_b32 s28, s1
	s_cbranch_execz .LBB244_21
; %bb.27:                               ;   in Loop: Header=BB244_24 Depth=1
	s_clause 0x3
	flat_load_b64 v[45:46], v[29:30] offset:1024
	flat_load_b64 v[47:48], v[31:32] offset:1024
	flat_load_b64 v[49:50], v[33:34] offset:1024
	flat_load_b64 v[51:52], v[35:36] offset:1024
	;; [unrolled: 8-line block ×3, first 2 shown]
	s_waitcnt vmcnt(3) lgkmcnt(3)
	v_fma_f64 v[2:3], v[13:14], v[29:30], v[2:3]
	s_waitcnt vmcnt(2) lgkmcnt(2)
	s_delay_alu instid0(VALU_DEP_1) | instskip(SKIP_1) | instid1(VALU_DEP_1)
	v_fma_f64 v[2:3], v[15:16], v[31:32], v[2:3]
	s_waitcnt vmcnt(1) lgkmcnt(1)
	v_fma_f64 v[2:3], v[17:18], v[33:34], v[2:3]
	s_waitcnt vmcnt(0) lgkmcnt(0)
	s_delay_alu instid0(VALU_DEP_1)
	v_fma_f64 v[2:3], v[19:20], v[35:36], v[2:3]
	s_branch .LBB244_20
.LBB244_29:
	s_or_b32 exec_lo, exec_lo, s24
.LBB244_30:
	s_delay_alu instid0(SALU_CYCLE_1) | instskip(SKIP_1) | instid1(SALU_CYCLE_1)
	s_or_b32 exec_lo, exec_lo, s22
	s_sub_i32 s0, s9, s21
	s_cmp_lt_i32 s0, 1
	s_cbranch_scc1 .LBB244_48
; %bb.31:
	v_mov_b32_e32 v14, 0
	v_mov_b32_e32 v15, 0
	v_cmp_gt_i32_e32 vcc_lo, s9, v55
	v_or_b32_e32 v20, 1, v55
	s_delay_alu instid0(VALU_DEP_4) | instskip(NEXT) | instid1(VALU_DEP_4)
	v_mov_b32_e32 v12, v14
	v_dual_mov_b32 v10, v14 :: v_dual_mov_b32 v11, v15
	v_dual_mov_b32 v17, v15 :: v_dual_mov_b32 v16, v14
	v_mov_b32_e32 v13, v15
	s_and_saveexec_b32 s1, vcc_lo
	s_cbranch_execz .LBB244_39
; %bb.32:
	s_waitcnt lgkmcnt(0)
	v_mul_lo_u32 v10, v55, s16
	v_mov_b32_e32 v12, 0
	v_mov_b32_e32 v13, 0
	s_mov_b32 s2, exec_lo
	s_delay_alu instid0(VALU_DEP_1) | instskip(NEXT) | instid1(VALU_DEP_4)
	v_dual_mov_b32 v17, v13 :: v_dual_mov_b32 v16, v12
	v_ashrrev_i32_e32 v11, 31, v10
	v_dual_mov_b32 v15, v13 :: v_dual_mov_b32 v14, v12
	s_delay_alu instid0(VALU_DEP_2) | instskip(NEXT) | instid1(VALU_DEP_1)
	v_lshlrev_b64 v[10:11], 3, v[10:11]
	v_add_co_u32 v10, s0, s12, v10
	s_delay_alu instid0(VALU_DEP_1)
	v_add_co_ci_u32_e64 v11, s0, s13, v11, s0
	flat_load_b64 v[10:11], v[10:11]
	v_cmpx_gt_i32_e64 s9, v20
	s_cbranch_execz .LBB244_38
; %bb.33:
	v_mul_lo_u32 v12, v20, s16
	v_mov_b32_e32 v16, 0
	v_mov_b32_e32 v17, 0
	v_or_b32_e32 v18, 2, v55
	s_delay_alu instid0(VALU_DEP_3) | instskip(SKIP_1) | instid1(VALU_DEP_3)
	v_mov_b32_e32 v14, v16
	s_mov_b32 s3, exec_lo
	v_mov_b32_e32 v15, v17
	v_ashrrev_i32_e32 v13, 31, v12
	s_delay_alu instid0(VALU_DEP_1) | instskip(NEXT) | instid1(VALU_DEP_1)
	v_lshlrev_b64 v[12:13], 3, v[12:13]
	v_add_co_u32 v12, s0, s12, v12
	s_delay_alu instid0(VALU_DEP_1)
	v_add_co_ci_u32_e64 v13, s0, s13, v13, s0
	flat_load_b64 v[12:13], v[12:13]
	v_cmpx_gt_i32_e64 s9, v18
	s_cbranch_execz .LBB244_37
; %bb.34:
	v_mul_lo_u32 v14, v18, s16
	v_or_b32_e32 v18, 3, v55
	s_mov_b32 s21, exec_lo
	s_delay_alu instid0(VALU_DEP_2) | instskip(NEXT) | instid1(VALU_DEP_1)
	v_ashrrev_i32_e32 v15, 31, v14
	v_lshlrev_b64 v[14:15], 3, v[14:15]
	s_delay_alu instid0(VALU_DEP_1) | instskip(NEXT) | instid1(VALU_DEP_1)
	v_add_co_u32 v14, s0, s12, v14
	v_add_co_ci_u32_e64 v15, s0, s13, v15, s0
	flat_load_b64 v[16:17], v[14:15]
	v_mov_b32_e32 v14, 0
	v_mov_b32_e32 v15, 0
	v_cmpx_gt_i32_e64 s9, v18
	s_cbranch_execz .LBB244_36
; %bb.35:
	v_mul_lo_u32 v14, v18, s16
	s_delay_alu instid0(VALU_DEP_1) | instskip(NEXT) | instid1(VALU_DEP_1)
	v_ashrrev_i32_e32 v15, 31, v14
	v_lshlrev_b64 v[14:15], 3, v[14:15]
	s_delay_alu instid0(VALU_DEP_1) | instskip(NEXT) | instid1(VALU_DEP_1)
	v_add_co_u32 v14, s0, s12, v14
	v_add_co_ci_u32_e64 v15, s0, s13, v15, s0
	flat_load_b64 v[14:15], v[14:15]
.LBB244_36:
	s_or_b32 exec_lo, exec_lo, s21
.LBB244_37:
	s_delay_alu instid0(SALU_CYCLE_1)
	s_or_b32 exec_lo, exec_lo, s3
.LBB244_38:
	s_delay_alu instid0(SALU_CYCLE_1)
	s_or_b32 exec_lo, exec_lo, s2
.LBB244_39:
	s_delay_alu instid0(SALU_CYCLE_1) | instskip(NEXT) | instid1(SALU_CYCLE_1)
	s_or_b32 exec_lo, exec_lo, s1
	s_mov_b32 s1, exec_lo
	v_cmpx_gt_i32_e64 s8, v54
	s_cbranch_execz .LBB244_47
; %bb.40:
	s_waitcnt lgkmcnt(0)
	v_mul_lo_u32 v18, v55, s20
	v_mul_lo_u32 v21, v20, s20
	v_or_b32_e32 v22, 2, v55
	s_mov_b32 s0, exec_lo
	s_delay_alu instid0(VALU_DEP_1) | instskip(NEXT) | instid1(VALU_DEP_4)
	v_mul_lo_u32 v23, v22, s20
	v_cndmask_b32_e32 v18, 0, v18, vcc_lo
	s_delay_alu instid0(VALU_DEP_1) | instskip(NEXT) | instid1(VALU_DEP_1)
	v_add_nc_u32_e32 v18, v18, v54
	v_ashrrev_i32_e32 v19, 31, v18
	s_delay_alu instid0(VALU_DEP_1) | instskip(NEXT) | instid1(VALU_DEP_1)
	v_lshlrev_b64 v[18:19], 3, v[18:19]
	v_add_co_u32 v18, vcc_lo, s10, v18
	s_delay_alu instid0(VALU_DEP_2) | instskip(SKIP_3) | instid1(VALU_DEP_1)
	v_add_co_ci_u32_e32 v19, vcc_lo, s11, v19, vcc_lo
	v_cmp_gt_i32_e32 vcc_lo, s9, v20
	flat_load_b64 v[28:29], v[18:19]
	v_cndmask_b32_e32 v20, 0, v21, vcc_lo
	v_add_nc_u32_e32 v20, v20, v54
	s_delay_alu instid0(VALU_DEP_1) | instskip(NEXT) | instid1(VALU_DEP_1)
	v_ashrrev_i32_e32 v21, 31, v20
	v_lshlrev_b64 v[20:21], 3, v[20:21]
	s_delay_alu instid0(VALU_DEP_1) | instskip(NEXT) | instid1(VALU_DEP_2)
	v_add_co_u32 v20, vcc_lo, s10, v20
	v_add_co_ci_u32_e32 v21, vcc_lo, s11, v21, vcc_lo
	v_cmp_gt_i32_e32 vcc_lo, s9, v22
	flat_load_b64 v[30:31], v[20:21]
	v_cndmask_b32_e32 v22, 0, v23, vcc_lo
	s_delay_alu instid0(VALU_DEP_1) | instskip(NEXT) | instid1(VALU_DEP_1)
	v_add_nc_u32_e32 v22, v22, v54
	v_ashrrev_i32_e32 v23, 31, v22
	s_delay_alu instid0(VALU_DEP_1) | instskip(NEXT) | instid1(VALU_DEP_1)
	v_lshlrev_b64 v[22:23], 3, v[22:23]
	v_add_co_u32 v24, vcc_lo, s10, v22
	s_delay_alu instid0(VALU_DEP_2) | instskip(SKIP_4) | instid1(VALU_DEP_2)
	v_add_co_ci_u32_e32 v25, vcc_lo, s11, v23, vcc_lo
	v_or_b32_e32 v22, 3, v55
	flat_load_b64 v[32:33], v[24:25]
	v_mul_lo_u32 v23, v22, s20
	v_cmp_gt_i32_e32 vcc_lo, s9, v22
	v_cndmask_b32_e32 v22, 0, v23, vcc_lo
	s_delay_alu instid0(VALU_DEP_1) | instskip(NEXT) | instid1(VALU_DEP_1)
	v_add_nc_u32_e32 v22, v22, v54
	v_ashrrev_i32_e32 v23, 31, v22
	s_delay_alu instid0(VALU_DEP_1) | instskip(NEXT) | instid1(VALU_DEP_1)
	v_lshlrev_b64 v[22:23], 3, v[22:23]
	v_add_co_u32 v26, vcc_lo, s10, v22
	s_delay_alu instid0(VALU_DEP_2)
	v_add_co_ci_u32_e32 v27, vcc_lo, s11, v23, vcc_lo
	flat_load_b64 v[22:23], v[26:27]
	s_waitcnt vmcnt(3) lgkmcnt(3)
	v_fma_f64 v[8:9], v[10:11], v[28:29], v[8:9]
	v_add_nc_u32_e32 v28, 64, v54
	s_waitcnt vmcnt(2) lgkmcnt(2)
	s_delay_alu instid0(VALU_DEP_2) | instskip(SKIP_1) | instid1(VALU_DEP_1)
	v_fma_f64 v[8:9], v[12:13], v[30:31], v[8:9]
	s_waitcnt vmcnt(1) lgkmcnt(1)
	v_fma_f64 v[8:9], v[16:17], v[32:33], v[8:9]
	v_cmpx_gt_i32_e64 s8, v28
	s_cbranch_execz .LBB244_46
; %bb.41:
	s_clause 0x3
	flat_load_b64 v[30:31], v[18:19] offset:512
	flat_load_b64 v[32:33], v[20:21] offset:512
	;; [unrolled: 1-line block ×4, first 2 shown]
	s_mov_b32 s2, exec_lo
	s_waitcnt vmcnt(3) lgkmcnt(3)
	v_fma_f64 v[6:7], v[10:11], v[30:31], v[6:7]
	v_add_nc_u32_e32 v30, 0x80, v54
	s_waitcnt vmcnt(2) lgkmcnt(2)
	s_delay_alu instid0(VALU_DEP_2) | instskip(SKIP_1) | instid1(VALU_DEP_1)
	v_fma_f64 v[6:7], v[12:13], v[32:33], v[6:7]
	s_waitcnt vmcnt(1) lgkmcnt(1)
	v_fma_f64 v[6:7], v[16:17], v[34:35], v[6:7]
	v_cmpx_gt_i32_e64 s8, v30
	s_cbranch_execz .LBB244_45
; %bb.42:
	s_clause 0x3
	flat_load_b64 v[32:33], v[18:19] offset:1024
	flat_load_b64 v[34:35], v[20:21] offset:1024
	;; [unrolled: 1-line block ×4, first 2 shown]
	s_mov_b32 s3, exec_lo
	s_waitcnt vmcnt(3) lgkmcnt(3)
	v_fma_f64 v[4:5], v[10:11], v[32:33], v[4:5]
	v_add_nc_u32_e32 v32, 0xc0, v54
	s_waitcnt vmcnt(2) lgkmcnt(2)
	s_delay_alu instid0(VALU_DEP_2) | instskip(SKIP_1) | instid1(VALU_DEP_1)
	v_fma_f64 v[4:5], v[12:13], v[34:35], v[4:5]
	s_waitcnt vmcnt(1) lgkmcnt(1)
	v_fma_f64 v[4:5], v[16:17], v[36:37], v[4:5]
	v_cmpx_gt_i32_e64 s8, v32
	s_cbranch_execz .LBB244_44
; %bb.43:
	s_clause 0x3
	flat_load_b64 v[18:19], v[18:19] offset:1536
	flat_load_b64 v[20:21], v[20:21] offset:1536
	;; [unrolled: 1-line block ×4, first 2 shown]
	s_waitcnt vmcnt(3) lgkmcnt(3)
	v_fma_f64 v[2:3], v[10:11], v[18:19], v[2:3]
	s_waitcnt vmcnt(2) lgkmcnt(2)
	s_delay_alu instid0(VALU_DEP_1) | instskip(SKIP_1) | instid1(VALU_DEP_1)
	v_fma_f64 v[2:3], v[12:13], v[20:21], v[2:3]
	s_waitcnt vmcnt(1) lgkmcnt(1)
	v_fma_f64 v[2:3], v[16:17], v[24:25], v[2:3]
	s_waitcnt vmcnt(0) lgkmcnt(0)
	s_delay_alu instid0(VALU_DEP_1)
	v_fma_f64 v[2:3], v[14:15], v[26:27], v[2:3]
.LBB244_44:
	s_or_b32 exec_lo, exec_lo, s3
	s_waitcnt vmcnt(0) lgkmcnt(0)
	s_delay_alu instid0(VALU_DEP_2)
	v_fma_f64 v[4:5], v[14:15], v[30:31], v[4:5]
.LBB244_45:
	s_or_b32 exec_lo, exec_lo, s2
	s_waitcnt vmcnt(0) lgkmcnt(0)
	s_delay_alu instid0(VALU_DEP_2)
	v_fma_f64 v[6:7], v[14:15], v[28:29], v[6:7]
.LBB244_46:
	s_or_b32 exec_lo, exec_lo, s0
	s_waitcnt vmcnt(0) lgkmcnt(0)
	s_delay_alu instid0(VALU_DEP_2)
	v_fma_f64 v[8:9], v[14:15], v[22:23], v[8:9]
.LBB244_47:
	s_or_b32 exec_lo, exec_lo, s1
.LBB244_48:
	v_lshlrev_b32_e32 v0, 8, v0
	s_mov_b32 s0, exec_lo
	s_delay_alu instid0(VALU_DEP_1)
	v_add_lshl_u32 v0, v0, v1, 3
	ds_store_2addr_stride64_b64 v0, v[8:9], v[6:7] offset1:1
	ds_store_2addr_stride64_b64 v0, v[4:5], v[2:3] offset0:2 offset1:3
	s_waitcnt vmcnt(0) lgkmcnt(0)
	s_barrier
	buffer_gl0_inv
                                        ; implicit-def: $vgpr4_vgpr5
                                        ; implicit-def: $vgpr2_vgpr3
	v_cmpx_gt_u32_e32 0x100, v53
	s_cbranch_execz .LBB244_54
; %bb.49:
	v_lshlrev_b32_e32 v7, 3, v53
	v_or_b32_e32 v6, s14, v53
	s_mov_b32 s2, s19
	s_mov_b32 s1, exec_lo
	ds_load_2addr_stride64_b64 v[0:3], v7 offset1:4
	s_waitcnt lgkmcnt(0)
	v_add_f64 v[4:5], v[0:1], v[2:3]
	ds_load_2addr_stride64_b64 v[0:3], v7 offset0:8 offset1:12
	s_waitcnt lgkmcnt(0)
	v_add_f64 v[0:1], v[0:1], v[4:5]
                                        ; implicit-def: $vgpr4_vgpr5
	s_delay_alu instid0(VALU_DEP_1)
	v_add_f64 v[0:1], v[2:3], v[0:1]
                                        ; implicit-def: $vgpr2_vgpr3
	ds_store_b64 v7, v[0:1]
	v_cmpx_gt_i32_e64 s8, v6
	s_cbranch_execz .LBB244_53
; %bb.50:
	v_cmp_eq_f64_e64 s2, s[4:5], 0
	v_mul_f64 v[4:5], v[0:1], s[6:7]
	v_mul_lo_u32 v2, v6, s18
	s_delay_alu instid0(VALU_DEP_1) | instskip(NEXT) | instid1(VALU_DEP_4)
	v_ashrrev_i32_e32 v3, 31, v2
	s_and_b32 vcc_lo, exec_lo, s2
	s_cbranch_vccnz .LBB244_52
; %bb.51:
	s_delay_alu instid0(VALU_DEP_1) | instskip(NEXT) | instid1(VALU_DEP_1)
	v_lshlrev_b64 v[0:1], 3, v[2:3]
	v_add_co_u32 v0, vcc_lo, s15, v0
	s_delay_alu instid0(VALU_DEP_2)
	v_add_co_ci_u32_e32 v1, vcc_lo, s17, v1, vcc_lo
	global_load_b64 v[0:1], v[0:1], off
	s_waitcnt vmcnt(0)
	v_fma_f64 v[4:5], v[0:1], s[4:5], v[4:5]
.LBB244_52:
	s_or_b32 s2, s19, exec_lo
.LBB244_53:
	s_or_b32 exec_lo, exec_lo, s1
	s_delay_alu instid0(SALU_CYCLE_1) | instskip(SKIP_1) | instid1(SALU_CYCLE_1)
	s_and_not1_b32 s1, s19, exec_lo
	s_and_b32 s2, s2, exec_lo
	s_or_b32 s19, s1, s2
.LBB244_54:
	s_or_b32 exec_lo, exec_lo, s0
.LBB244_55:
	s_and_saveexec_b32 s0, s19
	s_cbranch_execz .LBB244_57
; %bb.56:
	v_lshlrev_b64 v[0:1], 3, v[2:3]
	s_delay_alu instid0(VALU_DEP_1) | instskip(NEXT) | instid1(VALU_DEP_2)
	v_add_co_u32 v0, vcc_lo, s15, v0
	v_add_co_ci_u32_e32 v1, vcc_lo, s17, v1, vcc_lo
	global_store_b64 v[0:1], v[4:5], off
.LBB244_57:
	s_nop 0
	s_sendmsg sendmsg(MSG_DEALLOC_VGPRS)
	s_endpgm
	.section	.rodata,"a",@progbits
	.p2align	6, 0x0
	.amdhsa_kernel _ZL20rocblas_gemvn_kernelILi64ELi4EiPKddKPdEviiT3_lPKT2_lT1_lS7_lS8_lS4_lPT4_lS8_li
		.amdhsa_group_segment_fixed_size 8192
		.amdhsa_private_segment_fixed_size 0
		.amdhsa_kernarg_size 400
		.amdhsa_user_sgpr_count 14
		.amdhsa_user_sgpr_dispatch_ptr 0
		.amdhsa_user_sgpr_queue_ptr 0
		.amdhsa_user_sgpr_kernarg_segment_ptr 1
		.amdhsa_user_sgpr_dispatch_id 0
		.amdhsa_user_sgpr_private_segment_size 0
		.amdhsa_wavefront_size32 1
		.amdhsa_uses_dynamic_stack 0
		.amdhsa_enable_private_segment 0
		.amdhsa_system_sgpr_workgroup_id_x 1
		.amdhsa_system_sgpr_workgroup_id_y 0
		.amdhsa_system_sgpr_workgroup_id_z 1
		.amdhsa_system_sgpr_workgroup_info 0
		.amdhsa_system_vgpr_workitem_id 1
		.amdhsa_next_free_vgpr 61
		.amdhsa_next_free_sgpr 30
		.amdhsa_reserve_vcc 1
		.amdhsa_float_round_mode_32 0
		.amdhsa_float_round_mode_16_64 0
		.amdhsa_float_denorm_mode_32 3
		.amdhsa_float_denorm_mode_16_64 3
		.amdhsa_dx10_clamp 1
		.amdhsa_ieee_mode 1
		.amdhsa_fp16_overflow 0
		.amdhsa_workgroup_processor_mode 1
		.amdhsa_memory_ordered 1
		.amdhsa_forward_progress 0
		.amdhsa_shared_vgpr_count 0
		.amdhsa_exception_fp_ieee_invalid_op 0
		.amdhsa_exception_fp_denorm_src 0
		.amdhsa_exception_fp_ieee_div_zero 0
		.amdhsa_exception_fp_ieee_overflow 0
		.amdhsa_exception_fp_ieee_underflow 0
		.amdhsa_exception_fp_ieee_inexact 0
		.amdhsa_exception_int_div_zero 0
	.end_amdhsa_kernel
	.section	.text._ZL20rocblas_gemvn_kernelILi64ELi4EiPKddKPdEviiT3_lPKT2_lT1_lS7_lS8_lS4_lPT4_lS8_li,"axG",@progbits,_ZL20rocblas_gemvn_kernelILi64ELi4EiPKddKPdEviiT3_lPKT2_lT1_lS7_lS8_lS4_lPT4_lS8_li,comdat
.Lfunc_end244:
	.size	_ZL20rocblas_gemvn_kernelILi64ELi4EiPKddKPdEviiT3_lPKT2_lT1_lS7_lS8_lS4_lPT4_lS8_li, .Lfunc_end244-_ZL20rocblas_gemvn_kernelILi64ELi4EiPKddKPdEviiT3_lPKT2_lT1_lS7_lS8_lS4_lPT4_lS8_li
                                        ; -- End function
	.section	.AMDGPU.csdata,"",@progbits
; Kernel info:
; codeLenInByte = 3140
; NumSgprs: 32
; NumVgprs: 61
; ScratchSize: 0
; MemoryBound: 0
; FloatMode: 240
; IeeeMode: 1
; LDSByteSize: 8192 bytes/workgroup (compile time only)
; SGPRBlocks: 3
; VGPRBlocks: 7
; NumSGPRsForWavesPerEU: 32
; NumVGPRsForWavesPerEU: 61
; Occupancy: 16
; WaveLimiterHint : 1
; COMPUTE_PGM_RSRC2:SCRATCH_EN: 0
; COMPUTE_PGM_RSRC2:USER_SGPR: 14
; COMPUTE_PGM_RSRC2:TRAP_HANDLER: 0
; COMPUTE_PGM_RSRC2:TGID_X_EN: 1
; COMPUTE_PGM_RSRC2:TGID_Y_EN: 0
; COMPUTE_PGM_RSRC2:TGID_Z_EN: 1
; COMPUTE_PGM_RSRC2:TIDIG_COMP_CNT: 1
	.section	.text._ZL20rocblas_gemvn_kernelILi64ELi4ElPKddKPdEviiT3_lPKT2_lT1_lS7_lS8_lS4_lPT4_lS8_li,"axG",@progbits,_ZL20rocblas_gemvn_kernelILi64ELi4ElPKddKPdEviiT3_lPKT2_lT1_lS7_lS8_lS4_lPT4_lS8_li,comdat
	.globl	_ZL20rocblas_gemvn_kernelILi64ELi4ElPKddKPdEviiT3_lPKT2_lT1_lS7_lS8_lS4_lPT4_lS8_li ; -- Begin function _ZL20rocblas_gemvn_kernelILi64ELi4ElPKddKPdEviiT3_lPKT2_lT1_lS7_lS8_lS4_lPT4_lS8_li
	.p2align	8
	.type	_ZL20rocblas_gemvn_kernelILi64ELi4ElPKddKPdEviiT3_lPKT2_lT1_lS7_lS8_lS4_lPT4_lS8_li,@function
_ZL20rocblas_gemvn_kernelILi64ELi4ElPKddKPdEviiT3_lPKT2_lT1_lS7_lS8_lS4_lPT4_lS8_li: ; @_ZL20rocblas_gemvn_kernelILi64ELi4ElPKddKPdEviiT3_lPKT2_lT1_lS7_lS8_lS4_lPT4_lS8_li
; %bb.0:
	s_load_b64 s[4:5], s[0:1], 0x9c
	s_waitcnt lgkmcnt(0)
	s_lshr_b32 s3, s4, 16
	s_and_b32 s4, s4, 0xffff
	s_and_b32 s5, s5, 0xffff
	s_mul_i32 s3, s3, s4
	s_delay_alu instid0(SALU_CYCLE_1) | instskip(NEXT) | instid1(SALU_CYCLE_1)
	s_mul_i32 s3, s3, s5
	s_cmpk_lg_i32 s3, 0x100
	s_cbranch_scc1 .LBB245_57
; %bb.1:
	s_clause 0x1
	s_load_b64 s[10:11], s[0:1], 0x8
	s_load_b64 s[8:9], s[0:1], 0x58
	s_mov_b32 s2, s15
	s_waitcnt lgkmcnt(0)
	v_cmp_eq_f64_e64 s15, s[10:11], 0
	v_cmp_eq_f64_e64 s3, s[8:9], 1.0
	s_delay_alu instid0(VALU_DEP_1) | instskip(NEXT) | instid1(SALU_CYCLE_1)
	s_and_b32 s3, s15, s3
	s_and_b32 vcc_lo, exec_lo, s3
	s_cbranch_vccnz .LBB245_57
; %bb.2:
	v_cmp_neq_f64_e64 s12, s[10:11], 0
	s_clause 0x1
	s_load_b128 s[4:7], s[0:1], 0x18
	s_load_b64 s[16:17], s[0:1], 0x28
	s_delay_alu instid0(VALU_DEP_1)
	s_and_b32 vcc_lo, exec_lo, s12
	s_cbranch_vccnz .LBB245_4
; %bb.3:
	s_mov_b32 s3, 0
	s_mov_b64 s[18:19], 0
	s_cbranch_execz .LBB245_5
	s_branch .LBB245_6
.LBB245_4:
	s_mov_b32 s3, -1
                                        ; implicit-def: $sgpr18_sgpr19
.LBB245_5:
	s_mov_b32 s3, 0
	s_delay_alu instid0(SALU_CYCLE_1)
	s_lshl_b64 s[18:19], s[2:3], 3
	s_waitcnt lgkmcnt(0)
	s_add_u32 s4, s4, s18
	s_addc_u32 s5, s5, s19
	s_lshl_b64 s[6:7], s[6:7], 3
	s_load_b64 s[4:5], s[4:5], 0x0
	s_waitcnt lgkmcnt(0)
	s_add_u32 s18, s4, s6
	s_addc_u32 s19, s5, s7
.LBB245_6:
	s_waitcnt lgkmcnt(0)
	s_clause 0x1
	s_load_b128 s[4:7], s[0:1], 0x38
	s_load_b64 s[20:21], s[0:1], 0x48
	s_and_not1_b32 vcc_lo, exec_lo, s12
	s_cbranch_vccnz .LBB245_8
; %bb.7:
	s_lshl_b64 s[12:13], s[2:3], 3
	s_waitcnt lgkmcnt(0)
	s_add_u32 s4, s4, s12
	s_addc_u32 s5, s5, s13
	s_lshl_b64 s[6:7], s[6:7], 3
	s_load_b64 s[4:5], s[4:5], 0x0
	s_waitcnt lgkmcnt(0)
	s_add_u32 s22, s4, s6
	s_addc_u32 s23, s5, s7
	s_branch .LBB245_9
.LBB245_8:
	s_mov_b64 s[22:23], 0
.LBB245_9:
	s_load_b128 s[24:27], s[0:1], 0x68
	s_lshl_b64 s[2:3], s[2:3], 3
	v_and_b32_e32 v61, 0x3ff, v0
	v_bfe_u32 v62, v0, 10, 10
	s_delay_alu instid0(VALU_DEP_1)
	v_lshl_add_u32 v60, v62, 6, v61
	s_waitcnt lgkmcnt(0)
	s_add_u32 s2, s24, s2
	s_addc_u32 s3, s25, s3
	s_lshl_b64 s[24:25], s[26:27], 3
	s_load_b64 s[2:3], s[2:3], 0x0
	s_clause 0x1
	s_load_b64 s[12:13], s[0:1], 0x0
	s_load_b64 s[6:7], s[0:1], 0x78
	v_cmp_gt_u32_e64 s0, 0x100, v60
	s_waitcnt lgkmcnt(0)
	s_add_u32 s5, s2, s24
	s_addc_u32 s28, s3, s25
	s_and_not1_b32 vcc_lo, exec_lo, s15
	s_cbranch_vccnz .LBB245_16
; %bb.10:
	s_mov_b32 s1, 0
	s_mov_b32 s29, 0
                                        ; implicit-def: $vgpr2_vgpr3
                                        ; implicit-def: $vgpr0_vgpr1
	s_and_saveexec_b32 s2, s0
	s_cbranch_execz .LBB245_17
; %bb.11:
	v_lshl_or_b32 v4, s14, 8, v60
	v_mov_b32_e32 v5, 0
	s_ashr_i32 s25, s12, 31
	s_mov_b32 s24, s12
	s_mov_b32 s3, 0
	s_mov_b32 s0, exec_lo
                                        ; implicit-def: $vgpr2_vgpr3
                                        ; implicit-def: $vgpr0_vgpr1
	v_cmpx_gt_i64_e64 s[24:25], v[4:5]
	s_cbranch_execz .LBB245_15
; %bb.12:
	v_cmp_eq_f64_e64 s3, s[8:9], 0
	v_mad_u64_u32 v[0:1], null, v4, s6, 0
	s_delay_alu instid0(VALU_DEP_1) | instskip(NEXT) | instid1(VALU_DEP_1)
	v_mad_u64_u32 v[2:3], null, v4, s7, v[1:2]
	v_dual_mov_b32 v1, v2 :: v_dual_mov_b32 v2, 0
	v_mov_b32_e32 v3, 0
	s_and_b32 vcc_lo, exec_lo, s3
	s_cbranch_vccnz .LBB245_14
; %bb.13:
	s_delay_alu instid0(VALU_DEP_2) | instskip(NEXT) | instid1(VALU_DEP_1)
	v_lshlrev_b64 v[2:3], 3, v[0:1]
	v_add_co_u32 v2, vcc_lo, s5, v2
	s_delay_alu instid0(VALU_DEP_2)
	v_add_co_ci_u32_e32 v3, vcc_lo, s28, v3, vcc_lo
	global_load_b64 v[2:3], v[2:3], off
	s_waitcnt vmcnt(0)
	v_mul_f64 v[2:3], v[2:3], s[8:9]
.LBB245_14:
	s_mov_b32 s3, exec_lo
.LBB245_15:
	s_or_b32 exec_lo, exec_lo, s0
	s_delay_alu instid0(SALU_CYCLE_1) | instskip(SKIP_1) | instid1(SALU_CYCLE_1)
	s_and_b32 s29, s3, exec_lo
	s_or_b32 exec_lo, exec_lo, s2
	s_and_b32 vcc_lo, exec_lo, s1
	s_cbranch_vccnz .LBB245_18
	s_branch .LBB245_55
.LBB245_16:
	s_mov_b32 s29, 0
                                        ; implicit-def: $vgpr2_vgpr3
                                        ; implicit-def: $vgpr0_vgpr1
	s_cbranch_execnz .LBB245_18
	s_branch .LBB245_55
.LBB245_17:
	s_or_b32 exec_lo, exec_lo, s2
	s_delay_alu instid0(SALU_CYCLE_1)
	s_and_b32 vcc_lo, exec_lo, s1
	s_cbranch_vccz .LBB245_55
.LBB245_18:
	v_dual_mov_b32 v8, 0 :: v_dual_lshlrev_b32 v63, 2, v62
	s_lshl_b32 s30, s14, 8
	s_delay_alu instid0(SALU_CYCLE_1) | instskip(SKIP_1) | instid1(VALU_DEP_2)
	v_dual_mov_b32 v9, 0 :: v_dual_add_nc_u32 v0, s30, v61
	s_ashr_i32 s0, s13, 31
	v_mov_b32_e32 v6, v8
	s_lshr_b32 s0, s0, 28
	s_delay_alu instid0(VALU_DEP_2)
	v_dual_mov_b32 v7, v9 :: v_dual_mov_b32 v4, v8
	v_dual_mov_b32 v5, v9 :: v_dual_mov_b32 v2, v8
	v_mov_b32_e32 v3, v9
	s_add_i32 s0, s13, s0
	s_mov_b32 s33, exec_lo
	s_and_b32 s31, s0, -16
	s_delay_alu instid0(SALU_CYCLE_1)
	v_cmpx_gt_i32_e64 s31, v63
	s_cbranch_execz .LBB245_30
; %bb.19:
	v_lshlrev_b32_e32 v25, 2, v62
	v_mad_u64_u32 v[4:5], null, s20, v62, 0
	v_mad_u64_u32 v[6:7], null, s16, v62, 0
	s_delay_alu instid0(VALU_DEP_3)
	v_or_b32_e32 v22, 3, v25
	v_ashrrev_i32_e32 v1, 31, v0
	v_add_nc_u32_e32 v8, 64, v0
	v_add_nc_u32_e32 v10, 0xc0, v0
	v_or_b32_e32 v26, 2, v25
	v_mad_u64_u32 v[2:3], null, s16, v22, 0
	v_mad_u64_u32 v[16:17], null, s20, v22, 0
	v_add_nc_u32_e32 v9, 0x80, v0
	v_cmp_gt_i32_e64 s2, s12, v10
	v_lshlrev_b64 v[10:11], 3, v[0:1]
	v_mov_b32_e32 v1, v7
	v_cmp_gt_i32_e64 s0, s12, v8
	v_cmp_gt_i32_e64 s1, s12, v9
	v_mad_u64_u32 v[8:9], null, s17, v22, v[3:4]
	v_mad_u64_u32 v[12:13], null, s21, v62, v[5:6]
	;; [unrolled: 1-line block ×4, first 2 shown]
	s_delay_alu instid0(VALU_DEP_4)
	v_mov_b32_e32 v3, v8
	v_cmp_gt_i32_e32 vcc_lo, s12, v0
	v_mov_b32_e32 v5, v12
	s_lshl_b64 s[14:15], s[16:17], 7
	v_mov_b32_e32 v7, v13
	v_lshlrev_b64 v[1:2], 3, v[2:3]
	s_lshl_b64 s[24:25], s[20:21], 7
	v_lshlrev_b64 v[12:13], 5, v[4:5]
	s_mov_b32 s34, 0
	s_mov_b64 s[26:27], s[22:23]
	s_delay_alu instid0(VALU_DEP_2) | instskip(NEXT) | instid1(VALU_DEP_1)
	v_add_co_u32 v1, s3, s18, v1
	v_add_co_ci_u32_e64 v64, s3, s19, v2, s3
	v_mov_b32_e32 v2, v15
	v_mad_u64_u32 v[8:9], null, s20, v25, s[20:21]
	v_mad_u64_u32 v[4:5], null, s16, v25, s[16:17]
	s_delay_alu instid0(VALU_DEP_2) | instskip(NEXT) | instid1(VALU_DEP_1)
	v_mov_b32_e32 v3, v9
	v_mad_u64_u32 v[18:19], null, s17, v26, v[2:3]
	v_mov_b32_e32 v2, v17
	s_delay_alu instid0(VALU_DEP_4) | instskip(NEXT) | instid1(VALU_DEP_2)
	v_mad_u64_u32 v[19:20], null, s21, v25, v[3:4]
	v_mad_u64_u32 v[20:21], null, s21, v22, v[2:3]
	;; [unrolled: 1-line block ×3, first 2 shown]
	v_dual_mov_b32 v2, v5 :: v_dual_mov_b32 v15, v18
	s_delay_alu instid0(VALU_DEP_4) | instskip(NEXT) | instid1(VALU_DEP_4)
	v_mov_b32_e32 v9, v19
	v_mov_b32_e32 v17, v20
	s_delay_alu instid0(VALU_DEP_3) | instskip(SKIP_1) | instid1(VALU_DEP_3)
	v_mad_u64_u32 v[23:24], null, s17, v25, v[2:3]
	v_mov_b32_e32 v2, v22
	v_lshlrev_b64 v[16:17], 3, v[16:17]
	s_delay_alu instid0(VALU_DEP_2) | instskip(NEXT) | instid1(VALU_DEP_1)
	v_mad_u64_u32 v[18:19], null, s21, v26, v[2:3]
	v_mov_b32_e32 v22, v18
	v_lshlrev_b64 v[6:7], 5, v[6:7]
	s_delay_alu instid0(VALU_DEP_2) | instskip(NEXT) | instid1(VALU_DEP_2)
	v_lshlrev_b64 v[18:19], 3, v[21:22]
	v_add_co_u32 v65, s3, s18, v6
	s_delay_alu instid0(VALU_DEP_1)
	v_add_co_ci_u32_e64 v66, s3, s19, v7, s3
	v_lshlrev_b64 v[6:7], 3, v[14:15]
	v_lshlrev_b64 v[14:15], 3, v[8:9]
	v_mov_b32_e32 v8, 0
	v_mov_b32_e32 v9, 0
	v_mov_b32_e32 v5, v23
	v_add_co_u32 v67, s3, s18, v6
	s_delay_alu instid0(VALU_DEP_1) | instskip(SKIP_1) | instid1(VALU_DEP_4)
	v_add_co_ci_u32_e64 v68, s3, s19, v7, s3
	v_mov_b32_e32 v6, v8
	v_lshlrev_b64 v[2:3], 3, v[4:5]
	v_dual_mov_b32 v7, v9 :: v_dual_mov_b32 v4, v8
	v_mov_b32_e32 v5, v9
	s_delay_alu instid0(VALU_DEP_3) | instskip(NEXT) | instid1(VALU_DEP_1)
	v_add_co_u32 v69, s3, s18, v2
	v_add_co_ci_u32_e64 v70, s3, s19, v3, s3
	v_dual_mov_b32 v2, v8 :: v_dual_mov_b32 v3, v9
	s_branch .LBB245_24
.LBB245_20:                             ;   in Loop: Header=BB245_24 Depth=1
	s_or_b32 exec_lo, exec_lo, s36
	s_waitcnt vmcnt(3) lgkmcnt(3)
	v_fma_f64 v[4:5], v[20:21], v[52:53], v[4:5]
	s_waitcnt vmcnt(2) lgkmcnt(2)
	s_delay_alu instid0(VALU_DEP_1) | instskip(SKIP_1) | instid1(VALU_DEP_1)
	v_fma_f64 v[4:5], v[22:23], v[54:55], v[4:5]
	s_waitcnt vmcnt(1) lgkmcnt(1)
	v_fma_f64 v[4:5], v[24:25], v[56:57], v[4:5]
	s_waitcnt vmcnt(0) lgkmcnt(0)
	s_delay_alu instid0(VALU_DEP_1)
	v_fma_f64 v[4:5], v[26:27], v[58:59], v[4:5]
.LBB245_21:                             ;   in Loop: Header=BB245_24 Depth=1
	s_or_b32 exec_lo, exec_lo, s35
	s_waitcnt vmcnt(3) lgkmcnt(3)
	v_fma_f64 v[6:7], v[20:21], v[44:45], v[6:7]
	s_waitcnt vmcnt(2) lgkmcnt(2)
	s_delay_alu instid0(VALU_DEP_1) | instskip(SKIP_1) | instid1(VALU_DEP_1)
	v_fma_f64 v[6:7], v[22:23], v[46:47], v[6:7]
	s_waitcnt vmcnt(1) lgkmcnt(1)
	v_fma_f64 v[6:7], v[24:25], v[48:49], v[6:7]
	s_waitcnt vmcnt(0) lgkmcnt(0)
	s_delay_alu instid0(VALU_DEP_1)
	v_fma_f64 v[6:7], v[26:27], v[50:51], v[6:7]
.LBB245_22:                             ;   in Loop: Header=BB245_24 Depth=1
	s_or_b32 exec_lo, exec_lo, s3
	s_waitcnt vmcnt(3) lgkmcnt(3)
	v_fma_f64 v[8:9], v[20:21], v[28:29], v[8:9]
	s_waitcnt vmcnt(2) lgkmcnt(2)
	s_delay_alu instid0(VALU_DEP_1) | instskip(SKIP_1) | instid1(VALU_DEP_1)
	v_fma_f64 v[8:9], v[22:23], v[30:31], v[8:9]
	s_waitcnt vmcnt(1) lgkmcnt(1)
	v_fma_f64 v[8:9], v[24:25], v[32:33], v[8:9]
	s_waitcnt vmcnt(0) lgkmcnt(0)
	s_delay_alu instid0(VALU_DEP_1)
	v_fma_f64 v[8:9], v[26:27], v[34:35], v[8:9]
.LBB245_23:                             ;   in Loop: Header=BB245_24 Depth=1
	s_or_b32 exec_lo, exec_lo, s4
	v_add_co_u32 v1, s3, v1, s14
	s_delay_alu instid0(VALU_DEP_1) | instskip(SKIP_4) | instid1(VALU_DEP_1)
	v_add_co_ci_u32_e64 v64, s3, s15, v64, s3
	v_add_co_u32 v65, s3, v65, s14
	v_add_nc_u32_e32 v63, 16, v63
	v_add_co_ci_u32_e64 v66, s3, s15, v66, s3
	v_add_co_u32 v67, s3, v67, s14
	v_add_co_ci_u32_e64 v68, s3, s15, v68, s3
	s_delay_alu instid0(VALU_DEP_4) | instskip(SKIP_1) | instid1(VALU_DEP_1)
	v_cmp_le_i32_e64 s3, s31, v63
	v_add_co_u32 v69, s4, v69, s14
	v_add_co_ci_u32_e64 v70, s4, s15, v70, s4
	s_add_u32 s26, s26, s24
	s_addc_u32 s27, s27, s25
	s_or_b32 s34, s3, s34
	s_delay_alu instid0(SALU_CYCLE_1)
	s_and_not1_b32 exec_lo, exec_lo, s34
	s_cbranch_execz .LBB245_29
.LBB245_24:                             ; =>This Inner Loop Header: Depth=1
	s_and_saveexec_b32 s4, vcc_lo
	s_cbranch_execz .LBB245_23
; %bb.25:                               ;   in Loop: Header=BB245_24 Depth=1
	v_add_co_u32 v20, s3, s26, v12
	s_delay_alu instid0(VALU_DEP_1) | instskip(SKIP_1) | instid1(VALU_DEP_1)
	v_add_co_ci_u32_e64 v21, s3, s27, v13, s3
	v_add_co_u32 v22, s3, s26, v14
	v_add_co_ci_u32_e64 v23, s3, s27, v15, s3
	v_add_co_u32 v24, s3, s26, v18
	s_delay_alu instid0(VALU_DEP_1) | instskip(SKIP_1) | instid1(VALU_DEP_1)
	v_add_co_ci_u32_e64 v25, s3, s27, v19, s3
	v_add_co_u32 v26, s3, s26, v16
	v_add_co_ci_u32_e64 v27, s3, s27, v17, s3
	;; [unrolled: 5-line block ×4, first 2 shown]
	s_clause 0x3
	flat_load_b64 v[20:21], v[20:21]
	flat_load_b64 v[22:23], v[22:23]
	;; [unrolled: 1-line block ×8, first 2 shown]
	s_and_saveexec_b32 s3, s0
	s_cbranch_execz .LBB245_22
; %bb.26:                               ;   in Loop: Header=BB245_24 Depth=1
	flat_load_b64 v[44:45], v[36:37] offset:512
	flat_load_b64 v[46:47], v[38:39] offset:512
	flat_load_b64 v[48:49], v[40:41] offset:512
	flat_load_b64 v[50:51], v[42:43] offset:512
	s_and_saveexec_b32 s35, s1
	s_cbranch_execz .LBB245_21
; %bb.27:                               ;   in Loop: Header=BB245_24 Depth=1
	flat_load_b64 v[52:53], v[36:37] offset:1024
	flat_load_b64 v[54:55], v[38:39] offset:1024
	flat_load_b64 v[56:57], v[40:41] offset:1024
	flat_load_b64 v[58:59], v[42:43] offset:1024
	;; [unrolled: 7-line block ×3, first 2 shown]
	s_waitcnt vmcnt(3) lgkmcnt(3)
	v_fma_f64 v[2:3], v[20:21], v[36:37], v[2:3]
	s_waitcnt vmcnt(2) lgkmcnt(2)
	s_delay_alu instid0(VALU_DEP_1) | instskip(SKIP_1) | instid1(VALU_DEP_1)
	v_fma_f64 v[2:3], v[22:23], v[38:39], v[2:3]
	s_waitcnt vmcnt(1) lgkmcnt(1)
	v_fma_f64 v[2:3], v[24:25], v[40:41], v[2:3]
	s_waitcnt vmcnt(0) lgkmcnt(0)
	s_delay_alu instid0(VALU_DEP_1)
	v_fma_f64 v[2:3], v[26:27], v[42:43], v[2:3]
	s_branch .LBB245_20
.LBB245_29:
	s_or_b32 exec_lo, exec_lo, s34
.LBB245_30:
	s_delay_alu instid0(SALU_CYCLE_1) | instskip(SKIP_1) | instid1(SALU_CYCLE_1)
	s_or_b32 exec_lo, exec_lo, s33
	s_sub_i32 s0, s13, s31
	s_cmp_lt_i32 s0, 1
	s_cbranch_scc1 .LBB245_48
; %bb.31:
	v_mov_b32_e32 v14, 0
	v_mov_b32_e32 v15, 0
	v_cmp_gt_i32_e32 vcc_lo, s13, v63
	v_or_b32_e32 v20, 1, v63
	s_delay_alu instid0(VALU_DEP_4) | instskip(NEXT) | instid1(VALU_DEP_4)
	v_mov_b32_e32 v12, v14
	v_dual_mov_b32 v10, v14 :: v_dual_mov_b32 v11, v15
	v_dual_mov_b32 v17, v15 :: v_dual_mov_b32 v16, v14
	v_mov_b32_e32 v13, v15
	s_and_saveexec_b32 s1, vcc_lo
	s_cbranch_execz .LBB245_39
; %bb.32:
	v_mad_u64_u32 v[10:11], null, v63, s20, 0
	s_mov_b32 s2, exec_lo
	s_delay_alu instid0(VALU_DEP_1) | instskip(NEXT) | instid1(VALU_DEP_1)
	v_mov_b32_e32 v1, v11
	v_mad_u64_u32 v[11:12], null, v63, s21, v[1:2]
	v_mov_b32_e32 v12, 0
	v_mov_b32_e32 v13, 0
	s_delay_alu instid0(VALU_DEP_1) | instskip(NEXT) | instid1(VALU_DEP_4)
	v_dual_mov_b32 v17, v13 :: v_dual_mov_b32 v16, v12
	v_lshlrev_b64 v[10:11], 3, v[10:11]
	v_dual_mov_b32 v15, v13 :: v_dual_mov_b32 v14, v12
	s_delay_alu instid0(VALU_DEP_2) | instskip(NEXT) | instid1(VALU_DEP_1)
	v_add_co_u32 v10, s0, s22, v10
	v_add_co_ci_u32_e64 v11, s0, s23, v11, s0
	flat_load_b64 v[10:11], v[10:11]
	v_cmpx_gt_i32_e64 s13, v20
	s_cbranch_execz .LBB245_38
; %bb.33:
	v_mad_u64_u32 v[12:13], null, v20, s20, 0
	s_mov_b32 s3, exec_lo
	v_mov_b32_e32 v16, 0
	v_mov_b32_e32 v17, 0
	s_delay_alu instid0(VALU_DEP_3) | instskip(NEXT) | instid1(VALU_DEP_1)
	v_mov_b32_e32 v1, v13
	v_mad_u64_u32 v[13:14], null, v20, s21, v[1:2]
	v_or_b32_e32 v1, 2, v63
	s_delay_alu instid0(VALU_DEP_4) | instskip(NEXT) | instid1(VALU_DEP_3)
	v_dual_mov_b32 v14, v16 :: v_dual_mov_b32 v15, v17
	v_lshlrev_b64 v[12:13], 3, v[12:13]
	s_delay_alu instid0(VALU_DEP_1) | instskip(NEXT) | instid1(VALU_DEP_1)
	v_add_co_u32 v12, s0, s22, v12
	v_add_co_ci_u32_e64 v13, s0, s23, v13, s0
	flat_load_b64 v[12:13], v[12:13]
	v_cmpx_gt_i32_e64 s13, v1
	s_cbranch_execz .LBB245_37
; %bb.34:
	v_mad_u64_u32 v[14:15], null, v1, s20, 0
	s_mov_b32 s4, exec_lo
	s_delay_alu instid0(VALU_DEP_1) | instskip(SKIP_1) | instid1(VALU_DEP_2)
	v_mad_u64_u32 v[16:17], null, v1, s21, v[15:16]
	v_or_b32_e32 v1, 3, v63
	v_mov_b32_e32 v15, v16
	s_delay_alu instid0(VALU_DEP_1) | instskip(NEXT) | instid1(VALU_DEP_1)
	v_lshlrev_b64 v[14:15], 3, v[14:15]
	v_add_co_u32 v14, s0, s22, v14
	s_delay_alu instid0(VALU_DEP_1)
	v_add_co_ci_u32_e64 v15, s0, s23, v15, s0
	flat_load_b64 v[16:17], v[14:15]
	v_mov_b32_e32 v14, 0
	v_mov_b32_e32 v15, 0
	v_cmpx_gt_i32_e64 s13, v1
	s_cbranch_execz .LBB245_36
; %bb.35:
	v_mad_u64_u32 v[14:15], null, v1, s20, 0
	s_waitcnt vmcnt(0) lgkmcnt(0)
	s_delay_alu instid0(VALU_DEP_1) | instskip(NEXT) | instid1(VALU_DEP_1)
	v_mad_u64_u32 v[18:19], null, v1, s21, v[15:16]
	v_mov_b32_e32 v15, v18
	s_delay_alu instid0(VALU_DEP_1) | instskip(NEXT) | instid1(VALU_DEP_1)
	v_lshlrev_b64 v[14:15], 3, v[14:15]
	v_add_co_u32 v14, s0, s22, v14
	s_delay_alu instid0(VALU_DEP_1)
	v_add_co_ci_u32_e64 v15, s0, s23, v15, s0
	flat_load_b64 v[14:15], v[14:15]
.LBB245_36:
	s_or_b32 exec_lo, exec_lo, s4
.LBB245_37:
	s_delay_alu instid0(SALU_CYCLE_1)
	s_or_b32 exec_lo, exec_lo, s3
.LBB245_38:
	s_delay_alu instid0(SALU_CYCLE_1)
	s_or_b32 exec_lo, exec_lo, s2
.LBB245_39:
	s_delay_alu instid0(SALU_CYCLE_1) | instskip(NEXT) | instid1(SALU_CYCLE_1)
	s_or_b32 exec_lo, exec_lo, s1
	s_mov_b32 s1, exec_lo
	v_cmpx_gt_i32_e64 s12, v0
	s_cbranch_execz .LBB245_47
; %bb.40:
	v_mad_u64_u32 v[18:19], null, v63, s16, 0
	v_mad_u64_u32 v[24:25], null, v20, s16, 0
	v_or_b32_e32 v27, 2, v63
	v_or_b32_e32 v36, 3, v63
	s_mov_b32 s0, exec_lo
	s_delay_alu instid0(VALU_DEP_4) | instskip(NEXT) | instid1(VALU_DEP_1)
	v_dual_mov_b32 v1, v19 :: v_dual_cndmask_b32 v18, 0, v18
	v_mad_u64_u32 v[21:22], null, v63, s17, v[1:2]
	v_ashrrev_i32_e32 v1, 31, v0
	s_delay_alu instid0(VALU_DEP_1) | instskip(NEXT) | instid1(VALU_DEP_3)
	v_lshlrev_b64 v[22:23], 3, v[0:1]
	v_cndmask_b32_e32 v19, 0, v21, vcc_lo
	s_delay_alu instid0(VALU_DEP_1) | instskip(NEXT) | instid1(VALU_DEP_1)
	v_lshlrev_b64 v[18:19], 3, v[18:19]
	v_add_co_u32 v1, vcc_lo, s18, v18
	s_delay_alu instid0(VALU_DEP_2) | instskip(NEXT) | instid1(VALU_DEP_2)
	v_add_co_ci_u32_e32 v19, vcc_lo, s19, v19, vcc_lo
	v_add_co_u32 v18, vcc_lo, v1, v22
	s_delay_alu instid0(VALU_DEP_2) | instskip(SKIP_4) | instid1(VALU_DEP_1)
	v_add_co_ci_u32_e32 v19, vcc_lo, v19, v23, vcc_lo
	v_mov_b32_e32 v1, v25
	v_cmp_gt_i32_e32 vcc_lo, s13, v20
	flat_load_b64 v[28:29], v[18:19]
	v_mad_u64_u32 v[25:26], null, v20, s17, v[1:2]
	v_dual_cndmask_b32 v20, 0, v24 :: v_dual_cndmask_b32 v21, 0, v25
	v_mad_u64_u32 v[24:25], null, v27, s16, 0
	s_delay_alu instid0(VALU_DEP_2) | instskip(NEXT) | instid1(VALU_DEP_1)
	v_lshlrev_b64 v[20:21], 3, v[20:21]
	v_add_co_u32 v1, vcc_lo, s18, v20
	s_delay_alu instid0(VALU_DEP_2) | instskip(NEXT) | instid1(VALU_DEP_2)
	v_add_co_ci_u32_e32 v21, vcc_lo, s19, v21, vcc_lo
	v_add_co_u32 v20, vcc_lo, v1, v22
	s_delay_alu instid0(VALU_DEP_2)
	v_add_co_ci_u32_e32 v21, vcc_lo, v21, v23, vcc_lo
	v_mov_b32_e32 v1, v25
	v_cmp_gt_i32_e32 vcc_lo, s13, v27
	flat_load_b64 v[30:31], v[20:21]
	v_mad_u64_u32 v[25:26], null, v27, s17, v[1:2]
	v_cndmask_b32_e32 v24, 0, v24, vcc_lo
	v_mad_u64_u32 v[26:27], null, v36, s16, 0
	s_delay_alu instid0(VALU_DEP_3) | instskip(NEXT) | instid1(VALU_DEP_1)
	v_cndmask_b32_e32 v25, 0, v25, vcc_lo
	v_lshlrev_b64 v[24:25], 3, v[24:25]
	s_delay_alu instid0(VALU_DEP_1) | instskip(NEXT) | instid1(VALU_DEP_2)
	v_add_co_u32 v1, vcc_lo, s18, v24
	v_add_co_ci_u32_e32 v25, vcc_lo, s19, v25, vcc_lo
	s_delay_alu instid0(VALU_DEP_2) | instskip(NEXT) | instid1(VALU_DEP_2)
	v_add_co_u32 v24, vcc_lo, v1, v22
	v_add_co_ci_u32_e32 v25, vcc_lo, v25, v23, vcc_lo
	v_mov_b32_e32 v1, v27
	v_cmp_gt_i32_e32 vcc_lo, s13, v36
	flat_load_b64 v[32:33], v[24:25]
	v_mad_u64_u32 v[34:35], null, v36, s17, v[1:2]
	v_cndmask_b32_e32 v26, 0, v26, vcc_lo
	s_delay_alu instid0(VALU_DEP_2) | instskip(NEXT) | instid1(VALU_DEP_1)
	v_cndmask_b32_e32 v27, 0, v34, vcc_lo
	v_lshlrev_b64 v[26:27], 3, v[26:27]
	s_delay_alu instid0(VALU_DEP_1) | instskip(NEXT) | instid1(VALU_DEP_2)
	v_add_co_u32 v1, vcc_lo, s18, v26
	v_add_co_ci_u32_e32 v27, vcc_lo, s19, v27, vcc_lo
	s_delay_alu instid0(VALU_DEP_2) | instskip(NEXT) | instid1(VALU_DEP_2)
	v_add_co_u32 v26, vcc_lo, v1, v22
	v_add_co_ci_u32_e32 v27, vcc_lo, v27, v23, vcc_lo
	v_add_nc_u32_e32 v1, 64, v0
	flat_load_b64 v[22:23], v[26:27]
	s_waitcnt vmcnt(3) lgkmcnt(3)
	v_fma_f64 v[8:9], v[10:11], v[28:29], v[8:9]
	s_waitcnt vmcnt(2) lgkmcnt(2)
	s_delay_alu instid0(VALU_DEP_1) | instskip(SKIP_1) | instid1(VALU_DEP_1)
	v_fma_f64 v[8:9], v[12:13], v[30:31], v[8:9]
	s_waitcnt vmcnt(1) lgkmcnt(1)
	v_fma_f64 v[8:9], v[16:17], v[32:33], v[8:9]
	v_cmpx_gt_i32_e64 s12, v1
	s_cbranch_execz .LBB245_46
; %bb.41:
	s_clause 0x3
	flat_load_b64 v[30:31], v[18:19] offset:512
	flat_load_b64 v[32:33], v[20:21] offset:512
	;; [unrolled: 1-line block ×4, first 2 shown]
	v_add_nc_u32_e32 v1, 0x80, v0
	s_mov_b32 s2, exec_lo
	s_waitcnt vmcnt(3) lgkmcnt(3)
	v_fma_f64 v[6:7], v[10:11], v[30:31], v[6:7]
	s_waitcnt vmcnt(2) lgkmcnt(2)
	s_delay_alu instid0(VALU_DEP_1) | instskip(SKIP_1) | instid1(VALU_DEP_1)
	v_fma_f64 v[6:7], v[12:13], v[32:33], v[6:7]
	s_waitcnt vmcnt(1) lgkmcnt(1)
	v_fma_f64 v[6:7], v[16:17], v[34:35], v[6:7]
	v_cmpx_gt_i32_e64 s12, v1
	s_cbranch_execz .LBB245_45
; %bb.42:
	s_clause 0x3
	flat_load_b64 v[32:33], v[18:19] offset:1024
	flat_load_b64 v[34:35], v[20:21] offset:1024
	;; [unrolled: 1-line block ×4, first 2 shown]
	v_add_nc_u32_e32 v0, 0xc0, v0
	s_mov_b32 s3, exec_lo
	s_waitcnt vmcnt(3) lgkmcnt(3)
	v_fma_f64 v[4:5], v[10:11], v[32:33], v[4:5]
	s_waitcnt vmcnt(2) lgkmcnt(2)
	s_delay_alu instid0(VALU_DEP_1) | instskip(SKIP_1) | instid1(VALU_DEP_1)
	v_fma_f64 v[4:5], v[12:13], v[34:35], v[4:5]
	s_waitcnt vmcnt(1) lgkmcnt(1)
	v_fma_f64 v[4:5], v[16:17], v[36:37], v[4:5]
	v_cmpx_gt_i32_e64 s12, v0
	s_cbranch_execz .LBB245_44
; %bb.43:
	s_clause 0x3
	flat_load_b64 v[0:1], v[18:19] offset:1536
	flat_load_b64 v[18:19], v[20:21] offset:1536
	;; [unrolled: 1-line block ×4, first 2 shown]
	s_waitcnt vmcnt(3) lgkmcnt(3)
	v_fma_f64 v[0:1], v[10:11], v[0:1], v[2:3]
	s_waitcnt vmcnt(2) lgkmcnt(2)
	s_delay_alu instid0(VALU_DEP_1) | instskip(SKIP_1) | instid1(VALU_DEP_1)
	v_fma_f64 v[0:1], v[12:13], v[18:19], v[0:1]
	s_waitcnt vmcnt(1) lgkmcnt(1)
	v_fma_f64 v[0:1], v[16:17], v[20:21], v[0:1]
	s_waitcnt vmcnt(0) lgkmcnt(0)
	s_delay_alu instid0(VALU_DEP_1)
	v_fma_f64 v[2:3], v[14:15], v[24:25], v[0:1]
.LBB245_44:
	s_or_b32 exec_lo, exec_lo, s3
	s_waitcnt vmcnt(0) lgkmcnt(0)
	s_delay_alu instid0(VALU_DEP_2)
	v_fma_f64 v[4:5], v[14:15], v[30:31], v[4:5]
.LBB245_45:
	s_or_b32 exec_lo, exec_lo, s2
	s_waitcnt vmcnt(0) lgkmcnt(0)
	s_delay_alu instid0(VALU_DEP_2)
	v_fma_f64 v[6:7], v[14:15], v[28:29], v[6:7]
.LBB245_46:
	s_or_b32 exec_lo, exec_lo, s0
	s_waitcnt vmcnt(0) lgkmcnt(0)
	s_delay_alu instid0(VALU_DEP_2)
	v_fma_f64 v[8:9], v[14:15], v[22:23], v[8:9]
.LBB245_47:
	s_or_b32 exec_lo, exec_lo, s1
.LBB245_48:
	v_lshlrev_b32_e32 v0, 8, v62
	s_mov_b32 s0, exec_lo
	s_delay_alu instid0(VALU_DEP_1)
	v_add_lshl_u32 v0, v0, v61, 3
	ds_store_2addr_stride64_b64 v0, v[8:9], v[6:7] offset1:1
	ds_store_2addr_stride64_b64 v0, v[4:5], v[2:3] offset0:2 offset1:3
	s_waitcnt vmcnt(0) lgkmcnt(0)
	s_barrier
	buffer_gl0_inv
                                        ; implicit-def: $vgpr2_vgpr3
                                        ; implicit-def: $vgpr0_vgpr1
	v_cmpx_gt_u32_e32 0x100, v60
	s_cbranch_execz .LBB245_54
; %bb.49:
	v_lshlrev_b32_e32 v7, 3, v60
	v_or_b32_e32 v6, s30, v60
	s_mov_b32 s2, s29
	s_mov_b32 s1, exec_lo
	ds_load_2addr_stride64_b64 v[0:3], v7 offset1:4
	s_waitcnt lgkmcnt(0)
	v_add_f64 v[4:5], v[0:1], v[2:3]
	ds_load_2addr_stride64_b64 v[0:3], v7 offset0:8 offset1:12
	s_waitcnt lgkmcnt(0)
	v_add_f64 v[0:1], v[0:1], v[4:5]
	s_delay_alu instid0(VALU_DEP_1)
	v_add_f64 v[4:5], v[2:3], v[0:1]
                                        ; implicit-def: $vgpr2_vgpr3
                                        ; implicit-def: $vgpr0_vgpr1
	ds_store_b64 v7, v[4:5]
	v_cmpx_gt_i32_e64 s12, v6
	s_cbranch_execz .LBB245_53
; %bb.50:
	v_cmp_eq_f64_e64 s2, s[8:9], 0
	v_mul_f64 v[2:3], v[4:5], s[10:11]
	v_ashrrev_i32_e32 v0, 31, v6
	v_mul_lo_u32 v4, v6, s7
	s_delay_alu instid0(VALU_DEP_2) | instskip(SKIP_1) | instid1(VALU_DEP_1)
	v_mul_lo_u32 v5, v0, s6
	v_mad_u64_u32 v[0:1], null, v6, s6, 0
	v_add3_u32 v1, v1, v4, v5
	s_and_b32 vcc_lo, exec_lo, s2
	s_cbranch_vccnz .LBB245_52
; %bb.51:
	s_delay_alu instid0(VALU_DEP_1) | instskip(NEXT) | instid1(VALU_DEP_1)
	v_lshlrev_b64 v[4:5], 3, v[0:1]
	v_add_co_u32 v4, vcc_lo, s5, v4
	s_delay_alu instid0(VALU_DEP_2)
	v_add_co_ci_u32_e32 v5, vcc_lo, s28, v5, vcc_lo
	global_load_b64 v[4:5], v[4:5], off
	s_waitcnt vmcnt(0)
	v_fma_f64 v[2:3], v[4:5], s[8:9], v[2:3]
.LBB245_52:
	s_or_b32 s2, s29, exec_lo
.LBB245_53:
	s_or_b32 exec_lo, exec_lo, s1
	s_delay_alu instid0(SALU_CYCLE_1) | instskip(SKIP_1) | instid1(SALU_CYCLE_1)
	s_and_not1_b32 s1, s29, exec_lo
	s_and_b32 s2, s2, exec_lo
	s_or_b32 s29, s1, s2
.LBB245_54:
	s_or_b32 exec_lo, exec_lo, s0
.LBB245_55:
	s_and_saveexec_b32 s0, s29
	s_cbranch_execz .LBB245_57
; %bb.56:
	v_lshlrev_b64 v[0:1], 3, v[0:1]
	s_delay_alu instid0(VALU_DEP_1) | instskip(NEXT) | instid1(VALU_DEP_2)
	v_add_co_u32 v0, vcc_lo, s5, v0
	v_add_co_ci_u32_e32 v1, vcc_lo, s28, v1, vcc_lo
	global_store_b64 v[0:1], v[2:3], off
.LBB245_57:
	s_nop 0
	s_sendmsg sendmsg(MSG_DEALLOC_VGPRS)
	s_endpgm
	.section	.rodata,"a",@progbits
	.p2align	6, 0x0
	.amdhsa_kernel _ZL20rocblas_gemvn_kernelILi64ELi4ElPKddKPdEviiT3_lPKT2_lT1_lS7_lS8_lS4_lPT4_lS8_li
		.amdhsa_group_segment_fixed_size 8192
		.amdhsa_private_segment_fixed_size 0
		.amdhsa_kernarg_size 400
		.amdhsa_user_sgpr_count 14
		.amdhsa_user_sgpr_dispatch_ptr 0
		.amdhsa_user_sgpr_queue_ptr 0
		.amdhsa_user_sgpr_kernarg_segment_ptr 1
		.amdhsa_user_sgpr_dispatch_id 0
		.amdhsa_user_sgpr_private_segment_size 0
		.amdhsa_wavefront_size32 1
		.amdhsa_uses_dynamic_stack 0
		.amdhsa_enable_private_segment 0
		.amdhsa_system_sgpr_workgroup_id_x 1
		.amdhsa_system_sgpr_workgroup_id_y 0
		.amdhsa_system_sgpr_workgroup_id_z 1
		.amdhsa_system_sgpr_workgroup_info 0
		.amdhsa_system_vgpr_workitem_id 1
		.amdhsa_next_free_vgpr 71
		.amdhsa_next_free_sgpr 37
		.amdhsa_reserve_vcc 1
		.amdhsa_float_round_mode_32 0
		.amdhsa_float_round_mode_16_64 0
		.amdhsa_float_denorm_mode_32 3
		.amdhsa_float_denorm_mode_16_64 3
		.amdhsa_dx10_clamp 1
		.amdhsa_ieee_mode 1
		.amdhsa_fp16_overflow 0
		.amdhsa_workgroup_processor_mode 1
		.amdhsa_memory_ordered 1
		.amdhsa_forward_progress 0
		.amdhsa_shared_vgpr_count 0
		.amdhsa_exception_fp_ieee_invalid_op 0
		.amdhsa_exception_fp_denorm_src 0
		.amdhsa_exception_fp_ieee_div_zero 0
		.amdhsa_exception_fp_ieee_overflow 0
		.amdhsa_exception_fp_ieee_underflow 0
		.amdhsa_exception_fp_ieee_inexact 0
		.amdhsa_exception_int_div_zero 0
	.end_amdhsa_kernel
	.section	.text._ZL20rocblas_gemvn_kernelILi64ELi4ElPKddKPdEviiT3_lPKT2_lT1_lS7_lS8_lS4_lPT4_lS8_li,"axG",@progbits,_ZL20rocblas_gemvn_kernelILi64ELi4ElPKddKPdEviiT3_lPKT2_lT1_lS7_lS8_lS4_lPT4_lS8_li,comdat
.Lfunc_end245:
	.size	_ZL20rocblas_gemvn_kernelILi64ELi4ElPKddKPdEviiT3_lPKT2_lT1_lS7_lS8_lS4_lPT4_lS8_li, .Lfunc_end245-_ZL20rocblas_gemvn_kernelILi64ELi4ElPKddKPdEviiT3_lPKT2_lT1_lS7_lS8_lS4_lPT4_lS8_li
                                        ; -- End function
	.section	.AMDGPU.csdata,"",@progbits
; Kernel info:
; codeLenInByte = 3496
; NumSgprs: 39
; NumVgprs: 71
; ScratchSize: 0
; MemoryBound: 1
; FloatMode: 240
; IeeeMode: 1
; LDSByteSize: 8192 bytes/workgroup (compile time only)
; SGPRBlocks: 4
; VGPRBlocks: 8
; NumSGPRsForWavesPerEU: 39
; NumVGPRsForWavesPerEU: 71
; Occupancy: 16
; WaveLimiterHint : 1
; COMPUTE_PGM_RSRC2:SCRATCH_EN: 0
; COMPUTE_PGM_RSRC2:USER_SGPR: 14
; COMPUTE_PGM_RSRC2:TRAP_HANDLER: 0
; COMPUTE_PGM_RSRC2:TGID_X_EN: 1
; COMPUTE_PGM_RSRC2:TGID_Y_EN: 0
; COMPUTE_PGM_RSRC2:TGID_Z_EN: 1
; COMPUTE_PGM_RSRC2:TIDIG_COMP_CNT: 1
	.section	.text._ZL24rocblas_gemv_scal_kernelILi256EPKdPKPdEviT0_lT1_lili,"axG",@progbits,_ZL24rocblas_gemv_scal_kernelILi256EPKdPKPdEviT0_lT1_lili,comdat
	.globl	_ZL24rocblas_gemv_scal_kernelILi256EPKdPKPdEviT0_lT1_lili ; -- Begin function _ZL24rocblas_gemv_scal_kernelILi256EPKdPKPdEviT0_lT1_lili
	.p2align	8
	.type	_ZL24rocblas_gemv_scal_kernelILi256EPKdPKPdEviT0_lT1_lili,@function
_ZL24rocblas_gemv_scal_kernelILi256EPKdPKPdEviT0_lT1_lili: ; @_ZL24rocblas_gemv_scal_kernelILi256EPKdPKPdEviT0_lT1_lili
; %bb.0:
	s_load_b256 s[4:11], s[0:1], 0x8
	s_waitcnt lgkmcnt(0)
	s_mul_i32 s2, s15, s7
	s_mul_hi_u32 s3, s15, s6
	s_delay_alu instid0(SALU_CYCLE_1) | instskip(SKIP_1) | instid1(SALU_CYCLE_1)
	s_add_i32 s3, s3, s2
	s_mul_i32 s2, s15, s6
	s_lshl_b64 s[2:3], s[2:3], 3
	s_delay_alu instid0(SALU_CYCLE_1) | instskip(SKIP_4) | instid1(VALU_DEP_1)
	s_add_u32 s2, s4, s2
	s_addc_u32 s3, s5, s3
	s_load_b64 s[2:3], s[2:3], 0x0
	s_waitcnt lgkmcnt(0)
	v_cmp_eq_f64_e64 s4, s[2:3], 1.0
	s_and_b32 vcc_lo, exec_lo, s4
	s_cbranch_vccnz .LBB246_5
; %bb.1:
	s_clause 0x1
	s_load_b32 s5, s[0:1], 0x4c
	s_load_b32 s4, s[0:1], 0x0
	s_waitcnt lgkmcnt(0)
	s_and_b32 s5, s5, 0xffff
	s_delay_alu instid0(SALU_CYCLE_1)
	v_mad_u64_u32 v[1:2], null, s14, s5, v[0:1]
	v_mov_b32_e32 v2, 0
	s_ashr_i32 s5, s4, 31
	s_delay_alu instid0(VALU_DEP_1) | instid1(SALU_CYCLE_1)
	v_cmp_gt_i64_e32 vcc_lo, s[4:5], v[1:2]
	s_and_saveexec_b32 s4, vcc_lo
	s_cbranch_execz .LBB246_5
; %bb.2:
	s_load_b32 s4, s[0:1], 0x28
	v_cmp_eq_f64_e64 s6, s[2:3], 0
	s_mov_b32 s12, s15
	s_mov_b32 s13, 0
	s_delay_alu instid0(SALU_CYCLE_1) | instskip(NEXT) | instid1(SALU_CYCLE_1)
	s_lshl_b64 s[0:1], s[12:13], 3
	s_add_u32 s0, s8, s0
	s_addc_u32 s1, s9, s1
	s_load_b64 s[0:1], s[0:1], 0x0
	s_waitcnt lgkmcnt(0)
	v_mad_u64_u32 v[2:3], null, v1, s4, 0
	s_ashr_i32 s4, s4, 31
	s_delay_alu instid0(VALU_DEP_1) | instskip(NEXT) | instid1(VALU_DEP_1)
	v_mov_b32_e32 v0, v3
	v_mad_u64_u32 v[3:4], null, v1, s4, v[0:1]
	s_lshl_b64 s[4:5], s[10:11], 3
	v_mov_b32_e32 v0, 0
	s_add_u32 s0, s0, s4
	s_addc_u32 s1, s1, s5
	v_mov_b32_e32 v1, 0
	s_delay_alu instid0(VALU_DEP_3) | instskip(NEXT) | instid1(VALU_DEP_1)
	v_lshlrev_b64 v[2:3], 3, v[2:3]
	v_add_co_u32 v2, vcc_lo, s0, v2
	s_delay_alu instid0(VALU_DEP_2)
	v_add_co_ci_u32_e32 v3, vcc_lo, s1, v3, vcc_lo
	s_and_b32 vcc_lo, exec_lo, s6
	s_cbranch_vccnz .LBB246_4
; %bb.3:
	global_load_b64 v[0:1], v[2:3], off
	s_waitcnt vmcnt(0)
	v_mul_f64 v[0:1], s[2:3], v[0:1]
.LBB246_4:
	global_store_b64 v[2:3], v[0:1], off
.LBB246_5:
	s_nop 0
	s_sendmsg sendmsg(MSG_DEALLOC_VGPRS)
	s_endpgm
	.section	.rodata,"a",@progbits
	.p2align	6, 0x0
	.amdhsa_kernel _ZL24rocblas_gemv_scal_kernelILi256EPKdPKPdEviT0_lT1_lili
		.amdhsa_group_segment_fixed_size 0
		.amdhsa_private_segment_fixed_size 0
		.amdhsa_kernarg_size 320
		.amdhsa_user_sgpr_count 14
		.amdhsa_user_sgpr_dispatch_ptr 0
		.amdhsa_user_sgpr_queue_ptr 0
		.amdhsa_user_sgpr_kernarg_segment_ptr 1
		.amdhsa_user_sgpr_dispatch_id 0
		.amdhsa_user_sgpr_private_segment_size 0
		.amdhsa_wavefront_size32 1
		.amdhsa_uses_dynamic_stack 0
		.amdhsa_enable_private_segment 0
		.amdhsa_system_sgpr_workgroup_id_x 1
		.amdhsa_system_sgpr_workgroup_id_y 0
		.amdhsa_system_sgpr_workgroup_id_z 1
		.amdhsa_system_sgpr_workgroup_info 0
		.amdhsa_system_vgpr_workitem_id 0
		.amdhsa_next_free_vgpr 5
		.amdhsa_next_free_sgpr 16
		.amdhsa_reserve_vcc 1
		.amdhsa_float_round_mode_32 0
		.amdhsa_float_round_mode_16_64 0
		.amdhsa_float_denorm_mode_32 3
		.amdhsa_float_denorm_mode_16_64 3
		.amdhsa_dx10_clamp 1
		.amdhsa_ieee_mode 1
		.amdhsa_fp16_overflow 0
		.amdhsa_workgroup_processor_mode 1
		.amdhsa_memory_ordered 1
		.amdhsa_forward_progress 0
		.amdhsa_shared_vgpr_count 0
		.amdhsa_exception_fp_ieee_invalid_op 0
		.amdhsa_exception_fp_denorm_src 0
		.amdhsa_exception_fp_ieee_div_zero 0
		.amdhsa_exception_fp_ieee_overflow 0
		.amdhsa_exception_fp_ieee_underflow 0
		.amdhsa_exception_fp_ieee_inexact 0
		.amdhsa_exception_int_div_zero 0
	.end_amdhsa_kernel
	.section	.text._ZL24rocblas_gemv_scal_kernelILi256EPKdPKPdEviT0_lT1_lili,"axG",@progbits,_ZL24rocblas_gemv_scal_kernelILi256EPKdPKPdEviT0_lT1_lili,comdat
.Lfunc_end246:
	.size	_ZL24rocblas_gemv_scal_kernelILi256EPKdPKPdEviT0_lT1_lili, .Lfunc_end246-_ZL24rocblas_gemv_scal_kernelILi256EPKdPKPdEviT0_lT1_lili
                                        ; -- End function
	.section	.AMDGPU.csdata,"",@progbits
; Kernel info:
; codeLenInByte = 320
; NumSgprs: 18
; NumVgprs: 5
; ScratchSize: 0
; MemoryBound: 1
; FloatMode: 240
; IeeeMode: 1
; LDSByteSize: 0 bytes/workgroup (compile time only)
; SGPRBlocks: 2
; VGPRBlocks: 0
; NumSGPRsForWavesPerEU: 18
; NumVGPRsForWavesPerEU: 5
; Occupancy: 16
; WaveLimiterHint : 1
; COMPUTE_PGM_RSRC2:SCRATCH_EN: 0
; COMPUTE_PGM_RSRC2:USER_SGPR: 14
; COMPUTE_PGM_RSRC2:TRAP_HANDLER: 0
; COMPUTE_PGM_RSRC2:TGID_X_EN: 1
; COMPUTE_PGM_RSRC2:TGID_Y_EN: 0
; COMPUTE_PGM_RSRC2:TGID_Z_EN: 1
; COMPUTE_PGM_RSRC2:TIDIG_COMP_CNT: 0
	.section	.text._ZL24rocblas_gemv_scal_kernelILi256EdPKPdEviT0_lT1_lili,"axG",@progbits,_ZL24rocblas_gemv_scal_kernelILi256EdPKPdEviT0_lT1_lili,comdat
	.globl	_ZL24rocblas_gemv_scal_kernelILi256EdPKPdEviT0_lT1_lili ; -- Begin function _ZL24rocblas_gemv_scal_kernelILi256EdPKPdEviT0_lT1_lili
	.p2align	8
	.type	_ZL24rocblas_gemv_scal_kernelILi256EdPKPdEviT0_lT1_lili,@function
_ZL24rocblas_gemv_scal_kernelILi256EdPKPdEviT0_lT1_lili: ; @_ZL24rocblas_gemv_scal_kernelILi256EdPKPdEviT0_lT1_lili
; %bb.0:
	s_load_b64 s[2:3], s[0:1], 0x8
	s_waitcnt lgkmcnt(0)
	v_cmp_eq_f64_e64 s5, s[2:3], 1.0
	s_delay_alu instid0(VALU_DEP_1)
	s_and_b32 vcc_lo, exec_lo, s5
	s_cbranch_vccnz .LBB247_5
; %bb.1:
	s_clause 0x1
	s_load_b32 s5, s[0:1], 0x4c
	s_load_b32 s6, s[0:1], 0x0
	s_waitcnt lgkmcnt(0)
	s_and_b32 s5, s5, 0xffff
	s_ashr_i32 s7, s6, 31
	v_mad_u64_u32 v[1:2], null, s14, s5, v[0:1]
	v_mov_b32_e32 v2, 0
	s_mov_b32 s5, exec_lo
	s_delay_alu instid0(VALU_DEP_1)
	v_cmpx_gt_i64_e64 s[6:7], v[1:2]
	s_cbranch_execz .LBB247_5
; %bb.2:
	s_clause 0x1
	s_load_b32 s6, s[0:1], 0x28
	s_load_b128 s[8:11], s[0:1], 0x18
	v_cmp_eq_f64_e64 s7, s[2:3], 0
	s_mov_b32 s4, s15
	s_mov_b32 s5, 0
	s_delay_alu instid0(SALU_CYCLE_1)
	s_lshl_b64 s[0:1], s[4:5], 3
	s_waitcnt lgkmcnt(0)
	v_mad_u64_u32 v[2:3], null, v1, s6, 0
	s_add_u32 s0, s8, s0
	s_addc_u32 s1, s9, s1
	s_ashr_i32 s4, s6, 31
	s_load_b64 s[0:1], s[0:1], 0x0
	s_delay_alu instid0(VALU_DEP_1) | instskip(NEXT) | instid1(VALU_DEP_1)
	v_mov_b32_e32 v0, v3
	v_mad_u64_u32 v[3:4], null, v1, s4, v[0:1]
	s_lshl_b64 s[4:5], s[10:11], 3
	v_mov_b32_e32 v0, 0
	v_mov_b32_e32 v1, 0
	s_delay_alu instid0(VALU_DEP_3) | instskip(SKIP_3) | instid1(VALU_DEP_1)
	v_lshlrev_b64 v[2:3], 3, v[2:3]
	s_waitcnt lgkmcnt(0)
	s_add_u32 s0, s0, s4
	s_addc_u32 s1, s1, s5
	v_add_co_u32 v2, vcc_lo, s0, v2
	s_delay_alu instid0(VALU_DEP_2)
	v_add_co_ci_u32_e32 v3, vcc_lo, s1, v3, vcc_lo
	s_and_b32 vcc_lo, exec_lo, s7
	s_cbranch_vccnz .LBB247_4
; %bb.3:
	global_load_b64 v[0:1], v[2:3], off
	s_waitcnt vmcnt(0)
	v_mul_f64 v[0:1], v[0:1], s[2:3]
.LBB247_4:
	global_store_b64 v[2:3], v[0:1], off
.LBB247_5:
	s_nop 0
	s_sendmsg sendmsg(MSG_DEALLOC_VGPRS)
	s_endpgm
	.section	.rodata,"a",@progbits
	.p2align	6, 0x0
	.amdhsa_kernel _ZL24rocblas_gemv_scal_kernelILi256EdPKPdEviT0_lT1_lili
		.amdhsa_group_segment_fixed_size 0
		.amdhsa_private_segment_fixed_size 0
		.amdhsa_kernarg_size 320
		.amdhsa_user_sgpr_count 14
		.amdhsa_user_sgpr_dispatch_ptr 0
		.amdhsa_user_sgpr_queue_ptr 0
		.amdhsa_user_sgpr_kernarg_segment_ptr 1
		.amdhsa_user_sgpr_dispatch_id 0
		.amdhsa_user_sgpr_private_segment_size 0
		.amdhsa_wavefront_size32 1
		.amdhsa_uses_dynamic_stack 0
		.amdhsa_enable_private_segment 0
		.amdhsa_system_sgpr_workgroup_id_x 1
		.amdhsa_system_sgpr_workgroup_id_y 0
		.amdhsa_system_sgpr_workgroup_id_z 1
		.amdhsa_system_sgpr_workgroup_info 0
		.amdhsa_system_vgpr_workitem_id 0
		.amdhsa_next_free_vgpr 5
		.amdhsa_next_free_sgpr 16
		.amdhsa_reserve_vcc 1
		.amdhsa_float_round_mode_32 0
		.amdhsa_float_round_mode_16_64 0
		.amdhsa_float_denorm_mode_32 3
		.amdhsa_float_denorm_mode_16_64 3
		.amdhsa_dx10_clamp 1
		.amdhsa_ieee_mode 1
		.amdhsa_fp16_overflow 0
		.amdhsa_workgroup_processor_mode 1
		.amdhsa_memory_ordered 1
		.amdhsa_forward_progress 0
		.amdhsa_shared_vgpr_count 0
		.amdhsa_exception_fp_ieee_invalid_op 0
		.amdhsa_exception_fp_denorm_src 0
		.amdhsa_exception_fp_ieee_div_zero 0
		.amdhsa_exception_fp_ieee_overflow 0
		.amdhsa_exception_fp_ieee_underflow 0
		.amdhsa_exception_fp_ieee_inexact 0
		.amdhsa_exception_int_div_zero 0
	.end_amdhsa_kernel
	.section	.text._ZL24rocblas_gemv_scal_kernelILi256EdPKPdEviT0_lT1_lili,"axG",@progbits,_ZL24rocblas_gemv_scal_kernelILi256EdPKPdEviT0_lT1_lili,comdat
.Lfunc_end247:
	.size	_ZL24rocblas_gemv_scal_kernelILi256EdPKPdEviT0_lT1_lili, .Lfunc_end247-_ZL24rocblas_gemv_scal_kernelILi256EdPKPdEviT0_lT1_lili
                                        ; -- End function
	.section	.AMDGPU.csdata,"",@progbits
; Kernel info:
; codeLenInByte = 292
; NumSgprs: 18
; NumVgprs: 5
; ScratchSize: 0
; MemoryBound: 1
; FloatMode: 240
; IeeeMode: 1
; LDSByteSize: 0 bytes/workgroup (compile time only)
; SGPRBlocks: 2
; VGPRBlocks: 0
; NumSGPRsForWavesPerEU: 18
; NumVGPRsForWavesPerEU: 5
; Occupancy: 16
; WaveLimiterHint : 1
; COMPUTE_PGM_RSRC2:SCRATCH_EN: 0
; COMPUTE_PGM_RSRC2:USER_SGPR: 14
; COMPUTE_PGM_RSRC2:TRAP_HANDLER: 0
; COMPUTE_PGM_RSRC2:TGID_X_EN: 1
; COMPUTE_PGM_RSRC2:TGID_Y_EN: 0
; COMPUTE_PGM_RSRC2:TGID_Z_EN: 1
; COMPUTE_PGM_RSRC2:TIDIG_COMP_CNT: 0
	.section	.text._ZL36rocblas_gemvn_double_buffered_kernelILi128ELi4ELi16EPKdS1_KPdEviiT3_lPKT2_lilS7_lilPT4_lili,"axG",@progbits,_ZL36rocblas_gemvn_double_buffered_kernelILi128ELi4ELi16EPKdS1_KPdEviiT3_lPKT2_lilS7_lilPT4_lili,comdat
	.globl	_ZL36rocblas_gemvn_double_buffered_kernelILi128ELi4ELi16EPKdS1_KPdEviiT3_lPKT2_lilS7_lilPT4_lili ; -- Begin function _ZL36rocblas_gemvn_double_buffered_kernelILi128ELi4ELi16EPKdS1_KPdEviiT3_lPKT2_lilS7_lilPT4_lili
	.p2align	8
	.type	_ZL36rocblas_gemvn_double_buffered_kernelILi128ELi4ELi16EPKdS1_KPdEviiT3_lPKT2_lilS7_lilPT4_lili,@function
_ZL36rocblas_gemvn_double_buffered_kernelILi128ELi4ELi16EPKdS1_KPdEviiT3_lPKT2_lilS7_lilPT4_lili: ; @_ZL36rocblas_gemvn_double_buffered_kernelILi128ELi4ELi16EPKdS1_KPdEviiT3_lPKT2_lilS7_lilPT4_lili
; %bb.0:
	s_load_b256 s[4:11], s[0:1], 0x8
	s_waitcnt lgkmcnt(0)
	s_mul_i32 s2, s15, s7
	s_mul_hi_u32 s3, s15, s6
	s_delay_alu instid0(SALU_CYCLE_1) | instskip(SKIP_1) | instid1(SALU_CYCLE_1)
	s_add_i32 s3, s3, s2
	s_mul_i32 s2, s15, s6
	s_lshl_b64 s[2:3], s[2:3], 3
	s_delay_alu instid0(SALU_CYCLE_1) | instskip(SKIP_4) | instid1(VALU_DEP_1)
	s_add_u32 s2, s4, s2
	s_addc_u32 s3, s5, s3
	s_load_b64 s[2:3], s[2:3], 0x0
	s_waitcnt lgkmcnt(0)
	v_cmp_eq_f64_e64 s4, s[2:3], 0
	s_and_b32 vcc_lo, exec_lo, s4
	s_cbranch_vccnz .LBB248_11
; %bb.1:
	s_clause 0x1
	s_load_b32 s4, s[0:1], 0x84
	s_load_b32 s5, s[0:1], 0x4
	s_mov_b32 s16, s15
	s_mov_b32 s17, 0
	s_waitcnt lgkmcnt(0)
	v_cvt_f32_u32_e32 v1, s4
	s_ashr_i32 s7, s5, 31
	s_sub_i32 s12, 0, s4
	s_lshr_b32 s7, s7, 25
	s_delay_alu instid0(SALU_CYCLE_1) | instskip(SKIP_4) | instid1(VALU_DEP_1)
	s_add_i32 s5, s5, s7
	v_rcp_iflag_f32_e32 v1, v1
	s_ashr_i32 s5, s5, 7
	s_waitcnt_depctr 0xfff
	v_mul_f32_e32 v1, 0x4f7ffffe, v1
	v_cvt_u32_f32_e32 v1, v1
	s_delay_alu instid0(VALU_DEP_1) | instskip(NEXT) | instid1(VALU_DEP_1)
	v_readfirstlane_b32 s6, v1
	s_mul_i32 s12, s12, s6
	s_delay_alu instid0(SALU_CYCLE_1) | instskip(NEXT) | instid1(SALU_CYCLE_1)
	s_mul_hi_u32 s7, s6, s12
	s_add_i32 s6, s6, s7
	s_delay_alu instid0(SALU_CYCLE_1) | instskip(NEXT) | instid1(SALU_CYCLE_1)
	s_mul_hi_u32 s6, s5, s6
	s_mul_i32 s7, s6, s4
	s_add_i32 s12, s6, 1
	s_sub_i32 s7, s5, s7
	s_delay_alu instid0(SALU_CYCLE_1)
	s_sub_i32 s15, s7, s4
	s_cmp_ge_u32 s7, s4
	s_cselect_b32 s6, s12, s6
	s_cselect_b32 s7, s15, s7
	s_add_i32 s12, s6, 1
	s_cmp_ge_u32 s7, s4
	s_cselect_b32 s12, s12, s6
	s_delay_alu instid0(SALU_CYCLE_1) | instskip(NEXT) | instid1(SALU_CYCLE_1)
	s_mul_i32 s4, s12, s4
	s_sub_i32 s15, s5, s4
	s_delay_alu instid0(SALU_CYCLE_1) | instskip(SKIP_1) | instid1(SALU_CYCLE_1)
	s_cmp_lt_u32 s14, s15
	s_cselect_b32 s4, -1, 0
	s_cmp_lg_u32 s4, 0
	s_addc_u32 s30, s12, 0
	s_delay_alu instid0(SALU_CYCLE_1)
	s_cmp_eq_u32 s30, 0
	s_cbranch_scc1 .LBB248_11
; %bb.2:
	s_load_b128 s[4:7], s[0:1], 0x58
	s_lshl_b64 s[22:23], s[16:17], 3
	v_and_b32_e32 v166, 0x3ff, v0
	v_bfe_u32 v167, v0, 10, 10
	v_mov_b32_e32 v98, 0
	s_delay_alu instid0(VALU_DEP_3) | instskip(NEXT) | instid1(VALU_DEP_3)
	v_dual_mov_b32 v99, 0 :: v_dual_and_b32 v0, 63, v166
	v_lshl_add_u32 v32, v167, 7, v166
	s_delay_alu instid0(VALU_DEP_2) | instskip(NEXT) | instid1(VALU_DEP_3)
	v_dual_mov_b32 v101, v99 :: v_dual_mov_b32 v100, v98
	v_lshlrev_b32_e32 v169, 3, v0
	s_delay_alu instid0(VALU_DEP_3)
	v_lshrrev_b32_e32 v168, 6, v32
	s_waitcnt lgkmcnt(0)
	s_add_u32 s4, s4, s22
	s_addc_u32 s5, s5, s23
	s_lshl_b32 s16, s13, 7
	s_load_b64 s[4:5], s[4:5], 0x0
	s_ashr_i32 s17, s16, 31
	s_cmp_lt_i32 s30, 1
	s_cbranch_scc1 .LBB248_8
; %bb.3:
	v_cvt_f64_i32_e32 v[1:2], s14
	v_cvt_f64_u32_e32 v[3:4], s15
	s_mul_i32 s12, s12, s14
	s_load_b32 s20, s[0:1], 0x28
	v_cvt_f64_u32_e32 v[5:6], s12
	s_clause 0x1
	s_load_b128 s[12:15], s[0:1], 0x38
	s_load_b32 s18, s[0:1], 0x48
	v_mov_b32_e32 v98, 0
	v_dual_mov_b32 v99, 0 :: v_dual_lshlrev_b32 v32, 1, v32
	s_delay_alu instid0(VALU_DEP_1) | instskip(NEXT) | instid1(VALU_DEP_3)
	v_dual_mov_b32 v101, v99 :: v_dual_and_b32 v32, 0x7ff80, v32
	v_mov_b32_e32 v100, v98
	s_waitcnt lgkmcnt(0)
	s_ashr_i32 s21, s20, 31
	s_add_u32 s8, s8, s22
	s_addc_u32 s9, s9, s23
	s_add_u32 s22, s12, s22
	s_load_b64 s[24:25], s[8:9], 0x0
	s_addc_u32 s23, s13, s23
	s_lshl_b64 s[26:27], s[10:11], 3
	s_ashr_i32 s19, s18, 31
	v_min_f64 v[1:2], v[1:2], v[3:4]
	s_waitcnt lgkmcnt(0)
	s_add_u32 s8, s24, s26
	s_addc_u32 s9, s25, s27
	s_lshl_b64 s[28:29], s[16:17], 3
	s_delay_alu instid0(SALU_CYCLE_1) | instskip(SKIP_1) | instid1(VALU_DEP_1)
	s_add_u32 s11, s8, s28
	s_addc_u32 s17, s9, s29
	v_add_f64 v[1:2], v[1:2], v[5:6]
	v_lshlrev_b32_e32 v5, 4, v168
	s_delay_alu instid0(VALU_DEP_2) | instskip(SKIP_1) | instid1(VALU_DEP_1)
	v_cvt_i32_f64_e32 v4, v[1:2]
	v_mov_b32_e32 v1, 0
	v_mad_i64_i32 v[2:3], null, s20, v5, v[0:1]
	s_delay_alu instid0(VALU_DEP_1) | instskip(NEXT) | instid1(VALU_DEP_4)
	v_lshlrev_b64 v[0:1], 3, v[2:3]
	v_readfirstlane_b32 s10, v4
	s_delay_alu instid0(VALU_DEP_1) | instskip(NEXT) | instid1(SALU_CYCLE_1)
	s_lshl_b32 s12, s10, 7
	s_mul_hi_i32 s9, s12, s20
	s_mul_i32 s8, s12, s20
	s_ashr_i32 s13, s12, 31
	s_lshl_b64 s[8:9], s[8:9], 3
	s_delay_alu instid0(SALU_CYCLE_1)
	s_add_u32 s8, s11, s8
	s_addc_u32 s9, s17, s9
	v_add_co_u32 v0, vcc_lo, s8, v0
	v_add_co_ci_u32_e32 v1, vcc_lo, s9, v1, vcc_lo
	s_lshl_b64 s[8:9], s[20:21], 3
	s_lshl_b64 s[12:13], s[12:13], 3
	s_delay_alu instid0(VALU_DEP_2) | instskip(NEXT) | instid1(VALU_DEP_2)
	v_add_co_u32 v2, vcc_lo, v0, s8
	v_add_co_ci_u32_e32 v3, vcc_lo, s9, v1, vcc_lo
	v_add_co_u32 v34, s12, v32, s12
	s_delay_alu instid0(VALU_DEP_3) | instskip(NEXT) | instid1(VALU_DEP_3)
	v_add_co_u32 v4, vcc_lo, v2, s8
	v_add_co_ci_u32_e32 v5, vcc_lo, s9, v3, vcc_lo
	s_clause 0x1
	global_load_b64 v[0:1], v[0:1], off
	global_load_b64 v[2:3], v[2:3], off
	v_add_co_u32 v6, vcc_lo, v4, s8
	v_add_co_ci_u32_e32 v7, vcc_lo, s9, v5, vcc_lo
	global_load_b64 v[4:5], v[4:5], off
	v_add_co_u32 v8, vcc_lo, v6, s8
	v_add_co_ci_u32_e32 v9, vcc_lo, s9, v7, vcc_lo
	;; [unrolled: 3-line block ×10, first 2 shown]
	v_add_co_ci_u32_e64 v35, null, 0, s13, s12
	s_delay_alu instid0(VALU_DEP_3) | instskip(NEXT) | instid1(VALU_DEP_3)
	v_add_co_u32 v26, vcc_lo, v24, s8
	v_add_co_ci_u32_e32 v27, vcc_lo, s9, v25, vcc_lo
	s_lshl_b32 s12, s18, 7
	s_delay_alu instid0(VALU_DEP_2) | instskip(NEXT) | instid1(VALU_DEP_2)
	v_add_co_u32 v28, vcc_lo, v26, s8
	v_add_co_ci_u32_e32 v29, vcc_lo, s9, v27, vcc_lo
	s_lshl_b64 s[10:11], s[20:21], 10
	s_delay_alu instid0(VALU_DEP_2) | instskip(NEXT) | instid1(VALU_DEP_2)
	v_add_co_u32 v30, vcc_lo, v28, s8
	v_add_co_ci_u32_e32 v31, vcc_lo, s9, v29, vcc_lo
	global_load_b64 v[22:23], v[22:23], off
	global_load_b64 v[24:25], v[24:25], off
	;; [unrolled: 1-line block ×5, first 2 shown]
	s_add_i32 s17, s30, -1
	s_ashr_i32 s13, s12, 31
	s_add_u32 s24, s24, s28
	s_addc_u32 s25, s25, s29
	s_add_u32 s24, s24, s26
	s_addc_u32 s25, s25, s27
	v_mul_lo_u32 v36, v34, s21
	v_mul_lo_u32 v37, v35, s20
	v_mad_u64_u32 v[32:33], null, v34, s20, s[24:25]
	v_add_co_u32 v38, vcc_lo, 0x400, v34
	s_load_b64 s[22:23], s[22:23], 0x0
	s_lshl_b64 s[14:15], s[14:15], 3
	s_delay_alu instid0(VALU_DEP_1) | instskip(NEXT) | instid1(VALU_DEP_3)
	v_mad_u64_u32 v[64:65], null, v38, s20, s[24:25]
	v_add3_u32 v33, v37, v33, v36
	v_add_co_ci_u32_e32 v36, vcc_lo, 0, v35, vcc_lo
	v_add_co_u32 v39, vcc_lo, 0x410, v34
	v_add_co_ci_u32_e32 v40, vcc_lo, 0, v35, vcc_lo
	v_add_co_u32 v41, vcc_lo, 0x418, v34
	v_mul_lo_u32 v37, v38, s21
	s_delay_alu instid0(VALU_DEP_4)
	v_mul_lo_u32 v38, v39, s21
	v_mad_u64_u32 v[66:67], null, v39, s20, s[24:25]
	v_add_co_ci_u32_e32 v39, vcc_lo, 0, v35, vcc_lo
	v_add_co_u32 v43, vcc_lo, 0x420, v34
	v_mul_lo_u32 v36, v36, s20
	v_add_co_ci_u32_e32 v44, vcc_lo, 0, v35, vcc_lo
	v_mul_lo_u32 v40, v40, s20
	v_add_co_u32 v170, vcc_lo, 0x200, v32
	v_mul_lo_u32 v42, v41, s21
	v_mul_lo_u32 v39, v39, s20
	v_mad_u64_u32 v[68:69], null, v41, s20, s[24:25]
	v_add_co_ci_u32_e32 v171, vcc_lo, 0, v33, vcc_lo
	v_add_co_u32 v32, vcc_lo, 0x428, v34
	v_mul_lo_u32 v41, v43, s21
	v_mul_lo_u32 v44, v44, s20
	v_mad_u64_u32 v[70:71], null, v43, s20, s[24:25]
	v_add_co_ci_u32_e32 v33, vcc_lo, 0, v35, vcc_lo
	v_add3_u32 v65, v36, v65, v37
	v_add_co_u32 v37, vcc_lo, 0x430, v34
	v_add3_u32 v67, v40, v67, v38
	v_add_co_ci_u32_e32 v38, vcc_lo, 0, v35, vcc_lo
	v_add3_u32 v69, v39, v69, v42
	v_add_co_u32 v39, vcc_lo, 0x438, v34
	v_mul_lo_u32 v36, v32, s21
	v_mad_u64_u32 v[72:73], null, v32, s20, s[24:25]
	v_mul_lo_u32 v32, v37, s21
	v_mad_u64_u32 v[74:75], null, v37, s20, s[24:25]
	v_add_co_ci_u32_e32 v37, vcc_lo, 0, v35, vcc_lo
	v_add3_u32 v71, v44, v71, v41
	v_add_co_u32 v41, vcc_lo, 0x440, v34
	v_mul_lo_u32 v38, v38, s20
	v_add_co_ci_u32_e32 v42, vcc_lo, 0, v35, vcc_lo
	v_mul_lo_u32 v33, v33, s20
	v_add_co_u32 v43, vcc_lo, 0x448, v34
	v_mul_lo_u32 v40, v39, s21
	v_mul_lo_u32 v37, v37, s20
	v_mad_u64_u32 v[76:77], null, v39, s20, s[24:25]
	v_mul_lo_u32 v39, v41, s21
	v_mad_u64_u32 v[78:79], null, v41, s20, s[24:25]
	v_add_co_ci_u32_e32 v41, vcc_lo, 0, v35, vcc_lo
	v_add_co_u32 v45, vcc_lo, 0x450, v34
	v_mul_lo_u32 v42, v42, s20
	v_add_co_ci_u32_e32 v46, vcc_lo, 0, v35, vcc_lo
	v_add3_u32 v75, v38, v75, v32
	v_add_co_u32 v32, vcc_lo, 0x458, v34
	v_mul_lo_u32 v44, v43, s21
	v_mul_lo_u32 v41, v41, s20
	v_mad_u64_u32 v[80:81], null, v43, s20, s[24:25]
	v_add3_u32 v73, v33, v73, v36
	v_add_co_ci_u32_e32 v33, vcc_lo, 0, v35, vcc_lo
	v_add3_u32 v77, v37, v77, v40
	v_add_co_u32 v37, vcc_lo, 0x460, v34
	v_mul_lo_u32 v43, v45, s21
	v_mul_lo_u32 v46, v46, s20
	v_mad_u64_u32 v[82:83], null, v45, s20, s[24:25]
	v_add_co_ci_u32_e32 v38, vcc_lo, 0, v35, vcc_lo
	v_add3_u32 v79, v42, v79, v39
	v_add_co_u32 v39, vcc_lo, 0x468, v34
	v_mul_lo_u32 v36, v32, s21
	v_mad_u64_u32 v[84:85], null, v32, s20, s[24:25]
	v_mul_lo_u32 v32, v37, s21
	v_mad_u64_u32 v[86:87], null, v37, s20, s[24:25]
	v_add_co_ci_u32_e32 v37, vcc_lo, 0, v35, vcc_lo
	v_add3_u32 v81, v41, v81, v44
	v_add_co_u32 v41, vcc_lo, 0x470, v34
	v_add_co_ci_u32_e32 v42, vcc_lo, 0, v35, vcc_lo
	v_add3_u32 v83, v46, v83, v43
	v_add_co_u32 v43, vcc_lo, 0x478, v34
	v_mul_lo_u32 v40, v39, s21
	v_mad_u64_u32 v[88:89], null, v39, s20, s[24:25]
	v_mul_lo_u32 v39, v41, s21
	v_mad_u64_u32 v[90:91], null, v41, s20, s[24:25]
	v_add_co_ci_u32_e32 v41, vcc_lo, 0, v35, vcc_lo
	v_add_co_u32 v45, vcc_lo, 0x408, v34
	v_add_co_ci_u32_e32 v46, vcc_lo, 0, v35, vcc_lo
	s_waitcnt lgkmcnt(0)
	s_add_u32 s14, s22, s14
	s_addc_u32 s15, s23, s15
	v_mul_lo_u32 v33, v33, s20
	v_mul_lo_u32 v38, v38, s20
	;; [unrolled: 1-line block ×6, first 2 shown]
	v_mad_u64_u32 v[92:93], null, v43, s20, s[24:25]
	v_mul_lo_u32 v43, v45, s21
	v_mul_lo_u32 v46, v46, s20
	v_mad_u64_u32 v[94:95], null, v45, s20, s[24:25]
	v_mul_lo_u32 v45, v34, s19
	v_mul_lo_u32 v35, v35, s18
	v_mad_u64_u32 v[96:97], null, v34, s18, s[14:15]
	v_add3_u32 v85, v33, v85, v36
	v_add3_u32 v87, v38, v87, v32
	;; [unrolled: 1-line block ×7, first 2 shown]
	s_mov_b32 s20, 0
	s_lshl_b64 s[12:13], s[12:13], 3
	s_lshl_b64 s[14:15], s[18:19], 3
	s_waitcnt vmcnt(0)
	v_dual_mov_b32 v63, v31 :: v_dual_mov_b32 v62, v30
	v_dual_mov_b32 v61, v29 :: v_dual_mov_b32 v60, v28
	v_dual_mov_b32 v59, v27 :: v_dual_mov_b32 v58, v26
	v_dual_mov_b32 v57, v25 :: v_dual_mov_b32 v56, v24
	v_dual_mov_b32 v55, v23 :: v_dual_mov_b32 v54, v22
	v_dual_mov_b32 v53, v21 :: v_dual_mov_b32 v52, v20
	v_dual_mov_b32 v51, v19 :: v_dual_mov_b32 v50, v18
	v_dual_mov_b32 v49, v17 :: v_dual_mov_b32 v48, v16
	v_dual_mov_b32 v47, v15 :: v_dual_mov_b32 v46, v14
	v_dual_mov_b32 v45, v13 :: v_dual_mov_b32 v44, v12
	v_dual_mov_b32 v43, v11 :: v_dual_mov_b32 v42, v10
	v_dual_mov_b32 v41, v9 :: v_dual_mov_b32 v40, v8
	v_dual_mov_b32 v39, v7 :: v_dual_mov_b32 v38, v6
	v_dual_mov_b32 v37, v5 :: v_dual_mov_b32 v36, v4
	v_dual_mov_b32 v35, v3 :: v_dual_mov_b32 v34, v2
	v_dual_mov_b32 v33, v1 :: v_dual_mov_b32 v32, v0
.LBB248_4:                              ; =>This Inner Loop Header: Depth=1
	v_add_co_u32 v102, vcc_lo, v170, v169
	v_add_co_ci_u32_e32 v103, vcc_lo, 0, v171, vcc_lo
	s_cmp_eq_u32 s17, s20
	s_delay_alu instid0(VALU_DEP_2) | instskip(NEXT) | instid1(VALU_DEP_2)
	v_add_co_u32 v104, vcc_lo, v102, s8
	v_add_co_ci_u32_e32 v105, vcc_lo, s9, v103, vcc_lo
	global_load_b64 v[102:103], v[102:103], off
	v_add_co_u32 v106, vcc_lo, v104, s8
	v_add_co_ci_u32_e32 v107, vcc_lo, s9, v105, vcc_lo
	global_load_b64 v[104:105], v[104:105], off
	;; [unrolled: 3-line block ×10, first 2 shown]
	global_load_b64 v[120:121], v[124:125], off
	v_add_co_u32 v126, vcc_lo, v124, s8
	v_add_co_ci_u32_e32 v127, vcc_lo, s9, v125, vcc_lo
	global_load_b64 v[136:137], v[96:97], off
	v_add_co_u32 v130, vcc_lo, v126, s8
	v_add_co_ci_u32_e32 v131, vcc_lo, s9, v127, vcc_lo
	v_add_co_u32 v134, vcc_lo, v96, s14
	v_add_co_ci_u32_e32 v135, vcc_lo, s15, v97, vcc_lo
	global_load_b64 v[124:125], v[126:127], off
	v_add_co_u32 v138, vcc_lo, v134, s14
	v_add_co_ci_u32_e32 v139, vcc_lo, s15, v135, vcc_lo
	v_add_co_u32 v126, vcc_lo, v130, s8
	v_add_co_ci_u32_e32 v127, vcc_lo, s9, v131, vcc_lo
	s_delay_alu instid0(VALU_DEP_4) | instskip(NEXT) | instid1(VALU_DEP_4)
	v_add_co_u32 v140, vcc_lo, v138, s14
	v_add_co_ci_u32_e32 v141, vcc_lo, s15, v139, vcc_lo
	global_load_b64 v[128:129], v[130:131], off
	v_add_co_u32 v146, vcc_lo, v140, s14
	v_add_co_ci_u32_e32 v147, vcc_lo, s15, v141, vcc_lo
	global_load_b64 v[130:131], v[126:127], off
	v_add_co_u32 v126, vcc_lo, v126, s8
	v_add_co_ci_u32_e32 v127, vcc_lo, s9, v127, vcc_lo
	v_add_co_u32 v148, vcc_lo, v146, s14
	v_add_co_ci_u32_e32 v149, vcc_lo, s15, v147, vcc_lo
	global_load_b64 v[132:133], v[126:127], off
	v_add_co_u32 v150, vcc_lo, v148, s14
	v_add_co_ci_u32_e32 v151, vcc_lo, s15, v149, vcc_lo
	v_add_co_u32 v126, vcc_lo, v126, s8
	v_add_co_ci_u32_e32 v127, vcc_lo, s9, v127, vcc_lo
	s_delay_alu instid0(VALU_DEP_4) | instskip(NEXT) | instid1(VALU_DEP_4)
	v_add_co_u32 v152, vcc_lo, v150, s14
	v_add_co_ci_u32_e32 v153, vcc_lo, s15, v151, vcc_lo
	global_load_b64 v[126:127], v[126:127], off
	v_add_co_u32 v154, vcc_lo, v152, s14
	v_add_co_ci_u32_e32 v155, vcc_lo, s15, v153, vcc_lo
	s_clause 0x3
	global_load_b64 v[144:145], v[134:135], off
	global_load_b64 v[142:143], v[138:139], off
	;; [unrolled: 1-line block ×4, first 2 shown]
	v_add_co_u32 v156, vcc_lo, v154, s14
	v_add_co_ci_u32_e32 v157, vcc_lo, s15, v155, vcc_lo
	s_clause 0x1
	global_load_b64 v[148:149], v[148:149], off
	global_load_b64 v[146:147], v[150:151], off
	v_add_co_u32 v134, vcc_lo, v156, s14
	v_add_co_ci_u32_e32 v135, vcc_lo, s15, v157, vcc_lo
	global_load_b64 v[150:151], v[152:153], off
	v_add_co_u32 v160, vcc_lo, v134, s14
	v_add_co_ci_u32_e32 v161, vcc_lo, s15, v135, vcc_lo
	;; [unrolled: 3-line block ×5, first 2 shown]
	s_delay_alu instid0(VALU_DEP_2) | instskip(NEXT) | instid1(VALU_DEP_2)
	v_add_co_u32 v134, vcc_lo, v156, s14
	v_add_co_ci_u32_e32 v135, vcc_lo, s15, v157, vcc_lo
	global_load_b64 v[164:165], v[160:161], off
	global_load_b64 v[162:163], v[162:163], off
	;; [unrolled: 1-line block ×5, first 2 shown]
	s_cbranch_scc1 .LBB248_6
; %bb.5:                                ;   in Loop: Header=BB248_4 Depth=1
	v_add_co_u32 v32, vcc_lo, v64, v169
	v_add_co_ci_u32_e32 v33, vcc_lo, 0, v65, vcc_lo
	v_add_co_u32 v34, vcc_lo, v94, v169
	v_add_co_ci_u32_e32 v35, vcc_lo, 0, v95, vcc_lo
	;; [unrolled: 2-line block ×16, first 2 shown]
	global_load_b64 v[32:33], v[32:33], off
	global_load_b64 v[34:35], v[34:35], off
	;; [unrolled: 1-line block ×16, first 2 shown]
.LBB248_6:                              ;   in Loop: Header=BB248_4 Depth=1
	s_waitcnt vmcnt(20)
	v_fma_f64 v[0:1], v[0:1], v[136:137], v[100:101]
	v_fma_f64 v[98:99], v[102:103], v[136:137], v[98:99]
	v_add_co_u32 v170, vcc_lo, v170, s10
	v_add_co_ci_u32_e32 v171, vcc_lo, s11, v171, vcc_lo
	v_add_co_u32 v64, vcc_lo, v64, s10
	v_add_co_ci_u32_e32 v65, vcc_lo, s11, v65, vcc_lo
	;; [unrolled: 2-line block ×9, first 2 shown]
	s_waitcnt vmcnt(14)
	v_fma_f64 v[0:1], v[2:3], v[144:145], v[0:1]
	v_fma_f64 v[2:3], v[104:105], v[144:145], v[98:99]
	v_add_co_u32 v80, vcc_lo, v80, s10
	v_add_co_ci_u32_e32 v81, vcc_lo, s11, v81, vcc_lo
	v_add_co_u32 v82, vcc_lo, v82, s10
	v_add_co_ci_u32_e32 v83, vcc_lo, s11, v83, vcc_lo
	;; [unrolled: 2-line block ×9, first 2 shown]
	s_waitcnt vmcnt(13)
	v_fma_f64 v[0:1], v[4:5], v[142:143], v[0:1]
	v_fma_f64 v[2:3], v[106:107], v[142:143], v[2:3]
	s_add_i32 s20, s20, 1
	s_delay_alu instid0(SALU_CYCLE_1) | instskip(SKIP_1) | instid1(VALU_DEP_2)
	s_cmp_lt_i32 s20, s30
	s_waitcnt vmcnt(12)
	v_fma_f64 v[0:1], v[6:7], v[140:141], v[0:1]
	s_delay_alu instid0(VALU_DEP_2) | instskip(SKIP_1) | instid1(VALU_DEP_2)
	v_fma_f64 v[2:3], v[108:109], v[140:141], v[2:3]
	s_waitcnt vmcnt(11)
	v_fma_f64 v[0:1], v[8:9], v[138:139], v[0:1]
	s_delay_alu instid0(VALU_DEP_2) | instskip(SKIP_1) | instid1(VALU_DEP_2)
	v_fma_f64 v[2:3], v[110:111], v[138:139], v[2:3]
	;; [unrolled: 4-line block ×12, first 2 shown]
	s_waitcnt vmcnt(0)
	v_fma_f64 v[100:101], v[30:31], v[134:135], v[0:1]
	s_delay_alu instid0(VALU_DEP_2)
	v_fma_f64 v[98:99], v[126:127], v[134:135], v[2:3]
	s_cbranch_scc0 .LBB248_8
; %bb.7:                                ;   in Loop: Header=BB248_4 Depth=1
	v_dual_mov_b32 v0, v32 :: v_dual_mov_b32 v1, v33
	v_dual_mov_b32 v2, v34 :: v_dual_mov_b32 v3, v35
	;; [unrolled: 1-line block ×16, first 2 shown]
	s_branch .LBB248_4
.LBB248_8:
	v_lshl_or_b32 v0, v168, 10, v169
	s_mov_b32 s8, 0
	s_mov_b32 s9, exec_lo
	ds_store_2addr_stride64_b64 v0, v[100:101], v[98:99] offset1:1
	s_waitcnt lgkmcnt(0)
	s_barrier
	buffer_gl0_inv
	v_cmpx_eq_u32_e32 0, v167
	s_cbranch_execz .LBB248_11
; %bb.9:
	v_lshlrev_b32_e32 v10, 3, v166
	s_load_b32 s9, s[0:1], 0x68
	s_lshl_b64 s[0:1], s[6:7], 3
	s_delay_alu instid0(SALU_CYCLE_1)
	s_add_u32 s4, s4, s0
	ds_load_2addr_stride64_b64 v[4:7], v10 offset1:2
	s_addc_u32 s5, s5, s1
	s_waitcnt lgkmcnt(0)
	v_mad_i64_i32 v[2:3], null, s9, v166, 0
	s_mul_hi_i32 s1, s9, s16
	s_mul_i32 s0, s9, s16
	v_add_f64 v[0:1], v[4:5], 0
	s_lshl_b64 s[0:1], s[0:1], 3
	s_delay_alu instid0(SALU_CYCLE_1) | instskip(NEXT) | instid1(VALU_DEP_2)
	s_add_u32 s0, s4, s0
	v_lshlrev_b64 v[2:3], 3, v[2:3]
	s_addc_u32 s1, s5, s1
	s_delay_alu instid0(VALU_DEP_1) | instskip(NEXT) | instid1(VALU_DEP_2)
	v_add_co_u32 v4, vcc_lo, s0, v2
	v_add_co_ci_u32_e32 v5, vcc_lo, s1, v3, vcc_lo
	global_load_b64 v[2:3], v[4:5], off
	v_add_f64 v[0:1], v[0:1], v[6:7]
	ds_load_2addr_stride64_b64 v[6:9], v10 offset0:4 offset1:6
	s_waitcnt lgkmcnt(0)
	v_add_f64 v[0:1], v[0:1], v[6:7]
	s_delay_alu instid0(VALU_DEP_1) | instskip(SKIP_3) | instid1(VALU_DEP_1)
	v_add_f64 v[0:1], v[0:1], v[8:9]
	ds_load_2addr_stride64_b64 v[6:9], v10 offset0:8 offset1:10
	s_waitcnt lgkmcnt(0)
	v_add_f64 v[0:1], v[0:1], v[6:7]
	v_add_f64 v[0:1], v[0:1], v[8:9]
	ds_load_2addr_stride64_b64 v[6:9], v10 offset0:12 offset1:14
	s_waitcnt lgkmcnt(0)
	v_add_f64 v[0:1], v[0:1], v[6:7]
	s_delay_alu instid0(VALU_DEP_1) | instskip(NEXT) | instid1(VALU_DEP_1)
	v_add_f64 v[0:1], v[0:1], v[8:9]
	v_mul_f64 v[6:7], s[2:3], v[0:1]
.LBB248_10:                             ; =>This Inner Loop Header: Depth=1
	s_waitcnt vmcnt(0)
	s_delay_alu instid0(VALU_DEP_1)
	v_add_f64 v[0:1], v[2:3], v[6:7]
	global_atomic_cmpswap_b64 v[0:1], v[4:5], v[0:3], off glc
	s_waitcnt vmcnt(0)
	v_cmp_eq_u64_e32 vcc_lo, v[0:1], v[2:3]
	v_dual_mov_b32 v3, v1 :: v_dual_mov_b32 v2, v0
	s_or_b32 s8, vcc_lo, s8
	s_delay_alu instid0(SALU_CYCLE_1)
	s_and_not1_b32 exec_lo, exec_lo, s8
	s_cbranch_execnz .LBB248_10
.LBB248_11:
	s_endpgm
	.section	.rodata,"a",@progbits
	.p2align	6, 0x0
	.amdhsa_kernel _ZL36rocblas_gemvn_double_buffered_kernelILi128ELi4ELi16EPKdS1_KPdEviiT3_lPKT2_lilS7_lilPT4_lili
		.amdhsa_group_segment_fixed_size 8192
		.amdhsa_private_segment_fixed_size 0
		.amdhsa_kernarg_size 384
		.amdhsa_user_sgpr_count 13
		.amdhsa_user_sgpr_dispatch_ptr 0
		.amdhsa_user_sgpr_queue_ptr 0
		.amdhsa_user_sgpr_kernarg_segment_ptr 1
		.amdhsa_user_sgpr_dispatch_id 0
		.amdhsa_user_sgpr_private_segment_size 0
		.amdhsa_wavefront_size32 1
		.amdhsa_uses_dynamic_stack 0
		.amdhsa_enable_private_segment 0
		.amdhsa_system_sgpr_workgroup_id_x 1
		.amdhsa_system_sgpr_workgroup_id_y 1
		.amdhsa_system_sgpr_workgroup_id_z 1
		.amdhsa_system_sgpr_workgroup_info 0
		.amdhsa_system_vgpr_workitem_id 1
		.amdhsa_next_free_vgpr 174
		.amdhsa_next_free_sgpr 31
		.amdhsa_reserve_vcc 1
		.amdhsa_float_round_mode_32 0
		.amdhsa_float_round_mode_16_64 0
		.amdhsa_float_denorm_mode_32 3
		.amdhsa_float_denorm_mode_16_64 3
		.amdhsa_dx10_clamp 1
		.amdhsa_ieee_mode 1
		.amdhsa_fp16_overflow 0
		.amdhsa_workgroup_processor_mode 1
		.amdhsa_memory_ordered 1
		.amdhsa_forward_progress 0
		.amdhsa_shared_vgpr_count 0
		.amdhsa_exception_fp_ieee_invalid_op 0
		.amdhsa_exception_fp_denorm_src 0
		.amdhsa_exception_fp_ieee_div_zero 0
		.amdhsa_exception_fp_ieee_overflow 0
		.amdhsa_exception_fp_ieee_underflow 0
		.amdhsa_exception_fp_ieee_inexact 0
		.amdhsa_exception_int_div_zero 0
	.end_amdhsa_kernel
	.section	.text._ZL36rocblas_gemvn_double_buffered_kernelILi128ELi4ELi16EPKdS1_KPdEviiT3_lPKT2_lilS7_lilPT4_lili,"axG",@progbits,_ZL36rocblas_gemvn_double_buffered_kernelILi128ELi4ELi16EPKdS1_KPdEviiT3_lPKT2_lilS7_lilPT4_lili,comdat
.Lfunc_end248:
	.size	_ZL36rocblas_gemvn_double_buffered_kernelILi128ELi4ELi16EPKdS1_KPdEviiT3_lPKT2_lilS7_lilPT4_lili, .Lfunc_end248-_ZL36rocblas_gemvn_double_buffered_kernelILi128ELi4ELi16EPKdS1_KPdEviiT3_lPKT2_lilS7_lilPT4_lili
                                        ; -- End function
	.section	.AMDGPU.csdata,"",@progbits
; Kernel info:
; codeLenInByte = 4092
; NumSgprs: 33
; NumVgprs: 174
; ScratchSize: 0
; MemoryBound: 1
; FloatMode: 240
; IeeeMode: 1
; LDSByteSize: 8192 bytes/workgroup (compile time only)
; SGPRBlocks: 4
; VGPRBlocks: 21
; NumSGPRsForWavesPerEU: 33
; NumVGPRsForWavesPerEU: 174
; Occupancy: 8
; WaveLimiterHint : 1
; COMPUTE_PGM_RSRC2:SCRATCH_EN: 0
; COMPUTE_PGM_RSRC2:USER_SGPR: 13
; COMPUTE_PGM_RSRC2:TRAP_HANDLER: 0
; COMPUTE_PGM_RSRC2:TGID_X_EN: 1
; COMPUTE_PGM_RSRC2:TGID_Y_EN: 1
; COMPUTE_PGM_RSRC2:TGID_Z_EN: 1
; COMPUTE_PGM_RSRC2:TIDIG_COMP_CNT: 1
	.section	.text._ZL36rocblas_gemvn_double_buffered_kernelILi128ELi4ELi16EPKddKPdEviiT3_lPKT2_lilS7_lilPT4_lili,"axG",@progbits,_ZL36rocblas_gemvn_double_buffered_kernelILi128ELi4ELi16EPKddKPdEviiT3_lPKT2_lilS7_lilPT4_lili,comdat
	.globl	_ZL36rocblas_gemvn_double_buffered_kernelILi128ELi4ELi16EPKddKPdEviiT3_lPKT2_lilS7_lilPT4_lili ; -- Begin function _ZL36rocblas_gemvn_double_buffered_kernelILi128ELi4ELi16EPKddKPdEviiT3_lPKT2_lilS7_lilPT4_lili
	.p2align	8
	.type	_ZL36rocblas_gemvn_double_buffered_kernelILi128ELi4ELi16EPKddKPdEviiT3_lPKT2_lilS7_lilPT4_lili,@function
_ZL36rocblas_gemvn_double_buffered_kernelILi128ELi4ELi16EPKddKPdEviiT3_lPKT2_lilS7_lilPT4_lili: ; @_ZL36rocblas_gemvn_double_buffered_kernelILi128ELi4ELi16EPKddKPdEviiT3_lPKT2_lilS7_lilPT4_lili
; %bb.0:
	s_load_b64 s[2:3], s[0:1], 0x8
	s_waitcnt lgkmcnt(0)
	v_cmp_eq_f64_e64 s4, s[2:3], 0
	s_delay_alu instid0(VALU_DEP_1)
	s_and_b32 vcc_lo, exec_lo, s4
	s_cbranch_vccnz .LBB249_11
; %bb.1:
	s_clause 0x1
	s_load_b32 s4, s[0:1], 0x84
	s_load_b32 s5, s[0:1], 0x4
	s_waitcnt lgkmcnt(0)
	v_cvt_f32_u32_e32 v1, s4
	s_ashr_i32 s7, s5, 31
	s_sub_i32 s9, 0, s4
	s_lshr_b32 s7, s7, 25
	s_delay_alu instid0(SALU_CYCLE_1) | instskip(SKIP_4) | instid1(VALU_DEP_1)
	s_add_i32 s5, s5, s7
	v_rcp_iflag_f32_e32 v1, v1
	s_ashr_i32 s5, s5, 7
	s_waitcnt_depctr 0xfff
	v_mul_f32_e32 v1, 0x4f7ffffe, v1
	v_cvt_u32_f32_e32 v1, v1
	s_delay_alu instid0(VALU_DEP_1) | instskip(NEXT) | instid1(VALU_DEP_1)
	v_readfirstlane_b32 s6, v1
	s_mul_i32 s9, s9, s6
	s_delay_alu instid0(SALU_CYCLE_1) | instskip(NEXT) | instid1(SALU_CYCLE_1)
	s_mul_hi_u32 s7, s6, s9
	s_add_i32 s6, s6, s7
	s_delay_alu instid0(SALU_CYCLE_1) | instskip(NEXT) | instid1(SALU_CYCLE_1)
	s_mul_hi_u32 s6, s5, s6
	s_mul_i32 s7, s6, s4
	s_add_i32 s9, s6, 1
	s_sub_i32 s7, s5, s7
	s_delay_alu instid0(SALU_CYCLE_1)
	s_sub_i32 s10, s7, s4
	s_cmp_ge_u32 s7, s4
	s_cselect_b32 s6, s9, s6
	s_cselect_b32 s7, s10, s7
	s_add_i32 s9, s6, 1
	s_cmp_ge_u32 s7, s4
	s_cselect_b32 s10, s9, s6
	s_mov_b32 s9, 0
	s_mul_i32 s4, s10, s4
	s_delay_alu instid0(SALU_CYCLE_1) | instskip(NEXT) | instid1(SALU_CYCLE_1)
	s_sub_i32 s11, s5, s4
	s_cmp_lt_u32 s14, s11
	s_cselect_b32 s4, -1, 0
	s_delay_alu instid0(SALU_CYCLE_1) | instskip(SKIP_1) | instid1(SALU_CYCLE_1)
	s_cmp_lg_u32 s4, 0
	s_addc_u32 s30, s10, 0
	s_cmp_eq_u32 s30, 0
	s_cbranch_scc1 .LBB249_11
; %bb.2:
	s_load_b128 s[4:7], s[0:1], 0x58
	s_mov_b32 s8, s15
	v_and_b32_e32 v166, 0x3ff, v0
	s_lshl_b64 s[20:21], s[8:9], 3
	v_bfe_u32 v167, v0, 10, 10
	v_mov_b32_e32 v98, 0
	s_delay_alu instid0(VALU_DEP_3) | instskip(NEXT) | instid1(VALU_DEP_3)
	v_dual_mov_b32 v99, 0 :: v_dual_and_b32 v0, 63, v166
	v_lshl_add_u32 v32, v167, 7, v166
	s_delay_alu instid0(VALU_DEP_2) | instskip(NEXT) | instid1(VALU_DEP_3)
	v_mov_b32_e32 v101, v99
	v_dual_mov_b32 v100, v98 :: v_dual_lshlrev_b32 v169, 3, v0
	s_delay_alu instid0(VALU_DEP_3)
	v_lshrrev_b32_e32 v168, 6, v32
	s_waitcnt lgkmcnt(0)
	s_add_u32 s4, s4, s20
	s_addc_u32 s5, s5, s21
	s_lshl_b32 s12, s13, 7
	s_load_b64 s[4:5], s[4:5], 0x0
	s_ashr_i32 s13, s12, 31
	s_cmp_lt_i32 s30, 1
	s_cbranch_scc1 .LBB249_8
; %bb.3:
	v_cvt_f64_i32_e32 v[1:2], s14
	v_cvt_f64_u32_e32 v[3:4], s11
	s_mul_i32 s10, s10, s14
	s_clause 0x1
	s_load_b32 s18, s[0:1], 0x28
	s_load_b128 s[24:27], s[0:1], 0x18
	v_cvt_f64_u32_e32 v[5:6], s10
	s_load_b128 s[8:11], s[0:1], 0x38
	v_mov_b32_e32 v98, 0
	v_dual_mov_b32 v99, 0 :: v_dual_lshlrev_b32 v32, 1, v32
	s_delay_alu instid0(VALU_DEP_1) | instskip(NEXT) | instid1(VALU_DEP_3)
	v_dual_mov_b32 v101, v99 :: v_dual_and_b32 v32, 0x7ff80, v32
	v_mov_b32_e32 v100, v98
	s_waitcnt lgkmcnt(0)
	s_ashr_i32 s19, s18, 31
	s_add_u32 s14, s24, s20
	s_addc_u32 s15, s25, s21
	s_load_b32 s16, s[0:1], 0x48
	s_load_b64 s[24:25], s[14:15], 0x0
	s_add_u32 s22, s8, s20
	s_addc_u32 s23, s9, s21
	s_lshl_b64 s[26:27], s[26:27], 3
	v_min_f64 v[1:2], v[1:2], v[3:4]
	s_waitcnt lgkmcnt(0)
	s_ashr_i32 s17, s16, 31
	s_add_u32 s8, s24, s26
	s_addc_u32 s9, s25, s27
	s_lshl_b64 s[28:29], s[12:13], 3
	s_delay_alu instid0(SALU_CYCLE_1) | instskip(SKIP_1) | instid1(VALU_DEP_1)
	s_add_u32 s13, s8, s28
	s_addc_u32 s15, s9, s29
	v_add_f64 v[1:2], v[1:2], v[5:6]
	v_lshlrev_b32_e32 v5, 4, v168
	s_delay_alu instid0(VALU_DEP_2) | instskip(SKIP_1) | instid1(VALU_DEP_1)
	v_cvt_i32_f64_e32 v4, v[1:2]
	v_mov_b32_e32 v1, 0
	v_mad_i64_i32 v[2:3], null, s18, v5, v[0:1]
	s_delay_alu instid0(VALU_DEP_1) | instskip(NEXT) | instid1(VALU_DEP_4)
	v_lshlrev_b64 v[0:1], 3, v[2:3]
	v_readfirstlane_b32 s14, v4
	s_delay_alu instid0(VALU_DEP_1) | instskip(NEXT) | instid1(SALU_CYCLE_1)
	s_lshl_b32 s20, s14, 7
	s_mul_hi_i32 s9, s20, s18
	s_mul_i32 s8, s20, s18
	s_ashr_i32 s21, s20, 31
	s_lshl_b64 s[8:9], s[8:9], 3
	s_delay_alu instid0(SALU_CYCLE_1)
	s_add_u32 s8, s13, s8
	s_addc_u32 s9, s15, s9
	v_add_co_u32 v0, vcc_lo, s8, v0
	v_add_co_ci_u32_e32 v1, vcc_lo, s9, v1, vcc_lo
	s_lshl_b64 s[8:9], s[18:19], 3
	s_lshl_b64 s[20:21], s[20:21], 3
	s_delay_alu instid0(VALU_DEP_2) | instskip(NEXT) | instid1(VALU_DEP_2)
	v_add_co_u32 v2, vcc_lo, v0, s8
	v_add_co_ci_u32_e32 v3, vcc_lo, s9, v1, vcc_lo
	v_add_co_u32 v34, s13, v32, s20
	s_delay_alu instid0(VALU_DEP_3) | instskip(NEXT) | instid1(VALU_DEP_3)
	v_add_co_u32 v4, vcc_lo, v2, s8
	v_add_co_ci_u32_e32 v5, vcc_lo, s9, v3, vcc_lo
	s_clause 0x1
	global_load_b64 v[0:1], v[0:1], off
	global_load_b64 v[2:3], v[2:3], off
	v_add_co_u32 v6, vcc_lo, v4, s8
	v_add_co_ci_u32_e32 v7, vcc_lo, s9, v5, vcc_lo
	global_load_b64 v[4:5], v[4:5], off
	v_add_co_u32 v8, vcc_lo, v6, s8
	v_add_co_ci_u32_e32 v9, vcc_lo, s9, v7, vcc_lo
	;; [unrolled: 3-line block ×10, first 2 shown]
	s_lshl_b32 s20, s16, 7
	s_delay_alu instid0(VALU_DEP_2) | instskip(NEXT) | instid1(VALU_DEP_2)
	v_add_co_u32 v26, vcc_lo, v24, s8
	v_add_co_ci_u32_e32 v27, vcc_lo, s9, v25, vcc_lo
	s_lshl_b64 s[14:15], s[18:19], 10
	s_delay_alu instid0(VALU_DEP_2) | instskip(NEXT) | instid1(VALU_DEP_2)
	v_add_co_u32 v28, vcc_lo, v26, s8
	v_add_co_ci_u32_e32 v29, vcc_lo, s9, v27, vcc_lo
	v_add_co_ci_u32_e64 v35, null, 0, s21, s13
	s_delay_alu instid0(VALU_DEP_3) | instskip(NEXT) | instid1(VALU_DEP_3)
	v_add_co_u32 v30, vcc_lo, v28, s8
	v_add_co_ci_u32_e32 v31, vcc_lo, s9, v29, vcc_lo
	global_load_b64 v[22:23], v[22:23], off
	global_load_b64 v[24:25], v[24:25], off
	;; [unrolled: 1-line block ×5, first 2 shown]
	s_add_i32 s13, s30, -1
	s_ashr_i32 s21, s20, 31
	s_add_u32 s24, s24, s28
	s_addc_u32 s25, s25, s29
	s_add_u32 s24, s24, s26
	s_addc_u32 s25, s25, s27
	v_mul_lo_u32 v36, v34, s19
	v_mul_lo_u32 v37, v35, s18
	v_mad_u64_u32 v[32:33], null, v34, s18, s[24:25]
	v_add_co_u32 v38, vcc_lo, 0x400, v34
	s_load_b64 s[22:23], s[22:23], 0x0
	s_lshl_b64 s[10:11], s[10:11], 3
	s_delay_alu instid0(VALU_DEP_1) | instskip(NEXT) | instid1(VALU_DEP_3)
	v_mad_u64_u32 v[64:65], null, v38, s18, s[24:25]
	v_add3_u32 v33, v37, v33, v36
	v_add_co_ci_u32_e32 v36, vcc_lo, 0, v35, vcc_lo
	v_add_co_u32 v39, vcc_lo, 0x410, v34
	v_add_co_ci_u32_e32 v40, vcc_lo, 0, v35, vcc_lo
	v_add_co_u32 v41, vcc_lo, 0x418, v34
	v_mul_lo_u32 v37, v38, s19
	s_delay_alu instid0(VALU_DEP_4)
	v_mul_lo_u32 v38, v39, s19
	v_mad_u64_u32 v[66:67], null, v39, s18, s[24:25]
	v_add_co_ci_u32_e32 v39, vcc_lo, 0, v35, vcc_lo
	v_add_co_u32 v43, vcc_lo, 0x420, v34
	v_mul_lo_u32 v36, v36, s18
	v_add_co_ci_u32_e32 v44, vcc_lo, 0, v35, vcc_lo
	v_mul_lo_u32 v40, v40, s18
	v_add_co_u32 v170, vcc_lo, 0x200, v32
	v_mul_lo_u32 v42, v41, s19
	v_mul_lo_u32 v39, v39, s18
	v_mad_u64_u32 v[68:69], null, v41, s18, s[24:25]
	v_add_co_ci_u32_e32 v171, vcc_lo, 0, v33, vcc_lo
	v_add_co_u32 v32, vcc_lo, 0x428, v34
	v_mul_lo_u32 v41, v43, s19
	v_mul_lo_u32 v44, v44, s18
	v_mad_u64_u32 v[70:71], null, v43, s18, s[24:25]
	v_add_co_ci_u32_e32 v33, vcc_lo, 0, v35, vcc_lo
	v_add3_u32 v65, v36, v65, v37
	v_add_co_u32 v37, vcc_lo, 0x430, v34
	v_add3_u32 v67, v40, v67, v38
	v_add_co_ci_u32_e32 v38, vcc_lo, 0, v35, vcc_lo
	v_add3_u32 v69, v39, v69, v42
	v_add_co_u32 v39, vcc_lo, 0x438, v34
	v_mul_lo_u32 v36, v32, s19
	v_mad_u64_u32 v[72:73], null, v32, s18, s[24:25]
	v_mul_lo_u32 v32, v37, s19
	v_mad_u64_u32 v[74:75], null, v37, s18, s[24:25]
	v_add_co_ci_u32_e32 v37, vcc_lo, 0, v35, vcc_lo
	v_add3_u32 v71, v44, v71, v41
	v_add_co_u32 v41, vcc_lo, 0x440, v34
	v_mul_lo_u32 v38, v38, s18
	v_add_co_ci_u32_e32 v42, vcc_lo, 0, v35, vcc_lo
	v_mul_lo_u32 v33, v33, s18
	v_add_co_u32 v43, vcc_lo, 0x448, v34
	v_mul_lo_u32 v40, v39, s19
	v_mul_lo_u32 v37, v37, s18
	v_mad_u64_u32 v[76:77], null, v39, s18, s[24:25]
	v_mul_lo_u32 v39, v41, s19
	v_mad_u64_u32 v[78:79], null, v41, s18, s[24:25]
	v_add_co_ci_u32_e32 v41, vcc_lo, 0, v35, vcc_lo
	v_add_co_u32 v45, vcc_lo, 0x450, v34
	v_mul_lo_u32 v42, v42, s18
	v_add_co_ci_u32_e32 v46, vcc_lo, 0, v35, vcc_lo
	v_add3_u32 v75, v38, v75, v32
	v_add_co_u32 v32, vcc_lo, 0x458, v34
	v_mul_lo_u32 v44, v43, s19
	v_mul_lo_u32 v41, v41, s18
	v_mad_u64_u32 v[80:81], null, v43, s18, s[24:25]
	v_add3_u32 v73, v33, v73, v36
	v_add_co_ci_u32_e32 v33, vcc_lo, 0, v35, vcc_lo
	v_add3_u32 v77, v37, v77, v40
	v_add_co_u32 v37, vcc_lo, 0x460, v34
	v_mul_lo_u32 v43, v45, s19
	v_mul_lo_u32 v46, v46, s18
	v_mad_u64_u32 v[82:83], null, v45, s18, s[24:25]
	v_add_co_ci_u32_e32 v38, vcc_lo, 0, v35, vcc_lo
	v_add3_u32 v79, v42, v79, v39
	v_add_co_u32 v39, vcc_lo, 0x468, v34
	v_mul_lo_u32 v36, v32, s19
	v_mad_u64_u32 v[84:85], null, v32, s18, s[24:25]
	v_mul_lo_u32 v32, v37, s19
	v_mad_u64_u32 v[86:87], null, v37, s18, s[24:25]
	v_add_co_ci_u32_e32 v37, vcc_lo, 0, v35, vcc_lo
	v_add3_u32 v81, v41, v81, v44
	v_add_co_u32 v41, vcc_lo, 0x470, v34
	v_add_co_ci_u32_e32 v42, vcc_lo, 0, v35, vcc_lo
	v_add3_u32 v83, v46, v83, v43
	v_add_co_u32 v43, vcc_lo, 0x478, v34
	v_mul_lo_u32 v40, v39, s19
	v_mad_u64_u32 v[88:89], null, v39, s18, s[24:25]
	v_mul_lo_u32 v39, v41, s19
	v_mad_u64_u32 v[90:91], null, v41, s18, s[24:25]
	v_add_co_ci_u32_e32 v41, vcc_lo, 0, v35, vcc_lo
	v_add_co_u32 v45, vcc_lo, 0x408, v34
	v_add_co_ci_u32_e32 v46, vcc_lo, 0, v35, vcc_lo
	s_waitcnt lgkmcnt(0)
	s_add_u32 s10, s22, s10
	s_addc_u32 s11, s23, s11
	v_mul_lo_u32 v33, v33, s18
	v_mul_lo_u32 v38, v38, s18
	v_mul_lo_u32 v37, v37, s18
	v_mul_lo_u32 v42, v42, s18
	v_mul_lo_u32 v44, v43, s19
	v_mul_lo_u32 v41, v41, s18
	v_mad_u64_u32 v[92:93], null, v43, s18, s[24:25]
	v_mul_lo_u32 v43, v45, s19
	v_mul_lo_u32 v46, v46, s18
	v_mad_u64_u32 v[94:95], null, v45, s18, s[24:25]
	v_mul_lo_u32 v45, v34, s17
	v_mul_lo_u32 v35, v35, s16
	v_mad_u64_u32 v[96:97], null, v34, s16, s[10:11]
	v_add3_u32 v85, v33, v85, v36
	v_add3_u32 v87, v38, v87, v32
	v_add3_u32 v89, v37, v89, v40
	v_add3_u32 v91, v42, v91, v39
	v_add3_u32 v93, v41, v93, v44
	v_add3_u32 v95, v46, v95, v43
	v_add3_u32 v97, v35, v97, v45
	s_mov_b32 s18, 0
	s_lshl_b64 s[10:11], s[20:21], 3
	s_lshl_b64 s[16:17], s[16:17], 3
	s_waitcnt vmcnt(0)
	v_dual_mov_b32 v63, v31 :: v_dual_mov_b32 v62, v30
	v_dual_mov_b32 v61, v29 :: v_dual_mov_b32 v60, v28
	;; [unrolled: 1-line block ×16, first 2 shown]
.LBB249_4:                              ; =>This Inner Loop Header: Depth=1
	v_add_co_u32 v102, vcc_lo, v170, v169
	v_add_co_ci_u32_e32 v103, vcc_lo, 0, v171, vcc_lo
	s_cmp_eq_u32 s13, s18
	s_delay_alu instid0(VALU_DEP_2) | instskip(NEXT) | instid1(VALU_DEP_2)
	v_add_co_u32 v104, vcc_lo, v102, s8
	v_add_co_ci_u32_e32 v105, vcc_lo, s9, v103, vcc_lo
	global_load_b64 v[102:103], v[102:103], off
	v_add_co_u32 v106, vcc_lo, v104, s8
	v_add_co_ci_u32_e32 v107, vcc_lo, s9, v105, vcc_lo
	global_load_b64 v[104:105], v[104:105], off
	v_add_co_u32 v108, vcc_lo, v106, s8
	v_add_co_ci_u32_e32 v109, vcc_lo, s9, v107, vcc_lo
	global_load_b64 v[106:107], v[106:107], off
	v_add_co_u32 v110, vcc_lo, v108, s8
	v_add_co_ci_u32_e32 v111, vcc_lo, s9, v109, vcc_lo
	global_load_b64 v[108:109], v[108:109], off
	v_add_co_u32 v112, vcc_lo, v110, s8
	v_add_co_ci_u32_e32 v113, vcc_lo, s9, v111, vcc_lo
	global_load_b64 v[110:111], v[110:111], off
	v_add_co_u32 v114, vcc_lo, v112, s8
	v_add_co_ci_u32_e32 v115, vcc_lo, s9, v113, vcc_lo
	global_load_b64 v[112:113], v[112:113], off
	v_add_co_u32 v116, vcc_lo, v114, s8
	v_add_co_ci_u32_e32 v117, vcc_lo, s9, v115, vcc_lo
	global_load_b64 v[114:115], v[114:115], off
	v_add_co_u32 v118, vcc_lo, v116, s8
	v_add_co_ci_u32_e32 v119, vcc_lo, s9, v117, vcc_lo
	global_load_b64 v[116:117], v[116:117], off
	v_add_co_u32 v120, vcc_lo, v118, s8
	v_add_co_ci_u32_e32 v121, vcc_lo, s9, v119, vcc_lo
	global_load_b64 v[118:119], v[118:119], off
	v_add_co_u32 v124, vcc_lo, v120, s8
	v_add_co_ci_u32_e32 v125, vcc_lo, s9, v121, vcc_lo
	global_load_b64 v[122:123], v[120:121], off
	global_load_b64 v[120:121], v[124:125], off
	v_add_co_u32 v126, vcc_lo, v124, s8
	v_add_co_ci_u32_e32 v127, vcc_lo, s9, v125, vcc_lo
	global_load_b64 v[136:137], v[96:97], off
	v_add_co_u32 v130, vcc_lo, v126, s8
	v_add_co_ci_u32_e32 v131, vcc_lo, s9, v127, vcc_lo
	v_add_co_u32 v134, vcc_lo, v96, s16
	v_add_co_ci_u32_e32 v135, vcc_lo, s17, v97, vcc_lo
	global_load_b64 v[124:125], v[126:127], off
	v_add_co_u32 v138, vcc_lo, v134, s16
	v_add_co_ci_u32_e32 v139, vcc_lo, s17, v135, vcc_lo
	v_add_co_u32 v126, vcc_lo, v130, s8
	v_add_co_ci_u32_e32 v127, vcc_lo, s9, v131, vcc_lo
	s_delay_alu instid0(VALU_DEP_4) | instskip(NEXT) | instid1(VALU_DEP_4)
	v_add_co_u32 v140, vcc_lo, v138, s16
	v_add_co_ci_u32_e32 v141, vcc_lo, s17, v139, vcc_lo
	global_load_b64 v[128:129], v[130:131], off
	v_add_co_u32 v146, vcc_lo, v140, s16
	v_add_co_ci_u32_e32 v147, vcc_lo, s17, v141, vcc_lo
	global_load_b64 v[130:131], v[126:127], off
	v_add_co_u32 v126, vcc_lo, v126, s8
	v_add_co_ci_u32_e32 v127, vcc_lo, s9, v127, vcc_lo
	v_add_co_u32 v148, vcc_lo, v146, s16
	v_add_co_ci_u32_e32 v149, vcc_lo, s17, v147, vcc_lo
	global_load_b64 v[132:133], v[126:127], off
	v_add_co_u32 v150, vcc_lo, v148, s16
	v_add_co_ci_u32_e32 v151, vcc_lo, s17, v149, vcc_lo
	v_add_co_u32 v126, vcc_lo, v126, s8
	v_add_co_ci_u32_e32 v127, vcc_lo, s9, v127, vcc_lo
	s_delay_alu instid0(VALU_DEP_4) | instskip(NEXT) | instid1(VALU_DEP_4)
	v_add_co_u32 v152, vcc_lo, v150, s16
	v_add_co_ci_u32_e32 v153, vcc_lo, s17, v151, vcc_lo
	global_load_b64 v[126:127], v[126:127], off
	v_add_co_u32 v154, vcc_lo, v152, s16
	v_add_co_ci_u32_e32 v155, vcc_lo, s17, v153, vcc_lo
	s_clause 0x3
	global_load_b64 v[144:145], v[134:135], off
	global_load_b64 v[142:143], v[138:139], off
	;; [unrolled: 1-line block ×4, first 2 shown]
	v_add_co_u32 v156, vcc_lo, v154, s16
	v_add_co_ci_u32_e32 v157, vcc_lo, s17, v155, vcc_lo
	s_clause 0x1
	global_load_b64 v[148:149], v[148:149], off
	global_load_b64 v[146:147], v[150:151], off
	v_add_co_u32 v134, vcc_lo, v156, s16
	v_add_co_ci_u32_e32 v135, vcc_lo, s17, v157, vcc_lo
	global_load_b64 v[150:151], v[152:153], off
	v_add_co_u32 v160, vcc_lo, v134, s16
	v_add_co_ci_u32_e32 v161, vcc_lo, s17, v135, vcc_lo
	;; [unrolled: 3-line block ×5, first 2 shown]
	s_delay_alu instid0(VALU_DEP_2) | instskip(NEXT) | instid1(VALU_DEP_2)
	v_add_co_u32 v134, vcc_lo, v156, s16
	v_add_co_ci_u32_e32 v135, vcc_lo, s17, v157, vcc_lo
	global_load_b64 v[164:165], v[160:161], off
	global_load_b64 v[162:163], v[162:163], off
	;; [unrolled: 1-line block ×5, first 2 shown]
	s_cbranch_scc1 .LBB249_6
; %bb.5:                                ;   in Loop: Header=BB249_4 Depth=1
	v_add_co_u32 v32, vcc_lo, v64, v169
	v_add_co_ci_u32_e32 v33, vcc_lo, 0, v65, vcc_lo
	v_add_co_u32 v34, vcc_lo, v94, v169
	v_add_co_ci_u32_e32 v35, vcc_lo, 0, v95, vcc_lo
	;; [unrolled: 2-line block ×16, first 2 shown]
	global_load_b64 v[32:33], v[32:33], off
	global_load_b64 v[34:35], v[34:35], off
	;; [unrolled: 1-line block ×16, first 2 shown]
.LBB249_6:                              ;   in Loop: Header=BB249_4 Depth=1
	s_waitcnt vmcnt(20)
	v_fma_f64 v[0:1], v[0:1], v[136:137], v[100:101]
	v_fma_f64 v[98:99], v[102:103], v[136:137], v[98:99]
	v_add_co_u32 v170, vcc_lo, v170, s14
	v_add_co_ci_u32_e32 v171, vcc_lo, s15, v171, vcc_lo
	v_add_co_u32 v64, vcc_lo, v64, s14
	v_add_co_ci_u32_e32 v65, vcc_lo, s15, v65, vcc_lo
	;; [unrolled: 2-line block ×9, first 2 shown]
	s_waitcnt vmcnt(14)
	v_fma_f64 v[0:1], v[2:3], v[144:145], v[0:1]
	v_fma_f64 v[2:3], v[104:105], v[144:145], v[98:99]
	v_add_co_u32 v80, vcc_lo, v80, s14
	v_add_co_ci_u32_e32 v81, vcc_lo, s15, v81, vcc_lo
	v_add_co_u32 v82, vcc_lo, v82, s14
	v_add_co_ci_u32_e32 v83, vcc_lo, s15, v83, vcc_lo
	;; [unrolled: 2-line block ×9, first 2 shown]
	s_waitcnt vmcnt(13)
	v_fma_f64 v[0:1], v[4:5], v[142:143], v[0:1]
	v_fma_f64 v[2:3], v[106:107], v[142:143], v[2:3]
	s_add_i32 s18, s18, 1
	s_delay_alu instid0(SALU_CYCLE_1) | instskip(SKIP_1) | instid1(VALU_DEP_2)
	s_cmp_lt_i32 s18, s30
	s_waitcnt vmcnt(12)
	v_fma_f64 v[0:1], v[6:7], v[140:141], v[0:1]
	s_delay_alu instid0(VALU_DEP_2) | instskip(SKIP_1) | instid1(VALU_DEP_2)
	v_fma_f64 v[2:3], v[108:109], v[140:141], v[2:3]
	s_waitcnt vmcnt(11)
	v_fma_f64 v[0:1], v[8:9], v[138:139], v[0:1]
	s_delay_alu instid0(VALU_DEP_2) | instskip(SKIP_1) | instid1(VALU_DEP_2)
	v_fma_f64 v[2:3], v[110:111], v[138:139], v[2:3]
	;; [unrolled: 4-line block ×12, first 2 shown]
	s_waitcnt vmcnt(0)
	v_fma_f64 v[100:101], v[30:31], v[134:135], v[0:1]
	s_delay_alu instid0(VALU_DEP_2)
	v_fma_f64 v[98:99], v[126:127], v[134:135], v[2:3]
	s_cbranch_scc0 .LBB249_8
; %bb.7:                                ;   in Loop: Header=BB249_4 Depth=1
	v_dual_mov_b32 v0, v32 :: v_dual_mov_b32 v1, v33
	v_dual_mov_b32 v2, v34 :: v_dual_mov_b32 v3, v35
	;; [unrolled: 1-line block ×16, first 2 shown]
	s_branch .LBB249_4
.LBB249_8:
	v_lshl_or_b32 v0, v168, 10, v169
	s_mov_b32 s8, 0
	s_mov_b32 s9, exec_lo
	ds_store_2addr_stride64_b64 v0, v[100:101], v[98:99] offset1:1
	s_waitcnt lgkmcnt(0)
	s_barrier
	buffer_gl0_inv
	v_cmpx_eq_u32_e32 0, v167
	s_cbranch_execz .LBB249_11
; %bb.9:
	v_lshlrev_b32_e32 v10, 3, v166
	s_load_b32 s9, s[0:1], 0x68
	s_lshl_b64 s[0:1], s[6:7], 3
	s_delay_alu instid0(SALU_CYCLE_1)
	s_add_u32 s4, s4, s0
	ds_load_2addr_stride64_b64 v[4:7], v10 offset1:2
	s_addc_u32 s5, s5, s1
	s_waitcnt lgkmcnt(0)
	v_mad_i64_i32 v[2:3], null, s9, v166, 0
	s_mul_hi_i32 s1, s9, s12
	s_mul_i32 s0, s9, s12
	v_add_f64 v[0:1], v[4:5], 0
	s_lshl_b64 s[0:1], s[0:1], 3
	s_delay_alu instid0(SALU_CYCLE_1) | instskip(NEXT) | instid1(VALU_DEP_2)
	s_add_u32 s0, s4, s0
	v_lshlrev_b64 v[2:3], 3, v[2:3]
	s_addc_u32 s1, s5, s1
	s_delay_alu instid0(VALU_DEP_1) | instskip(NEXT) | instid1(VALU_DEP_2)
	v_add_co_u32 v4, vcc_lo, s0, v2
	v_add_co_ci_u32_e32 v5, vcc_lo, s1, v3, vcc_lo
	global_load_b64 v[2:3], v[4:5], off
	v_add_f64 v[0:1], v[0:1], v[6:7]
	ds_load_2addr_stride64_b64 v[6:9], v10 offset0:4 offset1:6
	s_waitcnt lgkmcnt(0)
	v_add_f64 v[0:1], v[0:1], v[6:7]
	s_delay_alu instid0(VALU_DEP_1) | instskip(SKIP_3) | instid1(VALU_DEP_1)
	v_add_f64 v[0:1], v[0:1], v[8:9]
	ds_load_2addr_stride64_b64 v[6:9], v10 offset0:8 offset1:10
	s_waitcnt lgkmcnt(0)
	v_add_f64 v[0:1], v[0:1], v[6:7]
	v_add_f64 v[0:1], v[0:1], v[8:9]
	ds_load_2addr_stride64_b64 v[6:9], v10 offset0:12 offset1:14
	s_waitcnt lgkmcnt(0)
	v_add_f64 v[0:1], v[0:1], v[6:7]
	s_delay_alu instid0(VALU_DEP_1) | instskip(NEXT) | instid1(VALU_DEP_1)
	v_add_f64 v[0:1], v[0:1], v[8:9]
	v_mul_f64 v[6:7], v[0:1], s[2:3]
.LBB249_10:                             ; =>This Inner Loop Header: Depth=1
	s_waitcnt vmcnt(0)
	s_delay_alu instid0(VALU_DEP_1)
	v_add_f64 v[0:1], v[2:3], v[6:7]
	global_atomic_cmpswap_b64 v[0:1], v[4:5], v[0:3], off glc
	s_waitcnt vmcnt(0)
	v_cmp_eq_u64_e32 vcc_lo, v[0:1], v[2:3]
	v_dual_mov_b32 v3, v1 :: v_dual_mov_b32 v2, v0
	s_or_b32 s8, vcc_lo, s8
	s_delay_alu instid0(SALU_CYCLE_1)
	s_and_not1_b32 exec_lo, exec_lo, s8
	s_cbranch_execnz .LBB249_10
.LBB249_11:
	s_endpgm
	.section	.rodata,"a",@progbits
	.p2align	6, 0x0
	.amdhsa_kernel _ZL36rocblas_gemvn_double_buffered_kernelILi128ELi4ELi16EPKddKPdEviiT3_lPKT2_lilS7_lilPT4_lili
		.amdhsa_group_segment_fixed_size 8192
		.amdhsa_private_segment_fixed_size 0
		.amdhsa_kernarg_size 384
		.amdhsa_user_sgpr_count 13
		.amdhsa_user_sgpr_dispatch_ptr 0
		.amdhsa_user_sgpr_queue_ptr 0
		.amdhsa_user_sgpr_kernarg_segment_ptr 1
		.amdhsa_user_sgpr_dispatch_id 0
		.amdhsa_user_sgpr_private_segment_size 0
		.amdhsa_wavefront_size32 1
		.amdhsa_uses_dynamic_stack 0
		.amdhsa_enable_private_segment 0
		.amdhsa_system_sgpr_workgroup_id_x 1
		.amdhsa_system_sgpr_workgroup_id_y 1
		.amdhsa_system_sgpr_workgroup_id_z 1
		.amdhsa_system_sgpr_workgroup_info 0
		.amdhsa_system_vgpr_workitem_id 1
		.amdhsa_next_free_vgpr 174
		.amdhsa_next_free_sgpr 31
		.amdhsa_reserve_vcc 1
		.amdhsa_float_round_mode_32 0
		.amdhsa_float_round_mode_16_64 0
		.amdhsa_float_denorm_mode_32 3
		.amdhsa_float_denorm_mode_16_64 3
		.amdhsa_dx10_clamp 1
		.amdhsa_ieee_mode 1
		.amdhsa_fp16_overflow 0
		.amdhsa_workgroup_processor_mode 1
		.amdhsa_memory_ordered 1
		.amdhsa_forward_progress 0
		.amdhsa_shared_vgpr_count 0
		.amdhsa_exception_fp_ieee_invalid_op 0
		.amdhsa_exception_fp_denorm_src 0
		.amdhsa_exception_fp_ieee_div_zero 0
		.amdhsa_exception_fp_ieee_overflow 0
		.amdhsa_exception_fp_ieee_underflow 0
		.amdhsa_exception_fp_ieee_inexact 0
		.amdhsa_exception_int_div_zero 0
	.end_amdhsa_kernel
	.section	.text._ZL36rocblas_gemvn_double_buffered_kernelILi128ELi4ELi16EPKddKPdEviiT3_lPKT2_lilS7_lilPT4_lili,"axG",@progbits,_ZL36rocblas_gemvn_double_buffered_kernelILi128ELi4ELi16EPKddKPdEviiT3_lPKT2_lilS7_lilPT4_lili,comdat
.Lfunc_end249:
	.size	_ZL36rocblas_gemvn_double_buffered_kernelILi128ELi4ELi16EPKddKPdEviiT3_lPKT2_lilS7_lilPT4_lili, .Lfunc_end249-_ZL36rocblas_gemvn_double_buffered_kernelILi128ELi4ELi16EPKddKPdEviiT3_lPKT2_lilS7_lilPT4_lili
                                        ; -- End function
	.section	.AMDGPU.csdata,"",@progbits
; Kernel info:
; codeLenInByte = 4052
; NumSgprs: 33
; NumVgprs: 174
; ScratchSize: 0
; MemoryBound: 1
; FloatMode: 240
; IeeeMode: 1
; LDSByteSize: 8192 bytes/workgroup (compile time only)
; SGPRBlocks: 4
; VGPRBlocks: 21
; NumSGPRsForWavesPerEU: 33
; NumVGPRsForWavesPerEU: 174
; Occupancy: 8
; WaveLimiterHint : 1
; COMPUTE_PGM_RSRC2:SCRATCH_EN: 0
; COMPUTE_PGM_RSRC2:USER_SGPR: 13
; COMPUTE_PGM_RSRC2:TRAP_HANDLER: 0
; COMPUTE_PGM_RSRC2:TGID_X_EN: 1
; COMPUTE_PGM_RSRC2:TGID_Y_EN: 1
; COMPUTE_PGM_RSRC2:TGID_Z_EN: 1
; COMPUTE_PGM_RSRC2:TIDIG_COMP_CNT: 1
	.section	.text._ZL20rocblas_gemvn_kernelILi32ELi16EiPKdS1_KPdEviiT3_lPKT2_lT1_lS7_lS8_lS4_lPT4_lS8_li,"axG",@progbits,_ZL20rocblas_gemvn_kernelILi32ELi16EiPKdS1_KPdEviiT3_lPKT2_lT1_lS7_lS8_lS4_lPT4_lS8_li,comdat
	.globl	_ZL20rocblas_gemvn_kernelILi32ELi16EiPKdS1_KPdEviiT3_lPKT2_lT1_lS7_lS8_lS4_lPT4_lS8_li ; -- Begin function _ZL20rocblas_gemvn_kernelILi32ELi16EiPKdS1_KPdEviiT3_lPKT2_lT1_lS7_lS8_lS4_lPT4_lS8_li
	.p2align	8
	.type	_ZL20rocblas_gemvn_kernelILi32ELi16EiPKdS1_KPdEviiT3_lPKT2_lT1_lS7_lS8_lS4_lPT4_lS8_li,@function
_ZL20rocblas_gemvn_kernelILi32ELi16EiPKdS1_KPdEviiT3_lPKT2_lT1_lS7_lS8_lS4_lPT4_lS8_li: ; @_ZL20rocblas_gemvn_kernelILi32ELi16EiPKdS1_KPdEviiT3_lPKT2_lT1_lS7_lS8_lS4_lPT4_lS8_li
; %bb.0:
	s_load_b64 s[4:5], s[0:1], 0x9c
	s_waitcnt lgkmcnt(0)
	s_lshr_b32 s3, s4, 16
	s_and_b32 s4, s4, 0xffff
	s_and_b32 s5, s5, 0xffff
	s_mul_i32 s3, s3, s4
	s_delay_alu instid0(SALU_CYCLE_1) | instskip(NEXT) | instid1(SALU_CYCLE_1)
	s_mul_i32 s3, s3, s5
	s_cmpk_lg_i32 s3, 0x200
	s_cbranch_scc1 .LBB250_55
; %bb.1:
	s_clause 0x1
	s_load_b256 s[16:23], s[0:1], 0x8
	s_load_b256 s[4:11], s[0:1], 0x58
	s_mov_b32 s2, s15
	s_waitcnt lgkmcnt(0)
	s_mul_i32 s3, s15, s19
	s_mul_hi_u32 s13, s15, s18
	s_mul_i32 s12, s15, s18
	s_add_i32 s13, s13, s3
	s_mul_i32 s3, s15, s7
	s_lshl_b64 s[12:13], s[12:13], 3
	s_mul_hi_u32 s7, s15, s6
	s_add_u32 s12, s16, s12
	s_addc_u32 s13, s17, s13
	s_add_i32 s7, s7, s3
	s_mul_i32 s6, s15, s6
	s_delay_alu instid0(SALU_CYCLE_1) | instskip(NEXT) | instid1(SALU_CYCLE_1)
	s_lshl_b64 s[6:7], s[6:7], 3
	s_add_u32 s4, s4, s6
	s_addc_u32 s5, s5, s7
	s_load_b64 s[6:7], s[12:13], 0x0
	s_load_b64 s[4:5], s[4:5], 0x0
	s_mov_b64 s[12:13], 0
	s_waitcnt lgkmcnt(0)
	v_cmp_eq_f64_e64 s19, s[6:7], 0
	v_cmp_eq_f64_e64 s3, s[4:5], 1.0
	s_delay_alu instid0(VALU_DEP_1) | instskip(NEXT) | instid1(SALU_CYCLE_1)
	s_and_b32 s3, s19, s3
	s_and_b32 vcc_lo, exec_lo, s3
	s_cbranch_vccnz .LBB250_55
; %bb.2:
	v_cmp_neq_f64_e64 s15, s[6:7], 0
	s_and_b32 vcc_lo, exec_lo, s19
	s_mov_b32 s3, 0
	s_cbranch_vccnz .LBB250_4
; %bb.3:
	s_lshl_b64 s[12:13], s[2:3], 3
	s_delay_alu instid0(SALU_CYCLE_1)
	s_add_u32 s12, s20, s12
	s_addc_u32 s13, s21, s13
	s_lshl_b64 s[16:17], s[22:23], 3
	s_load_b64 s[12:13], s[12:13], 0x0
	s_waitcnt lgkmcnt(0)
	s_add_u32 s12, s12, s16
	s_addc_u32 s13, s13, s17
.LBB250_4:
	s_delay_alu instid0(VALU_DEP_1)
	s_and_not1_b32 vcc_lo, exec_lo, s15
	s_cbranch_vccnz .LBB250_6
; %bb.5:
	s_load_b128 s[20:23], s[0:1], 0x38
	s_lshl_b64 s[16:17], s[2:3], 3
	s_waitcnt lgkmcnt(0)
	s_add_u32 s16, s20, s16
	s_addc_u32 s17, s21, s17
	s_lshl_b64 s[20:21], s[22:23], 3
	s_load_b64 s[16:17], s[16:17], 0x0
	s_waitcnt lgkmcnt(0)
	s_add_u32 s16, s16, s20
	s_addc_u32 s17, s17, s21
	s_branch .LBB250_7
.LBB250_6:
	s_mov_b64 s[16:17], 0
.LBB250_7:
	s_lshl_b64 s[2:3], s[2:3], 3
	v_and_b32_e32 v1, 0x3ff, v0
	s_add_u32 s2, s8, s2
	s_addc_u32 s3, s9, s3
	v_bfe_u32 v0, v0, 10, 10
	s_load_b64 s[20:21], s[2:3], 0x0
	s_clause 0x1
	s_load_b64 s[8:9], s[0:1], 0x0
	s_load_b32 s18, s[0:1], 0x78
	s_lshl_b64 s[22:23], s[10:11], 3
	v_lshl_add_u32 v53, v0, 5, v1
	s_delay_alu instid0(VALU_DEP_1)
	v_cmp_gt_u32_e64 s2, 0x80, v53
	s_waitcnt lgkmcnt(0)
	s_add_u32 s11, s20, s22
	s_addc_u32 s15, s21, s23
	s_and_not1_b32 vcc_lo, exec_lo, s19
	s_cbranch_vccnz .LBB250_14
; %bb.8:
	s_mov_b32 s3, 0
	s_mov_b32 s19, 0
                                        ; implicit-def: $vgpr4_vgpr5
                                        ; implicit-def: $vgpr2_vgpr3
	s_and_saveexec_b32 s10, s2
	s_cbranch_execz .LBB250_15
; %bb.9:
	v_lshl_or_b32 v6, s14, 7, v53
	v_mov_b32_e32 v7, 0
	s_ashr_i32 s21, s8, 31
	s_mov_b32 s20, s8
	s_mov_b32 s2, exec_lo
                                        ; implicit-def: $vgpr4_vgpr5
                                        ; implicit-def: $vgpr2_vgpr3
	s_delay_alu instid0(VALU_DEP_1)
	v_cmpx_gt_i64_e64 s[20:21], v[6:7]
	s_cbranch_execz .LBB250_13
; %bb.10:
	v_cmp_eq_f64_e64 s19, s[4:5], 0
	v_mad_u64_u32 v[2:3], null, s18, v6, 0
	s_ashr_i32 s20, s18, 31
	s_delay_alu instid0(VALU_DEP_1) | instid1(SALU_CYCLE_1)
	v_mad_u64_u32 v[4:5], null, s20, v6, v[3:4]
	s_delay_alu instid0(VALU_DEP_1)
	v_dual_mov_b32 v3, v4 :: v_dual_mov_b32 v4, 0
	v_mov_b32_e32 v5, 0
	s_and_b32 vcc_lo, exec_lo, s19
	s_cbranch_vccnz .LBB250_12
; %bb.11:
	s_delay_alu instid0(VALU_DEP_2) | instskip(NEXT) | instid1(VALU_DEP_1)
	v_lshlrev_b64 v[4:5], 3, v[2:3]
	v_add_co_u32 v4, vcc_lo, s11, v4
	s_delay_alu instid0(VALU_DEP_2)
	v_add_co_ci_u32_e32 v5, vcc_lo, s15, v5, vcc_lo
	global_load_b64 v[4:5], v[4:5], off
	s_waitcnt vmcnt(0)
	v_mul_f64 v[4:5], s[4:5], v[4:5]
.LBB250_12:
	s_mov_b32 s19, exec_lo
.LBB250_13:
	s_or_b32 exec_lo, exec_lo, s2
	s_delay_alu instid0(SALU_CYCLE_1) | instskip(SKIP_1) | instid1(SALU_CYCLE_1)
	s_and_b32 s19, s19, exec_lo
	s_or_b32 exec_lo, exec_lo, s10
	s_and_b32 vcc_lo, exec_lo, s3
	s_cbranch_vccnz .LBB250_16
	s_branch .LBB250_53
.LBB250_14:
	s_mov_b32 s19, 0
                                        ; implicit-def: $vgpr4_vgpr5
                                        ; implicit-def: $vgpr2_vgpr3
	s_cbranch_execnz .LBB250_16
	s_branch .LBB250_53
.LBB250_15:
	s_or_b32 exec_lo, exec_lo, s10
	s_delay_alu instid0(SALU_CYCLE_1)
	s_and_b32 vcc_lo, exec_lo, s3
	s_cbranch_vccz .LBB250_53
.LBB250_16:
	s_clause 0x1
	s_load_b32 s20, s[0:1], 0x28
	s_load_b32 s10, s[0:1], 0x48
	v_dual_mov_b32 v8, 0 :: v_dual_lshlrev_b32 v55, 2, v0
	s_lshl_b32 s14, s14, 7
	s_delay_alu instid0(SALU_CYCLE_1) | instskip(SKIP_1) | instid1(VALU_DEP_2)
	v_dual_mov_b32 v9, 0 :: v_dual_add_nc_u32 v54, s14, v1
	s_ashr_i32 s0, s9, 31
	v_mov_b32_e32 v6, v8
	s_lshr_b32 s0, s0, 26
	s_delay_alu instid0(VALU_DEP_2)
	v_dual_mov_b32 v7, v9 :: v_dual_mov_b32 v4, v8
	v_dual_mov_b32 v5, v9 :: v_dual_mov_b32 v2, v8
	v_mov_b32_e32 v3, v9
	s_add_i32 s21, s9, s0
	s_mov_b32 s22, exec_lo
	s_and_not1_b32 s21, s21, 63
	s_delay_alu instid0(SALU_CYCLE_1)
	v_cmpx_gt_i32_e64 s21, v55
	s_cbranch_execz .LBB250_28
; %bb.17:
	s_waitcnt lgkmcnt(0)
	v_mul_lo_u32 v3, s20, v55
	v_dual_mov_b32 v8, 0 :: v_dual_add_nc_u32 v5, 0x60, v54
	v_dual_mov_b32 v9, 0 :: v_dual_add_nc_u32 v2, 32, v54
	v_add_nc_u32_e32 v4, 64, v54
	s_delay_alu instid0(VALU_DEP_3) | instskip(SKIP_1) | instid1(VALU_DEP_4)
	v_cmp_gt_i32_e64 s2, s8, v5
	v_mul_lo_u32 v5, v0, s10
	v_cmp_gt_i32_e64 s0, s8, v2
	v_add_nc_u32_e32 v2, 2, v55
	v_mov_b32_e32 v6, v8
	v_add3_u32 v56, v3, s20, v1
	v_mul_lo_u32 v3, v0, s20
	v_mov_b32_e32 v7, v9
	v_cmp_gt_i32_e64 s1, s8, v4
	v_add_nc_u32_e32 v4, 3, v55
	v_mad_u64_u32 v[10:11], null, s20, v2, v[1:2]
	v_lshlrev_b32_e32 v60, 2, v5
	v_cmp_gt_i32_e32 vcc_lo, s8, v54
	s_delay_alu instid0(VALU_DEP_4)
	v_mad_u64_u32 v[11:12], null, s20, v4, v[1:2]
	v_mul_lo_u32 v59, s10, v4
	v_mov_b32_e32 v4, v8
	v_mad_u64_u32 v[12:13], null, s10, v55, s[10:11]
	v_mov_b32_e32 v5, v9
	v_mul_lo_u32 v58, s10, v2
	v_lshl_add_u32 v57, v3, 2, v1
	v_dual_mov_b32 v2, v8 :: v_dual_mov_b32 v3, v9
	s_lshl_b32 s23, s20, 6
	s_lshl_b32 s25, s10, 6
	s_mov_b32 s24, 0
	s_mov_b32 s26, 0
	s_branch .LBB250_22
.LBB250_18:                             ;   in Loop: Header=BB250_22 Depth=1
	s_or_b32 exec_lo, exec_lo, s29
	s_waitcnt vmcnt(3) lgkmcnt(3)
	v_fma_f64 v[4:5], v[13:14], v[45:46], v[4:5]
	s_waitcnt vmcnt(2) lgkmcnt(2)
	s_delay_alu instid0(VALU_DEP_1) | instskip(SKIP_1) | instid1(VALU_DEP_1)
	v_fma_f64 v[4:5], v[15:16], v[47:48], v[4:5]
	s_waitcnt vmcnt(1) lgkmcnt(1)
	v_fma_f64 v[4:5], v[17:18], v[49:50], v[4:5]
	s_waitcnt vmcnt(0) lgkmcnt(0)
	s_delay_alu instid0(VALU_DEP_1)
	v_fma_f64 v[4:5], v[19:20], v[51:52], v[4:5]
.LBB250_19:                             ;   in Loop: Header=BB250_22 Depth=1
	s_or_b32 exec_lo, exec_lo, s28
	s_waitcnt vmcnt(3) lgkmcnt(3)
	v_fma_f64 v[6:7], v[13:14], v[37:38], v[6:7]
	s_waitcnt vmcnt(2) lgkmcnt(2)
	s_delay_alu instid0(VALU_DEP_1) | instskip(SKIP_1) | instid1(VALU_DEP_1)
	v_fma_f64 v[6:7], v[15:16], v[39:40], v[6:7]
	s_waitcnt vmcnt(1) lgkmcnt(1)
	v_fma_f64 v[6:7], v[17:18], v[41:42], v[6:7]
	s_waitcnt vmcnt(0) lgkmcnt(0)
	s_delay_alu instid0(VALU_DEP_1)
	v_fma_f64 v[6:7], v[19:20], v[43:44], v[6:7]
.LBB250_20:                             ;   in Loop: Header=BB250_22 Depth=1
	s_or_b32 exec_lo, exec_lo, s3
	s_waitcnt vmcnt(3) lgkmcnt(3)
	v_fma_f64 v[8:9], v[13:14], v[21:22], v[8:9]
	s_waitcnt vmcnt(2) lgkmcnt(2)
	s_delay_alu instid0(VALU_DEP_1) | instskip(SKIP_1) | instid1(VALU_DEP_1)
	v_fma_f64 v[8:9], v[15:16], v[23:24], v[8:9]
	s_waitcnt vmcnt(1) lgkmcnt(1)
	v_fma_f64 v[8:9], v[17:18], v[25:26], v[8:9]
	s_waitcnt vmcnt(0) lgkmcnt(0)
	s_delay_alu instid0(VALU_DEP_1)
	v_fma_f64 v[8:9], v[19:20], v[27:28], v[8:9]
.LBB250_21:                             ;   in Loop: Header=BB250_22 Depth=1
	s_or_b32 exec_lo, exec_lo, s27
	v_add_nc_u32_e32 v55, 64, v55
	v_add_nc_u32_e32 v56, s23, v56
	;; [unrolled: 1-line block ×5, first 2 shown]
	v_cmp_le_i32_e64 s3, s21, v55
	s_add_i32 s26, s26, s25
	s_delay_alu instid0(VALU_DEP_1) | instskip(NEXT) | instid1(SALU_CYCLE_1)
	s_or_b32 s24, s3, s24
	s_and_not1_b32 exec_lo, exec_lo, s24
	s_cbranch_execz .LBB250_27
.LBB250_22:                             ; =>This Inner Loop Header: Depth=1
	s_and_saveexec_b32 s27, vcc_lo
	s_cbranch_execz .LBB250_21
; %bb.23:                               ;   in Loop: Header=BB250_22 Depth=1
	v_add_nc_u32_e32 v13, s26, v60
	v_add_nc_u32_e32 v15, s26, v12
	;; [unrolled: 1-line block ×5, first 2 shown]
	v_ashrrev_i32_e32 v14, 31, v13
	v_ashrrev_i32_e32 v16, 31, v15
	;; [unrolled: 1-line block ×4, first 2 shown]
	v_add_nc_u32_e32 v23, s14, v56
	v_lshlrev_b64 v[13:14], 3, v[13:14]
	v_lshlrev_b64 v[15:16], 3, v[15:16]
	v_lshlrev_b64 v[17:18], 3, v[17:18]
	v_ashrrev_i32_e32 v22, 31, v21
	v_lshlrev_b64 v[19:20], 3, v[19:20]
	v_ashrrev_i32_e32 v24, 31, v23
	v_add_co_u32 v13, s3, s16, v13
	s_delay_alu instid0(VALU_DEP_1)
	v_add_co_ci_u32_e64 v14, s3, s17, v14, s3
	v_add_co_u32 v15, s3, s16, v15
	v_add_nc_u32_e32 v25, s14, v10
	v_add_co_ci_u32_e64 v16, s3, s17, v16, s3
	v_add_co_u32 v17, s3, s16, v17
	v_lshlrev_b64 v[21:22], 3, v[21:22]
	v_add_nc_u32_e32 v27, s14, v11
	v_add_co_ci_u32_e64 v18, s3, s17, v18, s3
	v_add_co_u32 v19, s3, s16, v19
	v_lshlrev_b64 v[23:24], 3, v[23:24]
	v_ashrrev_i32_e32 v26, 31, v25
	v_add_co_ci_u32_e64 v20, s3, s17, v20, s3
	v_add_co_u32 v29, s3, s12, v21
	v_ashrrev_i32_e32 v28, 31, v27
	v_add_co_ci_u32_e64 v30, s3, s13, v22, s3
	v_lshlrev_b64 v[21:22], 3, v[25:26]
	v_add_co_u32 v31, s3, s12, v23
	s_delay_alu instid0(VALU_DEP_1) | instskip(SKIP_1) | instid1(VALU_DEP_4)
	v_add_co_ci_u32_e64 v32, s3, s13, v24, s3
	v_lshlrev_b64 v[23:24], 3, v[27:28]
	v_add_co_u32 v33, s3, s12, v21
	s_delay_alu instid0(VALU_DEP_1) | instskip(NEXT) | instid1(VALU_DEP_3)
	v_add_co_ci_u32_e64 v34, s3, s13, v22, s3
	v_add_co_u32 v35, s3, s12, v23
	s_delay_alu instid0(VALU_DEP_1)
	v_add_co_ci_u32_e64 v36, s3, s13, v24, s3
	s_clause 0x3
	flat_load_b64 v[13:14], v[13:14]
	flat_load_b64 v[15:16], v[15:16]
	;; [unrolled: 1-line block ×4, first 2 shown]
	s_clause 0x3
	flat_load_b64 v[21:22], v[29:30]
	flat_load_b64 v[23:24], v[31:32]
	;; [unrolled: 1-line block ×4, first 2 shown]
	s_and_saveexec_b32 s3, s0
	s_cbranch_execz .LBB250_20
; %bb.24:                               ;   in Loop: Header=BB250_22 Depth=1
	s_clause 0x3
	flat_load_b64 v[37:38], v[29:30] offset:256
	flat_load_b64 v[39:40], v[31:32] offset:256
	flat_load_b64 v[41:42], v[33:34] offset:256
	flat_load_b64 v[43:44], v[35:36] offset:256
	s_and_saveexec_b32 s28, s1
	s_cbranch_execz .LBB250_19
; %bb.25:                               ;   in Loop: Header=BB250_22 Depth=1
	s_clause 0x3
	flat_load_b64 v[45:46], v[29:30] offset:512
	flat_load_b64 v[47:48], v[31:32] offset:512
	flat_load_b64 v[49:50], v[33:34] offset:512
	flat_load_b64 v[51:52], v[35:36] offset:512
	;; [unrolled: 8-line block ×3, first 2 shown]
	s_waitcnt vmcnt(3) lgkmcnt(3)
	v_fma_f64 v[2:3], v[13:14], v[29:30], v[2:3]
	s_waitcnt vmcnt(2) lgkmcnt(2)
	s_delay_alu instid0(VALU_DEP_1) | instskip(SKIP_1) | instid1(VALU_DEP_1)
	v_fma_f64 v[2:3], v[15:16], v[31:32], v[2:3]
	s_waitcnt vmcnt(1) lgkmcnt(1)
	v_fma_f64 v[2:3], v[17:18], v[33:34], v[2:3]
	s_waitcnt vmcnt(0) lgkmcnt(0)
	s_delay_alu instid0(VALU_DEP_1)
	v_fma_f64 v[2:3], v[19:20], v[35:36], v[2:3]
	s_branch .LBB250_18
.LBB250_27:
	s_or_b32 exec_lo, exec_lo, s24
.LBB250_28:
	s_delay_alu instid0(SALU_CYCLE_1) | instskip(SKIP_1) | instid1(SALU_CYCLE_1)
	s_or_b32 exec_lo, exec_lo, s22
	s_sub_i32 s0, s9, s21
	s_cmp_lt_i32 s0, 1
	s_cbranch_scc1 .LBB250_46
; %bb.29:
	v_mov_b32_e32 v14, 0
	v_mov_b32_e32 v15, 0
	v_cmp_gt_i32_e32 vcc_lo, s9, v55
	v_or_b32_e32 v20, 1, v55
	s_delay_alu instid0(VALU_DEP_4) | instskip(NEXT) | instid1(VALU_DEP_4)
	v_mov_b32_e32 v12, v14
	v_dual_mov_b32 v10, v14 :: v_dual_mov_b32 v11, v15
	v_dual_mov_b32 v17, v15 :: v_dual_mov_b32 v16, v14
	v_mov_b32_e32 v13, v15
	s_and_saveexec_b32 s1, vcc_lo
	s_cbranch_execz .LBB250_37
; %bb.30:
	s_waitcnt lgkmcnt(0)
	v_mul_lo_u32 v10, v55, s10
	v_mov_b32_e32 v12, 0
	v_mov_b32_e32 v13, 0
	s_mov_b32 s2, exec_lo
	s_delay_alu instid0(VALU_DEP_1) | instskip(NEXT) | instid1(VALU_DEP_4)
	v_dual_mov_b32 v17, v13 :: v_dual_mov_b32 v16, v12
	v_ashrrev_i32_e32 v11, 31, v10
	v_dual_mov_b32 v15, v13 :: v_dual_mov_b32 v14, v12
	s_delay_alu instid0(VALU_DEP_2) | instskip(NEXT) | instid1(VALU_DEP_1)
	v_lshlrev_b64 v[10:11], 3, v[10:11]
	v_add_co_u32 v10, s0, s16, v10
	s_delay_alu instid0(VALU_DEP_1)
	v_add_co_ci_u32_e64 v11, s0, s17, v11, s0
	flat_load_b64 v[10:11], v[10:11]
	v_cmpx_gt_i32_e64 s9, v20
	s_cbranch_execz .LBB250_36
; %bb.31:
	v_mul_lo_u32 v12, v20, s10
	v_mov_b32_e32 v16, 0
	v_mov_b32_e32 v17, 0
	v_or_b32_e32 v18, 2, v55
	s_delay_alu instid0(VALU_DEP_3) | instskip(SKIP_1) | instid1(VALU_DEP_3)
	v_mov_b32_e32 v14, v16
	s_mov_b32 s3, exec_lo
	v_mov_b32_e32 v15, v17
	v_ashrrev_i32_e32 v13, 31, v12
	s_delay_alu instid0(VALU_DEP_1) | instskip(NEXT) | instid1(VALU_DEP_1)
	v_lshlrev_b64 v[12:13], 3, v[12:13]
	v_add_co_u32 v12, s0, s16, v12
	s_delay_alu instid0(VALU_DEP_1)
	v_add_co_ci_u32_e64 v13, s0, s17, v13, s0
	flat_load_b64 v[12:13], v[12:13]
	v_cmpx_gt_i32_e64 s9, v18
	s_cbranch_execz .LBB250_35
; %bb.32:
	v_mul_lo_u32 v14, v18, s10
	v_or_b32_e32 v18, 3, v55
	s_mov_b32 s21, exec_lo
	s_delay_alu instid0(VALU_DEP_2) | instskip(NEXT) | instid1(VALU_DEP_1)
	v_ashrrev_i32_e32 v15, 31, v14
	v_lshlrev_b64 v[14:15], 3, v[14:15]
	s_delay_alu instid0(VALU_DEP_1) | instskip(NEXT) | instid1(VALU_DEP_1)
	v_add_co_u32 v14, s0, s16, v14
	v_add_co_ci_u32_e64 v15, s0, s17, v15, s0
	flat_load_b64 v[16:17], v[14:15]
	v_mov_b32_e32 v14, 0
	v_mov_b32_e32 v15, 0
	v_cmpx_gt_i32_e64 s9, v18
	s_cbranch_execz .LBB250_34
; %bb.33:
	v_mul_lo_u32 v14, v18, s10
	s_delay_alu instid0(VALU_DEP_1) | instskip(NEXT) | instid1(VALU_DEP_1)
	v_ashrrev_i32_e32 v15, 31, v14
	v_lshlrev_b64 v[14:15], 3, v[14:15]
	s_delay_alu instid0(VALU_DEP_1) | instskip(NEXT) | instid1(VALU_DEP_1)
	v_add_co_u32 v14, s0, s16, v14
	v_add_co_ci_u32_e64 v15, s0, s17, v15, s0
	flat_load_b64 v[14:15], v[14:15]
.LBB250_34:
	s_or_b32 exec_lo, exec_lo, s21
.LBB250_35:
	s_delay_alu instid0(SALU_CYCLE_1)
	s_or_b32 exec_lo, exec_lo, s3
.LBB250_36:
	s_delay_alu instid0(SALU_CYCLE_1)
	s_or_b32 exec_lo, exec_lo, s2
.LBB250_37:
	s_delay_alu instid0(SALU_CYCLE_1) | instskip(NEXT) | instid1(SALU_CYCLE_1)
	s_or_b32 exec_lo, exec_lo, s1
	s_mov_b32 s1, exec_lo
	v_cmpx_gt_i32_e64 s8, v54
	s_cbranch_execz .LBB250_45
; %bb.38:
	s_waitcnt lgkmcnt(0)
	v_mul_lo_u32 v18, v55, s20
	v_mul_lo_u32 v21, v20, s20
	v_or_b32_e32 v22, 2, v55
	s_mov_b32 s0, exec_lo
	s_delay_alu instid0(VALU_DEP_1) | instskip(NEXT) | instid1(VALU_DEP_4)
	v_mul_lo_u32 v23, v22, s20
	v_cndmask_b32_e32 v18, 0, v18, vcc_lo
	s_delay_alu instid0(VALU_DEP_1) | instskip(NEXT) | instid1(VALU_DEP_1)
	v_add_nc_u32_e32 v18, v18, v54
	v_ashrrev_i32_e32 v19, 31, v18
	s_delay_alu instid0(VALU_DEP_1) | instskip(NEXT) | instid1(VALU_DEP_1)
	v_lshlrev_b64 v[18:19], 3, v[18:19]
	v_add_co_u32 v18, vcc_lo, s12, v18
	s_delay_alu instid0(VALU_DEP_2) | instskip(SKIP_3) | instid1(VALU_DEP_1)
	v_add_co_ci_u32_e32 v19, vcc_lo, s13, v19, vcc_lo
	v_cmp_gt_i32_e32 vcc_lo, s9, v20
	flat_load_b64 v[28:29], v[18:19]
	v_cndmask_b32_e32 v20, 0, v21, vcc_lo
	v_add_nc_u32_e32 v20, v20, v54
	s_delay_alu instid0(VALU_DEP_1) | instskip(NEXT) | instid1(VALU_DEP_1)
	v_ashrrev_i32_e32 v21, 31, v20
	v_lshlrev_b64 v[20:21], 3, v[20:21]
	s_delay_alu instid0(VALU_DEP_1) | instskip(NEXT) | instid1(VALU_DEP_2)
	v_add_co_u32 v20, vcc_lo, s12, v20
	v_add_co_ci_u32_e32 v21, vcc_lo, s13, v21, vcc_lo
	v_cmp_gt_i32_e32 vcc_lo, s9, v22
	flat_load_b64 v[30:31], v[20:21]
	v_cndmask_b32_e32 v22, 0, v23, vcc_lo
	s_delay_alu instid0(VALU_DEP_1) | instskip(NEXT) | instid1(VALU_DEP_1)
	v_add_nc_u32_e32 v22, v22, v54
	v_ashrrev_i32_e32 v23, 31, v22
	s_delay_alu instid0(VALU_DEP_1) | instskip(NEXT) | instid1(VALU_DEP_1)
	v_lshlrev_b64 v[22:23], 3, v[22:23]
	v_add_co_u32 v24, vcc_lo, s12, v22
	s_delay_alu instid0(VALU_DEP_2) | instskip(SKIP_4) | instid1(VALU_DEP_2)
	v_add_co_ci_u32_e32 v25, vcc_lo, s13, v23, vcc_lo
	v_or_b32_e32 v22, 3, v55
	flat_load_b64 v[32:33], v[24:25]
	v_mul_lo_u32 v23, v22, s20
	v_cmp_gt_i32_e32 vcc_lo, s9, v22
	v_cndmask_b32_e32 v22, 0, v23, vcc_lo
	s_delay_alu instid0(VALU_DEP_1) | instskip(NEXT) | instid1(VALU_DEP_1)
	v_add_nc_u32_e32 v22, v22, v54
	v_ashrrev_i32_e32 v23, 31, v22
	s_delay_alu instid0(VALU_DEP_1) | instskip(NEXT) | instid1(VALU_DEP_1)
	v_lshlrev_b64 v[22:23], 3, v[22:23]
	v_add_co_u32 v26, vcc_lo, s12, v22
	s_delay_alu instid0(VALU_DEP_2)
	v_add_co_ci_u32_e32 v27, vcc_lo, s13, v23, vcc_lo
	flat_load_b64 v[22:23], v[26:27]
	s_waitcnt vmcnt(3) lgkmcnt(3)
	v_fma_f64 v[8:9], v[10:11], v[28:29], v[8:9]
	v_add_nc_u32_e32 v28, 32, v54
	s_waitcnt vmcnt(2) lgkmcnt(2)
	s_delay_alu instid0(VALU_DEP_2) | instskip(SKIP_1) | instid1(VALU_DEP_1)
	v_fma_f64 v[8:9], v[12:13], v[30:31], v[8:9]
	s_waitcnt vmcnt(1) lgkmcnt(1)
	v_fma_f64 v[8:9], v[16:17], v[32:33], v[8:9]
	v_cmpx_gt_i32_e64 s8, v28
	s_cbranch_execz .LBB250_44
; %bb.39:
	s_clause 0x3
	flat_load_b64 v[30:31], v[18:19] offset:256
	flat_load_b64 v[32:33], v[20:21] offset:256
	;; [unrolled: 1-line block ×4, first 2 shown]
	s_mov_b32 s2, exec_lo
	s_waitcnt vmcnt(3) lgkmcnt(3)
	v_fma_f64 v[6:7], v[10:11], v[30:31], v[6:7]
	v_add_nc_u32_e32 v30, 64, v54
	s_waitcnt vmcnt(2) lgkmcnt(2)
	s_delay_alu instid0(VALU_DEP_2) | instskip(SKIP_1) | instid1(VALU_DEP_1)
	v_fma_f64 v[6:7], v[12:13], v[32:33], v[6:7]
	s_waitcnt vmcnt(1) lgkmcnt(1)
	v_fma_f64 v[6:7], v[16:17], v[34:35], v[6:7]
	v_cmpx_gt_i32_e64 s8, v30
	s_cbranch_execz .LBB250_43
; %bb.40:
	s_clause 0x3
	flat_load_b64 v[32:33], v[18:19] offset:512
	flat_load_b64 v[34:35], v[20:21] offset:512
	;; [unrolled: 1-line block ×4, first 2 shown]
	s_mov_b32 s3, exec_lo
	s_waitcnt vmcnt(3) lgkmcnt(3)
	v_fma_f64 v[4:5], v[10:11], v[32:33], v[4:5]
	v_add_nc_u32_e32 v32, 0x60, v54
	s_waitcnt vmcnt(2) lgkmcnt(2)
	s_delay_alu instid0(VALU_DEP_2) | instskip(SKIP_1) | instid1(VALU_DEP_1)
	v_fma_f64 v[4:5], v[12:13], v[34:35], v[4:5]
	s_waitcnt vmcnt(1) lgkmcnt(1)
	v_fma_f64 v[4:5], v[16:17], v[36:37], v[4:5]
	v_cmpx_gt_i32_e64 s8, v32
	s_cbranch_execz .LBB250_42
; %bb.41:
	s_clause 0x3
	flat_load_b64 v[18:19], v[18:19] offset:768
	flat_load_b64 v[20:21], v[20:21] offset:768
	;; [unrolled: 1-line block ×4, first 2 shown]
	s_waitcnt vmcnt(3) lgkmcnt(3)
	v_fma_f64 v[2:3], v[10:11], v[18:19], v[2:3]
	s_waitcnt vmcnt(2) lgkmcnt(2)
	s_delay_alu instid0(VALU_DEP_1) | instskip(SKIP_1) | instid1(VALU_DEP_1)
	v_fma_f64 v[2:3], v[12:13], v[20:21], v[2:3]
	s_waitcnt vmcnt(1) lgkmcnt(1)
	v_fma_f64 v[2:3], v[16:17], v[24:25], v[2:3]
	s_waitcnt vmcnt(0) lgkmcnt(0)
	s_delay_alu instid0(VALU_DEP_1)
	v_fma_f64 v[2:3], v[14:15], v[26:27], v[2:3]
.LBB250_42:
	s_or_b32 exec_lo, exec_lo, s3
	s_waitcnt vmcnt(0) lgkmcnt(0)
	s_delay_alu instid0(VALU_DEP_2)
	v_fma_f64 v[4:5], v[14:15], v[30:31], v[4:5]
.LBB250_43:
	s_or_b32 exec_lo, exec_lo, s2
	s_waitcnt vmcnt(0) lgkmcnt(0)
	s_delay_alu instid0(VALU_DEP_2)
	v_fma_f64 v[6:7], v[14:15], v[28:29], v[6:7]
.LBB250_44:
	s_or_b32 exec_lo, exec_lo, s0
	s_waitcnt vmcnt(0) lgkmcnt(0)
	s_delay_alu instid0(VALU_DEP_2)
	v_fma_f64 v[8:9], v[14:15], v[22:23], v[8:9]
.LBB250_45:
	s_or_b32 exec_lo, exec_lo, s1
.LBB250_46:
	v_lshlrev_b32_e32 v0, 7, v0
	s_mov_b32 s0, exec_lo
	s_delay_alu instid0(VALU_DEP_1)
	v_add_lshl_u32 v0, v0, v1, 3
	ds_store_2addr_b64 v0, v[8:9], v[6:7] offset1:32
	ds_store_2addr_b64 v0, v[4:5], v[2:3] offset0:64 offset1:96
	s_waitcnt vmcnt(0) lgkmcnt(0)
	s_barrier
	buffer_gl0_inv
                                        ; implicit-def: $vgpr4_vgpr5
                                        ; implicit-def: $vgpr2_vgpr3
	v_cmpx_gt_u32_e32 0x80, v53
	s_cbranch_execz .LBB250_52
; %bb.47:
	v_lshlrev_b32_e32 v7, 3, v53
	v_or_b32_e32 v6, s14, v53
	s_mov_b32 s2, s19
	s_mov_b32 s1, exec_lo
	ds_load_2addr_stride64_b64 v[0:3], v7 offset1:2
	s_waitcnt lgkmcnt(0)
	v_add_f64 v[4:5], v[0:1], v[2:3]
	ds_load_2addr_stride64_b64 v[0:3], v7 offset0:4 offset1:6
	s_waitcnt lgkmcnt(0)
	v_add_f64 v[0:1], v[0:1], v[4:5]
	s_delay_alu instid0(VALU_DEP_1) | instskip(SKIP_3) | instid1(VALU_DEP_1)
	v_add_f64 v[4:5], v[2:3], v[0:1]
	ds_load_2addr_stride64_b64 v[0:3], v7 offset0:8 offset1:10
	s_waitcnt lgkmcnt(0)
	v_add_f64 v[0:1], v[0:1], v[4:5]
	v_add_f64 v[4:5], v[2:3], v[0:1]
	ds_load_2addr_stride64_b64 v[0:3], v7 offset0:12 offset1:14
	s_waitcnt lgkmcnt(0)
	v_add_f64 v[0:1], v[0:1], v[4:5]
	s_delay_alu instid0(VALU_DEP_1) | instskip(SKIP_3) | instid1(VALU_DEP_1)
	v_add_f64 v[4:5], v[2:3], v[0:1]
	ds_load_2addr_stride64_b64 v[0:3], v7 offset0:16 offset1:18
	s_waitcnt lgkmcnt(0)
	v_add_f64 v[0:1], v[0:1], v[4:5]
	;; [unrolled: 9-line block ×3, first 2 shown]
	v_add_f64 v[4:5], v[2:3], v[0:1]
	ds_load_2addr_stride64_b64 v[0:3], v7 offset0:28 offset1:30
	s_waitcnt lgkmcnt(0)
	v_add_f64 v[0:1], v[0:1], v[4:5]
                                        ; implicit-def: $vgpr4_vgpr5
	s_delay_alu instid0(VALU_DEP_1)
	v_add_f64 v[0:1], v[2:3], v[0:1]
                                        ; implicit-def: $vgpr2_vgpr3
	ds_store_b64 v7, v[0:1]
	v_cmpx_gt_i32_e64 s8, v6
	s_cbranch_execz .LBB250_51
; %bb.48:
	v_cmp_eq_f64_e64 s2, s[4:5], 0
	v_mul_f64 v[4:5], s[6:7], v[0:1]
	v_mul_lo_u32 v2, v6, s18
	s_delay_alu instid0(VALU_DEP_1) | instskip(NEXT) | instid1(VALU_DEP_4)
	v_ashrrev_i32_e32 v3, 31, v2
	s_and_b32 vcc_lo, exec_lo, s2
	s_cbranch_vccnz .LBB250_50
; %bb.49:
	s_delay_alu instid0(VALU_DEP_1) | instskip(NEXT) | instid1(VALU_DEP_1)
	v_lshlrev_b64 v[0:1], 3, v[2:3]
	v_add_co_u32 v0, vcc_lo, s11, v0
	s_delay_alu instid0(VALU_DEP_2)
	v_add_co_ci_u32_e32 v1, vcc_lo, s15, v1, vcc_lo
	global_load_b64 v[0:1], v[0:1], off
	s_waitcnt vmcnt(0)
	v_fma_f64 v[4:5], s[4:5], v[0:1], v[4:5]
.LBB250_50:
	s_or_b32 s2, s19, exec_lo
.LBB250_51:
	s_or_b32 exec_lo, exec_lo, s1
	s_delay_alu instid0(SALU_CYCLE_1) | instskip(SKIP_1) | instid1(SALU_CYCLE_1)
	s_and_not1_b32 s1, s19, exec_lo
	s_and_b32 s2, s2, exec_lo
	s_or_b32 s19, s1, s2
.LBB250_52:
	s_or_b32 exec_lo, exec_lo, s0
.LBB250_53:
	s_and_saveexec_b32 s0, s19
	s_cbranch_execz .LBB250_55
; %bb.54:
	v_lshlrev_b64 v[0:1], 3, v[2:3]
	s_delay_alu instid0(VALU_DEP_1) | instskip(NEXT) | instid1(VALU_DEP_2)
	v_add_co_u32 v0, vcc_lo, s11, v0
	v_add_co_ci_u32_e32 v1, vcc_lo, s15, v1, vcc_lo
	global_store_b64 v[0:1], v[4:5], off
.LBB250_55:
	s_nop 0
	s_sendmsg sendmsg(MSG_DEALLOC_VGPRS)
	s_endpgm
	.section	.rodata,"a",@progbits
	.p2align	6, 0x0
	.amdhsa_kernel _ZL20rocblas_gemvn_kernelILi32ELi16EiPKdS1_KPdEviiT3_lPKT2_lT1_lS7_lS8_lS4_lPT4_lS8_li
		.amdhsa_group_segment_fixed_size 16384
		.amdhsa_private_segment_fixed_size 0
		.amdhsa_kernarg_size 400
		.amdhsa_user_sgpr_count 14
		.amdhsa_user_sgpr_dispatch_ptr 0
		.amdhsa_user_sgpr_queue_ptr 0
		.amdhsa_user_sgpr_kernarg_segment_ptr 1
		.amdhsa_user_sgpr_dispatch_id 0
		.amdhsa_user_sgpr_private_segment_size 0
		.amdhsa_wavefront_size32 1
		.amdhsa_uses_dynamic_stack 0
		.amdhsa_enable_private_segment 0
		.amdhsa_system_sgpr_workgroup_id_x 1
		.amdhsa_system_sgpr_workgroup_id_y 0
		.amdhsa_system_sgpr_workgroup_id_z 1
		.amdhsa_system_sgpr_workgroup_info 0
		.amdhsa_system_vgpr_workitem_id 1
		.amdhsa_next_free_vgpr 61
		.amdhsa_next_free_sgpr 30
		.amdhsa_reserve_vcc 1
		.amdhsa_float_round_mode_32 0
		.amdhsa_float_round_mode_16_64 0
		.amdhsa_float_denorm_mode_32 3
		.amdhsa_float_denorm_mode_16_64 3
		.amdhsa_dx10_clamp 1
		.amdhsa_ieee_mode 1
		.amdhsa_fp16_overflow 0
		.amdhsa_workgroup_processor_mode 1
		.amdhsa_memory_ordered 1
		.amdhsa_forward_progress 0
		.amdhsa_shared_vgpr_count 0
		.amdhsa_exception_fp_ieee_invalid_op 0
		.amdhsa_exception_fp_denorm_src 0
		.amdhsa_exception_fp_ieee_div_zero 0
		.amdhsa_exception_fp_ieee_overflow 0
		.amdhsa_exception_fp_ieee_underflow 0
		.amdhsa_exception_fp_ieee_inexact 0
		.amdhsa_exception_int_div_zero 0
	.end_amdhsa_kernel
	.section	.text._ZL20rocblas_gemvn_kernelILi32ELi16EiPKdS1_KPdEviiT3_lPKT2_lT1_lS7_lS8_lS4_lPT4_lS8_li,"axG",@progbits,_ZL20rocblas_gemvn_kernelILi32ELi16EiPKdS1_KPdEviiT3_lPKT2_lT1_lS7_lS8_lS4_lPT4_lS8_li,comdat
.Lfunc_end250:
	.size	_ZL20rocblas_gemvn_kernelILi32ELi16EiPKdS1_KPdEviiT3_lPKT2_lT1_lS7_lS8_lS4_lPT4_lS8_li, .Lfunc_end250-_ZL20rocblas_gemvn_kernelILi32ELi16EiPKdS1_KPdEviiT3_lPKT2_lT1_lS7_lS8_lS4_lPT4_lS8_li
                                        ; -- End function
	.section	.AMDGPU.csdata,"",@progbits
; Kernel info:
; codeLenInByte = 3352
; NumSgprs: 32
; NumVgprs: 61
; ScratchSize: 0
; MemoryBound: 0
; FloatMode: 240
; IeeeMode: 1
; LDSByteSize: 16384 bytes/workgroup (compile time only)
; SGPRBlocks: 3
; VGPRBlocks: 7
; NumSGPRsForWavesPerEU: 32
; NumVGPRsForWavesPerEU: 61
; Occupancy: 16
; WaveLimiterHint : 1
; COMPUTE_PGM_RSRC2:SCRATCH_EN: 0
; COMPUTE_PGM_RSRC2:USER_SGPR: 14
; COMPUTE_PGM_RSRC2:TRAP_HANDLER: 0
; COMPUTE_PGM_RSRC2:TGID_X_EN: 1
; COMPUTE_PGM_RSRC2:TGID_Y_EN: 0
; COMPUTE_PGM_RSRC2:TGID_Z_EN: 1
; COMPUTE_PGM_RSRC2:TIDIG_COMP_CNT: 1
	.section	.text._ZL20rocblas_gemvn_kernelILi32ELi16ElPKdS1_KPdEviiT3_lPKT2_lT1_lS7_lS8_lS4_lPT4_lS8_li,"axG",@progbits,_ZL20rocblas_gemvn_kernelILi32ELi16ElPKdS1_KPdEviiT3_lPKT2_lT1_lS7_lS8_lS4_lPT4_lS8_li,comdat
	.globl	_ZL20rocblas_gemvn_kernelILi32ELi16ElPKdS1_KPdEviiT3_lPKT2_lT1_lS7_lS8_lS4_lPT4_lS8_li ; -- Begin function _ZL20rocblas_gemvn_kernelILi32ELi16ElPKdS1_KPdEviiT3_lPKT2_lT1_lS7_lS8_lS4_lPT4_lS8_li
	.p2align	8
	.type	_ZL20rocblas_gemvn_kernelILi32ELi16ElPKdS1_KPdEviiT3_lPKT2_lT1_lS7_lS8_lS4_lPT4_lS8_li,@function
_ZL20rocblas_gemvn_kernelILi32ELi16ElPKdS1_KPdEviiT3_lPKT2_lT1_lS7_lS8_lS4_lPT4_lS8_li: ; @_ZL20rocblas_gemvn_kernelILi32ELi16ElPKdS1_KPdEviiT3_lPKT2_lT1_lS7_lS8_lS4_lPT4_lS8_li
; %bb.0:
	s_load_b64 s[4:5], s[0:1], 0x9c
	s_waitcnt lgkmcnt(0)
	s_lshr_b32 s3, s4, 16
	s_and_b32 s4, s4, 0xffff
	s_and_b32 s5, s5, 0xffff
	s_mul_i32 s3, s3, s4
	s_delay_alu instid0(SALU_CYCLE_1) | instskip(NEXT) | instid1(SALU_CYCLE_1)
	s_mul_i32 s3, s3, s5
	s_cmpk_lg_i32 s3, 0x200
	s_cbranch_scc1 .LBB251_55
; %bb.1:
	s_clause 0x1
	s_load_b256 s[16:23], s[0:1], 0x8
	s_load_b256 s[4:11], s[0:1], 0x58
	s_mov_b32 s2, s15
	s_mov_b64 s[24:25], 0
	s_waitcnt lgkmcnt(0)
	s_mul_i32 s3, s15, s19
	s_mul_hi_u32 s13, s15, s18
	s_mul_i32 s12, s15, s18
	s_add_i32 s13, s13, s3
	s_mul_i32 s3, s15, s7
	s_lshl_b64 s[12:13], s[12:13], 3
	s_mul_hi_u32 s7, s15, s6
	s_add_u32 s12, s16, s12
	s_addc_u32 s13, s17, s13
	s_add_i32 s7, s7, s3
	s_mul_i32 s6, s15, s6
	s_delay_alu instid0(SALU_CYCLE_1) | instskip(NEXT) | instid1(SALU_CYCLE_1)
	s_lshl_b64 s[6:7], s[6:7], 3
	s_add_u32 s4, s4, s6
	s_addc_u32 s5, s5, s7
	s_load_b64 s[16:17], s[12:13], 0x0
	s_load_b64 s[12:13], s[4:5], 0x0
	s_waitcnt lgkmcnt(0)
	v_cmp_eq_f64_e64 s15, s[16:17], 0
	v_cmp_eq_f64_e64 s3, s[12:13], 1.0
	s_delay_alu instid0(VALU_DEP_1) | instskip(NEXT) | instid1(SALU_CYCLE_1)
	s_and_b32 s3, s15, s3
	s_and_b32 vcc_lo, exec_lo, s3
	s_cbranch_vccnz .LBB251_55
; %bb.2:
	v_cmp_neq_f64_e64 s28, s[16:17], 0
	s_clause 0x1
	s_load_b64 s[26:27], s[0:1], 0x28
	s_load_b64 s[18:19], s[0:1], 0x78
	s_and_b32 vcc_lo, exec_lo, s15
	s_mov_b32 s3, 0
	s_cbranch_vccnz .LBB251_4
; %bb.3:
	s_lshl_b64 s[4:5], s[2:3], 3
	s_delay_alu instid0(SALU_CYCLE_1)
	s_add_u32 s4, s20, s4
	s_addc_u32 s5, s21, s5
	s_lshl_b64 s[6:7], s[22:23], 3
	s_load_b64 s[4:5], s[4:5], 0x0
	s_waitcnt lgkmcnt(0)
	s_add_u32 s24, s4, s6
	s_addc_u32 s25, s5, s7
.LBB251_4:
	s_clause 0x1
	s_load_b128 s[4:7], s[0:1], 0x38
	s_load_b64 s[20:21], s[0:1], 0x48
	s_delay_alu instid0(VALU_DEP_1)
	s_and_not1_b32 vcc_lo, exec_lo, s28
	s_cbranch_vccnz .LBB251_6
; %bb.5:
	s_lshl_b64 s[22:23], s[2:3], 3
	s_waitcnt lgkmcnt(0)
	s_add_u32 s4, s4, s22
	s_addc_u32 s5, s5, s23
	s_lshl_b64 s[6:7], s[6:7], 3
	s_load_b64 s[4:5], s[4:5], 0x0
	s_waitcnt lgkmcnt(0)
	s_add_u32 s22, s4, s6
	s_addc_u32 s23, s5, s7
	s_branch .LBB251_7
.LBB251_6:
	s_mov_b64 s[22:23], 0
.LBB251_7:
	s_lshl_b64 s[2:3], s[2:3], 3
	v_and_b32_e32 v61, 0x3ff, v0
	s_add_u32 s2, s8, s2
	s_addc_u32 s3, s9, s3
	v_bfe_u32 v62, v0, 10, 10
	s_load_b64 s[2:3], s[2:3], 0x0
	s_waitcnt lgkmcnt(0)
	s_load_b64 s[6:7], s[0:1], 0x0
	s_lshl_b64 s[8:9], s[10:11], 3
	v_lshl_add_u32 v60, v62, 5, v61
	s_delay_alu instid0(VALU_DEP_1)
	v_cmp_gt_u32_e64 s0, 0x80, v60
	s_add_u32 s5, s2, s8
	s_addc_u32 s28, s3, s9
	s_and_not1_b32 vcc_lo, exec_lo, s15
	s_cbranch_vccnz .LBB251_14
; %bb.8:
	s_mov_b32 s1, 0
	s_mov_b32 s29, 0
                                        ; implicit-def: $vgpr2_vgpr3
                                        ; implicit-def: $vgpr0_vgpr1
	s_and_saveexec_b32 s2, s0
	s_cbranch_execz .LBB251_15
; %bb.9:
	v_lshl_or_b32 v4, s14, 7, v60
	v_mov_b32_e32 v5, 0
	s_waitcnt lgkmcnt(0)
	s_ashr_i32 s9, s6, 31
	s_mov_b32 s8, s6
	s_mov_b32 s3, 0
	s_mov_b32 s0, exec_lo
                                        ; implicit-def: $vgpr2_vgpr3
                                        ; implicit-def: $vgpr0_vgpr1
	v_cmpx_gt_i64_e64 s[8:9], v[4:5]
	s_cbranch_execz .LBB251_13
; %bb.10:
	v_cmp_eq_f64_e64 s3, s[12:13], 0
	v_mad_u64_u32 v[0:1], null, v4, s18, 0
	s_delay_alu instid0(VALU_DEP_1) | instskip(NEXT) | instid1(VALU_DEP_1)
	v_mad_u64_u32 v[2:3], null, v4, s19, v[1:2]
	v_dual_mov_b32 v1, v2 :: v_dual_mov_b32 v2, 0
	v_mov_b32_e32 v3, 0
	s_and_b32 vcc_lo, exec_lo, s3
	s_cbranch_vccnz .LBB251_12
; %bb.11:
	s_delay_alu instid0(VALU_DEP_2) | instskip(NEXT) | instid1(VALU_DEP_1)
	v_lshlrev_b64 v[2:3], 3, v[0:1]
	v_add_co_u32 v2, vcc_lo, s5, v2
	s_delay_alu instid0(VALU_DEP_2)
	v_add_co_ci_u32_e32 v3, vcc_lo, s28, v3, vcc_lo
	global_load_b64 v[2:3], v[2:3], off
	s_waitcnt vmcnt(0)
	v_mul_f64 v[2:3], s[12:13], v[2:3]
.LBB251_12:
	s_mov_b32 s3, exec_lo
.LBB251_13:
	s_or_b32 exec_lo, exec_lo, s0
	s_delay_alu instid0(SALU_CYCLE_1) | instskip(SKIP_1) | instid1(SALU_CYCLE_1)
	s_and_b32 s29, s3, exec_lo
	s_or_b32 exec_lo, exec_lo, s2
	s_and_b32 vcc_lo, exec_lo, s1
	s_cbranch_vccnz .LBB251_16
	s_branch .LBB251_53
.LBB251_14:
	s_mov_b32 s29, 0
                                        ; implicit-def: $vgpr2_vgpr3
                                        ; implicit-def: $vgpr0_vgpr1
	s_cbranch_execnz .LBB251_16
	s_branch .LBB251_53
.LBB251_15:
	s_or_b32 exec_lo, exec_lo, s2
	s_delay_alu instid0(SALU_CYCLE_1)
	s_and_b32 vcc_lo, exec_lo, s1
	s_cbranch_vccz .LBB251_53
.LBB251_16:
	v_dual_mov_b32 v8, 0 :: v_dual_lshlrev_b32 v63, 2, v62
	s_lshl_b32 s30, s14, 7
	s_delay_alu instid0(SALU_CYCLE_1)
	v_dual_mov_b32 v9, 0 :: v_dual_add_nc_u32 v0, s30, v61
	s_waitcnt lgkmcnt(0)
	s_ashr_i32 s0, s7, 31
	v_mov_b32_e32 v6, v8
	s_lshr_b32 s0, s0, 26
	v_dual_mov_b32 v7, v9 :: v_dual_mov_b32 v4, v8
	v_dual_mov_b32 v5, v9 :: v_dual_mov_b32 v2, v8
	v_mov_b32_e32 v3, v9
	s_add_i32 s31, s7, s0
	s_mov_b32 s33, exec_lo
	s_and_not1_b32 s31, s31, 63
	s_delay_alu instid0(SALU_CYCLE_1)
	v_cmpx_gt_i32_e64 s31, v63
	s_cbranch_execz .LBB251_28
; %bb.17:
	v_lshlrev_b32_e32 v25, 2, v62
	v_mad_u64_u32 v[4:5], null, s20, v62, 0
	v_mad_u64_u32 v[6:7], null, s26, v62, 0
	s_delay_alu instid0(VALU_DEP_3)
	v_or_b32_e32 v22, 3, v25
	v_ashrrev_i32_e32 v1, 31, v0
	v_add_nc_u32_e32 v8, 32, v0
	v_add_nc_u32_e32 v10, 0x60, v0
	v_or_b32_e32 v26, 2, v25
	v_mad_u64_u32 v[2:3], null, s26, v22, 0
	v_mad_u64_u32 v[16:17], null, s20, v22, 0
	v_add_nc_u32_e32 v9, 64, v0
	v_cmp_gt_i32_e64 s2, s6, v10
	v_lshlrev_b64 v[10:11], 3, v[0:1]
	v_mov_b32_e32 v1, v7
	v_cmp_gt_i32_e64 s0, s6, v8
	v_cmp_gt_i32_e64 s1, s6, v9
	v_mad_u64_u32 v[8:9], null, s27, v22, v[3:4]
	v_mad_u64_u32 v[12:13], null, s21, v62, v[5:6]
	;; [unrolled: 1-line block ×4, first 2 shown]
	s_delay_alu instid0(VALU_DEP_4)
	v_mov_b32_e32 v3, v8
	v_cmp_gt_i32_e32 vcc_lo, s6, v0
	v_mov_b32_e32 v5, v12
	s_lshl_b64 s[8:9], s[26:27], 9
	v_mov_b32_e32 v7, v13
	v_lshlrev_b64 v[1:2], 3, v[2:3]
	s_lshl_b64 s[10:11], s[20:21], 9
	v_lshlrev_b64 v[12:13], 5, v[4:5]
	s_mov_b32 s34, 0
	s_mov_b64 s[14:15], s[22:23]
	s_delay_alu instid0(VALU_DEP_2) | instskip(NEXT) | instid1(VALU_DEP_1)
	v_add_co_u32 v1, s3, s24, v1
	v_add_co_ci_u32_e64 v64, s3, s25, v2, s3
	v_mov_b32_e32 v2, v15
	v_mad_u64_u32 v[8:9], null, s20, v25, s[20:21]
	v_mad_u64_u32 v[4:5], null, s26, v25, s[26:27]
	s_delay_alu instid0(VALU_DEP_2) | instskip(NEXT) | instid1(VALU_DEP_1)
	v_mov_b32_e32 v3, v9
	v_mad_u64_u32 v[18:19], null, s27, v26, v[2:3]
	v_mov_b32_e32 v2, v17
	s_delay_alu instid0(VALU_DEP_4) | instskip(NEXT) | instid1(VALU_DEP_2)
	v_mad_u64_u32 v[19:20], null, s21, v25, v[3:4]
	v_mad_u64_u32 v[20:21], null, s21, v22, v[2:3]
	;; [unrolled: 1-line block ×3, first 2 shown]
	v_dual_mov_b32 v2, v5 :: v_dual_mov_b32 v15, v18
	s_delay_alu instid0(VALU_DEP_4) | instskip(NEXT) | instid1(VALU_DEP_4)
	v_mov_b32_e32 v9, v19
	v_mov_b32_e32 v17, v20
	s_delay_alu instid0(VALU_DEP_3) | instskip(SKIP_1) | instid1(VALU_DEP_3)
	v_mad_u64_u32 v[23:24], null, s27, v25, v[2:3]
	v_mov_b32_e32 v2, v22
	v_lshlrev_b64 v[16:17], 3, v[16:17]
	s_delay_alu instid0(VALU_DEP_2) | instskip(NEXT) | instid1(VALU_DEP_1)
	v_mad_u64_u32 v[18:19], null, s21, v26, v[2:3]
	v_mov_b32_e32 v22, v18
	v_lshlrev_b64 v[6:7], 5, v[6:7]
	s_delay_alu instid0(VALU_DEP_2) | instskip(NEXT) | instid1(VALU_DEP_2)
	v_lshlrev_b64 v[18:19], 3, v[21:22]
	v_add_co_u32 v65, s3, s24, v6
	s_delay_alu instid0(VALU_DEP_1)
	v_add_co_ci_u32_e64 v66, s3, s25, v7, s3
	v_lshlrev_b64 v[6:7], 3, v[14:15]
	v_lshlrev_b64 v[14:15], 3, v[8:9]
	v_mov_b32_e32 v8, 0
	v_mov_b32_e32 v9, 0
	;; [unrolled: 1-line block ×3, first 2 shown]
	v_add_co_u32 v67, s3, s24, v6
	s_delay_alu instid0(VALU_DEP_1) | instskip(SKIP_1) | instid1(VALU_DEP_4)
	v_add_co_ci_u32_e64 v68, s3, s25, v7, s3
	v_mov_b32_e32 v6, v8
	v_lshlrev_b64 v[2:3], 3, v[4:5]
	v_dual_mov_b32 v7, v9 :: v_dual_mov_b32 v4, v8
	v_mov_b32_e32 v5, v9
	s_delay_alu instid0(VALU_DEP_3) | instskip(NEXT) | instid1(VALU_DEP_1)
	v_add_co_u32 v69, s3, s24, v2
	v_add_co_ci_u32_e64 v70, s3, s25, v3, s3
	v_dual_mov_b32 v2, v8 :: v_dual_mov_b32 v3, v9
	s_branch .LBB251_22
.LBB251_18:                             ;   in Loop: Header=BB251_22 Depth=1
	s_or_b32 exec_lo, exec_lo, s36
	s_waitcnt vmcnt(3) lgkmcnt(3)
	v_fma_f64 v[4:5], v[20:21], v[52:53], v[4:5]
	s_waitcnt vmcnt(2) lgkmcnt(2)
	s_delay_alu instid0(VALU_DEP_1) | instskip(SKIP_1) | instid1(VALU_DEP_1)
	v_fma_f64 v[4:5], v[22:23], v[54:55], v[4:5]
	s_waitcnt vmcnt(1) lgkmcnt(1)
	v_fma_f64 v[4:5], v[24:25], v[56:57], v[4:5]
	s_waitcnt vmcnt(0) lgkmcnt(0)
	s_delay_alu instid0(VALU_DEP_1)
	v_fma_f64 v[4:5], v[26:27], v[58:59], v[4:5]
.LBB251_19:                             ;   in Loop: Header=BB251_22 Depth=1
	s_or_b32 exec_lo, exec_lo, s35
	s_waitcnt vmcnt(3) lgkmcnt(3)
	v_fma_f64 v[6:7], v[20:21], v[44:45], v[6:7]
	s_waitcnt vmcnt(2) lgkmcnt(2)
	s_delay_alu instid0(VALU_DEP_1) | instskip(SKIP_1) | instid1(VALU_DEP_1)
	v_fma_f64 v[6:7], v[22:23], v[46:47], v[6:7]
	s_waitcnt vmcnt(1) lgkmcnt(1)
	v_fma_f64 v[6:7], v[24:25], v[48:49], v[6:7]
	s_waitcnt vmcnt(0) lgkmcnt(0)
	s_delay_alu instid0(VALU_DEP_1)
	v_fma_f64 v[6:7], v[26:27], v[50:51], v[6:7]
.LBB251_20:                             ;   in Loop: Header=BB251_22 Depth=1
	s_or_b32 exec_lo, exec_lo, s3
	s_waitcnt vmcnt(3) lgkmcnt(3)
	v_fma_f64 v[8:9], v[20:21], v[28:29], v[8:9]
	s_waitcnt vmcnt(2) lgkmcnt(2)
	s_delay_alu instid0(VALU_DEP_1) | instskip(SKIP_1) | instid1(VALU_DEP_1)
	v_fma_f64 v[8:9], v[22:23], v[30:31], v[8:9]
	s_waitcnt vmcnt(1) lgkmcnt(1)
	v_fma_f64 v[8:9], v[24:25], v[32:33], v[8:9]
	s_waitcnt vmcnt(0) lgkmcnt(0)
	s_delay_alu instid0(VALU_DEP_1)
	v_fma_f64 v[8:9], v[26:27], v[34:35], v[8:9]
.LBB251_21:                             ;   in Loop: Header=BB251_22 Depth=1
	s_or_b32 exec_lo, exec_lo, s4
	v_add_co_u32 v1, s3, v1, s8
	s_delay_alu instid0(VALU_DEP_1) | instskip(SKIP_4) | instid1(VALU_DEP_1)
	v_add_co_ci_u32_e64 v64, s3, s9, v64, s3
	v_add_co_u32 v65, s3, v65, s8
	v_add_nc_u32_e32 v63, 64, v63
	v_add_co_ci_u32_e64 v66, s3, s9, v66, s3
	v_add_co_u32 v67, s3, v67, s8
	v_add_co_ci_u32_e64 v68, s3, s9, v68, s3
	s_delay_alu instid0(VALU_DEP_4) | instskip(SKIP_1) | instid1(VALU_DEP_1)
	v_cmp_le_i32_e64 s3, s31, v63
	v_add_co_u32 v69, s4, v69, s8
	v_add_co_ci_u32_e64 v70, s4, s9, v70, s4
	s_add_u32 s14, s14, s10
	s_addc_u32 s15, s15, s11
	s_or_b32 s34, s3, s34
	s_delay_alu instid0(SALU_CYCLE_1)
	s_and_not1_b32 exec_lo, exec_lo, s34
	s_cbranch_execz .LBB251_27
.LBB251_22:                             ; =>This Inner Loop Header: Depth=1
	s_and_saveexec_b32 s4, vcc_lo
	s_cbranch_execz .LBB251_21
; %bb.23:                               ;   in Loop: Header=BB251_22 Depth=1
	v_add_co_u32 v20, s3, s14, v12
	s_delay_alu instid0(VALU_DEP_1) | instskip(SKIP_1) | instid1(VALU_DEP_1)
	v_add_co_ci_u32_e64 v21, s3, s15, v13, s3
	v_add_co_u32 v22, s3, s14, v14
	v_add_co_ci_u32_e64 v23, s3, s15, v15, s3
	v_add_co_u32 v24, s3, s14, v18
	s_delay_alu instid0(VALU_DEP_1) | instskip(SKIP_1) | instid1(VALU_DEP_1)
	v_add_co_ci_u32_e64 v25, s3, s15, v19, s3
	v_add_co_u32 v26, s3, s14, v16
	v_add_co_ci_u32_e64 v27, s3, s15, v17, s3
	;; [unrolled: 5-line block ×4, first 2 shown]
	s_clause 0x3
	flat_load_b64 v[20:21], v[20:21]
	flat_load_b64 v[22:23], v[22:23]
	;; [unrolled: 1-line block ×8, first 2 shown]
	s_and_saveexec_b32 s3, s0
	s_cbranch_execz .LBB251_20
; %bb.24:                               ;   in Loop: Header=BB251_22 Depth=1
	flat_load_b64 v[44:45], v[36:37] offset:256
	flat_load_b64 v[46:47], v[38:39] offset:256
	flat_load_b64 v[48:49], v[40:41] offset:256
	flat_load_b64 v[50:51], v[42:43] offset:256
	s_and_saveexec_b32 s35, s1
	s_cbranch_execz .LBB251_19
; %bb.25:                               ;   in Loop: Header=BB251_22 Depth=1
	flat_load_b64 v[52:53], v[36:37] offset:512
	flat_load_b64 v[54:55], v[38:39] offset:512
	flat_load_b64 v[56:57], v[40:41] offset:512
	flat_load_b64 v[58:59], v[42:43] offset:512
	;; [unrolled: 7-line block ×3, first 2 shown]
	s_waitcnt vmcnt(3) lgkmcnt(3)
	v_fma_f64 v[2:3], v[20:21], v[36:37], v[2:3]
	s_waitcnt vmcnt(2) lgkmcnt(2)
	s_delay_alu instid0(VALU_DEP_1) | instskip(SKIP_1) | instid1(VALU_DEP_1)
	v_fma_f64 v[2:3], v[22:23], v[38:39], v[2:3]
	s_waitcnt vmcnt(1) lgkmcnt(1)
	v_fma_f64 v[2:3], v[24:25], v[40:41], v[2:3]
	s_waitcnt vmcnt(0) lgkmcnt(0)
	s_delay_alu instid0(VALU_DEP_1)
	v_fma_f64 v[2:3], v[26:27], v[42:43], v[2:3]
	s_branch .LBB251_18
.LBB251_27:
	s_or_b32 exec_lo, exec_lo, s34
.LBB251_28:
	s_delay_alu instid0(SALU_CYCLE_1) | instskip(SKIP_1) | instid1(SALU_CYCLE_1)
	s_or_b32 exec_lo, exec_lo, s33
	s_sub_i32 s0, s7, s31
	s_cmp_lt_i32 s0, 1
	s_cbranch_scc1 .LBB251_46
; %bb.29:
	v_mov_b32_e32 v14, 0
	v_mov_b32_e32 v15, 0
	v_cmp_gt_i32_e32 vcc_lo, s7, v63
	v_or_b32_e32 v20, 1, v63
	s_delay_alu instid0(VALU_DEP_4) | instskip(NEXT) | instid1(VALU_DEP_4)
	v_mov_b32_e32 v12, v14
	v_dual_mov_b32 v10, v14 :: v_dual_mov_b32 v11, v15
	v_dual_mov_b32 v17, v15 :: v_dual_mov_b32 v16, v14
	v_mov_b32_e32 v13, v15
	s_and_saveexec_b32 s1, vcc_lo
	s_cbranch_execz .LBB251_37
; %bb.30:
	v_mad_u64_u32 v[10:11], null, v63, s20, 0
	s_mov_b32 s2, exec_lo
	s_delay_alu instid0(VALU_DEP_1) | instskip(NEXT) | instid1(VALU_DEP_1)
	v_mov_b32_e32 v1, v11
	v_mad_u64_u32 v[11:12], null, v63, s21, v[1:2]
	v_mov_b32_e32 v12, 0
	v_mov_b32_e32 v13, 0
	s_delay_alu instid0(VALU_DEP_1) | instskip(NEXT) | instid1(VALU_DEP_4)
	v_dual_mov_b32 v17, v13 :: v_dual_mov_b32 v16, v12
	v_lshlrev_b64 v[10:11], 3, v[10:11]
	v_dual_mov_b32 v15, v13 :: v_dual_mov_b32 v14, v12
	s_delay_alu instid0(VALU_DEP_2) | instskip(NEXT) | instid1(VALU_DEP_1)
	v_add_co_u32 v10, s0, s22, v10
	v_add_co_ci_u32_e64 v11, s0, s23, v11, s0
	flat_load_b64 v[10:11], v[10:11]
	v_cmpx_gt_i32_e64 s7, v20
	s_cbranch_execz .LBB251_36
; %bb.31:
	v_mad_u64_u32 v[12:13], null, v20, s20, 0
	s_mov_b32 s3, exec_lo
	v_mov_b32_e32 v16, 0
	v_mov_b32_e32 v17, 0
	s_delay_alu instid0(VALU_DEP_3) | instskip(NEXT) | instid1(VALU_DEP_1)
	v_mov_b32_e32 v1, v13
	v_mad_u64_u32 v[13:14], null, v20, s21, v[1:2]
	v_or_b32_e32 v1, 2, v63
	s_delay_alu instid0(VALU_DEP_4) | instskip(NEXT) | instid1(VALU_DEP_3)
	v_dual_mov_b32 v14, v16 :: v_dual_mov_b32 v15, v17
	v_lshlrev_b64 v[12:13], 3, v[12:13]
	s_delay_alu instid0(VALU_DEP_1) | instskip(NEXT) | instid1(VALU_DEP_1)
	v_add_co_u32 v12, s0, s22, v12
	v_add_co_ci_u32_e64 v13, s0, s23, v13, s0
	flat_load_b64 v[12:13], v[12:13]
	v_cmpx_gt_i32_e64 s7, v1
	s_cbranch_execz .LBB251_35
; %bb.32:
	v_mad_u64_u32 v[14:15], null, v1, s20, 0
	s_mov_b32 s4, exec_lo
	s_delay_alu instid0(VALU_DEP_1) | instskip(SKIP_1) | instid1(VALU_DEP_2)
	v_mad_u64_u32 v[16:17], null, v1, s21, v[15:16]
	v_or_b32_e32 v1, 3, v63
	v_mov_b32_e32 v15, v16
	s_delay_alu instid0(VALU_DEP_1) | instskip(NEXT) | instid1(VALU_DEP_1)
	v_lshlrev_b64 v[14:15], 3, v[14:15]
	v_add_co_u32 v14, s0, s22, v14
	s_delay_alu instid0(VALU_DEP_1)
	v_add_co_ci_u32_e64 v15, s0, s23, v15, s0
	flat_load_b64 v[16:17], v[14:15]
	v_mov_b32_e32 v14, 0
	v_mov_b32_e32 v15, 0
	v_cmpx_gt_i32_e64 s7, v1
	s_cbranch_execz .LBB251_34
; %bb.33:
	v_mad_u64_u32 v[14:15], null, v1, s20, 0
	s_waitcnt vmcnt(0) lgkmcnt(0)
	s_delay_alu instid0(VALU_DEP_1) | instskip(NEXT) | instid1(VALU_DEP_1)
	v_mad_u64_u32 v[18:19], null, v1, s21, v[15:16]
	v_mov_b32_e32 v15, v18
	s_delay_alu instid0(VALU_DEP_1) | instskip(NEXT) | instid1(VALU_DEP_1)
	v_lshlrev_b64 v[14:15], 3, v[14:15]
	v_add_co_u32 v14, s0, s22, v14
	s_delay_alu instid0(VALU_DEP_1)
	v_add_co_ci_u32_e64 v15, s0, s23, v15, s0
	flat_load_b64 v[14:15], v[14:15]
.LBB251_34:
	s_or_b32 exec_lo, exec_lo, s4
.LBB251_35:
	s_delay_alu instid0(SALU_CYCLE_1)
	s_or_b32 exec_lo, exec_lo, s3
.LBB251_36:
	s_delay_alu instid0(SALU_CYCLE_1)
	s_or_b32 exec_lo, exec_lo, s2
.LBB251_37:
	s_delay_alu instid0(SALU_CYCLE_1) | instskip(NEXT) | instid1(SALU_CYCLE_1)
	s_or_b32 exec_lo, exec_lo, s1
	s_mov_b32 s1, exec_lo
	v_cmpx_gt_i32_e64 s6, v0
	s_cbranch_execz .LBB251_45
; %bb.38:
	v_mad_u64_u32 v[18:19], null, v63, s26, 0
	v_mad_u64_u32 v[24:25], null, v20, s26, 0
	v_or_b32_e32 v27, 2, v63
	v_or_b32_e32 v36, 3, v63
	s_mov_b32 s0, exec_lo
	s_delay_alu instid0(VALU_DEP_4) | instskip(NEXT) | instid1(VALU_DEP_1)
	v_dual_mov_b32 v1, v19 :: v_dual_cndmask_b32 v18, 0, v18
	v_mad_u64_u32 v[21:22], null, v63, s27, v[1:2]
	v_ashrrev_i32_e32 v1, 31, v0
	s_delay_alu instid0(VALU_DEP_1) | instskip(NEXT) | instid1(VALU_DEP_3)
	v_lshlrev_b64 v[22:23], 3, v[0:1]
	v_cndmask_b32_e32 v19, 0, v21, vcc_lo
	s_delay_alu instid0(VALU_DEP_1) | instskip(NEXT) | instid1(VALU_DEP_1)
	v_lshlrev_b64 v[18:19], 3, v[18:19]
	v_add_co_u32 v1, vcc_lo, s24, v18
	s_delay_alu instid0(VALU_DEP_2) | instskip(NEXT) | instid1(VALU_DEP_2)
	v_add_co_ci_u32_e32 v19, vcc_lo, s25, v19, vcc_lo
	v_add_co_u32 v18, vcc_lo, v1, v22
	s_delay_alu instid0(VALU_DEP_2) | instskip(SKIP_4) | instid1(VALU_DEP_1)
	v_add_co_ci_u32_e32 v19, vcc_lo, v19, v23, vcc_lo
	v_mov_b32_e32 v1, v25
	v_cmp_gt_i32_e32 vcc_lo, s7, v20
	flat_load_b64 v[28:29], v[18:19]
	v_mad_u64_u32 v[25:26], null, v20, s27, v[1:2]
	v_dual_cndmask_b32 v20, 0, v24 :: v_dual_cndmask_b32 v21, 0, v25
	v_mad_u64_u32 v[24:25], null, v27, s26, 0
	s_delay_alu instid0(VALU_DEP_2) | instskip(NEXT) | instid1(VALU_DEP_1)
	v_lshlrev_b64 v[20:21], 3, v[20:21]
	v_add_co_u32 v1, vcc_lo, s24, v20
	s_delay_alu instid0(VALU_DEP_2) | instskip(NEXT) | instid1(VALU_DEP_2)
	v_add_co_ci_u32_e32 v21, vcc_lo, s25, v21, vcc_lo
	v_add_co_u32 v20, vcc_lo, v1, v22
	s_delay_alu instid0(VALU_DEP_2)
	v_add_co_ci_u32_e32 v21, vcc_lo, v21, v23, vcc_lo
	v_mov_b32_e32 v1, v25
	v_cmp_gt_i32_e32 vcc_lo, s7, v27
	flat_load_b64 v[30:31], v[20:21]
	v_mad_u64_u32 v[25:26], null, v27, s27, v[1:2]
	v_cndmask_b32_e32 v24, 0, v24, vcc_lo
	v_mad_u64_u32 v[26:27], null, v36, s26, 0
	s_delay_alu instid0(VALU_DEP_3) | instskip(NEXT) | instid1(VALU_DEP_1)
	v_cndmask_b32_e32 v25, 0, v25, vcc_lo
	v_lshlrev_b64 v[24:25], 3, v[24:25]
	s_delay_alu instid0(VALU_DEP_1) | instskip(NEXT) | instid1(VALU_DEP_2)
	v_add_co_u32 v1, vcc_lo, s24, v24
	v_add_co_ci_u32_e32 v25, vcc_lo, s25, v25, vcc_lo
	s_delay_alu instid0(VALU_DEP_2) | instskip(NEXT) | instid1(VALU_DEP_2)
	v_add_co_u32 v24, vcc_lo, v1, v22
	v_add_co_ci_u32_e32 v25, vcc_lo, v25, v23, vcc_lo
	v_mov_b32_e32 v1, v27
	v_cmp_gt_i32_e32 vcc_lo, s7, v36
	flat_load_b64 v[32:33], v[24:25]
	v_mad_u64_u32 v[34:35], null, v36, s27, v[1:2]
	v_cndmask_b32_e32 v26, 0, v26, vcc_lo
	s_delay_alu instid0(VALU_DEP_2) | instskip(NEXT) | instid1(VALU_DEP_1)
	v_cndmask_b32_e32 v27, 0, v34, vcc_lo
	v_lshlrev_b64 v[26:27], 3, v[26:27]
	s_delay_alu instid0(VALU_DEP_1) | instskip(NEXT) | instid1(VALU_DEP_2)
	v_add_co_u32 v1, vcc_lo, s24, v26
	v_add_co_ci_u32_e32 v27, vcc_lo, s25, v27, vcc_lo
	s_delay_alu instid0(VALU_DEP_2) | instskip(NEXT) | instid1(VALU_DEP_2)
	v_add_co_u32 v26, vcc_lo, v1, v22
	v_add_co_ci_u32_e32 v27, vcc_lo, v27, v23, vcc_lo
	v_add_nc_u32_e32 v1, 32, v0
	flat_load_b64 v[22:23], v[26:27]
	s_waitcnt vmcnt(3) lgkmcnt(3)
	v_fma_f64 v[8:9], v[10:11], v[28:29], v[8:9]
	s_waitcnt vmcnt(2) lgkmcnt(2)
	s_delay_alu instid0(VALU_DEP_1) | instskip(SKIP_1) | instid1(VALU_DEP_1)
	v_fma_f64 v[8:9], v[12:13], v[30:31], v[8:9]
	s_waitcnt vmcnt(1) lgkmcnt(1)
	v_fma_f64 v[8:9], v[16:17], v[32:33], v[8:9]
	v_cmpx_gt_i32_e64 s6, v1
	s_cbranch_execz .LBB251_44
; %bb.39:
	s_clause 0x3
	flat_load_b64 v[30:31], v[18:19] offset:256
	flat_load_b64 v[32:33], v[20:21] offset:256
	;; [unrolled: 1-line block ×4, first 2 shown]
	v_add_nc_u32_e32 v1, 64, v0
	s_mov_b32 s2, exec_lo
	s_waitcnt vmcnt(3) lgkmcnt(3)
	v_fma_f64 v[6:7], v[10:11], v[30:31], v[6:7]
	s_waitcnt vmcnt(2) lgkmcnt(2)
	s_delay_alu instid0(VALU_DEP_1) | instskip(SKIP_1) | instid1(VALU_DEP_1)
	v_fma_f64 v[6:7], v[12:13], v[32:33], v[6:7]
	s_waitcnt vmcnt(1) lgkmcnt(1)
	v_fma_f64 v[6:7], v[16:17], v[34:35], v[6:7]
	v_cmpx_gt_i32_e64 s6, v1
	s_cbranch_execz .LBB251_43
; %bb.40:
	s_clause 0x3
	flat_load_b64 v[32:33], v[18:19] offset:512
	flat_load_b64 v[34:35], v[20:21] offset:512
	;; [unrolled: 1-line block ×4, first 2 shown]
	v_add_nc_u32_e32 v0, 0x60, v0
	s_mov_b32 s3, exec_lo
	s_waitcnt vmcnt(3) lgkmcnt(3)
	v_fma_f64 v[4:5], v[10:11], v[32:33], v[4:5]
	s_waitcnt vmcnt(2) lgkmcnt(2)
	s_delay_alu instid0(VALU_DEP_1) | instskip(SKIP_1) | instid1(VALU_DEP_1)
	v_fma_f64 v[4:5], v[12:13], v[34:35], v[4:5]
	s_waitcnt vmcnt(1) lgkmcnt(1)
	v_fma_f64 v[4:5], v[16:17], v[36:37], v[4:5]
	v_cmpx_gt_i32_e64 s6, v0
	s_cbranch_execz .LBB251_42
; %bb.41:
	s_clause 0x3
	flat_load_b64 v[0:1], v[18:19] offset:768
	flat_load_b64 v[18:19], v[20:21] offset:768
	;; [unrolled: 1-line block ×4, first 2 shown]
	s_waitcnt vmcnt(3) lgkmcnt(3)
	v_fma_f64 v[0:1], v[10:11], v[0:1], v[2:3]
	s_waitcnt vmcnt(2) lgkmcnt(2)
	s_delay_alu instid0(VALU_DEP_1) | instskip(SKIP_1) | instid1(VALU_DEP_1)
	v_fma_f64 v[0:1], v[12:13], v[18:19], v[0:1]
	s_waitcnt vmcnt(1) lgkmcnt(1)
	v_fma_f64 v[0:1], v[16:17], v[20:21], v[0:1]
	s_waitcnt vmcnt(0) lgkmcnt(0)
	s_delay_alu instid0(VALU_DEP_1)
	v_fma_f64 v[2:3], v[14:15], v[24:25], v[0:1]
.LBB251_42:
	s_or_b32 exec_lo, exec_lo, s3
	s_waitcnt vmcnt(0) lgkmcnt(0)
	s_delay_alu instid0(VALU_DEP_2)
	v_fma_f64 v[4:5], v[14:15], v[30:31], v[4:5]
.LBB251_43:
	s_or_b32 exec_lo, exec_lo, s2
	s_waitcnt vmcnt(0) lgkmcnt(0)
	s_delay_alu instid0(VALU_DEP_2)
	v_fma_f64 v[6:7], v[14:15], v[28:29], v[6:7]
.LBB251_44:
	s_or_b32 exec_lo, exec_lo, s0
	s_waitcnt vmcnt(0) lgkmcnt(0)
	s_delay_alu instid0(VALU_DEP_2)
	v_fma_f64 v[8:9], v[14:15], v[22:23], v[8:9]
.LBB251_45:
	s_or_b32 exec_lo, exec_lo, s1
.LBB251_46:
	v_lshlrev_b32_e32 v0, 7, v62
	s_mov_b32 s0, exec_lo
	s_delay_alu instid0(VALU_DEP_1)
	v_add_lshl_u32 v0, v0, v61, 3
	ds_store_2addr_b64 v0, v[8:9], v[6:7] offset1:32
	ds_store_2addr_b64 v0, v[4:5], v[2:3] offset0:64 offset1:96
	s_waitcnt vmcnt(0) lgkmcnt(0)
	s_barrier
	buffer_gl0_inv
                                        ; implicit-def: $vgpr2_vgpr3
                                        ; implicit-def: $vgpr0_vgpr1
	v_cmpx_gt_u32_e32 0x80, v60
	s_cbranch_execz .LBB251_52
; %bb.47:
	v_lshlrev_b32_e32 v7, 3, v60
	v_or_b32_e32 v6, s30, v60
	s_mov_b32 s2, s29
	s_mov_b32 s1, exec_lo
	ds_load_2addr_stride64_b64 v[0:3], v7 offset1:2
	s_waitcnt lgkmcnt(0)
	v_add_f64 v[4:5], v[0:1], v[2:3]
	ds_load_2addr_stride64_b64 v[0:3], v7 offset0:4 offset1:6
	s_waitcnt lgkmcnt(0)
	v_add_f64 v[0:1], v[0:1], v[4:5]
	s_delay_alu instid0(VALU_DEP_1) | instskip(SKIP_3) | instid1(VALU_DEP_1)
	v_add_f64 v[4:5], v[2:3], v[0:1]
	ds_load_2addr_stride64_b64 v[0:3], v7 offset0:8 offset1:10
	s_waitcnt lgkmcnt(0)
	v_add_f64 v[0:1], v[0:1], v[4:5]
	v_add_f64 v[4:5], v[2:3], v[0:1]
	ds_load_2addr_stride64_b64 v[0:3], v7 offset0:12 offset1:14
	s_waitcnt lgkmcnt(0)
	v_add_f64 v[0:1], v[0:1], v[4:5]
	s_delay_alu instid0(VALU_DEP_1) | instskip(SKIP_3) | instid1(VALU_DEP_1)
	v_add_f64 v[4:5], v[2:3], v[0:1]
	ds_load_2addr_stride64_b64 v[0:3], v7 offset0:16 offset1:18
	s_waitcnt lgkmcnt(0)
	v_add_f64 v[0:1], v[0:1], v[4:5]
	;; [unrolled: 9-line block ×3, first 2 shown]
	v_add_f64 v[4:5], v[2:3], v[0:1]
	ds_load_2addr_stride64_b64 v[0:3], v7 offset0:28 offset1:30
	s_waitcnt lgkmcnt(0)
	v_add_f64 v[0:1], v[0:1], v[4:5]
	s_delay_alu instid0(VALU_DEP_1)
	v_add_f64 v[4:5], v[2:3], v[0:1]
                                        ; implicit-def: $vgpr2_vgpr3
                                        ; implicit-def: $vgpr0_vgpr1
	ds_store_b64 v7, v[4:5]
	v_cmpx_gt_i32_e64 s6, v6
	s_cbranch_execz .LBB251_51
; %bb.48:
	v_cmp_eq_f64_e64 s2, s[12:13], 0
	v_mul_f64 v[2:3], s[16:17], v[4:5]
	v_ashrrev_i32_e32 v0, 31, v6
	v_mul_lo_u32 v4, v6, s19
	s_delay_alu instid0(VALU_DEP_2) | instskip(SKIP_1) | instid1(VALU_DEP_1)
	v_mul_lo_u32 v5, v0, s18
	v_mad_u64_u32 v[0:1], null, v6, s18, 0
	v_add3_u32 v1, v1, v4, v5
	s_and_b32 vcc_lo, exec_lo, s2
	s_cbranch_vccnz .LBB251_50
; %bb.49:
	s_delay_alu instid0(VALU_DEP_1) | instskip(NEXT) | instid1(VALU_DEP_1)
	v_lshlrev_b64 v[4:5], 3, v[0:1]
	v_add_co_u32 v4, vcc_lo, s5, v4
	s_delay_alu instid0(VALU_DEP_2)
	v_add_co_ci_u32_e32 v5, vcc_lo, s28, v5, vcc_lo
	global_load_b64 v[4:5], v[4:5], off
	s_waitcnt vmcnt(0)
	v_fma_f64 v[2:3], s[12:13], v[4:5], v[2:3]
.LBB251_50:
	s_or_b32 s2, s29, exec_lo
.LBB251_51:
	s_or_b32 exec_lo, exec_lo, s1
	s_delay_alu instid0(SALU_CYCLE_1) | instskip(SKIP_1) | instid1(SALU_CYCLE_1)
	s_and_not1_b32 s1, s29, exec_lo
	s_and_b32 s2, s2, exec_lo
	s_or_b32 s29, s1, s2
.LBB251_52:
	s_or_b32 exec_lo, exec_lo, s0
.LBB251_53:
	s_and_saveexec_b32 s0, s29
	s_cbranch_execz .LBB251_55
; %bb.54:
	v_lshlrev_b64 v[0:1], 3, v[0:1]
	s_delay_alu instid0(VALU_DEP_1) | instskip(NEXT) | instid1(VALU_DEP_2)
	v_add_co_u32 v0, vcc_lo, s5, v0
	v_add_co_ci_u32_e32 v1, vcc_lo, s28, v1, vcc_lo
	global_store_b64 v[0:1], v[2:3], off
.LBB251_55:
	s_nop 0
	s_sendmsg sendmsg(MSG_DEALLOC_VGPRS)
	s_endpgm
	.section	.rodata,"a",@progbits
	.p2align	6, 0x0
	.amdhsa_kernel _ZL20rocblas_gemvn_kernelILi32ELi16ElPKdS1_KPdEviiT3_lPKT2_lT1_lS7_lS8_lS4_lPT4_lS8_li
		.amdhsa_group_segment_fixed_size 16384
		.amdhsa_private_segment_fixed_size 0
		.amdhsa_kernarg_size 400
		.amdhsa_user_sgpr_count 14
		.amdhsa_user_sgpr_dispatch_ptr 0
		.amdhsa_user_sgpr_queue_ptr 0
		.amdhsa_user_sgpr_kernarg_segment_ptr 1
		.amdhsa_user_sgpr_dispatch_id 0
		.amdhsa_user_sgpr_private_segment_size 0
		.amdhsa_wavefront_size32 1
		.amdhsa_uses_dynamic_stack 0
		.amdhsa_enable_private_segment 0
		.amdhsa_system_sgpr_workgroup_id_x 1
		.amdhsa_system_sgpr_workgroup_id_y 0
		.amdhsa_system_sgpr_workgroup_id_z 1
		.amdhsa_system_sgpr_workgroup_info 0
		.amdhsa_system_vgpr_workitem_id 1
		.amdhsa_next_free_vgpr 71
		.amdhsa_next_free_sgpr 37
		.amdhsa_reserve_vcc 1
		.amdhsa_float_round_mode_32 0
		.amdhsa_float_round_mode_16_64 0
		.amdhsa_float_denorm_mode_32 3
		.amdhsa_float_denorm_mode_16_64 3
		.amdhsa_dx10_clamp 1
		.amdhsa_ieee_mode 1
		.amdhsa_fp16_overflow 0
		.amdhsa_workgroup_processor_mode 1
		.amdhsa_memory_ordered 1
		.amdhsa_forward_progress 0
		.amdhsa_shared_vgpr_count 0
		.amdhsa_exception_fp_ieee_invalid_op 0
		.amdhsa_exception_fp_denorm_src 0
		.amdhsa_exception_fp_ieee_div_zero 0
		.amdhsa_exception_fp_ieee_overflow 0
		.amdhsa_exception_fp_ieee_underflow 0
		.amdhsa_exception_fp_ieee_inexact 0
		.amdhsa_exception_int_div_zero 0
	.end_amdhsa_kernel
	.section	.text._ZL20rocblas_gemvn_kernelILi32ELi16ElPKdS1_KPdEviiT3_lPKT2_lT1_lS7_lS8_lS4_lPT4_lS8_li,"axG",@progbits,_ZL20rocblas_gemvn_kernelILi32ELi16ElPKdS1_KPdEviiT3_lPKT2_lT1_lS7_lS8_lS4_lPT4_lS8_li,comdat
.Lfunc_end251:
	.size	_ZL20rocblas_gemvn_kernelILi32ELi16ElPKdS1_KPdEviiT3_lPKT2_lT1_lS7_lS8_lS4_lPT4_lS8_li, .Lfunc_end251-_ZL20rocblas_gemvn_kernelILi32ELi16ElPKdS1_KPdEviiT3_lPKT2_lT1_lS7_lS8_lS4_lPT4_lS8_li
                                        ; -- End function
	.section	.AMDGPU.csdata,"",@progbits
; Kernel info:
; codeLenInByte = 3704
; NumSgprs: 39
; NumVgprs: 71
; ScratchSize: 0
; MemoryBound: 1
; FloatMode: 240
; IeeeMode: 1
; LDSByteSize: 16384 bytes/workgroup (compile time only)
; SGPRBlocks: 4
; VGPRBlocks: 8
; NumSGPRsForWavesPerEU: 39
; NumVGPRsForWavesPerEU: 71
; Occupancy: 16
; WaveLimiterHint : 1
; COMPUTE_PGM_RSRC2:SCRATCH_EN: 0
; COMPUTE_PGM_RSRC2:USER_SGPR: 14
; COMPUTE_PGM_RSRC2:TRAP_HANDLER: 0
; COMPUTE_PGM_RSRC2:TGID_X_EN: 1
; COMPUTE_PGM_RSRC2:TGID_Y_EN: 0
; COMPUTE_PGM_RSRC2:TGID_Z_EN: 1
; COMPUTE_PGM_RSRC2:TIDIG_COMP_CNT: 1
	.section	.text._ZL20rocblas_gemvn_kernelILi32ELi16EiPKddKPdEviiT3_lPKT2_lT1_lS7_lS8_lS4_lPT4_lS8_li,"axG",@progbits,_ZL20rocblas_gemvn_kernelILi32ELi16EiPKddKPdEviiT3_lPKT2_lT1_lS7_lS8_lS4_lPT4_lS8_li,comdat
	.globl	_ZL20rocblas_gemvn_kernelILi32ELi16EiPKddKPdEviiT3_lPKT2_lT1_lS7_lS8_lS4_lPT4_lS8_li ; -- Begin function _ZL20rocblas_gemvn_kernelILi32ELi16EiPKddKPdEviiT3_lPKT2_lT1_lS7_lS8_lS4_lPT4_lS8_li
	.p2align	8
	.type	_ZL20rocblas_gemvn_kernelILi32ELi16EiPKddKPdEviiT3_lPKT2_lT1_lS7_lS8_lS4_lPT4_lS8_li,@function
_ZL20rocblas_gemvn_kernelILi32ELi16EiPKddKPdEviiT3_lPKT2_lT1_lS7_lS8_lS4_lPT4_lS8_li: ; @_ZL20rocblas_gemvn_kernelILi32ELi16EiPKddKPdEviiT3_lPKT2_lT1_lS7_lS8_lS4_lPT4_lS8_li
; %bb.0:
	s_load_b64 s[4:5], s[0:1], 0x9c
	s_waitcnt lgkmcnt(0)
	s_lshr_b32 s3, s4, 16
	s_and_b32 s4, s4, 0xffff
	s_and_b32 s5, s5, 0xffff
	s_mul_i32 s3, s3, s4
	s_delay_alu instid0(SALU_CYCLE_1) | instskip(NEXT) | instid1(SALU_CYCLE_1)
	s_mul_i32 s3, s3, s5
	s_cmpk_lg_i32 s3, 0x200
	s_cbranch_scc1 .LBB252_57
; %bb.1:
	s_clause 0x1
	s_load_b64 s[6:7], s[0:1], 0x8
	s_load_b64 s[4:5], s[0:1], 0x58
	s_waitcnt lgkmcnt(0)
	v_cmp_eq_f64_e64 s16, s[6:7], 0
	v_cmp_eq_f64_e64 s3, s[4:5], 1.0
	s_delay_alu instid0(VALU_DEP_1) | instskip(NEXT) | instid1(SALU_CYCLE_1)
	s_and_b32 s3, s16, s3
	s_and_b32 vcc_lo, exec_lo, s3
	s_cbranch_vccnz .LBB252_57
; %bb.2:
	v_cmp_neq_f64_e64 s8, s[6:7], 0
	s_mov_b32 s2, s15
	s_delay_alu instid0(VALU_DEP_1)
	s_and_b32 vcc_lo, exec_lo, s8
	s_cbranch_vccnz .LBB252_4
; %bb.3:
	s_mov_b32 s3, 0
	s_mov_b64 s[10:11], 0
	s_cbranch_execz .LBB252_5
	s_branch .LBB252_6
.LBB252_4:
	s_mov_b32 s3, -1
                                        ; implicit-def: $sgpr10_sgpr11
.LBB252_5:
	s_load_b128 s[20:23], s[0:1], 0x18
	s_mov_b32 s3, 0
	s_delay_alu instid0(SALU_CYCLE_1)
	s_lshl_b64 s[10:11], s[2:3], 3
	s_waitcnt lgkmcnt(0)
	s_add_u32 s10, s20, s10
	s_addc_u32 s11, s21, s11
	s_lshl_b64 s[12:13], s[22:23], 3
	s_load_b64 s[10:11], s[10:11], 0x0
	s_waitcnt lgkmcnt(0)
	s_add_u32 s10, s10, s12
	s_addc_u32 s11, s11, s13
.LBB252_6:
	s_and_not1_b32 vcc_lo, exec_lo, s8
	s_cbranch_vccnz .LBB252_8
; %bb.7:
	s_load_b128 s[20:23], s[0:1], 0x38
	s_lshl_b64 s[8:9], s[2:3], 3
	s_waitcnt lgkmcnt(0)
	s_add_u32 s8, s20, s8
	s_addc_u32 s9, s21, s9
	s_lshl_b64 s[12:13], s[22:23], 3
	s_load_b64 s[8:9], s[8:9], 0x0
	s_waitcnt lgkmcnt(0)
	s_add_u32 s12, s8, s12
	s_addc_u32 s13, s9, s13
	s_branch .LBB252_9
.LBB252_8:
	s_mov_b64 s[12:13], 0
.LBB252_9:
	s_load_b128 s[20:23], s[0:1], 0x68
	s_lshl_b64 s[2:3], s[2:3], 3
	v_and_b32_e32 v1, 0x3ff, v0
	v_bfe_u32 v0, v0, 10, 10
	s_delay_alu instid0(VALU_DEP_1)
	v_lshl_add_u32 v53, v0, 5, v1
	s_waitcnt lgkmcnt(0)
	s_add_u32 s2, s20, s2
	s_addc_u32 s3, s21, s3
	s_lshl_b64 s[22:23], s[22:23], 3
	s_load_b64 s[20:21], s[2:3], 0x0
	s_clause 0x1
	s_load_b64 s[8:9], s[0:1], 0x0
	s_load_b32 s18, s[0:1], 0x78
	v_cmp_gt_u32_e64 s2, 0x80, v53
	s_waitcnt lgkmcnt(0)
	s_add_u32 s15, s20, s22
	s_addc_u32 s17, s21, s23
	s_and_not1_b32 vcc_lo, exec_lo, s16
	s_cbranch_vccnz .LBB252_16
; %bb.10:
	s_mov_b32 s3, 0
	s_mov_b32 s19, 0
                                        ; implicit-def: $vgpr4_vgpr5
                                        ; implicit-def: $vgpr2_vgpr3
	s_and_saveexec_b32 s16, s2
	s_cbranch_execz .LBB252_17
; %bb.11:
	v_lshl_or_b32 v6, s14, 7, v53
	v_mov_b32_e32 v7, 0
	s_ashr_i32 s21, s8, 31
	s_mov_b32 s20, s8
	s_mov_b32 s2, exec_lo
                                        ; implicit-def: $vgpr4_vgpr5
                                        ; implicit-def: $vgpr2_vgpr3
	s_delay_alu instid0(VALU_DEP_1)
	v_cmpx_gt_i64_e64 s[20:21], v[6:7]
	s_cbranch_execz .LBB252_15
; %bb.12:
	v_cmp_eq_f64_e64 s19, s[4:5], 0
	v_mad_u64_u32 v[2:3], null, s18, v6, 0
	s_ashr_i32 s20, s18, 31
	s_delay_alu instid0(VALU_DEP_1) | instid1(SALU_CYCLE_1)
	v_mad_u64_u32 v[4:5], null, s20, v6, v[3:4]
	s_delay_alu instid0(VALU_DEP_1)
	v_dual_mov_b32 v3, v4 :: v_dual_mov_b32 v4, 0
	v_mov_b32_e32 v5, 0
	s_and_b32 vcc_lo, exec_lo, s19
	s_cbranch_vccnz .LBB252_14
; %bb.13:
	s_delay_alu instid0(VALU_DEP_2) | instskip(NEXT) | instid1(VALU_DEP_1)
	v_lshlrev_b64 v[4:5], 3, v[2:3]
	v_add_co_u32 v4, vcc_lo, s15, v4
	s_delay_alu instid0(VALU_DEP_2)
	v_add_co_ci_u32_e32 v5, vcc_lo, s17, v5, vcc_lo
	global_load_b64 v[4:5], v[4:5], off
	s_waitcnt vmcnt(0)
	v_mul_f64 v[4:5], v[4:5], s[4:5]
.LBB252_14:
	s_mov_b32 s19, exec_lo
.LBB252_15:
	s_or_b32 exec_lo, exec_lo, s2
	s_delay_alu instid0(SALU_CYCLE_1) | instskip(SKIP_1) | instid1(SALU_CYCLE_1)
	s_and_b32 s19, s19, exec_lo
	s_or_b32 exec_lo, exec_lo, s16
	s_and_b32 vcc_lo, exec_lo, s3
	s_cbranch_vccnz .LBB252_18
	s_branch .LBB252_55
.LBB252_16:
	s_mov_b32 s19, 0
                                        ; implicit-def: $vgpr4_vgpr5
                                        ; implicit-def: $vgpr2_vgpr3
	s_cbranch_execnz .LBB252_18
	s_branch .LBB252_55
.LBB252_17:
	s_or_b32 exec_lo, exec_lo, s16
	s_delay_alu instid0(SALU_CYCLE_1)
	s_and_b32 vcc_lo, exec_lo, s3
	s_cbranch_vccz .LBB252_55
.LBB252_18:
	s_clause 0x1
	s_load_b32 s20, s[0:1], 0x28
	s_load_b32 s16, s[0:1], 0x48
	v_dual_mov_b32 v8, 0 :: v_dual_lshlrev_b32 v55, 2, v0
	s_lshl_b32 s14, s14, 7
	s_delay_alu instid0(SALU_CYCLE_1) | instskip(SKIP_1) | instid1(VALU_DEP_2)
	v_dual_mov_b32 v9, 0 :: v_dual_add_nc_u32 v54, s14, v1
	s_ashr_i32 s0, s9, 31
	v_mov_b32_e32 v6, v8
	s_lshr_b32 s0, s0, 26
	s_delay_alu instid0(VALU_DEP_2)
	v_dual_mov_b32 v7, v9 :: v_dual_mov_b32 v4, v8
	v_dual_mov_b32 v5, v9 :: v_dual_mov_b32 v2, v8
	v_mov_b32_e32 v3, v9
	s_add_i32 s21, s9, s0
	s_mov_b32 s22, exec_lo
	s_and_not1_b32 s21, s21, 63
	s_delay_alu instid0(SALU_CYCLE_1)
	v_cmpx_gt_i32_e64 s21, v55
	s_cbranch_execz .LBB252_30
; %bb.19:
	s_waitcnt lgkmcnt(0)
	v_mul_lo_u32 v3, s20, v55
	v_dual_mov_b32 v8, 0 :: v_dual_add_nc_u32 v5, 0x60, v54
	v_dual_mov_b32 v9, 0 :: v_dual_add_nc_u32 v2, 32, v54
	v_add_nc_u32_e32 v4, 64, v54
	s_delay_alu instid0(VALU_DEP_3) | instskip(SKIP_1) | instid1(VALU_DEP_4)
	v_cmp_gt_i32_e64 s2, s8, v5
	v_mul_lo_u32 v5, v0, s16
	v_cmp_gt_i32_e64 s0, s8, v2
	v_add_nc_u32_e32 v2, 2, v55
	v_mov_b32_e32 v6, v8
	v_add3_u32 v56, v3, s20, v1
	v_mul_lo_u32 v3, v0, s20
	v_mov_b32_e32 v7, v9
	v_cmp_gt_i32_e64 s1, s8, v4
	v_add_nc_u32_e32 v4, 3, v55
	v_mad_u64_u32 v[10:11], null, s20, v2, v[1:2]
	v_lshlrev_b32_e32 v60, 2, v5
	v_cmp_gt_i32_e32 vcc_lo, s8, v54
	s_delay_alu instid0(VALU_DEP_4)
	v_mad_u64_u32 v[11:12], null, s20, v4, v[1:2]
	v_mul_lo_u32 v59, s16, v4
	v_mov_b32_e32 v4, v8
	v_mad_u64_u32 v[12:13], null, s16, v55, s[16:17]
	v_mov_b32_e32 v5, v9
	v_mul_lo_u32 v58, s16, v2
	v_lshl_add_u32 v57, v3, 2, v1
	v_dual_mov_b32 v2, v8 :: v_dual_mov_b32 v3, v9
	s_lshl_b32 s23, s20, 6
	s_lshl_b32 s25, s16, 6
	s_mov_b32 s24, 0
	s_mov_b32 s26, 0
	s_branch .LBB252_24
.LBB252_20:                             ;   in Loop: Header=BB252_24 Depth=1
	s_or_b32 exec_lo, exec_lo, s29
	s_waitcnt vmcnt(3) lgkmcnt(3)
	v_fma_f64 v[4:5], v[13:14], v[45:46], v[4:5]
	s_waitcnt vmcnt(2) lgkmcnt(2)
	s_delay_alu instid0(VALU_DEP_1) | instskip(SKIP_1) | instid1(VALU_DEP_1)
	v_fma_f64 v[4:5], v[15:16], v[47:48], v[4:5]
	s_waitcnt vmcnt(1) lgkmcnt(1)
	v_fma_f64 v[4:5], v[17:18], v[49:50], v[4:5]
	s_waitcnt vmcnt(0) lgkmcnt(0)
	s_delay_alu instid0(VALU_DEP_1)
	v_fma_f64 v[4:5], v[19:20], v[51:52], v[4:5]
.LBB252_21:                             ;   in Loop: Header=BB252_24 Depth=1
	s_or_b32 exec_lo, exec_lo, s28
	s_waitcnt vmcnt(3) lgkmcnt(3)
	v_fma_f64 v[6:7], v[13:14], v[37:38], v[6:7]
	s_waitcnt vmcnt(2) lgkmcnt(2)
	s_delay_alu instid0(VALU_DEP_1) | instskip(SKIP_1) | instid1(VALU_DEP_1)
	v_fma_f64 v[6:7], v[15:16], v[39:40], v[6:7]
	s_waitcnt vmcnt(1) lgkmcnt(1)
	v_fma_f64 v[6:7], v[17:18], v[41:42], v[6:7]
	s_waitcnt vmcnt(0) lgkmcnt(0)
	s_delay_alu instid0(VALU_DEP_1)
	v_fma_f64 v[6:7], v[19:20], v[43:44], v[6:7]
.LBB252_22:                             ;   in Loop: Header=BB252_24 Depth=1
	s_or_b32 exec_lo, exec_lo, s3
	s_waitcnt vmcnt(3) lgkmcnt(3)
	v_fma_f64 v[8:9], v[13:14], v[21:22], v[8:9]
	s_waitcnt vmcnt(2) lgkmcnt(2)
	s_delay_alu instid0(VALU_DEP_1) | instskip(SKIP_1) | instid1(VALU_DEP_1)
	v_fma_f64 v[8:9], v[15:16], v[23:24], v[8:9]
	s_waitcnt vmcnt(1) lgkmcnt(1)
	v_fma_f64 v[8:9], v[17:18], v[25:26], v[8:9]
	s_waitcnt vmcnt(0) lgkmcnt(0)
	s_delay_alu instid0(VALU_DEP_1)
	v_fma_f64 v[8:9], v[19:20], v[27:28], v[8:9]
.LBB252_23:                             ;   in Loop: Header=BB252_24 Depth=1
	s_or_b32 exec_lo, exec_lo, s27
	v_add_nc_u32_e32 v55, 64, v55
	v_add_nc_u32_e32 v56, s23, v56
	;; [unrolled: 1-line block ×5, first 2 shown]
	v_cmp_le_i32_e64 s3, s21, v55
	s_add_i32 s26, s26, s25
	s_delay_alu instid0(VALU_DEP_1) | instskip(NEXT) | instid1(SALU_CYCLE_1)
	s_or_b32 s24, s3, s24
	s_and_not1_b32 exec_lo, exec_lo, s24
	s_cbranch_execz .LBB252_29
.LBB252_24:                             ; =>This Inner Loop Header: Depth=1
	s_and_saveexec_b32 s27, vcc_lo
	s_cbranch_execz .LBB252_23
; %bb.25:                               ;   in Loop: Header=BB252_24 Depth=1
	v_add_nc_u32_e32 v13, s26, v60
	v_add_nc_u32_e32 v15, s26, v12
	;; [unrolled: 1-line block ×5, first 2 shown]
	v_ashrrev_i32_e32 v14, 31, v13
	v_ashrrev_i32_e32 v16, 31, v15
	;; [unrolled: 1-line block ×4, first 2 shown]
	v_add_nc_u32_e32 v23, s14, v56
	v_lshlrev_b64 v[13:14], 3, v[13:14]
	v_lshlrev_b64 v[15:16], 3, v[15:16]
	v_lshlrev_b64 v[17:18], 3, v[17:18]
	v_ashrrev_i32_e32 v22, 31, v21
	v_lshlrev_b64 v[19:20], 3, v[19:20]
	v_ashrrev_i32_e32 v24, 31, v23
	v_add_co_u32 v13, s3, s12, v13
	s_delay_alu instid0(VALU_DEP_1)
	v_add_co_ci_u32_e64 v14, s3, s13, v14, s3
	v_add_co_u32 v15, s3, s12, v15
	v_add_nc_u32_e32 v25, s14, v10
	v_add_co_ci_u32_e64 v16, s3, s13, v16, s3
	v_add_co_u32 v17, s3, s12, v17
	v_lshlrev_b64 v[21:22], 3, v[21:22]
	v_add_nc_u32_e32 v27, s14, v11
	v_add_co_ci_u32_e64 v18, s3, s13, v18, s3
	v_add_co_u32 v19, s3, s12, v19
	v_lshlrev_b64 v[23:24], 3, v[23:24]
	v_ashrrev_i32_e32 v26, 31, v25
	v_add_co_ci_u32_e64 v20, s3, s13, v20, s3
	v_add_co_u32 v29, s3, s10, v21
	v_ashrrev_i32_e32 v28, 31, v27
	v_add_co_ci_u32_e64 v30, s3, s11, v22, s3
	v_lshlrev_b64 v[21:22], 3, v[25:26]
	v_add_co_u32 v31, s3, s10, v23
	s_delay_alu instid0(VALU_DEP_1) | instskip(SKIP_1) | instid1(VALU_DEP_4)
	v_add_co_ci_u32_e64 v32, s3, s11, v24, s3
	v_lshlrev_b64 v[23:24], 3, v[27:28]
	v_add_co_u32 v33, s3, s10, v21
	s_delay_alu instid0(VALU_DEP_1) | instskip(NEXT) | instid1(VALU_DEP_3)
	v_add_co_ci_u32_e64 v34, s3, s11, v22, s3
	v_add_co_u32 v35, s3, s10, v23
	s_delay_alu instid0(VALU_DEP_1)
	v_add_co_ci_u32_e64 v36, s3, s11, v24, s3
	s_clause 0x3
	flat_load_b64 v[13:14], v[13:14]
	flat_load_b64 v[15:16], v[15:16]
	;; [unrolled: 1-line block ×4, first 2 shown]
	s_clause 0x3
	flat_load_b64 v[21:22], v[29:30]
	flat_load_b64 v[23:24], v[31:32]
	;; [unrolled: 1-line block ×4, first 2 shown]
	s_and_saveexec_b32 s3, s0
	s_cbranch_execz .LBB252_22
; %bb.26:                               ;   in Loop: Header=BB252_24 Depth=1
	s_clause 0x3
	flat_load_b64 v[37:38], v[29:30] offset:256
	flat_load_b64 v[39:40], v[31:32] offset:256
	flat_load_b64 v[41:42], v[33:34] offset:256
	flat_load_b64 v[43:44], v[35:36] offset:256
	s_and_saveexec_b32 s28, s1
	s_cbranch_execz .LBB252_21
; %bb.27:                               ;   in Loop: Header=BB252_24 Depth=1
	s_clause 0x3
	flat_load_b64 v[45:46], v[29:30] offset:512
	flat_load_b64 v[47:48], v[31:32] offset:512
	flat_load_b64 v[49:50], v[33:34] offset:512
	flat_load_b64 v[51:52], v[35:36] offset:512
	s_and_saveexec_b32 s29, s2
	s_cbranch_execz .LBB252_20
; %bb.28:                               ;   in Loop: Header=BB252_24 Depth=1
	s_clause 0x3
	flat_load_b64 v[29:30], v[29:30] offset:768
	flat_load_b64 v[31:32], v[31:32] offset:768
	flat_load_b64 v[33:34], v[33:34] offset:768
	flat_load_b64 v[35:36], v[35:36] offset:768
	s_waitcnt vmcnt(3) lgkmcnt(3)
	v_fma_f64 v[2:3], v[13:14], v[29:30], v[2:3]
	s_waitcnt vmcnt(2) lgkmcnt(2)
	s_delay_alu instid0(VALU_DEP_1) | instskip(SKIP_1) | instid1(VALU_DEP_1)
	v_fma_f64 v[2:3], v[15:16], v[31:32], v[2:3]
	s_waitcnt vmcnt(1) lgkmcnt(1)
	v_fma_f64 v[2:3], v[17:18], v[33:34], v[2:3]
	s_waitcnt vmcnt(0) lgkmcnt(0)
	s_delay_alu instid0(VALU_DEP_1)
	v_fma_f64 v[2:3], v[19:20], v[35:36], v[2:3]
	s_branch .LBB252_20
.LBB252_29:
	s_or_b32 exec_lo, exec_lo, s24
.LBB252_30:
	s_delay_alu instid0(SALU_CYCLE_1) | instskip(SKIP_1) | instid1(SALU_CYCLE_1)
	s_or_b32 exec_lo, exec_lo, s22
	s_sub_i32 s0, s9, s21
	s_cmp_lt_i32 s0, 1
	s_cbranch_scc1 .LBB252_48
; %bb.31:
	v_mov_b32_e32 v14, 0
	v_mov_b32_e32 v15, 0
	v_cmp_gt_i32_e32 vcc_lo, s9, v55
	v_or_b32_e32 v20, 1, v55
	s_delay_alu instid0(VALU_DEP_4) | instskip(NEXT) | instid1(VALU_DEP_4)
	v_mov_b32_e32 v12, v14
	v_dual_mov_b32 v10, v14 :: v_dual_mov_b32 v11, v15
	v_dual_mov_b32 v17, v15 :: v_dual_mov_b32 v16, v14
	v_mov_b32_e32 v13, v15
	s_and_saveexec_b32 s1, vcc_lo
	s_cbranch_execz .LBB252_39
; %bb.32:
	s_waitcnt lgkmcnt(0)
	v_mul_lo_u32 v10, v55, s16
	v_mov_b32_e32 v12, 0
	v_mov_b32_e32 v13, 0
	s_mov_b32 s2, exec_lo
	s_delay_alu instid0(VALU_DEP_1) | instskip(NEXT) | instid1(VALU_DEP_4)
	v_dual_mov_b32 v17, v13 :: v_dual_mov_b32 v16, v12
	v_ashrrev_i32_e32 v11, 31, v10
	v_dual_mov_b32 v15, v13 :: v_dual_mov_b32 v14, v12
	s_delay_alu instid0(VALU_DEP_2) | instskip(NEXT) | instid1(VALU_DEP_1)
	v_lshlrev_b64 v[10:11], 3, v[10:11]
	v_add_co_u32 v10, s0, s12, v10
	s_delay_alu instid0(VALU_DEP_1)
	v_add_co_ci_u32_e64 v11, s0, s13, v11, s0
	flat_load_b64 v[10:11], v[10:11]
	v_cmpx_gt_i32_e64 s9, v20
	s_cbranch_execz .LBB252_38
; %bb.33:
	v_mul_lo_u32 v12, v20, s16
	v_mov_b32_e32 v16, 0
	v_mov_b32_e32 v17, 0
	v_or_b32_e32 v18, 2, v55
	s_delay_alu instid0(VALU_DEP_3) | instskip(SKIP_1) | instid1(VALU_DEP_3)
	v_mov_b32_e32 v14, v16
	s_mov_b32 s3, exec_lo
	v_mov_b32_e32 v15, v17
	v_ashrrev_i32_e32 v13, 31, v12
	s_delay_alu instid0(VALU_DEP_1) | instskip(NEXT) | instid1(VALU_DEP_1)
	v_lshlrev_b64 v[12:13], 3, v[12:13]
	v_add_co_u32 v12, s0, s12, v12
	s_delay_alu instid0(VALU_DEP_1)
	v_add_co_ci_u32_e64 v13, s0, s13, v13, s0
	flat_load_b64 v[12:13], v[12:13]
	v_cmpx_gt_i32_e64 s9, v18
	s_cbranch_execz .LBB252_37
; %bb.34:
	v_mul_lo_u32 v14, v18, s16
	v_or_b32_e32 v18, 3, v55
	s_mov_b32 s21, exec_lo
	s_delay_alu instid0(VALU_DEP_2) | instskip(NEXT) | instid1(VALU_DEP_1)
	v_ashrrev_i32_e32 v15, 31, v14
	v_lshlrev_b64 v[14:15], 3, v[14:15]
	s_delay_alu instid0(VALU_DEP_1) | instskip(NEXT) | instid1(VALU_DEP_1)
	v_add_co_u32 v14, s0, s12, v14
	v_add_co_ci_u32_e64 v15, s0, s13, v15, s0
	flat_load_b64 v[16:17], v[14:15]
	v_mov_b32_e32 v14, 0
	v_mov_b32_e32 v15, 0
	v_cmpx_gt_i32_e64 s9, v18
	s_cbranch_execz .LBB252_36
; %bb.35:
	v_mul_lo_u32 v14, v18, s16
	s_delay_alu instid0(VALU_DEP_1) | instskip(NEXT) | instid1(VALU_DEP_1)
	v_ashrrev_i32_e32 v15, 31, v14
	v_lshlrev_b64 v[14:15], 3, v[14:15]
	s_delay_alu instid0(VALU_DEP_1) | instskip(NEXT) | instid1(VALU_DEP_1)
	v_add_co_u32 v14, s0, s12, v14
	v_add_co_ci_u32_e64 v15, s0, s13, v15, s0
	flat_load_b64 v[14:15], v[14:15]
.LBB252_36:
	s_or_b32 exec_lo, exec_lo, s21
.LBB252_37:
	s_delay_alu instid0(SALU_CYCLE_1)
	s_or_b32 exec_lo, exec_lo, s3
.LBB252_38:
	s_delay_alu instid0(SALU_CYCLE_1)
	s_or_b32 exec_lo, exec_lo, s2
.LBB252_39:
	s_delay_alu instid0(SALU_CYCLE_1) | instskip(NEXT) | instid1(SALU_CYCLE_1)
	s_or_b32 exec_lo, exec_lo, s1
	s_mov_b32 s1, exec_lo
	v_cmpx_gt_i32_e64 s8, v54
	s_cbranch_execz .LBB252_47
; %bb.40:
	s_waitcnt lgkmcnt(0)
	v_mul_lo_u32 v18, v55, s20
	v_mul_lo_u32 v21, v20, s20
	v_or_b32_e32 v22, 2, v55
	s_mov_b32 s0, exec_lo
	s_delay_alu instid0(VALU_DEP_1) | instskip(NEXT) | instid1(VALU_DEP_4)
	v_mul_lo_u32 v23, v22, s20
	v_cndmask_b32_e32 v18, 0, v18, vcc_lo
	s_delay_alu instid0(VALU_DEP_1) | instskip(NEXT) | instid1(VALU_DEP_1)
	v_add_nc_u32_e32 v18, v18, v54
	v_ashrrev_i32_e32 v19, 31, v18
	s_delay_alu instid0(VALU_DEP_1) | instskip(NEXT) | instid1(VALU_DEP_1)
	v_lshlrev_b64 v[18:19], 3, v[18:19]
	v_add_co_u32 v18, vcc_lo, s10, v18
	s_delay_alu instid0(VALU_DEP_2) | instskip(SKIP_3) | instid1(VALU_DEP_1)
	v_add_co_ci_u32_e32 v19, vcc_lo, s11, v19, vcc_lo
	v_cmp_gt_i32_e32 vcc_lo, s9, v20
	flat_load_b64 v[28:29], v[18:19]
	v_cndmask_b32_e32 v20, 0, v21, vcc_lo
	v_add_nc_u32_e32 v20, v20, v54
	s_delay_alu instid0(VALU_DEP_1) | instskip(NEXT) | instid1(VALU_DEP_1)
	v_ashrrev_i32_e32 v21, 31, v20
	v_lshlrev_b64 v[20:21], 3, v[20:21]
	s_delay_alu instid0(VALU_DEP_1) | instskip(NEXT) | instid1(VALU_DEP_2)
	v_add_co_u32 v20, vcc_lo, s10, v20
	v_add_co_ci_u32_e32 v21, vcc_lo, s11, v21, vcc_lo
	v_cmp_gt_i32_e32 vcc_lo, s9, v22
	flat_load_b64 v[30:31], v[20:21]
	v_cndmask_b32_e32 v22, 0, v23, vcc_lo
	s_delay_alu instid0(VALU_DEP_1) | instskip(NEXT) | instid1(VALU_DEP_1)
	v_add_nc_u32_e32 v22, v22, v54
	v_ashrrev_i32_e32 v23, 31, v22
	s_delay_alu instid0(VALU_DEP_1) | instskip(NEXT) | instid1(VALU_DEP_1)
	v_lshlrev_b64 v[22:23], 3, v[22:23]
	v_add_co_u32 v24, vcc_lo, s10, v22
	s_delay_alu instid0(VALU_DEP_2) | instskip(SKIP_4) | instid1(VALU_DEP_2)
	v_add_co_ci_u32_e32 v25, vcc_lo, s11, v23, vcc_lo
	v_or_b32_e32 v22, 3, v55
	flat_load_b64 v[32:33], v[24:25]
	v_mul_lo_u32 v23, v22, s20
	v_cmp_gt_i32_e32 vcc_lo, s9, v22
	v_cndmask_b32_e32 v22, 0, v23, vcc_lo
	s_delay_alu instid0(VALU_DEP_1) | instskip(NEXT) | instid1(VALU_DEP_1)
	v_add_nc_u32_e32 v22, v22, v54
	v_ashrrev_i32_e32 v23, 31, v22
	s_delay_alu instid0(VALU_DEP_1) | instskip(NEXT) | instid1(VALU_DEP_1)
	v_lshlrev_b64 v[22:23], 3, v[22:23]
	v_add_co_u32 v26, vcc_lo, s10, v22
	s_delay_alu instid0(VALU_DEP_2)
	v_add_co_ci_u32_e32 v27, vcc_lo, s11, v23, vcc_lo
	flat_load_b64 v[22:23], v[26:27]
	s_waitcnt vmcnt(3) lgkmcnt(3)
	v_fma_f64 v[8:9], v[10:11], v[28:29], v[8:9]
	v_add_nc_u32_e32 v28, 32, v54
	s_waitcnt vmcnt(2) lgkmcnt(2)
	s_delay_alu instid0(VALU_DEP_2) | instskip(SKIP_1) | instid1(VALU_DEP_1)
	v_fma_f64 v[8:9], v[12:13], v[30:31], v[8:9]
	s_waitcnt vmcnt(1) lgkmcnt(1)
	v_fma_f64 v[8:9], v[16:17], v[32:33], v[8:9]
	v_cmpx_gt_i32_e64 s8, v28
	s_cbranch_execz .LBB252_46
; %bb.41:
	s_clause 0x3
	flat_load_b64 v[30:31], v[18:19] offset:256
	flat_load_b64 v[32:33], v[20:21] offset:256
	;; [unrolled: 1-line block ×4, first 2 shown]
	s_mov_b32 s2, exec_lo
	s_waitcnt vmcnt(3) lgkmcnt(3)
	v_fma_f64 v[6:7], v[10:11], v[30:31], v[6:7]
	v_add_nc_u32_e32 v30, 64, v54
	s_waitcnt vmcnt(2) lgkmcnt(2)
	s_delay_alu instid0(VALU_DEP_2) | instskip(SKIP_1) | instid1(VALU_DEP_1)
	v_fma_f64 v[6:7], v[12:13], v[32:33], v[6:7]
	s_waitcnt vmcnt(1) lgkmcnt(1)
	v_fma_f64 v[6:7], v[16:17], v[34:35], v[6:7]
	v_cmpx_gt_i32_e64 s8, v30
	s_cbranch_execz .LBB252_45
; %bb.42:
	s_clause 0x3
	flat_load_b64 v[32:33], v[18:19] offset:512
	flat_load_b64 v[34:35], v[20:21] offset:512
	;; [unrolled: 1-line block ×4, first 2 shown]
	s_mov_b32 s3, exec_lo
	s_waitcnt vmcnt(3) lgkmcnt(3)
	v_fma_f64 v[4:5], v[10:11], v[32:33], v[4:5]
	v_add_nc_u32_e32 v32, 0x60, v54
	s_waitcnt vmcnt(2) lgkmcnt(2)
	s_delay_alu instid0(VALU_DEP_2) | instskip(SKIP_1) | instid1(VALU_DEP_1)
	v_fma_f64 v[4:5], v[12:13], v[34:35], v[4:5]
	s_waitcnt vmcnt(1) lgkmcnt(1)
	v_fma_f64 v[4:5], v[16:17], v[36:37], v[4:5]
	v_cmpx_gt_i32_e64 s8, v32
	s_cbranch_execz .LBB252_44
; %bb.43:
	s_clause 0x3
	flat_load_b64 v[18:19], v[18:19] offset:768
	flat_load_b64 v[20:21], v[20:21] offset:768
	;; [unrolled: 1-line block ×4, first 2 shown]
	s_waitcnt vmcnt(3) lgkmcnt(3)
	v_fma_f64 v[2:3], v[10:11], v[18:19], v[2:3]
	s_waitcnt vmcnt(2) lgkmcnt(2)
	s_delay_alu instid0(VALU_DEP_1) | instskip(SKIP_1) | instid1(VALU_DEP_1)
	v_fma_f64 v[2:3], v[12:13], v[20:21], v[2:3]
	s_waitcnt vmcnt(1) lgkmcnt(1)
	v_fma_f64 v[2:3], v[16:17], v[24:25], v[2:3]
	s_waitcnt vmcnt(0) lgkmcnt(0)
	s_delay_alu instid0(VALU_DEP_1)
	v_fma_f64 v[2:3], v[14:15], v[26:27], v[2:3]
.LBB252_44:
	s_or_b32 exec_lo, exec_lo, s3
	s_waitcnt vmcnt(0) lgkmcnt(0)
	s_delay_alu instid0(VALU_DEP_2)
	v_fma_f64 v[4:5], v[14:15], v[30:31], v[4:5]
.LBB252_45:
	s_or_b32 exec_lo, exec_lo, s2
	s_waitcnt vmcnt(0) lgkmcnt(0)
	s_delay_alu instid0(VALU_DEP_2)
	v_fma_f64 v[6:7], v[14:15], v[28:29], v[6:7]
.LBB252_46:
	s_or_b32 exec_lo, exec_lo, s0
	s_waitcnt vmcnt(0) lgkmcnt(0)
	s_delay_alu instid0(VALU_DEP_2)
	v_fma_f64 v[8:9], v[14:15], v[22:23], v[8:9]
.LBB252_47:
	s_or_b32 exec_lo, exec_lo, s1
.LBB252_48:
	v_lshlrev_b32_e32 v0, 7, v0
	s_mov_b32 s0, exec_lo
	s_delay_alu instid0(VALU_DEP_1)
	v_add_lshl_u32 v0, v0, v1, 3
	ds_store_2addr_b64 v0, v[8:9], v[6:7] offset1:32
	ds_store_2addr_b64 v0, v[4:5], v[2:3] offset0:64 offset1:96
	s_waitcnt vmcnt(0) lgkmcnt(0)
	s_barrier
	buffer_gl0_inv
                                        ; implicit-def: $vgpr4_vgpr5
                                        ; implicit-def: $vgpr2_vgpr3
	v_cmpx_gt_u32_e32 0x80, v53
	s_cbranch_execz .LBB252_54
; %bb.49:
	v_lshlrev_b32_e32 v7, 3, v53
	v_or_b32_e32 v6, s14, v53
	s_mov_b32 s2, s19
	s_mov_b32 s1, exec_lo
	ds_load_2addr_stride64_b64 v[0:3], v7 offset1:2
	s_waitcnt lgkmcnt(0)
	v_add_f64 v[4:5], v[0:1], v[2:3]
	ds_load_2addr_stride64_b64 v[0:3], v7 offset0:4 offset1:6
	s_waitcnt lgkmcnt(0)
	v_add_f64 v[0:1], v[0:1], v[4:5]
	s_delay_alu instid0(VALU_DEP_1) | instskip(SKIP_3) | instid1(VALU_DEP_1)
	v_add_f64 v[4:5], v[2:3], v[0:1]
	ds_load_2addr_stride64_b64 v[0:3], v7 offset0:8 offset1:10
	s_waitcnt lgkmcnt(0)
	v_add_f64 v[0:1], v[0:1], v[4:5]
	v_add_f64 v[4:5], v[2:3], v[0:1]
	ds_load_2addr_stride64_b64 v[0:3], v7 offset0:12 offset1:14
	s_waitcnt lgkmcnt(0)
	v_add_f64 v[0:1], v[0:1], v[4:5]
	s_delay_alu instid0(VALU_DEP_1) | instskip(SKIP_3) | instid1(VALU_DEP_1)
	v_add_f64 v[4:5], v[2:3], v[0:1]
	ds_load_2addr_stride64_b64 v[0:3], v7 offset0:16 offset1:18
	s_waitcnt lgkmcnt(0)
	v_add_f64 v[0:1], v[0:1], v[4:5]
	;; [unrolled: 9-line block ×3, first 2 shown]
	v_add_f64 v[4:5], v[2:3], v[0:1]
	ds_load_2addr_stride64_b64 v[0:3], v7 offset0:28 offset1:30
	s_waitcnt lgkmcnt(0)
	v_add_f64 v[0:1], v[0:1], v[4:5]
                                        ; implicit-def: $vgpr4_vgpr5
	s_delay_alu instid0(VALU_DEP_1)
	v_add_f64 v[0:1], v[2:3], v[0:1]
                                        ; implicit-def: $vgpr2_vgpr3
	ds_store_b64 v7, v[0:1]
	v_cmpx_gt_i32_e64 s8, v6
	s_cbranch_execz .LBB252_53
; %bb.50:
	v_cmp_eq_f64_e64 s2, s[4:5], 0
	v_mul_f64 v[4:5], v[0:1], s[6:7]
	v_mul_lo_u32 v2, v6, s18
	s_delay_alu instid0(VALU_DEP_1) | instskip(NEXT) | instid1(VALU_DEP_4)
	v_ashrrev_i32_e32 v3, 31, v2
	s_and_b32 vcc_lo, exec_lo, s2
	s_cbranch_vccnz .LBB252_52
; %bb.51:
	s_delay_alu instid0(VALU_DEP_1) | instskip(NEXT) | instid1(VALU_DEP_1)
	v_lshlrev_b64 v[0:1], 3, v[2:3]
	v_add_co_u32 v0, vcc_lo, s15, v0
	s_delay_alu instid0(VALU_DEP_2)
	v_add_co_ci_u32_e32 v1, vcc_lo, s17, v1, vcc_lo
	global_load_b64 v[0:1], v[0:1], off
	s_waitcnt vmcnt(0)
	v_fma_f64 v[4:5], v[0:1], s[4:5], v[4:5]
.LBB252_52:
	s_or_b32 s2, s19, exec_lo
.LBB252_53:
	s_or_b32 exec_lo, exec_lo, s1
	s_delay_alu instid0(SALU_CYCLE_1) | instskip(SKIP_1) | instid1(SALU_CYCLE_1)
	s_and_not1_b32 s1, s19, exec_lo
	s_and_b32 s2, s2, exec_lo
	s_or_b32 s19, s1, s2
.LBB252_54:
	s_or_b32 exec_lo, exec_lo, s0
.LBB252_55:
	s_and_saveexec_b32 s0, s19
	s_cbranch_execz .LBB252_57
; %bb.56:
	v_lshlrev_b64 v[0:1], 3, v[2:3]
	s_delay_alu instid0(VALU_DEP_1) | instskip(NEXT) | instid1(VALU_DEP_2)
	v_add_co_u32 v0, vcc_lo, s15, v0
	v_add_co_ci_u32_e32 v1, vcc_lo, s17, v1, vcc_lo
	global_store_b64 v[0:1], v[4:5], off
.LBB252_57:
	s_nop 0
	s_sendmsg sendmsg(MSG_DEALLOC_VGPRS)
	s_endpgm
	.section	.rodata,"a",@progbits
	.p2align	6, 0x0
	.amdhsa_kernel _ZL20rocblas_gemvn_kernelILi32ELi16EiPKddKPdEviiT3_lPKT2_lT1_lS7_lS8_lS4_lPT4_lS8_li
		.amdhsa_group_segment_fixed_size 16384
		.amdhsa_private_segment_fixed_size 0
		.amdhsa_kernarg_size 400
		.amdhsa_user_sgpr_count 14
		.amdhsa_user_sgpr_dispatch_ptr 0
		.amdhsa_user_sgpr_queue_ptr 0
		.amdhsa_user_sgpr_kernarg_segment_ptr 1
		.amdhsa_user_sgpr_dispatch_id 0
		.amdhsa_user_sgpr_private_segment_size 0
		.amdhsa_wavefront_size32 1
		.amdhsa_uses_dynamic_stack 0
		.amdhsa_enable_private_segment 0
		.amdhsa_system_sgpr_workgroup_id_x 1
		.amdhsa_system_sgpr_workgroup_id_y 0
		.amdhsa_system_sgpr_workgroup_id_z 1
		.amdhsa_system_sgpr_workgroup_info 0
		.amdhsa_system_vgpr_workitem_id 1
		.amdhsa_next_free_vgpr 61
		.amdhsa_next_free_sgpr 30
		.amdhsa_reserve_vcc 1
		.amdhsa_float_round_mode_32 0
		.amdhsa_float_round_mode_16_64 0
		.amdhsa_float_denorm_mode_32 3
		.amdhsa_float_denorm_mode_16_64 3
		.amdhsa_dx10_clamp 1
		.amdhsa_ieee_mode 1
		.amdhsa_fp16_overflow 0
		.amdhsa_workgroup_processor_mode 1
		.amdhsa_memory_ordered 1
		.amdhsa_forward_progress 0
		.amdhsa_shared_vgpr_count 0
		.amdhsa_exception_fp_ieee_invalid_op 0
		.amdhsa_exception_fp_denorm_src 0
		.amdhsa_exception_fp_ieee_div_zero 0
		.amdhsa_exception_fp_ieee_overflow 0
		.amdhsa_exception_fp_ieee_underflow 0
		.amdhsa_exception_fp_ieee_inexact 0
		.amdhsa_exception_int_div_zero 0
	.end_amdhsa_kernel
	.section	.text._ZL20rocblas_gemvn_kernelILi32ELi16EiPKddKPdEviiT3_lPKT2_lT1_lS7_lS8_lS4_lPT4_lS8_li,"axG",@progbits,_ZL20rocblas_gemvn_kernelILi32ELi16EiPKddKPdEviiT3_lPKT2_lT1_lS7_lS8_lS4_lPT4_lS8_li,comdat
.Lfunc_end252:
	.size	_ZL20rocblas_gemvn_kernelILi32ELi16EiPKddKPdEviiT3_lPKT2_lT1_lS7_lS8_lS4_lPT4_lS8_li, .Lfunc_end252-_ZL20rocblas_gemvn_kernelILi32ELi16EiPKddKPdEviiT3_lPKT2_lT1_lS7_lS8_lS4_lPT4_lS8_li
                                        ; -- End function
	.section	.AMDGPU.csdata,"",@progbits
; Kernel info:
; codeLenInByte = 3312
; NumSgprs: 32
; NumVgprs: 61
; ScratchSize: 0
; MemoryBound: 0
; FloatMode: 240
; IeeeMode: 1
; LDSByteSize: 16384 bytes/workgroup (compile time only)
; SGPRBlocks: 3
; VGPRBlocks: 7
; NumSGPRsForWavesPerEU: 32
; NumVGPRsForWavesPerEU: 61
; Occupancy: 16
; WaveLimiterHint : 1
; COMPUTE_PGM_RSRC2:SCRATCH_EN: 0
; COMPUTE_PGM_RSRC2:USER_SGPR: 14
; COMPUTE_PGM_RSRC2:TRAP_HANDLER: 0
; COMPUTE_PGM_RSRC2:TGID_X_EN: 1
; COMPUTE_PGM_RSRC2:TGID_Y_EN: 0
; COMPUTE_PGM_RSRC2:TGID_Z_EN: 1
; COMPUTE_PGM_RSRC2:TIDIG_COMP_CNT: 1
	.section	.text._ZL20rocblas_gemvn_kernelILi32ELi16ElPKddKPdEviiT3_lPKT2_lT1_lS7_lS8_lS4_lPT4_lS8_li,"axG",@progbits,_ZL20rocblas_gemvn_kernelILi32ELi16ElPKddKPdEviiT3_lPKT2_lT1_lS7_lS8_lS4_lPT4_lS8_li,comdat
	.globl	_ZL20rocblas_gemvn_kernelILi32ELi16ElPKddKPdEviiT3_lPKT2_lT1_lS7_lS8_lS4_lPT4_lS8_li ; -- Begin function _ZL20rocblas_gemvn_kernelILi32ELi16ElPKddKPdEviiT3_lPKT2_lT1_lS7_lS8_lS4_lPT4_lS8_li
	.p2align	8
	.type	_ZL20rocblas_gemvn_kernelILi32ELi16ElPKddKPdEviiT3_lPKT2_lT1_lS7_lS8_lS4_lPT4_lS8_li,@function
_ZL20rocblas_gemvn_kernelILi32ELi16ElPKddKPdEviiT3_lPKT2_lT1_lS7_lS8_lS4_lPT4_lS8_li: ; @_ZL20rocblas_gemvn_kernelILi32ELi16ElPKddKPdEviiT3_lPKT2_lT1_lS7_lS8_lS4_lPT4_lS8_li
; %bb.0:
	s_load_b64 s[4:5], s[0:1], 0x9c
	s_waitcnt lgkmcnt(0)
	s_lshr_b32 s3, s4, 16
	s_and_b32 s4, s4, 0xffff
	s_and_b32 s5, s5, 0xffff
	s_mul_i32 s3, s3, s4
	s_delay_alu instid0(SALU_CYCLE_1) | instskip(NEXT) | instid1(SALU_CYCLE_1)
	s_mul_i32 s3, s3, s5
	s_cmpk_lg_i32 s3, 0x200
	s_cbranch_scc1 .LBB253_57
; %bb.1:
	s_clause 0x1
	s_load_b64 s[10:11], s[0:1], 0x8
	s_load_b64 s[8:9], s[0:1], 0x58
	s_mov_b32 s2, s15
	s_waitcnt lgkmcnt(0)
	v_cmp_eq_f64_e64 s15, s[10:11], 0
	v_cmp_eq_f64_e64 s3, s[8:9], 1.0
	s_delay_alu instid0(VALU_DEP_1) | instskip(NEXT) | instid1(SALU_CYCLE_1)
	s_and_b32 s3, s15, s3
	s_and_b32 vcc_lo, exec_lo, s3
	s_cbranch_vccnz .LBB253_57
; %bb.2:
	v_cmp_neq_f64_e64 s12, s[10:11], 0
	s_clause 0x1
	s_load_b128 s[4:7], s[0:1], 0x18
	s_load_b64 s[16:17], s[0:1], 0x28
	s_delay_alu instid0(VALU_DEP_1)
	s_and_b32 vcc_lo, exec_lo, s12
	s_cbranch_vccnz .LBB253_4
; %bb.3:
	s_mov_b32 s3, 0
	s_mov_b64 s[18:19], 0
	s_cbranch_execz .LBB253_5
	s_branch .LBB253_6
.LBB253_4:
	s_mov_b32 s3, -1
                                        ; implicit-def: $sgpr18_sgpr19
.LBB253_5:
	s_mov_b32 s3, 0
	s_delay_alu instid0(SALU_CYCLE_1)
	s_lshl_b64 s[18:19], s[2:3], 3
	s_waitcnt lgkmcnt(0)
	s_add_u32 s4, s4, s18
	s_addc_u32 s5, s5, s19
	s_lshl_b64 s[6:7], s[6:7], 3
	s_load_b64 s[4:5], s[4:5], 0x0
	s_waitcnt lgkmcnt(0)
	s_add_u32 s18, s4, s6
	s_addc_u32 s19, s5, s7
.LBB253_6:
	s_waitcnt lgkmcnt(0)
	s_clause 0x1
	s_load_b128 s[4:7], s[0:1], 0x38
	s_load_b64 s[20:21], s[0:1], 0x48
	s_and_not1_b32 vcc_lo, exec_lo, s12
	s_cbranch_vccnz .LBB253_8
; %bb.7:
	s_lshl_b64 s[12:13], s[2:3], 3
	s_waitcnt lgkmcnt(0)
	s_add_u32 s4, s4, s12
	s_addc_u32 s5, s5, s13
	s_lshl_b64 s[6:7], s[6:7], 3
	s_load_b64 s[4:5], s[4:5], 0x0
	s_waitcnt lgkmcnt(0)
	s_add_u32 s22, s4, s6
	s_addc_u32 s23, s5, s7
	s_branch .LBB253_9
.LBB253_8:
	s_mov_b64 s[22:23], 0
.LBB253_9:
	s_load_b128 s[24:27], s[0:1], 0x68
	s_lshl_b64 s[2:3], s[2:3], 3
	v_and_b32_e32 v61, 0x3ff, v0
	v_bfe_u32 v62, v0, 10, 10
	s_delay_alu instid0(VALU_DEP_1)
	v_lshl_add_u32 v60, v62, 5, v61
	s_waitcnt lgkmcnt(0)
	s_add_u32 s2, s24, s2
	s_addc_u32 s3, s25, s3
	s_lshl_b64 s[24:25], s[26:27], 3
	s_load_b64 s[2:3], s[2:3], 0x0
	s_clause 0x1
	s_load_b64 s[12:13], s[0:1], 0x0
	s_load_b64 s[6:7], s[0:1], 0x78
	v_cmp_gt_u32_e64 s0, 0x80, v60
	s_waitcnt lgkmcnt(0)
	s_add_u32 s5, s2, s24
	s_addc_u32 s28, s3, s25
	s_and_not1_b32 vcc_lo, exec_lo, s15
	s_cbranch_vccnz .LBB253_16
; %bb.10:
	s_mov_b32 s1, 0
	s_mov_b32 s29, 0
                                        ; implicit-def: $vgpr2_vgpr3
                                        ; implicit-def: $vgpr0_vgpr1
	s_and_saveexec_b32 s2, s0
	s_cbranch_execz .LBB253_17
; %bb.11:
	v_lshl_or_b32 v4, s14, 7, v60
	v_mov_b32_e32 v5, 0
	s_ashr_i32 s25, s12, 31
	s_mov_b32 s24, s12
	s_mov_b32 s3, 0
	s_mov_b32 s0, exec_lo
                                        ; implicit-def: $vgpr2_vgpr3
                                        ; implicit-def: $vgpr0_vgpr1
	v_cmpx_gt_i64_e64 s[24:25], v[4:5]
	s_cbranch_execz .LBB253_15
; %bb.12:
	v_cmp_eq_f64_e64 s3, s[8:9], 0
	v_mad_u64_u32 v[0:1], null, v4, s6, 0
	s_delay_alu instid0(VALU_DEP_1) | instskip(NEXT) | instid1(VALU_DEP_1)
	v_mad_u64_u32 v[2:3], null, v4, s7, v[1:2]
	v_dual_mov_b32 v1, v2 :: v_dual_mov_b32 v2, 0
	v_mov_b32_e32 v3, 0
	s_and_b32 vcc_lo, exec_lo, s3
	s_cbranch_vccnz .LBB253_14
; %bb.13:
	s_delay_alu instid0(VALU_DEP_2) | instskip(NEXT) | instid1(VALU_DEP_1)
	v_lshlrev_b64 v[2:3], 3, v[0:1]
	v_add_co_u32 v2, vcc_lo, s5, v2
	s_delay_alu instid0(VALU_DEP_2)
	v_add_co_ci_u32_e32 v3, vcc_lo, s28, v3, vcc_lo
	global_load_b64 v[2:3], v[2:3], off
	s_waitcnt vmcnt(0)
	v_mul_f64 v[2:3], v[2:3], s[8:9]
.LBB253_14:
	s_mov_b32 s3, exec_lo
.LBB253_15:
	s_or_b32 exec_lo, exec_lo, s0
	s_delay_alu instid0(SALU_CYCLE_1) | instskip(SKIP_1) | instid1(SALU_CYCLE_1)
	s_and_b32 s29, s3, exec_lo
	s_or_b32 exec_lo, exec_lo, s2
	s_and_b32 vcc_lo, exec_lo, s1
	s_cbranch_vccnz .LBB253_18
	s_branch .LBB253_55
.LBB253_16:
	s_mov_b32 s29, 0
                                        ; implicit-def: $vgpr2_vgpr3
                                        ; implicit-def: $vgpr0_vgpr1
	s_cbranch_execnz .LBB253_18
	s_branch .LBB253_55
.LBB253_17:
	s_or_b32 exec_lo, exec_lo, s2
	s_delay_alu instid0(SALU_CYCLE_1)
	s_and_b32 vcc_lo, exec_lo, s1
	s_cbranch_vccz .LBB253_55
.LBB253_18:
	v_dual_mov_b32 v8, 0 :: v_dual_lshlrev_b32 v63, 2, v62
	s_lshl_b32 s30, s14, 7
	s_delay_alu instid0(SALU_CYCLE_1) | instskip(SKIP_1) | instid1(VALU_DEP_2)
	v_dual_mov_b32 v9, 0 :: v_dual_add_nc_u32 v0, s30, v61
	s_ashr_i32 s0, s13, 31
	v_mov_b32_e32 v6, v8
	s_lshr_b32 s0, s0, 26
	s_delay_alu instid0(VALU_DEP_2)
	v_dual_mov_b32 v7, v9 :: v_dual_mov_b32 v4, v8
	v_dual_mov_b32 v5, v9 :: v_dual_mov_b32 v2, v8
	v_mov_b32_e32 v3, v9
	s_add_i32 s31, s13, s0
	s_mov_b32 s33, exec_lo
	s_and_not1_b32 s31, s31, 63
	s_delay_alu instid0(SALU_CYCLE_1)
	v_cmpx_gt_i32_e64 s31, v63
	s_cbranch_execz .LBB253_30
; %bb.19:
	v_lshlrev_b32_e32 v25, 2, v62
	v_mad_u64_u32 v[4:5], null, s20, v62, 0
	v_mad_u64_u32 v[6:7], null, s16, v62, 0
	s_delay_alu instid0(VALU_DEP_3)
	v_or_b32_e32 v22, 3, v25
	v_ashrrev_i32_e32 v1, 31, v0
	v_add_nc_u32_e32 v8, 32, v0
	v_add_nc_u32_e32 v10, 0x60, v0
	v_or_b32_e32 v26, 2, v25
	v_mad_u64_u32 v[2:3], null, s16, v22, 0
	v_mad_u64_u32 v[16:17], null, s20, v22, 0
	v_add_nc_u32_e32 v9, 64, v0
	v_cmp_gt_i32_e64 s2, s12, v10
	v_lshlrev_b64 v[10:11], 3, v[0:1]
	v_mov_b32_e32 v1, v7
	v_cmp_gt_i32_e64 s0, s12, v8
	v_cmp_gt_i32_e64 s1, s12, v9
	v_mad_u64_u32 v[8:9], null, s17, v22, v[3:4]
	v_mad_u64_u32 v[12:13], null, s21, v62, v[5:6]
	;; [unrolled: 1-line block ×4, first 2 shown]
	s_delay_alu instid0(VALU_DEP_4)
	v_mov_b32_e32 v3, v8
	v_cmp_gt_i32_e32 vcc_lo, s12, v0
	v_mov_b32_e32 v5, v12
	s_lshl_b64 s[14:15], s[16:17], 9
	v_mov_b32_e32 v7, v13
	v_lshlrev_b64 v[1:2], 3, v[2:3]
	s_lshl_b64 s[24:25], s[20:21], 9
	v_lshlrev_b64 v[12:13], 5, v[4:5]
	s_mov_b32 s34, 0
	s_mov_b64 s[26:27], s[22:23]
	s_delay_alu instid0(VALU_DEP_2) | instskip(NEXT) | instid1(VALU_DEP_1)
	v_add_co_u32 v1, s3, s18, v1
	v_add_co_ci_u32_e64 v64, s3, s19, v2, s3
	v_mov_b32_e32 v2, v15
	v_mad_u64_u32 v[8:9], null, s20, v25, s[20:21]
	v_mad_u64_u32 v[4:5], null, s16, v25, s[16:17]
	s_delay_alu instid0(VALU_DEP_2) | instskip(NEXT) | instid1(VALU_DEP_1)
	v_mov_b32_e32 v3, v9
	v_mad_u64_u32 v[18:19], null, s17, v26, v[2:3]
	v_mov_b32_e32 v2, v17
	s_delay_alu instid0(VALU_DEP_4) | instskip(NEXT) | instid1(VALU_DEP_2)
	v_mad_u64_u32 v[19:20], null, s21, v25, v[3:4]
	v_mad_u64_u32 v[20:21], null, s21, v22, v[2:3]
	;; [unrolled: 1-line block ×3, first 2 shown]
	v_dual_mov_b32 v2, v5 :: v_dual_mov_b32 v15, v18
	s_delay_alu instid0(VALU_DEP_4) | instskip(NEXT) | instid1(VALU_DEP_4)
	v_mov_b32_e32 v9, v19
	v_mov_b32_e32 v17, v20
	s_delay_alu instid0(VALU_DEP_3) | instskip(SKIP_1) | instid1(VALU_DEP_3)
	v_mad_u64_u32 v[23:24], null, s17, v25, v[2:3]
	v_mov_b32_e32 v2, v22
	v_lshlrev_b64 v[16:17], 3, v[16:17]
	s_delay_alu instid0(VALU_DEP_2) | instskip(NEXT) | instid1(VALU_DEP_1)
	v_mad_u64_u32 v[18:19], null, s21, v26, v[2:3]
	v_mov_b32_e32 v22, v18
	v_lshlrev_b64 v[6:7], 5, v[6:7]
	s_delay_alu instid0(VALU_DEP_2) | instskip(NEXT) | instid1(VALU_DEP_2)
	v_lshlrev_b64 v[18:19], 3, v[21:22]
	v_add_co_u32 v65, s3, s18, v6
	s_delay_alu instid0(VALU_DEP_1)
	v_add_co_ci_u32_e64 v66, s3, s19, v7, s3
	v_lshlrev_b64 v[6:7], 3, v[14:15]
	v_lshlrev_b64 v[14:15], 3, v[8:9]
	v_mov_b32_e32 v8, 0
	v_mov_b32_e32 v9, 0
	;; [unrolled: 1-line block ×3, first 2 shown]
	v_add_co_u32 v67, s3, s18, v6
	s_delay_alu instid0(VALU_DEP_1) | instskip(SKIP_1) | instid1(VALU_DEP_4)
	v_add_co_ci_u32_e64 v68, s3, s19, v7, s3
	v_mov_b32_e32 v6, v8
	v_lshlrev_b64 v[2:3], 3, v[4:5]
	v_dual_mov_b32 v7, v9 :: v_dual_mov_b32 v4, v8
	v_mov_b32_e32 v5, v9
	s_delay_alu instid0(VALU_DEP_3) | instskip(NEXT) | instid1(VALU_DEP_1)
	v_add_co_u32 v69, s3, s18, v2
	v_add_co_ci_u32_e64 v70, s3, s19, v3, s3
	v_dual_mov_b32 v2, v8 :: v_dual_mov_b32 v3, v9
	s_branch .LBB253_24
.LBB253_20:                             ;   in Loop: Header=BB253_24 Depth=1
	s_or_b32 exec_lo, exec_lo, s36
	s_waitcnt vmcnt(3) lgkmcnt(3)
	v_fma_f64 v[4:5], v[20:21], v[52:53], v[4:5]
	s_waitcnt vmcnt(2) lgkmcnt(2)
	s_delay_alu instid0(VALU_DEP_1) | instskip(SKIP_1) | instid1(VALU_DEP_1)
	v_fma_f64 v[4:5], v[22:23], v[54:55], v[4:5]
	s_waitcnt vmcnt(1) lgkmcnt(1)
	v_fma_f64 v[4:5], v[24:25], v[56:57], v[4:5]
	s_waitcnt vmcnt(0) lgkmcnt(0)
	s_delay_alu instid0(VALU_DEP_1)
	v_fma_f64 v[4:5], v[26:27], v[58:59], v[4:5]
.LBB253_21:                             ;   in Loop: Header=BB253_24 Depth=1
	s_or_b32 exec_lo, exec_lo, s35
	s_waitcnt vmcnt(3) lgkmcnt(3)
	v_fma_f64 v[6:7], v[20:21], v[44:45], v[6:7]
	s_waitcnt vmcnt(2) lgkmcnt(2)
	s_delay_alu instid0(VALU_DEP_1) | instskip(SKIP_1) | instid1(VALU_DEP_1)
	v_fma_f64 v[6:7], v[22:23], v[46:47], v[6:7]
	s_waitcnt vmcnt(1) lgkmcnt(1)
	v_fma_f64 v[6:7], v[24:25], v[48:49], v[6:7]
	s_waitcnt vmcnt(0) lgkmcnt(0)
	s_delay_alu instid0(VALU_DEP_1)
	v_fma_f64 v[6:7], v[26:27], v[50:51], v[6:7]
.LBB253_22:                             ;   in Loop: Header=BB253_24 Depth=1
	s_or_b32 exec_lo, exec_lo, s3
	s_waitcnt vmcnt(3) lgkmcnt(3)
	v_fma_f64 v[8:9], v[20:21], v[28:29], v[8:9]
	s_waitcnt vmcnt(2) lgkmcnt(2)
	s_delay_alu instid0(VALU_DEP_1) | instskip(SKIP_1) | instid1(VALU_DEP_1)
	v_fma_f64 v[8:9], v[22:23], v[30:31], v[8:9]
	s_waitcnt vmcnt(1) lgkmcnt(1)
	v_fma_f64 v[8:9], v[24:25], v[32:33], v[8:9]
	s_waitcnt vmcnt(0) lgkmcnt(0)
	s_delay_alu instid0(VALU_DEP_1)
	v_fma_f64 v[8:9], v[26:27], v[34:35], v[8:9]
.LBB253_23:                             ;   in Loop: Header=BB253_24 Depth=1
	s_or_b32 exec_lo, exec_lo, s4
	v_add_co_u32 v1, s3, v1, s14
	s_delay_alu instid0(VALU_DEP_1) | instskip(SKIP_4) | instid1(VALU_DEP_1)
	v_add_co_ci_u32_e64 v64, s3, s15, v64, s3
	v_add_co_u32 v65, s3, v65, s14
	v_add_nc_u32_e32 v63, 64, v63
	v_add_co_ci_u32_e64 v66, s3, s15, v66, s3
	v_add_co_u32 v67, s3, v67, s14
	v_add_co_ci_u32_e64 v68, s3, s15, v68, s3
	s_delay_alu instid0(VALU_DEP_4) | instskip(SKIP_1) | instid1(VALU_DEP_1)
	v_cmp_le_i32_e64 s3, s31, v63
	v_add_co_u32 v69, s4, v69, s14
	v_add_co_ci_u32_e64 v70, s4, s15, v70, s4
	s_add_u32 s26, s26, s24
	s_addc_u32 s27, s27, s25
	s_or_b32 s34, s3, s34
	s_delay_alu instid0(SALU_CYCLE_1)
	s_and_not1_b32 exec_lo, exec_lo, s34
	s_cbranch_execz .LBB253_29
.LBB253_24:                             ; =>This Inner Loop Header: Depth=1
	s_and_saveexec_b32 s4, vcc_lo
	s_cbranch_execz .LBB253_23
; %bb.25:                               ;   in Loop: Header=BB253_24 Depth=1
	v_add_co_u32 v20, s3, s26, v12
	s_delay_alu instid0(VALU_DEP_1) | instskip(SKIP_1) | instid1(VALU_DEP_1)
	v_add_co_ci_u32_e64 v21, s3, s27, v13, s3
	v_add_co_u32 v22, s3, s26, v14
	v_add_co_ci_u32_e64 v23, s3, s27, v15, s3
	v_add_co_u32 v24, s3, s26, v18
	s_delay_alu instid0(VALU_DEP_1) | instskip(SKIP_1) | instid1(VALU_DEP_1)
	v_add_co_ci_u32_e64 v25, s3, s27, v19, s3
	v_add_co_u32 v26, s3, s26, v16
	v_add_co_ci_u32_e64 v27, s3, s27, v17, s3
	;; [unrolled: 5-line block ×4, first 2 shown]
	s_clause 0x3
	flat_load_b64 v[20:21], v[20:21]
	flat_load_b64 v[22:23], v[22:23]
	;; [unrolled: 1-line block ×8, first 2 shown]
	s_and_saveexec_b32 s3, s0
	s_cbranch_execz .LBB253_22
; %bb.26:                               ;   in Loop: Header=BB253_24 Depth=1
	flat_load_b64 v[44:45], v[36:37] offset:256
	flat_load_b64 v[46:47], v[38:39] offset:256
	flat_load_b64 v[48:49], v[40:41] offset:256
	flat_load_b64 v[50:51], v[42:43] offset:256
	s_and_saveexec_b32 s35, s1
	s_cbranch_execz .LBB253_21
; %bb.27:                               ;   in Loop: Header=BB253_24 Depth=1
	flat_load_b64 v[52:53], v[36:37] offset:512
	flat_load_b64 v[54:55], v[38:39] offset:512
	flat_load_b64 v[56:57], v[40:41] offset:512
	flat_load_b64 v[58:59], v[42:43] offset:512
	;; [unrolled: 7-line block ×3, first 2 shown]
	s_waitcnt vmcnt(3) lgkmcnt(3)
	v_fma_f64 v[2:3], v[20:21], v[36:37], v[2:3]
	s_waitcnt vmcnt(2) lgkmcnt(2)
	s_delay_alu instid0(VALU_DEP_1) | instskip(SKIP_1) | instid1(VALU_DEP_1)
	v_fma_f64 v[2:3], v[22:23], v[38:39], v[2:3]
	s_waitcnt vmcnt(1) lgkmcnt(1)
	v_fma_f64 v[2:3], v[24:25], v[40:41], v[2:3]
	s_waitcnt vmcnt(0) lgkmcnt(0)
	s_delay_alu instid0(VALU_DEP_1)
	v_fma_f64 v[2:3], v[26:27], v[42:43], v[2:3]
	s_branch .LBB253_20
.LBB253_29:
	s_or_b32 exec_lo, exec_lo, s34
.LBB253_30:
	s_delay_alu instid0(SALU_CYCLE_1) | instskip(SKIP_1) | instid1(SALU_CYCLE_1)
	s_or_b32 exec_lo, exec_lo, s33
	s_sub_i32 s0, s13, s31
	s_cmp_lt_i32 s0, 1
	s_cbranch_scc1 .LBB253_48
; %bb.31:
	v_mov_b32_e32 v14, 0
	v_mov_b32_e32 v15, 0
	v_cmp_gt_i32_e32 vcc_lo, s13, v63
	v_or_b32_e32 v20, 1, v63
	s_delay_alu instid0(VALU_DEP_4) | instskip(NEXT) | instid1(VALU_DEP_4)
	v_mov_b32_e32 v12, v14
	v_dual_mov_b32 v10, v14 :: v_dual_mov_b32 v11, v15
	v_dual_mov_b32 v17, v15 :: v_dual_mov_b32 v16, v14
	v_mov_b32_e32 v13, v15
	s_and_saveexec_b32 s1, vcc_lo
	s_cbranch_execz .LBB253_39
; %bb.32:
	v_mad_u64_u32 v[10:11], null, v63, s20, 0
	s_mov_b32 s2, exec_lo
	s_delay_alu instid0(VALU_DEP_1) | instskip(NEXT) | instid1(VALU_DEP_1)
	v_mov_b32_e32 v1, v11
	v_mad_u64_u32 v[11:12], null, v63, s21, v[1:2]
	v_mov_b32_e32 v12, 0
	v_mov_b32_e32 v13, 0
	s_delay_alu instid0(VALU_DEP_1) | instskip(NEXT) | instid1(VALU_DEP_4)
	v_dual_mov_b32 v17, v13 :: v_dual_mov_b32 v16, v12
	v_lshlrev_b64 v[10:11], 3, v[10:11]
	v_dual_mov_b32 v15, v13 :: v_dual_mov_b32 v14, v12
	s_delay_alu instid0(VALU_DEP_2) | instskip(NEXT) | instid1(VALU_DEP_1)
	v_add_co_u32 v10, s0, s22, v10
	v_add_co_ci_u32_e64 v11, s0, s23, v11, s0
	flat_load_b64 v[10:11], v[10:11]
	v_cmpx_gt_i32_e64 s13, v20
	s_cbranch_execz .LBB253_38
; %bb.33:
	v_mad_u64_u32 v[12:13], null, v20, s20, 0
	s_mov_b32 s3, exec_lo
	v_mov_b32_e32 v16, 0
	v_mov_b32_e32 v17, 0
	s_delay_alu instid0(VALU_DEP_3) | instskip(NEXT) | instid1(VALU_DEP_1)
	v_mov_b32_e32 v1, v13
	v_mad_u64_u32 v[13:14], null, v20, s21, v[1:2]
	v_or_b32_e32 v1, 2, v63
	s_delay_alu instid0(VALU_DEP_4) | instskip(NEXT) | instid1(VALU_DEP_3)
	v_dual_mov_b32 v14, v16 :: v_dual_mov_b32 v15, v17
	v_lshlrev_b64 v[12:13], 3, v[12:13]
	s_delay_alu instid0(VALU_DEP_1) | instskip(NEXT) | instid1(VALU_DEP_1)
	v_add_co_u32 v12, s0, s22, v12
	v_add_co_ci_u32_e64 v13, s0, s23, v13, s0
	flat_load_b64 v[12:13], v[12:13]
	v_cmpx_gt_i32_e64 s13, v1
	s_cbranch_execz .LBB253_37
; %bb.34:
	v_mad_u64_u32 v[14:15], null, v1, s20, 0
	s_mov_b32 s4, exec_lo
	s_delay_alu instid0(VALU_DEP_1) | instskip(SKIP_1) | instid1(VALU_DEP_2)
	v_mad_u64_u32 v[16:17], null, v1, s21, v[15:16]
	v_or_b32_e32 v1, 3, v63
	v_mov_b32_e32 v15, v16
	s_delay_alu instid0(VALU_DEP_1) | instskip(NEXT) | instid1(VALU_DEP_1)
	v_lshlrev_b64 v[14:15], 3, v[14:15]
	v_add_co_u32 v14, s0, s22, v14
	s_delay_alu instid0(VALU_DEP_1)
	v_add_co_ci_u32_e64 v15, s0, s23, v15, s0
	flat_load_b64 v[16:17], v[14:15]
	v_mov_b32_e32 v14, 0
	v_mov_b32_e32 v15, 0
	v_cmpx_gt_i32_e64 s13, v1
	s_cbranch_execz .LBB253_36
; %bb.35:
	v_mad_u64_u32 v[14:15], null, v1, s20, 0
	s_waitcnt vmcnt(0) lgkmcnt(0)
	s_delay_alu instid0(VALU_DEP_1) | instskip(NEXT) | instid1(VALU_DEP_1)
	v_mad_u64_u32 v[18:19], null, v1, s21, v[15:16]
	v_mov_b32_e32 v15, v18
	s_delay_alu instid0(VALU_DEP_1) | instskip(NEXT) | instid1(VALU_DEP_1)
	v_lshlrev_b64 v[14:15], 3, v[14:15]
	v_add_co_u32 v14, s0, s22, v14
	s_delay_alu instid0(VALU_DEP_1)
	v_add_co_ci_u32_e64 v15, s0, s23, v15, s0
	flat_load_b64 v[14:15], v[14:15]
.LBB253_36:
	s_or_b32 exec_lo, exec_lo, s4
.LBB253_37:
	s_delay_alu instid0(SALU_CYCLE_1)
	s_or_b32 exec_lo, exec_lo, s3
.LBB253_38:
	s_delay_alu instid0(SALU_CYCLE_1)
	s_or_b32 exec_lo, exec_lo, s2
.LBB253_39:
	s_delay_alu instid0(SALU_CYCLE_1) | instskip(NEXT) | instid1(SALU_CYCLE_1)
	s_or_b32 exec_lo, exec_lo, s1
	s_mov_b32 s1, exec_lo
	v_cmpx_gt_i32_e64 s12, v0
	s_cbranch_execz .LBB253_47
; %bb.40:
	v_mad_u64_u32 v[18:19], null, v63, s16, 0
	v_mad_u64_u32 v[24:25], null, v20, s16, 0
	v_or_b32_e32 v27, 2, v63
	v_or_b32_e32 v36, 3, v63
	s_mov_b32 s0, exec_lo
	s_delay_alu instid0(VALU_DEP_4) | instskip(NEXT) | instid1(VALU_DEP_1)
	v_dual_mov_b32 v1, v19 :: v_dual_cndmask_b32 v18, 0, v18
	v_mad_u64_u32 v[21:22], null, v63, s17, v[1:2]
	v_ashrrev_i32_e32 v1, 31, v0
	s_delay_alu instid0(VALU_DEP_1) | instskip(NEXT) | instid1(VALU_DEP_3)
	v_lshlrev_b64 v[22:23], 3, v[0:1]
	v_cndmask_b32_e32 v19, 0, v21, vcc_lo
	s_delay_alu instid0(VALU_DEP_1) | instskip(NEXT) | instid1(VALU_DEP_1)
	v_lshlrev_b64 v[18:19], 3, v[18:19]
	v_add_co_u32 v1, vcc_lo, s18, v18
	s_delay_alu instid0(VALU_DEP_2) | instskip(NEXT) | instid1(VALU_DEP_2)
	v_add_co_ci_u32_e32 v19, vcc_lo, s19, v19, vcc_lo
	v_add_co_u32 v18, vcc_lo, v1, v22
	s_delay_alu instid0(VALU_DEP_2) | instskip(SKIP_4) | instid1(VALU_DEP_1)
	v_add_co_ci_u32_e32 v19, vcc_lo, v19, v23, vcc_lo
	v_mov_b32_e32 v1, v25
	v_cmp_gt_i32_e32 vcc_lo, s13, v20
	flat_load_b64 v[28:29], v[18:19]
	v_mad_u64_u32 v[25:26], null, v20, s17, v[1:2]
	v_dual_cndmask_b32 v20, 0, v24 :: v_dual_cndmask_b32 v21, 0, v25
	v_mad_u64_u32 v[24:25], null, v27, s16, 0
	s_delay_alu instid0(VALU_DEP_2) | instskip(NEXT) | instid1(VALU_DEP_1)
	v_lshlrev_b64 v[20:21], 3, v[20:21]
	v_add_co_u32 v1, vcc_lo, s18, v20
	s_delay_alu instid0(VALU_DEP_2) | instskip(NEXT) | instid1(VALU_DEP_2)
	v_add_co_ci_u32_e32 v21, vcc_lo, s19, v21, vcc_lo
	v_add_co_u32 v20, vcc_lo, v1, v22
	s_delay_alu instid0(VALU_DEP_2)
	v_add_co_ci_u32_e32 v21, vcc_lo, v21, v23, vcc_lo
	v_mov_b32_e32 v1, v25
	v_cmp_gt_i32_e32 vcc_lo, s13, v27
	flat_load_b64 v[30:31], v[20:21]
	v_mad_u64_u32 v[25:26], null, v27, s17, v[1:2]
	v_cndmask_b32_e32 v24, 0, v24, vcc_lo
	v_mad_u64_u32 v[26:27], null, v36, s16, 0
	s_delay_alu instid0(VALU_DEP_3) | instskip(NEXT) | instid1(VALU_DEP_1)
	v_cndmask_b32_e32 v25, 0, v25, vcc_lo
	v_lshlrev_b64 v[24:25], 3, v[24:25]
	s_delay_alu instid0(VALU_DEP_1) | instskip(NEXT) | instid1(VALU_DEP_2)
	v_add_co_u32 v1, vcc_lo, s18, v24
	v_add_co_ci_u32_e32 v25, vcc_lo, s19, v25, vcc_lo
	s_delay_alu instid0(VALU_DEP_2) | instskip(NEXT) | instid1(VALU_DEP_2)
	v_add_co_u32 v24, vcc_lo, v1, v22
	v_add_co_ci_u32_e32 v25, vcc_lo, v25, v23, vcc_lo
	v_mov_b32_e32 v1, v27
	v_cmp_gt_i32_e32 vcc_lo, s13, v36
	flat_load_b64 v[32:33], v[24:25]
	v_mad_u64_u32 v[34:35], null, v36, s17, v[1:2]
	v_cndmask_b32_e32 v26, 0, v26, vcc_lo
	s_delay_alu instid0(VALU_DEP_2) | instskip(NEXT) | instid1(VALU_DEP_1)
	v_cndmask_b32_e32 v27, 0, v34, vcc_lo
	v_lshlrev_b64 v[26:27], 3, v[26:27]
	s_delay_alu instid0(VALU_DEP_1) | instskip(NEXT) | instid1(VALU_DEP_2)
	v_add_co_u32 v1, vcc_lo, s18, v26
	v_add_co_ci_u32_e32 v27, vcc_lo, s19, v27, vcc_lo
	s_delay_alu instid0(VALU_DEP_2) | instskip(NEXT) | instid1(VALU_DEP_2)
	v_add_co_u32 v26, vcc_lo, v1, v22
	v_add_co_ci_u32_e32 v27, vcc_lo, v27, v23, vcc_lo
	v_add_nc_u32_e32 v1, 32, v0
	flat_load_b64 v[22:23], v[26:27]
	s_waitcnt vmcnt(3) lgkmcnt(3)
	v_fma_f64 v[8:9], v[10:11], v[28:29], v[8:9]
	s_waitcnt vmcnt(2) lgkmcnt(2)
	s_delay_alu instid0(VALU_DEP_1) | instskip(SKIP_1) | instid1(VALU_DEP_1)
	v_fma_f64 v[8:9], v[12:13], v[30:31], v[8:9]
	s_waitcnt vmcnt(1) lgkmcnt(1)
	v_fma_f64 v[8:9], v[16:17], v[32:33], v[8:9]
	v_cmpx_gt_i32_e64 s12, v1
	s_cbranch_execz .LBB253_46
; %bb.41:
	s_clause 0x3
	flat_load_b64 v[30:31], v[18:19] offset:256
	flat_load_b64 v[32:33], v[20:21] offset:256
	;; [unrolled: 1-line block ×4, first 2 shown]
	v_add_nc_u32_e32 v1, 64, v0
	s_mov_b32 s2, exec_lo
	s_waitcnt vmcnt(3) lgkmcnt(3)
	v_fma_f64 v[6:7], v[10:11], v[30:31], v[6:7]
	s_waitcnt vmcnt(2) lgkmcnt(2)
	s_delay_alu instid0(VALU_DEP_1) | instskip(SKIP_1) | instid1(VALU_DEP_1)
	v_fma_f64 v[6:7], v[12:13], v[32:33], v[6:7]
	s_waitcnt vmcnt(1) lgkmcnt(1)
	v_fma_f64 v[6:7], v[16:17], v[34:35], v[6:7]
	v_cmpx_gt_i32_e64 s12, v1
	s_cbranch_execz .LBB253_45
; %bb.42:
	s_clause 0x3
	flat_load_b64 v[32:33], v[18:19] offset:512
	flat_load_b64 v[34:35], v[20:21] offset:512
	;; [unrolled: 1-line block ×4, first 2 shown]
	v_add_nc_u32_e32 v0, 0x60, v0
	s_mov_b32 s3, exec_lo
	s_waitcnt vmcnt(3) lgkmcnt(3)
	v_fma_f64 v[4:5], v[10:11], v[32:33], v[4:5]
	s_waitcnt vmcnt(2) lgkmcnt(2)
	s_delay_alu instid0(VALU_DEP_1) | instskip(SKIP_1) | instid1(VALU_DEP_1)
	v_fma_f64 v[4:5], v[12:13], v[34:35], v[4:5]
	s_waitcnt vmcnt(1) lgkmcnt(1)
	v_fma_f64 v[4:5], v[16:17], v[36:37], v[4:5]
	v_cmpx_gt_i32_e64 s12, v0
	s_cbranch_execz .LBB253_44
; %bb.43:
	s_clause 0x3
	flat_load_b64 v[0:1], v[18:19] offset:768
	flat_load_b64 v[18:19], v[20:21] offset:768
	;; [unrolled: 1-line block ×4, first 2 shown]
	s_waitcnt vmcnt(3) lgkmcnt(3)
	v_fma_f64 v[0:1], v[10:11], v[0:1], v[2:3]
	s_waitcnt vmcnt(2) lgkmcnt(2)
	s_delay_alu instid0(VALU_DEP_1) | instskip(SKIP_1) | instid1(VALU_DEP_1)
	v_fma_f64 v[0:1], v[12:13], v[18:19], v[0:1]
	s_waitcnt vmcnt(1) lgkmcnt(1)
	v_fma_f64 v[0:1], v[16:17], v[20:21], v[0:1]
	s_waitcnt vmcnt(0) lgkmcnt(0)
	s_delay_alu instid0(VALU_DEP_1)
	v_fma_f64 v[2:3], v[14:15], v[24:25], v[0:1]
.LBB253_44:
	s_or_b32 exec_lo, exec_lo, s3
	s_waitcnt vmcnt(0) lgkmcnt(0)
	s_delay_alu instid0(VALU_DEP_2)
	v_fma_f64 v[4:5], v[14:15], v[30:31], v[4:5]
.LBB253_45:
	s_or_b32 exec_lo, exec_lo, s2
	s_waitcnt vmcnt(0) lgkmcnt(0)
	s_delay_alu instid0(VALU_DEP_2)
	v_fma_f64 v[6:7], v[14:15], v[28:29], v[6:7]
.LBB253_46:
	s_or_b32 exec_lo, exec_lo, s0
	s_waitcnt vmcnt(0) lgkmcnt(0)
	s_delay_alu instid0(VALU_DEP_2)
	v_fma_f64 v[8:9], v[14:15], v[22:23], v[8:9]
.LBB253_47:
	s_or_b32 exec_lo, exec_lo, s1
.LBB253_48:
	v_lshlrev_b32_e32 v0, 7, v62
	s_mov_b32 s0, exec_lo
	s_delay_alu instid0(VALU_DEP_1)
	v_add_lshl_u32 v0, v0, v61, 3
	ds_store_2addr_b64 v0, v[8:9], v[6:7] offset1:32
	ds_store_2addr_b64 v0, v[4:5], v[2:3] offset0:64 offset1:96
	s_waitcnt vmcnt(0) lgkmcnt(0)
	s_barrier
	buffer_gl0_inv
                                        ; implicit-def: $vgpr2_vgpr3
                                        ; implicit-def: $vgpr0_vgpr1
	v_cmpx_gt_u32_e32 0x80, v60
	s_cbranch_execz .LBB253_54
; %bb.49:
	v_lshlrev_b32_e32 v7, 3, v60
	v_or_b32_e32 v6, s30, v60
	s_mov_b32 s2, s29
	s_mov_b32 s1, exec_lo
	ds_load_2addr_stride64_b64 v[0:3], v7 offset1:2
	s_waitcnt lgkmcnt(0)
	v_add_f64 v[4:5], v[0:1], v[2:3]
	ds_load_2addr_stride64_b64 v[0:3], v7 offset0:4 offset1:6
	s_waitcnt lgkmcnt(0)
	v_add_f64 v[0:1], v[0:1], v[4:5]
	s_delay_alu instid0(VALU_DEP_1) | instskip(SKIP_3) | instid1(VALU_DEP_1)
	v_add_f64 v[4:5], v[2:3], v[0:1]
	ds_load_2addr_stride64_b64 v[0:3], v7 offset0:8 offset1:10
	s_waitcnt lgkmcnt(0)
	v_add_f64 v[0:1], v[0:1], v[4:5]
	v_add_f64 v[4:5], v[2:3], v[0:1]
	ds_load_2addr_stride64_b64 v[0:3], v7 offset0:12 offset1:14
	s_waitcnt lgkmcnt(0)
	v_add_f64 v[0:1], v[0:1], v[4:5]
	s_delay_alu instid0(VALU_DEP_1) | instskip(SKIP_3) | instid1(VALU_DEP_1)
	v_add_f64 v[4:5], v[2:3], v[0:1]
	ds_load_2addr_stride64_b64 v[0:3], v7 offset0:16 offset1:18
	s_waitcnt lgkmcnt(0)
	v_add_f64 v[0:1], v[0:1], v[4:5]
	;; [unrolled: 9-line block ×3, first 2 shown]
	v_add_f64 v[4:5], v[2:3], v[0:1]
	ds_load_2addr_stride64_b64 v[0:3], v7 offset0:28 offset1:30
	s_waitcnt lgkmcnt(0)
	v_add_f64 v[0:1], v[0:1], v[4:5]
	s_delay_alu instid0(VALU_DEP_1)
	v_add_f64 v[4:5], v[2:3], v[0:1]
                                        ; implicit-def: $vgpr2_vgpr3
                                        ; implicit-def: $vgpr0_vgpr1
	ds_store_b64 v7, v[4:5]
	v_cmpx_gt_i32_e64 s12, v6
	s_cbranch_execz .LBB253_53
; %bb.50:
	v_cmp_eq_f64_e64 s2, s[8:9], 0
	v_mul_f64 v[2:3], v[4:5], s[10:11]
	v_ashrrev_i32_e32 v0, 31, v6
	v_mul_lo_u32 v4, v6, s7
	s_delay_alu instid0(VALU_DEP_2) | instskip(SKIP_1) | instid1(VALU_DEP_1)
	v_mul_lo_u32 v5, v0, s6
	v_mad_u64_u32 v[0:1], null, v6, s6, 0
	v_add3_u32 v1, v1, v4, v5
	s_and_b32 vcc_lo, exec_lo, s2
	s_cbranch_vccnz .LBB253_52
; %bb.51:
	s_delay_alu instid0(VALU_DEP_1) | instskip(NEXT) | instid1(VALU_DEP_1)
	v_lshlrev_b64 v[4:5], 3, v[0:1]
	v_add_co_u32 v4, vcc_lo, s5, v4
	s_delay_alu instid0(VALU_DEP_2)
	v_add_co_ci_u32_e32 v5, vcc_lo, s28, v5, vcc_lo
	global_load_b64 v[4:5], v[4:5], off
	s_waitcnt vmcnt(0)
	v_fma_f64 v[2:3], v[4:5], s[8:9], v[2:3]
.LBB253_52:
	s_or_b32 s2, s29, exec_lo
.LBB253_53:
	s_or_b32 exec_lo, exec_lo, s1
	s_delay_alu instid0(SALU_CYCLE_1) | instskip(SKIP_1) | instid1(SALU_CYCLE_1)
	s_and_not1_b32 s1, s29, exec_lo
	s_and_b32 s2, s2, exec_lo
	s_or_b32 s29, s1, s2
.LBB253_54:
	s_or_b32 exec_lo, exec_lo, s0
.LBB253_55:
	s_and_saveexec_b32 s0, s29
	s_cbranch_execz .LBB253_57
; %bb.56:
	v_lshlrev_b64 v[0:1], 3, v[0:1]
	s_delay_alu instid0(VALU_DEP_1) | instskip(NEXT) | instid1(VALU_DEP_2)
	v_add_co_u32 v0, vcc_lo, s5, v0
	v_add_co_ci_u32_e32 v1, vcc_lo, s28, v1, vcc_lo
	global_store_b64 v[0:1], v[2:3], off
.LBB253_57:
	s_nop 0
	s_sendmsg sendmsg(MSG_DEALLOC_VGPRS)
	s_endpgm
	.section	.rodata,"a",@progbits
	.p2align	6, 0x0
	.amdhsa_kernel _ZL20rocblas_gemvn_kernelILi32ELi16ElPKddKPdEviiT3_lPKT2_lT1_lS7_lS8_lS4_lPT4_lS8_li
		.amdhsa_group_segment_fixed_size 16384
		.amdhsa_private_segment_fixed_size 0
		.amdhsa_kernarg_size 400
		.amdhsa_user_sgpr_count 14
		.amdhsa_user_sgpr_dispatch_ptr 0
		.amdhsa_user_sgpr_queue_ptr 0
		.amdhsa_user_sgpr_kernarg_segment_ptr 1
		.amdhsa_user_sgpr_dispatch_id 0
		.amdhsa_user_sgpr_private_segment_size 0
		.amdhsa_wavefront_size32 1
		.amdhsa_uses_dynamic_stack 0
		.amdhsa_enable_private_segment 0
		.amdhsa_system_sgpr_workgroup_id_x 1
		.amdhsa_system_sgpr_workgroup_id_y 0
		.amdhsa_system_sgpr_workgroup_id_z 1
		.amdhsa_system_sgpr_workgroup_info 0
		.amdhsa_system_vgpr_workitem_id 1
		.amdhsa_next_free_vgpr 71
		.amdhsa_next_free_sgpr 37
		.amdhsa_reserve_vcc 1
		.amdhsa_float_round_mode_32 0
		.amdhsa_float_round_mode_16_64 0
		.amdhsa_float_denorm_mode_32 3
		.amdhsa_float_denorm_mode_16_64 3
		.amdhsa_dx10_clamp 1
		.amdhsa_ieee_mode 1
		.amdhsa_fp16_overflow 0
		.amdhsa_workgroup_processor_mode 1
		.amdhsa_memory_ordered 1
		.amdhsa_forward_progress 0
		.amdhsa_shared_vgpr_count 0
		.amdhsa_exception_fp_ieee_invalid_op 0
		.amdhsa_exception_fp_denorm_src 0
		.amdhsa_exception_fp_ieee_div_zero 0
		.amdhsa_exception_fp_ieee_overflow 0
		.amdhsa_exception_fp_ieee_underflow 0
		.amdhsa_exception_fp_ieee_inexact 0
		.amdhsa_exception_int_div_zero 0
	.end_amdhsa_kernel
	.section	.text._ZL20rocblas_gemvn_kernelILi32ELi16ElPKddKPdEviiT3_lPKT2_lT1_lS7_lS8_lS4_lPT4_lS8_li,"axG",@progbits,_ZL20rocblas_gemvn_kernelILi32ELi16ElPKddKPdEviiT3_lPKT2_lT1_lS7_lS8_lS4_lPT4_lS8_li,comdat
.Lfunc_end253:
	.size	_ZL20rocblas_gemvn_kernelILi32ELi16ElPKddKPdEviiT3_lPKT2_lT1_lS7_lS8_lS4_lPT4_lS8_li, .Lfunc_end253-_ZL20rocblas_gemvn_kernelILi32ELi16ElPKddKPdEviiT3_lPKT2_lT1_lS7_lS8_lS4_lPT4_lS8_li
                                        ; -- End function
	.section	.AMDGPU.csdata,"",@progbits
; Kernel info:
; codeLenInByte = 3668
; NumSgprs: 39
; NumVgprs: 71
; ScratchSize: 0
; MemoryBound: 1
; FloatMode: 240
; IeeeMode: 1
; LDSByteSize: 16384 bytes/workgroup (compile time only)
; SGPRBlocks: 4
; VGPRBlocks: 8
; NumSGPRsForWavesPerEU: 39
; NumVGPRsForWavesPerEU: 71
; Occupancy: 16
; WaveLimiterHint : 1
; COMPUTE_PGM_RSRC2:SCRATCH_EN: 0
; COMPUTE_PGM_RSRC2:USER_SGPR: 14
; COMPUTE_PGM_RSRC2:TRAP_HANDLER: 0
; COMPUTE_PGM_RSRC2:TGID_X_EN: 1
; COMPUTE_PGM_RSRC2:TGID_Y_EN: 0
; COMPUTE_PGM_RSRC2:TGID_Z_EN: 1
; COMPUTE_PGM_RSRC2:TIDIG_COMP_CNT: 1
	.section	.text._ZL20rocblas_gemvn_kernelILi64ELi16EiPKdS1_KPdEviiT3_lPKT2_lT1_lS7_lS8_lS4_lPT4_lS8_li,"axG",@progbits,_ZL20rocblas_gemvn_kernelILi64ELi16EiPKdS1_KPdEviiT3_lPKT2_lT1_lS7_lS8_lS4_lPT4_lS8_li,comdat
	.globl	_ZL20rocblas_gemvn_kernelILi64ELi16EiPKdS1_KPdEviiT3_lPKT2_lT1_lS7_lS8_lS4_lPT4_lS8_li ; -- Begin function _ZL20rocblas_gemvn_kernelILi64ELi16EiPKdS1_KPdEviiT3_lPKT2_lT1_lS7_lS8_lS4_lPT4_lS8_li
	.p2align	8
	.type	_ZL20rocblas_gemvn_kernelILi64ELi16EiPKdS1_KPdEviiT3_lPKT2_lT1_lS7_lS8_lS4_lPT4_lS8_li,@function
_ZL20rocblas_gemvn_kernelILi64ELi16EiPKdS1_KPdEviiT3_lPKT2_lT1_lS7_lS8_lS4_lPT4_lS8_li: ; @_ZL20rocblas_gemvn_kernelILi64ELi16EiPKdS1_KPdEviiT3_lPKT2_lT1_lS7_lS8_lS4_lPT4_lS8_li
; %bb.0:
	s_load_b64 s[4:5], s[0:1], 0x9c
	s_waitcnt lgkmcnt(0)
	s_lshr_b32 s3, s4, 16
	s_and_b32 s4, s4, 0xffff
	s_and_b32 s5, s5, 0xffff
	s_mul_i32 s3, s3, s4
	s_delay_alu instid0(SALU_CYCLE_1) | instskip(NEXT) | instid1(SALU_CYCLE_1)
	s_mul_i32 s3, s3, s5
	s_cmpk_lg_i32 s3, 0x400
	s_cbranch_scc1 .LBB254_55
; %bb.1:
	s_clause 0x1
	s_load_b256 s[16:23], s[0:1], 0x8
	s_load_b256 s[4:11], s[0:1], 0x58
	s_mov_b32 s2, s15
	s_waitcnt lgkmcnt(0)
	s_mul_i32 s3, s15, s19
	s_mul_hi_u32 s13, s15, s18
	s_mul_i32 s12, s15, s18
	s_add_i32 s13, s13, s3
	s_mul_i32 s3, s15, s7
	s_lshl_b64 s[12:13], s[12:13], 3
	s_mul_hi_u32 s7, s15, s6
	s_add_u32 s12, s16, s12
	s_addc_u32 s13, s17, s13
	s_add_i32 s7, s7, s3
	s_mul_i32 s6, s15, s6
	s_delay_alu instid0(SALU_CYCLE_1) | instskip(NEXT) | instid1(SALU_CYCLE_1)
	s_lshl_b64 s[6:7], s[6:7], 3
	s_add_u32 s4, s4, s6
	s_addc_u32 s5, s5, s7
	s_load_b64 s[6:7], s[12:13], 0x0
	s_load_b64 s[4:5], s[4:5], 0x0
	s_mov_b64 s[12:13], 0
	s_waitcnt lgkmcnt(0)
	v_cmp_eq_f64_e64 s19, s[6:7], 0
	v_cmp_eq_f64_e64 s3, s[4:5], 1.0
	s_delay_alu instid0(VALU_DEP_1) | instskip(NEXT) | instid1(SALU_CYCLE_1)
	s_and_b32 s3, s19, s3
	s_and_b32 vcc_lo, exec_lo, s3
	s_cbranch_vccnz .LBB254_55
; %bb.2:
	v_cmp_neq_f64_e64 s15, s[6:7], 0
	s_and_b32 vcc_lo, exec_lo, s19
	s_mov_b32 s3, 0
	s_cbranch_vccnz .LBB254_4
; %bb.3:
	s_lshl_b64 s[12:13], s[2:3], 3
	s_delay_alu instid0(SALU_CYCLE_1)
	s_add_u32 s12, s20, s12
	s_addc_u32 s13, s21, s13
	s_lshl_b64 s[16:17], s[22:23], 3
	s_load_b64 s[12:13], s[12:13], 0x0
	s_waitcnt lgkmcnt(0)
	s_add_u32 s12, s12, s16
	s_addc_u32 s13, s13, s17
.LBB254_4:
	s_delay_alu instid0(VALU_DEP_1)
	s_and_not1_b32 vcc_lo, exec_lo, s15
	s_cbranch_vccnz .LBB254_6
; %bb.5:
	s_load_b128 s[20:23], s[0:1], 0x38
	s_lshl_b64 s[16:17], s[2:3], 3
	s_waitcnt lgkmcnt(0)
	s_add_u32 s16, s20, s16
	s_addc_u32 s17, s21, s17
	s_lshl_b64 s[20:21], s[22:23], 3
	s_load_b64 s[16:17], s[16:17], 0x0
	s_waitcnt lgkmcnt(0)
	s_add_u32 s16, s16, s20
	s_addc_u32 s17, s17, s21
	s_branch .LBB254_7
.LBB254_6:
	s_mov_b64 s[16:17], 0
.LBB254_7:
	s_lshl_b64 s[2:3], s[2:3], 3
	v_and_b32_e32 v1, 0x3ff, v0
	s_add_u32 s2, s8, s2
	s_addc_u32 s3, s9, s3
	v_bfe_u32 v0, v0, 10, 10
	s_load_b64 s[20:21], s[2:3], 0x0
	s_clause 0x1
	s_load_b64 s[8:9], s[0:1], 0x0
	s_load_b32 s18, s[0:1], 0x78
	s_lshl_b64 s[22:23], s[10:11], 3
	v_lshl_add_u32 v53, v0, 6, v1
	s_delay_alu instid0(VALU_DEP_1)
	v_cmp_gt_u32_e64 s2, 0x100, v53
	s_waitcnt lgkmcnt(0)
	s_add_u32 s11, s20, s22
	s_addc_u32 s15, s21, s23
	s_and_not1_b32 vcc_lo, exec_lo, s19
	s_cbranch_vccnz .LBB254_14
; %bb.8:
	s_mov_b32 s3, 0
	s_mov_b32 s19, 0
                                        ; implicit-def: $vgpr4_vgpr5
                                        ; implicit-def: $vgpr2_vgpr3
	s_and_saveexec_b32 s10, s2
	s_cbranch_execz .LBB254_15
; %bb.9:
	v_lshl_or_b32 v6, s14, 8, v53
	v_mov_b32_e32 v7, 0
	s_ashr_i32 s21, s8, 31
	s_mov_b32 s20, s8
	s_mov_b32 s2, exec_lo
                                        ; implicit-def: $vgpr4_vgpr5
                                        ; implicit-def: $vgpr2_vgpr3
	s_delay_alu instid0(VALU_DEP_1)
	v_cmpx_gt_i64_e64 s[20:21], v[6:7]
	s_cbranch_execz .LBB254_13
; %bb.10:
	v_cmp_eq_f64_e64 s19, s[4:5], 0
	v_mad_u64_u32 v[2:3], null, s18, v6, 0
	s_ashr_i32 s20, s18, 31
	s_delay_alu instid0(VALU_DEP_1) | instid1(SALU_CYCLE_1)
	v_mad_u64_u32 v[4:5], null, s20, v6, v[3:4]
	s_delay_alu instid0(VALU_DEP_1)
	v_dual_mov_b32 v3, v4 :: v_dual_mov_b32 v4, 0
	v_mov_b32_e32 v5, 0
	s_and_b32 vcc_lo, exec_lo, s19
	s_cbranch_vccnz .LBB254_12
; %bb.11:
	s_delay_alu instid0(VALU_DEP_2) | instskip(NEXT) | instid1(VALU_DEP_1)
	v_lshlrev_b64 v[4:5], 3, v[2:3]
	v_add_co_u32 v4, vcc_lo, s11, v4
	s_delay_alu instid0(VALU_DEP_2)
	v_add_co_ci_u32_e32 v5, vcc_lo, s15, v5, vcc_lo
	global_load_b64 v[4:5], v[4:5], off
	s_waitcnt vmcnt(0)
	v_mul_f64 v[4:5], s[4:5], v[4:5]
.LBB254_12:
	s_mov_b32 s19, exec_lo
.LBB254_13:
	s_or_b32 exec_lo, exec_lo, s2
	s_delay_alu instid0(SALU_CYCLE_1) | instskip(SKIP_1) | instid1(SALU_CYCLE_1)
	s_and_b32 s19, s19, exec_lo
	s_or_b32 exec_lo, exec_lo, s10
	s_and_b32 vcc_lo, exec_lo, s3
	s_cbranch_vccnz .LBB254_16
	s_branch .LBB254_53
.LBB254_14:
	s_mov_b32 s19, 0
                                        ; implicit-def: $vgpr4_vgpr5
                                        ; implicit-def: $vgpr2_vgpr3
	s_cbranch_execnz .LBB254_16
	s_branch .LBB254_53
.LBB254_15:
	s_or_b32 exec_lo, exec_lo, s10
	s_delay_alu instid0(SALU_CYCLE_1)
	s_and_b32 vcc_lo, exec_lo, s3
	s_cbranch_vccz .LBB254_53
.LBB254_16:
	s_clause 0x1
	s_load_b32 s20, s[0:1], 0x28
	s_load_b32 s10, s[0:1], 0x48
	v_dual_mov_b32 v8, 0 :: v_dual_lshlrev_b32 v55, 2, v0
	s_lshl_b32 s14, s14, 8
	s_delay_alu instid0(SALU_CYCLE_1) | instskip(SKIP_1) | instid1(VALU_DEP_2)
	v_dual_mov_b32 v9, 0 :: v_dual_add_nc_u32 v54, s14, v1
	s_ashr_i32 s0, s9, 31
	v_mov_b32_e32 v6, v8
	s_lshr_b32 s0, s0, 26
	s_delay_alu instid0(VALU_DEP_2)
	v_dual_mov_b32 v7, v9 :: v_dual_mov_b32 v4, v8
	v_dual_mov_b32 v5, v9 :: v_dual_mov_b32 v2, v8
	v_mov_b32_e32 v3, v9
	s_add_i32 s21, s9, s0
	s_mov_b32 s22, exec_lo
	s_and_not1_b32 s21, s21, 63
	s_delay_alu instid0(SALU_CYCLE_1)
	v_cmpx_gt_i32_e64 s21, v55
	s_cbranch_execz .LBB254_28
; %bb.17:
	s_waitcnt lgkmcnt(0)
	v_mul_lo_u32 v3, s20, v55
	v_dual_mov_b32 v8, 0 :: v_dual_add_nc_u32 v5, 0xc0, v54
	v_dual_mov_b32 v9, 0 :: v_dual_add_nc_u32 v2, 64, v54
	v_add_nc_u32_e32 v4, 0x80, v54
	s_delay_alu instid0(VALU_DEP_3) | instskip(SKIP_1) | instid1(VALU_DEP_4)
	v_cmp_gt_i32_e64 s2, s8, v5
	v_mul_lo_u32 v5, v0, s10
	v_cmp_gt_i32_e64 s0, s8, v2
	v_add_nc_u32_e32 v2, 2, v55
	v_mov_b32_e32 v6, v8
	v_add3_u32 v56, v3, s20, v1
	v_mul_lo_u32 v3, v0, s20
	v_mov_b32_e32 v7, v9
	v_cmp_gt_i32_e64 s1, s8, v4
	v_add_nc_u32_e32 v4, 3, v55
	v_mad_u64_u32 v[10:11], null, s20, v2, v[1:2]
	v_lshlrev_b32_e32 v60, 2, v5
	v_cmp_gt_i32_e32 vcc_lo, s8, v54
	s_delay_alu instid0(VALU_DEP_4)
	v_mad_u64_u32 v[11:12], null, s20, v4, v[1:2]
	v_mul_lo_u32 v59, s10, v4
	v_mov_b32_e32 v4, v8
	v_mad_u64_u32 v[12:13], null, s10, v55, s[10:11]
	v_mov_b32_e32 v5, v9
	v_mul_lo_u32 v58, s10, v2
	v_lshl_add_u32 v57, v3, 2, v1
	v_dual_mov_b32 v2, v8 :: v_dual_mov_b32 v3, v9
	s_lshl_b32 s23, s20, 6
	s_lshl_b32 s25, s10, 6
	s_mov_b32 s24, 0
	s_mov_b32 s26, 0
	s_branch .LBB254_22
.LBB254_18:                             ;   in Loop: Header=BB254_22 Depth=1
	s_or_b32 exec_lo, exec_lo, s29
	s_waitcnt vmcnt(3) lgkmcnt(3)
	v_fma_f64 v[4:5], v[13:14], v[45:46], v[4:5]
	s_waitcnt vmcnt(2) lgkmcnt(2)
	s_delay_alu instid0(VALU_DEP_1) | instskip(SKIP_1) | instid1(VALU_DEP_1)
	v_fma_f64 v[4:5], v[15:16], v[47:48], v[4:5]
	s_waitcnt vmcnt(1) lgkmcnt(1)
	v_fma_f64 v[4:5], v[17:18], v[49:50], v[4:5]
	s_waitcnt vmcnt(0) lgkmcnt(0)
	s_delay_alu instid0(VALU_DEP_1)
	v_fma_f64 v[4:5], v[19:20], v[51:52], v[4:5]
.LBB254_19:                             ;   in Loop: Header=BB254_22 Depth=1
	s_or_b32 exec_lo, exec_lo, s28
	s_waitcnt vmcnt(3) lgkmcnt(3)
	v_fma_f64 v[6:7], v[13:14], v[37:38], v[6:7]
	s_waitcnt vmcnt(2) lgkmcnt(2)
	s_delay_alu instid0(VALU_DEP_1) | instskip(SKIP_1) | instid1(VALU_DEP_1)
	v_fma_f64 v[6:7], v[15:16], v[39:40], v[6:7]
	s_waitcnt vmcnt(1) lgkmcnt(1)
	v_fma_f64 v[6:7], v[17:18], v[41:42], v[6:7]
	s_waitcnt vmcnt(0) lgkmcnt(0)
	s_delay_alu instid0(VALU_DEP_1)
	v_fma_f64 v[6:7], v[19:20], v[43:44], v[6:7]
.LBB254_20:                             ;   in Loop: Header=BB254_22 Depth=1
	s_or_b32 exec_lo, exec_lo, s3
	s_waitcnt vmcnt(3) lgkmcnt(3)
	v_fma_f64 v[8:9], v[13:14], v[21:22], v[8:9]
	s_waitcnt vmcnt(2) lgkmcnt(2)
	s_delay_alu instid0(VALU_DEP_1) | instskip(SKIP_1) | instid1(VALU_DEP_1)
	v_fma_f64 v[8:9], v[15:16], v[23:24], v[8:9]
	s_waitcnt vmcnt(1) lgkmcnt(1)
	v_fma_f64 v[8:9], v[17:18], v[25:26], v[8:9]
	s_waitcnt vmcnt(0) lgkmcnt(0)
	s_delay_alu instid0(VALU_DEP_1)
	v_fma_f64 v[8:9], v[19:20], v[27:28], v[8:9]
.LBB254_21:                             ;   in Loop: Header=BB254_22 Depth=1
	s_or_b32 exec_lo, exec_lo, s27
	v_add_nc_u32_e32 v55, 64, v55
	v_add_nc_u32_e32 v56, s23, v56
	;; [unrolled: 1-line block ×5, first 2 shown]
	v_cmp_le_i32_e64 s3, s21, v55
	s_add_i32 s26, s26, s25
	s_delay_alu instid0(VALU_DEP_1) | instskip(NEXT) | instid1(SALU_CYCLE_1)
	s_or_b32 s24, s3, s24
	s_and_not1_b32 exec_lo, exec_lo, s24
	s_cbranch_execz .LBB254_27
.LBB254_22:                             ; =>This Inner Loop Header: Depth=1
	s_and_saveexec_b32 s27, vcc_lo
	s_cbranch_execz .LBB254_21
; %bb.23:                               ;   in Loop: Header=BB254_22 Depth=1
	v_add_nc_u32_e32 v13, s26, v60
	v_add_nc_u32_e32 v15, s26, v12
	;; [unrolled: 1-line block ×5, first 2 shown]
	v_ashrrev_i32_e32 v14, 31, v13
	v_ashrrev_i32_e32 v16, 31, v15
	;; [unrolled: 1-line block ×4, first 2 shown]
	v_add_nc_u32_e32 v23, s14, v56
	v_lshlrev_b64 v[13:14], 3, v[13:14]
	v_lshlrev_b64 v[15:16], 3, v[15:16]
	;; [unrolled: 1-line block ×3, first 2 shown]
	v_ashrrev_i32_e32 v22, 31, v21
	v_lshlrev_b64 v[19:20], 3, v[19:20]
	v_ashrrev_i32_e32 v24, 31, v23
	v_add_co_u32 v13, s3, s16, v13
	s_delay_alu instid0(VALU_DEP_1)
	v_add_co_ci_u32_e64 v14, s3, s17, v14, s3
	v_add_co_u32 v15, s3, s16, v15
	v_add_nc_u32_e32 v25, s14, v10
	v_add_co_ci_u32_e64 v16, s3, s17, v16, s3
	v_add_co_u32 v17, s3, s16, v17
	v_lshlrev_b64 v[21:22], 3, v[21:22]
	v_add_nc_u32_e32 v27, s14, v11
	v_add_co_ci_u32_e64 v18, s3, s17, v18, s3
	v_add_co_u32 v19, s3, s16, v19
	v_lshlrev_b64 v[23:24], 3, v[23:24]
	v_ashrrev_i32_e32 v26, 31, v25
	v_add_co_ci_u32_e64 v20, s3, s17, v20, s3
	v_add_co_u32 v29, s3, s12, v21
	v_ashrrev_i32_e32 v28, 31, v27
	v_add_co_ci_u32_e64 v30, s3, s13, v22, s3
	v_lshlrev_b64 v[21:22], 3, v[25:26]
	v_add_co_u32 v31, s3, s12, v23
	s_delay_alu instid0(VALU_DEP_1) | instskip(SKIP_1) | instid1(VALU_DEP_4)
	v_add_co_ci_u32_e64 v32, s3, s13, v24, s3
	v_lshlrev_b64 v[23:24], 3, v[27:28]
	v_add_co_u32 v33, s3, s12, v21
	s_delay_alu instid0(VALU_DEP_1) | instskip(NEXT) | instid1(VALU_DEP_3)
	v_add_co_ci_u32_e64 v34, s3, s13, v22, s3
	v_add_co_u32 v35, s3, s12, v23
	s_delay_alu instid0(VALU_DEP_1)
	v_add_co_ci_u32_e64 v36, s3, s13, v24, s3
	s_clause 0x3
	flat_load_b64 v[13:14], v[13:14]
	flat_load_b64 v[15:16], v[15:16]
	;; [unrolled: 1-line block ×4, first 2 shown]
	s_clause 0x3
	flat_load_b64 v[21:22], v[29:30]
	flat_load_b64 v[23:24], v[31:32]
	;; [unrolled: 1-line block ×4, first 2 shown]
	s_and_saveexec_b32 s3, s0
	s_cbranch_execz .LBB254_20
; %bb.24:                               ;   in Loop: Header=BB254_22 Depth=1
	s_clause 0x3
	flat_load_b64 v[37:38], v[29:30] offset:512
	flat_load_b64 v[39:40], v[31:32] offset:512
	flat_load_b64 v[41:42], v[33:34] offset:512
	flat_load_b64 v[43:44], v[35:36] offset:512
	s_and_saveexec_b32 s28, s1
	s_cbranch_execz .LBB254_19
; %bb.25:                               ;   in Loop: Header=BB254_22 Depth=1
	s_clause 0x3
	flat_load_b64 v[45:46], v[29:30] offset:1024
	flat_load_b64 v[47:48], v[31:32] offset:1024
	flat_load_b64 v[49:50], v[33:34] offset:1024
	flat_load_b64 v[51:52], v[35:36] offset:1024
	;; [unrolled: 8-line block ×3, first 2 shown]
	s_waitcnt vmcnt(3) lgkmcnt(3)
	v_fma_f64 v[2:3], v[13:14], v[29:30], v[2:3]
	s_waitcnt vmcnt(2) lgkmcnt(2)
	s_delay_alu instid0(VALU_DEP_1) | instskip(SKIP_1) | instid1(VALU_DEP_1)
	v_fma_f64 v[2:3], v[15:16], v[31:32], v[2:3]
	s_waitcnt vmcnt(1) lgkmcnt(1)
	v_fma_f64 v[2:3], v[17:18], v[33:34], v[2:3]
	s_waitcnt vmcnt(0) lgkmcnt(0)
	s_delay_alu instid0(VALU_DEP_1)
	v_fma_f64 v[2:3], v[19:20], v[35:36], v[2:3]
	s_branch .LBB254_18
.LBB254_27:
	s_or_b32 exec_lo, exec_lo, s24
.LBB254_28:
	s_delay_alu instid0(SALU_CYCLE_1) | instskip(SKIP_1) | instid1(SALU_CYCLE_1)
	s_or_b32 exec_lo, exec_lo, s22
	s_sub_i32 s0, s9, s21
	s_cmp_lt_i32 s0, 1
	s_cbranch_scc1 .LBB254_46
; %bb.29:
	v_mov_b32_e32 v14, 0
	v_mov_b32_e32 v15, 0
	v_cmp_gt_i32_e32 vcc_lo, s9, v55
	v_or_b32_e32 v20, 1, v55
	s_delay_alu instid0(VALU_DEP_4) | instskip(NEXT) | instid1(VALU_DEP_4)
	v_mov_b32_e32 v12, v14
	v_dual_mov_b32 v10, v14 :: v_dual_mov_b32 v11, v15
	v_dual_mov_b32 v17, v15 :: v_dual_mov_b32 v16, v14
	v_mov_b32_e32 v13, v15
	s_and_saveexec_b32 s1, vcc_lo
	s_cbranch_execz .LBB254_37
; %bb.30:
	s_waitcnt lgkmcnt(0)
	v_mul_lo_u32 v10, v55, s10
	v_mov_b32_e32 v12, 0
	v_mov_b32_e32 v13, 0
	s_mov_b32 s2, exec_lo
	s_delay_alu instid0(VALU_DEP_1) | instskip(NEXT) | instid1(VALU_DEP_4)
	v_dual_mov_b32 v17, v13 :: v_dual_mov_b32 v16, v12
	v_ashrrev_i32_e32 v11, 31, v10
	v_dual_mov_b32 v15, v13 :: v_dual_mov_b32 v14, v12
	s_delay_alu instid0(VALU_DEP_2) | instskip(NEXT) | instid1(VALU_DEP_1)
	v_lshlrev_b64 v[10:11], 3, v[10:11]
	v_add_co_u32 v10, s0, s16, v10
	s_delay_alu instid0(VALU_DEP_1)
	v_add_co_ci_u32_e64 v11, s0, s17, v11, s0
	flat_load_b64 v[10:11], v[10:11]
	v_cmpx_gt_i32_e64 s9, v20
	s_cbranch_execz .LBB254_36
; %bb.31:
	v_mul_lo_u32 v12, v20, s10
	v_mov_b32_e32 v16, 0
	v_mov_b32_e32 v17, 0
	v_or_b32_e32 v18, 2, v55
	s_delay_alu instid0(VALU_DEP_3) | instskip(SKIP_1) | instid1(VALU_DEP_3)
	v_mov_b32_e32 v14, v16
	s_mov_b32 s3, exec_lo
	v_mov_b32_e32 v15, v17
	v_ashrrev_i32_e32 v13, 31, v12
	s_delay_alu instid0(VALU_DEP_1) | instskip(NEXT) | instid1(VALU_DEP_1)
	v_lshlrev_b64 v[12:13], 3, v[12:13]
	v_add_co_u32 v12, s0, s16, v12
	s_delay_alu instid0(VALU_DEP_1)
	v_add_co_ci_u32_e64 v13, s0, s17, v13, s0
	flat_load_b64 v[12:13], v[12:13]
	v_cmpx_gt_i32_e64 s9, v18
	s_cbranch_execz .LBB254_35
; %bb.32:
	v_mul_lo_u32 v14, v18, s10
	v_or_b32_e32 v18, 3, v55
	s_mov_b32 s21, exec_lo
	s_delay_alu instid0(VALU_DEP_2) | instskip(NEXT) | instid1(VALU_DEP_1)
	v_ashrrev_i32_e32 v15, 31, v14
	v_lshlrev_b64 v[14:15], 3, v[14:15]
	s_delay_alu instid0(VALU_DEP_1) | instskip(NEXT) | instid1(VALU_DEP_1)
	v_add_co_u32 v14, s0, s16, v14
	v_add_co_ci_u32_e64 v15, s0, s17, v15, s0
	flat_load_b64 v[16:17], v[14:15]
	v_mov_b32_e32 v14, 0
	v_mov_b32_e32 v15, 0
	v_cmpx_gt_i32_e64 s9, v18
	s_cbranch_execz .LBB254_34
; %bb.33:
	v_mul_lo_u32 v14, v18, s10
	s_delay_alu instid0(VALU_DEP_1) | instskip(NEXT) | instid1(VALU_DEP_1)
	v_ashrrev_i32_e32 v15, 31, v14
	v_lshlrev_b64 v[14:15], 3, v[14:15]
	s_delay_alu instid0(VALU_DEP_1) | instskip(NEXT) | instid1(VALU_DEP_1)
	v_add_co_u32 v14, s0, s16, v14
	v_add_co_ci_u32_e64 v15, s0, s17, v15, s0
	flat_load_b64 v[14:15], v[14:15]
.LBB254_34:
	s_or_b32 exec_lo, exec_lo, s21
.LBB254_35:
	s_delay_alu instid0(SALU_CYCLE_1)
	s_or_b32 exec_lo, exec_lo, s3
.LBB254_36:
	s_delay_alu instid0(SALU_CYCLE_1)
	s_or_b32 exec_lo, exec_lo, s2
.LBB254_37:
	s_delay_alu instid0(SALU_CYCLE_1) | instskip(NEXT) | instid1(SALU_CYCLE_1)
	s_or_b32 exec_lo, exec_lo, s1
	s_mov_b32 s1, exec_lo
	v_cmpx_gt_i32_e64 s8, v54
	s_cbranch_execz .LBB254_45
; %bb.38:
	s_waitcnt lgkmcnt(0)
	v_mul_lo_u32 v18, v55, s20
	v_mul_lo_u32 v21, v20, s20
	v_or_b32_e32 v22, 2, v55
	s_mov_b32 s0, exec_lo
	s_delay_alu instid0(VALU_DEP_1) | instskip(NEXT) | instid1(VALU_DEP_4)
	v_mul_lo_u32 v23, v22, s20
	v_cndmask_b32_e32 v18, 0, v18, vcc_lo
	s_delay_alu instid0(VALU_DEP_1) | instskip(NEXT) | instid1(VALU_DEP_1)
	v_add_nc_u32_e32 v18, v18, v54
	v_ashrrev_i32_e32 v19, 31, v18
	s_delay_alu instid0(VALU_DEP_1) | instskip(NEXT) | instid1(VALU_DEP_1)
	v_lshlrev_b64 v[18:19], 3, v[18:19]
	v_add_co_u32 v18, vcc_lo, s12, v18
	s_delay_alu instid0(VALU_DEP_2) | instskip(SKIP_3) | instid1(VALU_DEP_1)
	v_add_co_ci_u32_e32 v19, vcc_lo, s13, v19, vcc_lo
	v_cmp_gt_i32_e32 vcc_lo, s9, v20
	flat_load_b64 v[28:29], v[18:19]
	v_cndmask_b32_e32 v20, 0, v21, vcc_lo
	v_add_nc_u32_e32 v20, v20, v54
	s_delay_alu instid0(VALU_DEP_1) | instskip(NEXT) | instid1(VALU_DEP_1)
	v_ashrrev_i32_e32 v21, 31, v20
	v_lshlrev_b64 v[20:21], 3, v[20:21]
	s_delay_alu instid0(VALU_DEP_1) | instskip(NEXT) | instid1(VALU_DEP_2)
	v_add_co_u32 v20, vcc_lo, s12, v20
	v_add_co_ci_u32_e32 v21, vcc_lo, s13, v21, vcc_lo
	v_cmp_gt_i32_e32 vcc_lo, s9, v22
	flat_load_b64 v[30:31], v[20:21]
	v_cndmask_b32_e32 v22, 0, v23, vcc_lo
	s_delay_alu instid0(VALU_DEP_1) | instskip(NEXT) | instid1(VALU_DEP_1)
	v_add_nc_u32_e32 v22, v22, v54
	v_ashrrev_i32_e32 v23, 31, v22
	s_delay_alu instid0(VALU_DEP_1) | instskip(NEXT) | instid1(VALU_DEP_1)
	v_lshlrev_b64 v[22:23], 3, v[22:23]
	v_add_co_u32 v24, vcc_lo, s12, v22
	s_delay_alu instid0(VALU_DEP_2) | instskip(SKIP_4) | instid1(VALU_DEP_2)
	v_add_co_ci_u32_e32 v25, vcc_lo, s13, v23, vcc_lo
	v_or_b32_e32 v22, 3, v55
	flat_load_b64 v[32:33], v[24:25]
	v_mul_lo_u32 v23, v22, s20
	v_cmp_gt_i32_e32 vcc_lo, s9, v22
	v_cndmask_b32_e32 v22, 0, v23, vcc_lo
	s_delay_alu instid0(VALU_DEP_1) | instskip(NEXT) | instid1(VALU_DEP_1)
	v_add_nc_u32_e32 v22, v22, v54
	v_ashrrev_i32_e32 v23, 31, v22
	s_delay_alu instid0(VALU_DEP_1) | instskip(NEXT) | instid1(VALU_DEP_1)
	v_lshlrev_b64 v[22:23], 3, v[22:23]
	v_add_co_u32 v26, vcc_lo, s12, v22
	s_delay_alu instid0(VALU_DEP_2)
	v_add_co_ci_u32_e32 v27, vcc_lo, s13, v23, vcc_lo
	flat_load_b64 v[22:23], v[26:27]
	s_waitcnt vmcnt(3) lgkmcnt(3)
	v_fma_f64 v[8:9], v[10:11], v[28:29], v[8:9]
	v_add_nc_u32_e32 v28, 64, v54
	s_waitcnt vmcnt(2) lgkmcnt(2)
	s_delay_alu instid0(VALU_DEP_2) | instskip(SKIP_1) | instid1(VALU_DEP_1)
	v_fma_f64 v[8:9], v[12:13], v[30:31], v[8:9]
	s_waitcnt vmcnt(1) lgkmcnt(1)
	v_fma_f64 v[8:9], v[16:17], v[32:33], v[8:9]
	v_cmpx_gt_i32_e64 s8, v28
	s_cbranch_execz .LBB254_44
; %bb.39:
	s_clause 0x3
	flat_load_b64 v[30:31], v[18:19] offset:512
	flat_load_b64 v[32:33], v[20:21] offset:512
	;; [unrolled: 1-line block ×4, first 2 shown]
	s_mov_b32 s2, exec_lo
	s_waitcnt vmcnt(3) lgkmcnt(3)
	v_fma_f64 v[6:7], v[10:11], v[30:31], v[6:7]
	v_add_nc_u32_e32 v30, 0x80, v54
	s_waitcnt vmcnt(2) lgkmcnt(2)
	s_delay_alu instid0(VALU_DEP_2) | instskip(SKIP_1) | instid1(VALU_DEP_1)
	v_fma_f64 v[6:7], v[12:13], v[32:33], v[6:7]
	s_waitcnt vmcnt(1) lgkmcnt(1)
	v_fma_f64 v[6:7], v[16:17], v[34:35], v[6:7]
	v_cmpx_gt_i32_e64 s8, v30
	s_cbranch_execz .LBB254_43
; %bb.40:
	s_clause 0x3
	flat_load_b64 v[32:33], v[18:19] offset:1024
	flat_load_b64 v[34:35], v[20:21] offset:1024
	;; [unrolled: 1-line block ×4, first 2 shown]
	s_mov_b32 s3, exec_lo
	s_waitcnt vmcnt(3) lgkmcnt(3)
	v_fma_f64 v[4:5], v[10:11], v[32:33], v[4:5]
	v_add_nc_u32_e32 v32, 0xc0, v54
	s_waitcnt vmcnt(2) lgkmcnt(2)
	s_delay_alu instid0(VALU_DEP_2) | instskip(SKIP_1) | instid1(VALU_DEP_1)
	v_fma_f64 v[4:5], v[12:13], v[34:35], v[4:5]
	s_waitcnt vmcnt(1) lgkmcnt(1)
	v_fma_f64 v[4:5], v[16:17], v[36:37], v[4:5]
	v_cmpx_gt_i32_e64 s8, v32
	s_cbranch_execz .LBB254_42
; %bb.41:
	s_clause 0x3
	flat_load_b64 v[18:19], v[18:19] offset:1536
	flat_load_b64 v[20:21], v[20:21] offset:1536
	;; [unrolled: 1-line block ×4, first 2 shown]
	s_waitcnt vmcnt(3) lgkmcnt(3)
	v_fma_f64 v[2:3], v[10:11], v[18:19], v[2:3]
	s_waitcnt vmcnt(2) lgkmcnt(2)
	s_delay_alu instid0(VALU_DEP_1) | instskip(SKIP_1) | instid1(VALU_DEP_1)
	v_fma_f64 v[2:3], v[12:13], v[20:21], v[2:3]
	s_waitcnt vmcnt(1) lgkmcnt(1)
	v_fma_f64 v[2:3], v[16:17], v[24:25], v[2:3]
	s_waitcnt vmcnt(0) lgkmcnt(0)
	s_delay_alu instid0(VALU_DEP_1)
	v_fma_f64 v[2:3], v[14:15], v[26:27], v[2:3]
.LBB254_42:
	s_or_b32 exec_lo, exec_lo, s3
	s_waitcnt vmcnt(0) lgkmcnt(0)
	s_delay_alu instid0(VALU_DEP_2)
	v_fma_f64 v[4:5], v[14:15], v[30:31], v[4:5]
.LBB254_43:
	s_or_b32 exec_lo, exec_lo, s2
	s_waitcnt vmcnt(0) lgkmcnt(0)
	s_delay_alu instid0(VALU_DEP_2)
	v_fma_f64 v[6:7], v[14:15], v[28:29], v[6:7]
.LBB254_44:
	s_or_b32 exec_lo, exec_lo, s0
	s_waitcnt vmcnt(0) lgkmcnt(0)
	s_delay_alu instid0(VALU_DEP_2)
	v_fma_f64 v[8:9], v[14:15], v[22:23], v[8:9]
.LBB254_45:
	s_or_b32 exec_lo, exec_lo, s1
.LBB254_46:
	v_lshlrev_b32_e32 v0, 8, v0
	s_mov_b32 s0, exec_lo
	s_delay_alu instid0(VALU_DEP_1)
	v_add_lshl_u32 v0, v0, v1, 3
	ds_store_2addr_stride64_b64 v0, v[8:9], v[6:7] offset1:1
	ds_store_2addr_stride64_b64 v0, v[4:5], v[2:3] offset0:2 offset1:3
	s_waitcnt vmcnt(0) lgkmcnt(0)
	s_barrier
	buffer_gl0_inv
                                        ; implicit-def: $vgpr4_vgpr5
                                        ; implicit-def: $vgpr2_vgpr3
	v_cmpx_gt_u32_e32 0x100, v53
	s_cbranch_execz .LBB254_52
; %bb.47:
	v_lshlrev_b32_e32 v7, 3, v53
	v_or_b32_e32 v6, s14, v53
	s_mov_b32 s2, s19
	s_mov_b32 s1, exec_lo
	ds_load_2addr_stride64_b64 v[0:3], v7 offset1:4
	s_waitcnt lgkmcnt(0)
	v_add_f64 v[4:5], v[0:1], v[2:3]
	ds_load_2addr_stride64_b64 v[0:3], v7 offset0:8 offset1:12
	s_waitcnt lgkmcnt(0)
	v_add_f64 v[0:1], v[0:1], v[4:5]
	s_delay_alu instid0(VALU_DEP_1) | instskip(SKIP_3) | instid1(VALU_DEP_1)
	v_add_f64 v[4:5], v[2:3], v[0:1]
	ds_load_2addr_stride64_b64 v[0:3], v7 offset0:16 offset1:20
	s_waitcnt lgkmcnt(0)
	v_add_f64 v[0:1], v[0:1], v[4:5]
	v_add_f64 v[4:5], v[2:3], v[0:1]
	ds_load_2addr_stride64_b64 v[0:3], v7 offset0:24 offset1:28
	s_waitcnt lgkmcnt(0)
	v_add_f64 v[0:1], v[0:1], v[4:5]
	s_delay_alu instid0(VALU_DEP_1) | instskip(SKIP_3) | instid1(VALU_DEP_1)
	v_add_f64 v[4:5], v[2:3], v[0:1]
	ds_load_2addr_stride64_b64 v[0:3], v7 offset0:32 offset1:36
	s_waitcnt lgkmcnt(0)
	v_add_f64 v[0:1], v[0:1], v[4:5]
	;; [unrolled: 9-line block ×3, first 2 shown]
	v_add_f64 v[4:5], v[2:3], v[0:1]
	ds_load_2addr_stride64_b64 v[0:3], v7 offset0:56 offset1:60
	s_waitcnt lgkmcnt(0)
	v_add_f64 v[0:1], v[0:1], v[4:5]
                                        ; implicit-def: $vgpr4_vgpr5
	s_delay_alu instid0(VALU_DEP_1)
	v_add_f64 v[0:1], v[2:3], v[0:1]
                                        ; implicit-def: $vgpr2_vgpr3
	ds_store_b64 v7, v[0:1]
	v_cmpx_gt_i32_e64 s8, v6
	s_cbranch_execz .LBB254_51
; %bb.48:
	v_cmp_eq_f64_e64 s2, s[4:5], 0
	v_mul_f64 v[4:5], s[6:7], v[0:1]
	v_mul_lo_u32 v2, v6, s18
	s_delay_alu instid0(VALU_DEP_1) | instskip(NEXT) | instid1(VALU_DEP_4)
	v_ashrrev_i32_e32 v3, 31, v2
	s_and_b32 vcc_lo, exec_lo, s2
	s_cbranch_vccnz .LBB254_50
; %bb.49:
	s_delay_alu instid0(VALU_DEP_1) | instskip(NEXT) | instid1(VALU_DEP_1)
	v_lshlrev_b64 v[0:1], 3, v[2:3]
	v_add_co_u32 v0, vcc_lo, s11, v0
	s_delay_alu instid0(VALU_DEP_2)
	v_add_co_ci_u32_e32 v1, vcc_lo, s15, v1, vcc_lo
	global_load_b64 v[0:1], v[0:1], off
	s_waitcnt vmcnt(0)
	v_fma_f64 v[4:5], s[4:5], v[0:1], v[4:5]
.LBB254_50:
	s_or_b32 s2, s19, exec_lo
.LBB254_51:
	s_or_b32 exec_lo, exec_lo, s1
	s_delay_alu instid0(SALU_CYCLE_1) | instskip(SKIP_1) | instid1(SALU_CYCLE_1)
	s_and_not1_b32 s1, s19, exec_lo
	s_and_b32 s2, s2, exec_lo
	s_or_b32 s19, s1, s2
.LBB254_52:
	s_or_b32 exec_lo, exec_lo, s0
.LBB254_53:
	s_and_saveexec_b32 s0, s19
	s_cbranch_execz .LBB254_55
; %bb.54:
	v_lshlrev_b64 v[0:1], 3, v[2:3]
	s_delay_alu instid0(VALU_DEP_1) | instskip(NEXT) | instid1(VALU_DEP_2)
	v_add_co_u32 v0, vcc_lo, s11, v0
	v_add_co_ci_u32_e32 v1, vcc_lo, s15, v1, vcc_lo
	global_store_b64 v[0:1], v[4:5], off
.LBB254_55:
	s_nop 0
	s_sendmsg sendmsg(MSG_DEALLOC_VGPRS)
	s_endpgm
	.section	.rodata,"a",@progbits
	.p2align	6, 0x0
	.amdhsa_kernel _ZL20rocblas_gemvn_kernelILi64ELi16EiPKdS1_KPdEviiT3_lPKT2_lT1_lS7_lS8_lS4_lPT4_lS8_li
		.amdhsa_group_segment_fixed_size 32768
		.amdhsa_private_segment_fixed_size 0
		.amdhsa_kernarg_size 400
		.amdhsa_user_sgpr_count 14
		.amdhsa_user_sgpr_dispatch_ptr 0
		.amdhsa_user_sgpr_queue_ptr 0
		.amdhsa_user_sgpr_kernarg_segment_ptr 1
		.amdhsa_user_sgpr_dispatch_id 0
		.amdhsa_user_sgpr_private_segment_size 0
		.amdhsa_wavefront_size32 1
		.amdhsa_uses_dynamic_stack 0
		.amdhsa_enable_private_segment 0
		.amdhsa_system_sgpr_workgroup_id_x 1
		.amdhsa_system_sgpr_workgroup_id_y 0
		.amdhsa_system_sgpr_workgroup_id_z 1
		.amdhsa_system_sgpr_workgroup_info 0
		.amdhsa_system_vgpr_workitem_id 1
		.amdhsa_next_free_vgpr 61
		.amdhsa_next_free_sgpr 30
		.amdhsa_reserve_vcc 1
		.amdhsa_float_round_mode_32 0
		.amdhsa_float_round_mode_16_64 0
		.amdhsa_float_denorm_mode_32 3
		.amdhsa_float_denorm_mode_16_64 3
		.amdhsa_dx10_clamp 1
		.amdhsa_ieee_mode 1
		.amdhsa_fp16_overflow 0
		.amdhsa_workgroup_processor_mode 1
		.amdhsa_memory_ordered 1
		.amdhsa_forward_progress 0
		.amdhsa_shared_vgpr_count 0
		.amdhsa_exception_fp_ieee_invalid_op 0
		.amdhsa_exception_fp_denorm_src 0
		.amdhsa_exception_fp_ieee_div_zero 0
		.amdhsa_exception_fp_ieee_overflow 0
		.amdhsa_exception_fp_ieee_underflow 0
		.amdhsa_exception_fp_ieee_inexact 0
		.amdhsa_exception_int_div_zero 0
	.end_amdhsa_kernel
	.section	.text._ZL20rocblas_gemvn_kernelILi64ELi16EiPKdS1_KPdEviiT3_lPKT2_lT1_lS7_lS8_lS4_lPT4_lS8_li,"axG",@progbits,_ZL20rocblas_gemvn_kernelILi64ELi16EiPKdS1_KPdEviiT3_lPKT2_lT1_lS7_lS8_lS4_lPT4_lS8_li,comdat
.Lfunc_end254:
	.size	_ZL20rocblas_gemvn_kernelILi64ELi16EiPKdS1_KPdEviiT3_lPKT2_lT1_lS7_lS8_lS4_lPT4_lS8_li, .Lfunc_end254-_ZL20rocblas_gemvn_kernelILi64ELi16EiPKdS1_KPdEviiT3_lPKT2_lT1_lS7_lS8_lS4_lPT4_lS8_li
                                        ; -- End function
	.section	.AMDGPU.csdata,"",@progbits
; Kernel info:
; codeLenInByte = 3360
; NumSgprs: 32
; NumVgprs: 61
; ScratchSize: 0
; MemoryBound: 0
; FloatMode: 240
; IeeeMode: 1
; LDSByteSize: 32768 bytes/workgroup (compile time only)
; SGPRBlocks: 3
; VGPRBlocks: 7
; NumSGPRsForWavesPerEU: 32
; NumVGPRsForWavesPerEU: 61
; Occupancy: 16
; WaveLimiterHint : 1
; COMPUTE_PGM_RSRC2:SCRATCH_EN: 0
; COMPUTE_PGM_RSRC2:USER_SGPR: 14
; COMPUTE_PGM_RSRC2:TRAP_HANDLER: 0
; COMPUTE_PGM_RSRC2:TGID_X_EN: 1
; COMPUTE_PGM_RSRC2:TGID_Y_EN: 0
; COMPUTE_PGM_RSRC2:TGID_Z_EN: 1
; COMPUTE_PGM_RSRC2:TIDIG_COMP_CNT: 1
	.section	.text._ZL20rocblas_gemvn_kernelILi64ELi16ElPKdS1_KPdEviiT3_lPKT2_lT1_lS7_lS8_lS4_lPT4_lS8_li,"axG",@progbits,_ZL20rocblas_gemvn_kernelILi64ELi16ElPKdS1_KPdEviiT3_lPKT2_lT1_lS7_lS8_lS4_lPT4_lS8_li,comdat
	.globl	_ZL20rocblas_gemvn_kernelILi64ELi16ElPKdS1_KPdEviiT3_lPKT2_lT1_lS7_lS8_lS4_lPT4_lS8_li ; -- Begin function _ZL20rocblas_gemvn_kernelILi64ELi16ElPKdS1_KPdEviiT3_lPKT2_lT1_lS7_lS8_lS4_lPT4_lS8_li
	.p2align	8
	.type	_ZL20rocblas_gemvn_kernelILi64ELi16ElPKdS1_KPdEviiT3_lPKT2_lT1_lS7_lS8_lS4_lPT4_lS8_li,@function
_ZL20rocblas_gemvn_kernelILi64ELi16ElPKdS1_KPdEviiT3_lPKT2_lT1_lS7_lS8_lS4_lPT4_lS8_li: ; @_ZL20rocblas_gemvn_kernelILi64ELi16ElPKdS1_KPdEviiT3_lPKT2_lT1_lS7_lS8_lS4_lPT4_lS8_li
; %bb.0:
	s_load_b64 s[4:5], s[0:1], 0x9c
	s_waitcnt lgkmcnt(0)
	s_lshr_b32 s3, s4, 16
	s_and_b32 s4, s4, 0xffff
	s_and_b32 s5, s5, 0xffff
	s_mul_i32 s3, s3, s4
	s_delay_alu instid0(SALU_CYCLE_1) | instskip(NEXT) | instid1(SALU_CYCLE_1)
	s_mul_i32 s3, s3, s5
	s_cmpk_lg_i32 s3, 0x400
	s_cbranch_scc1 .LBB255_55
; %bb.1:
	s_clause 0x1
	s_load_b256 s[16:23], s[0:1], 0x8
	s_load_b256 s[4:11], s[0:1], 0x58
	s_mov_b32 s2, s15
	s_mov_b64 s[24:25], 0
	s_waitcnt lgkmcnt(0)
	s_mul_i32 s3, s15, s19
	s_mul_hi_u32 s13, s15, s18
	s_mul_i32 s12, s15, s18
	s_add_i32 s13, s13, s3
	s_mul_i32 s3, s15, s7
	s_lshl_b64 s[12:13], s[12:13], 3
	s_mul_hi_u32 s7, s15, s6
	s_add_u32 s12, s16, s12
	s_addc_u32 s13, s17, s13
	s_add_i32 s7, s7, s3
	s_mul_i32 s6, s15, s6
	s_delay_alu instid0(SALU_CYCLE_1) | instskip(NEXT) | instid1(SALU_CYCLE_1)
	s_lshl_b64 s[6:7], s[6:7], 3
	s_add_u32 s4, s4, s6
	s_addc_u32 s5, s5, s7
	s_load_b64 s[16:17], s[12:13], 0x0
	s_load_b64 s[12:13], s[4:5], 0x0
	s_waitcnt lgkmcnt(0)
	v_cmp_eq_f64_e64 s15, s[16:17], 0
	v_cmp_eq_f64_e64 s3, s[12:13], 1.0
	s_delay_alu instid0(VALU_DEP_1) | instskip(NEXT) | instid1(SALU_CYCLE_1)
	s_and_b32 s3, s15, s3
	s_and_b32 vcc_lo, exec_lo, s3
	s_cbranch_vccnz .LBB255_55
; %bb.2:
	v_cmp_neq_f64_e64 s28, s[16:17], 0
	s_clause 0x1
	s_load_b64 s[26:27], s[0:1], 0x28
	s_load_b64 s[18:19], s[0:1], 0x78
	s_and_b32 vcc_lo, exec_lo, s15
	s_mov_b32 s3, 0
	s_cbranch_vccnz .LBB255_4
; %bb.3:
	s_lshl_b64 s[4:5], s[2:3], 3
	s_delay_alu instid0(SALU_CYCLE_1)
	s_add_u32 s4, s20, s4
	s_addc_u32 s5, s21, s5
	s_lshl_b64 s[6:7], s[22:23], 3
	s_load_b64 s[4:5], s[4:5], 0x0
	s_waitcnt lgkmcnt(0)
	s_add_u32 s24, s4, s6
	s_addc_u32 s25, s5, s7
.LBB255_4:
	s_clause 0x1
	s_load_b128 s[4:7], s[0:1], 0x38
	s_load_b64 s[20:21], s[0:1], 0x48
	s_delay_alu instid0(VALU_DEP_1)
	s_and_not1_b32 vcc_lo, exec_lo, s28
	s_cbranch_vccnz .LBB255_6
; %bb.5:
	s_lshl_b64 s[22:23], s[2:3], 3
	s_waitcnt lgkmcnt(0)
	s_add_u32 s4, s4, s22
	s_addc_u32 s5, s5, s23
	s_lshl_b64 s[6:7], s[6:7], 3
	s_load_b64 s[4:5], s[4:5], 0x0
	s_waitcnt lgkmcnt(0)
	s_add_u32 s22, s4, s6
	s_addc_u32 s23, s5, s7
	s_branch .LBB255_7
.LBB255_6:
	s_mov_b64 s[22:23], 0
.LBB255_7:
	s_lshl_b64 s[2:3], s[2:3], 3
	v_and_b32_e32 v61, 0x3ff, v0
	s_add_u32 s2, s8, s2
	s_addc_u32 s3, s9, s3
	v_bfe_u32 v62, v0, 10, 10
	s_load_b64 s[2:3], s[2:3], 0x0
	s_waitcnt lgkmcnt(0)
	s_load_b64 s[6:7], s[0:1], 0x0
	s_lshl_b64 s[8:9], s[10:11], 3
	v_lshl_add_u32 v60, v62, 6, v61
	s_delay_alu instid0(VALU_DEP_1)
	v_cmp_gt_u32_e64 s0, 0x100, v60
	s_add_u32 s5, s2, s8
	s_addc_u32 s28, s3, s9
	s_and_not1_b32 vcc_lo, exec_lo, s15
	s_cbranch_vccnz .LBB255_14
; %bb.8:
	s_mov_b32 s1, 0
	s_mov_b32 s29, 0
                                        ; implicit-def: $vgpr2_vgpr3
                                        ; implicit-def: $vgpr0_vgpr1
	s_and_saveexec_b32 s2, s0
	s_cbranch_execz .LBB255_15
; %bb.9:
	v_lshl_or_b32 v4, s14, 8, v60
	v_mov_b32_e32 v5, 0
	s_waitcnt lgkmcnt(0)
	s_ashr_i32 s9, s6, 31
	s_mov_b32 s8, s6
	s_mov_b32 s3, 0
	s_mov_b32 s0, exec_lo
                                        ; implicit-def: $vgpr2_vgpr3
                                        ; implicit-def: $vgpr0_vgpr1
	v_cmpx_gt_i64_e64 s[8:9], v[4:5]
	s_cbranch_execz .LBB255_13
; %bb.10:
	v_cmp_eq_f64_e64 s3, s[12:13], 0
	v_mad_u64_u32 v[0:1], null, v4, s18, 0
	s_delay_alu instid0(VALU_DEP_1) | instskip(NEXT) | instid1(VALU_DEP_1)
	v_mad_u64_u32 v[2:3], null, v4, s19, v[1:2]
	v_dual_mov_b32 v1, v2 :: v_dual_mov_b32 v2, 0
	v_mov_b32_e32 v3, 0
	s_and_b32 vcc_lo, exec_lo, s3
	s_cbranch_vccnz .LBB255_12
; %bb.11:
	s_delay_alu instid0(VALU_DEP_2) | instskip(NEXT) | instid1(VALU_DEP_1)
	v_lshlrev_b64 v[2:3], 3, v[0:1]
	v_add_co_u32 v2, vcc_lo, s5, v2
	s_delay_alu instid0(VALU_DEP_2)
	v_add_co_ci_u32_e32 v3, vcc_lo, s28, v3, vcc_lo
	global_load_b64 v[2:3], v[2:3], off
	s_waitcnt vmcnt(0)
	v_mul_f64 v[2:3], s[12:13], v[2:3]
.LBB255_12:
	s_mov_b32 s3, exec_lo
.LBB255_13:
	s_or_b32 exec_lo, exec_lo, s0
	s_delay_alu instid0(SALU_CYCLE_1) | instskip(SKIP_1) | instid1(SALU_CYCLE_1)
	s_and_b32 s29, s3, exec_lo
	s_or_b32 exec_lo, exec_lo, s2
	s_and_b32 vcc_lo, exec_lo, s1
	s_cbranch_vccnz .LBB255_16
	s_branch .LBB255_53
.LBB255_14:
	s_mov_b32 s29, 0
                                        ; implicit-def: $vgpr2_vgpr3
                                        ; implicit-def: $vgpr0_vgpr1
	s_cbranch_execnz .LBB255_16
	s_branch .LBB255_53
.LBB255_15:
	s_or_b32 exec_lo, exec_lo, s2
	s_delay_alu instid0(SALU_CYCLE_1)
	s_and_b32 vcc_lo, exec_lo, s1
	s_cbranch_vccz .LBB255_53
.LBB255_16:
	v_dual_mov_b32 v8, 0 :: v_dual_lshlrev_b32 v63, 2, v62
	s_lshl_b32 s30, s14, 8
	s_delay_alu instid0(SALU_CYCLE_1)
	v_dual_mov_b32 v9, 0 :: v_dual_add_nc_u32 v0, s30, v61
	s_waitcnt lgkmcnt(0)
	s_ashr_i32 s0, s7, 31
	v_mov_b32_e32 v6, v8
	s_lshr_b32 s0, s0, 26
	v_dual_mov_b32 v7, v9 :: v_dual_mov_b32 v4, v8
	v_dual_mov_b32 v5, v9 :: v_dual_mov_b32 v2, v8
	v_mov_b32_e32 v3, v9
	s_add_i32 s31, s7, s0
	s_mov_b32 s33, exec_lo
	s_and_not1_b32 s31, s31, 63
	s_delay_alu instid0(SALU_CYCLE_1)
	v_cmpx_gt_i32_e64 s31, v63
	s_cbranch_execz .LBB255_28
; %bb.17:
	v_lshlrev_b32_e32 v25, 2, v62
	v_mad_u64_u32 v[4:5], null, s20, v62, 0
	v_mad_u64_u32 v[6:7], null, s26, v62, 0
	s_delay_alu instid0(VALU_DEP_3)
	v_or_b32_e32 v22, 3, v25
	v_ashrrev_i32_e32 v1, 31, v0
	v_add_nc_u32_e32 v8, 64, v0
	v_add_nc_u32_e32 v10, 0xc0, v0
	v_or_b32_e32 v26, 2, v25
	v_mad_u64_u32 v[2:3], null, s26, v22, 0
	v_mad_u64_u32 v[16:17], null, s20, v22, 0
	v_add_nc_u32_e32 v9, 0x80, v0
	v_cmp_gt_i32_e64 s2, s6, v10
	v_lshlrev_b64 v[10:11], 3, v[0:1]
	v_mov_b32_e32 v1, v7
	v_cmp_gt_i32_e64 s0, s6, v8
	v_cmp_gt_i32_e64 s1, s6, v9
	v_mad_u64_u32 v[8:9], null, s27, v22, v[3:4]
	v_mad_u64_u32 v[12:13], null, s21, v62, v[5:6]
	;; [unrolled: 1-line block ×4, first 2 shown]
	s_delay_alu instid0(VALU_DEP_4)
	v_mov_b32_e32 v3, v8
	v_cmp_gt_i32_e32 vcc_lo, s6, v0
	v_mov_b32_e32 v5, v12
	s_lshl_b64 s[8:9], s[26:27], 9
	v_mov_b32_e32 v7, v13
	v_lshlrev_b64 v[1:2], 3, v[2:3]
	s_lshl_b64 s[10:11], s[20:21], 9
	v_lshlrev_b64 v[12:13], 5, v[4:5]
	s_mov_b32 s34, 0
	s_mov_b64 s[14:15], s[22:23]
	s_delay_alu instid0(VALU_DEP_2) | instskip(NEXT) | instid1(VALU_DEP_1)
	v_add_co_u32 v1, s3, s24, v1
	v_add_co_ci_u32_e64 v64, s3, s25, v2, s3
	v_mov_b32_e32 v2, v15
	v_mad_u64_u32 v[8:9], null, s20, v25, s[20:21]
	v_mad_u64_u32 v[4:5], null, s26, v25, s[26:27]
	s_delay_alu instid0(VALU_DEP_2) | instskip(NEXT) | instid1(VALU_DEP_1)
	v_mov_b32_e32 v3, v9
	v_mad_u64_u32 v[18:19], null, s27, v26, v[2:3]
	v_mov_b32_e32 v2, v17
	s_delay_alu instid0(VALU_DEP_4) | instskip(NEXT) | instid1(VALU_DEP_2)
	v_mad_u64_u32 v[19:20], null, s21, v25, v[3:4]
	v_mad_u64_u32 v[20:21], null, s21, v22, v[2:3]
	;; [unrolled: 1-line block ×3, first 2 shown]
	v_dual_mov_b32 v2, v5 :: v_dual_mov_b32 v15, v18
	s_delay_alu instid0(VALU_DEP_4) | instskip(NEXT) | instid1(VALU_DEP_4)
	v_mov_b32_e32 v9, v19
	v_mov_b32_e32 v17, v20
	s_delay_alu instid0(VALU_DEP_3) | instskip(SKIP_1) | instid1(VALU_DEP_3)
	v_mad_u64_u32 v[23:24], null, s27, v25, v[2:3]
	v_mov_b32_e32 v2, v22
	v_lshlrev_b64 v[16:17], 3, v[16:17]
	s_delay_alu instid0(VALU_DEP_2) | instskip(NEXT) | instid1(VALU_DEP_1)
	v_mad_u64_u32 v[18:19], null, s21, v26, v[2:3]
	v_mov_b32_e32 v22, v18
	v_lshlrev_b64 v[6:7], 5, v[6:7]
	s_delay_alu instid0(VALU_DEP_2) | instskip(NEXT) | instid1(VALU_DEP_2)
	v_lshlrev_b64 v[18:19], 3, v[21:22]
	v_add_co_u32 v65, s3, s24, v6
	s_delay_alu instid0(VALU_DEP_1)
	v_add_co_ci_u32_e64 v66, s3, s25, v7, s3
	v_lshlrev_b64 v[6:7], 3, v[14:15]
	v_lshlrev_b64 v[14:15], 3, v[8:9]
	v_mov_b32_e32 v8, 0
	v_mov_b32_e32 v9, 0
	;; [unrolled: 1-line block ×3, first 2 shown]
	v_add_co_u32 v67, s3, s24, v6
	s_delay_alu instid0(VALU_DEP_1) | instskip(SKIP_1) | instid1(VALU_DEP_4)
	v_add_co_ci_u32_e64 v68, s3, s25, v7, s3
	v_mov_b32_e32 v6, v8
	v_lshlrev_b64 v[2:3], 3, v[4:5]
	v_dual_mov_b32 v7, v9 :: v_dual_mov_b32 v4, v8
	v_mov_b32_e32 v5, v9
	s_delay_alu instid0(VALU_DEP_3) | instskip(NEXT) | instid1(VALU_DEP_1)
	v_add_co_u32 v69, s3, s24, v2
	v_add_co_ci_u32_e64 v70, s3, s25, v3, s3
	v_dual_mov_b32 v2, v8 :: v_dual_mov_b32 v3, v9
	s_branch .LBB255_22
.LBB255_18:                             ;   in Loop: Header=BB255_22 Depth=1
	s_or_b32 exec_lo, exec_lo, s36
	s_waitcnt vmcnt(3) lgkmcnt(3)
	v_fma_f64 v[4:5], v[20:21], v[52:53], v[4:5]
	s_waitcnt vmcnt(2) lgkmcnt(2)
	s_delay_alu instid0(VALU_DEP_1) | instskip(SKIP_1) | instid1(VALU_DEP_1)
	v_fma_f64 v[4:5], v[22:23], v[54:55], v[4:5]
	s_waitcnt vmcnt(1) lgkmcnt(1)
	v_fma_f64 v[4:5], v[24:25], v[56:57], v[4:5]
	s_waitcnt vmcnt(0) lgkmcnt(0)
	s_delay_alu instid0(VALU_DEP_1)
	v_fma_f64 v[4:5], v[26:27], v[58:59], v[4:5]
.LBB255_19:                             ;   in Loop: Header=BB255_22 Depth=1
	s_or_b32 exec_lo, exec_lo, s35
	s_waitcnt vmcnt(3) lgkmcnt(3)
	v_fma_f64 v[6:7], v[20:21], v[44:45], v[6:7]
	s_waitcnt vmcnt(2) lgkmcnt(2)
	s_delay_alu instid0(VALU_DEP_1) | instskip(SKIP_1) | instid1(VALU_DEP_1)
	v_fma_f64 v[6:7], v[22:23], v[46:47], v[6:7]
	s_waitcnt vmcnt(1) lgkmcnt(1)
	v_fma_f64 v[6:7], v[24:25], v[48:49], v[6:7]
	s_waitcnt vmcnt(0) lgkmcnt(0)
	s_delay_alu instid0(VALU_DEP_1)
	v_fma_f64 v[6:7], v[26:27], v[50:51], v[6:7]
.LBB255_20:                             ;   in Loop: Header=BB255_22 Depth=1
	s_or_b32 exec_lo, exec_lo, s3
	s_waitcnt vmcnt(3) lgkmcnt(3)
	v_fma_f64 v[8:9], v[20:21], v[28:29], v[8:9]
	s_waitcnt vmcnt(2) lgkmcnt(2)
	s_delay_alu instid0(VALU_DEP_1) | instskip(SKIP_1) | instid1(VALU_DEP_1)
	v_fma_f64 v[8:9], v[22:23], v[30:31], v[8:9]
	s_waitcnt vmcnt(1) lgkmcnt(1)
	v_fma_f64 v[8:9], v[24:25], v[32:33], v[8:9]
	s_waitcnt vmcnt(0) lgkmcnt(0)
	s_delay_alu instid0(VALU_DEP_1)
	v_fma_f64 v[8:9], v[26:27], v[34:35], v[8:9]
.LBB255_21:                             ;   in Loop: Header=BB255_22 Depth=1
	s_or_b32 exec_lo, exec_lo, s4
	v_add_co_u32 v1, s3, v1, s8
	s_delay_alu instid0(VALU_DEP_1) | instskip(SKIP_4) | instid1(VALU_DEP_1)
	v_add_co_ci_u32_e64 v64, s3, s9, v64, s3
	v_add_co_u32 v65, s3, v65, s8
	v_add_nc_u32_e32 v63, 64, v63
	v_add_co_ci_u32_e64 v66, s3, s9, v66, s3
	v_add_co_u32 v67, s3, v67, s8
	v_add_co_ci_u32_e64 v68, s3, s9, v68, s3
	s_delay_alu instid0(VALU_DEP_4) | instskip(SKIP_1) | instid1(VALU_DEP_1)
	v_cmp_le_i32_e64 s3, s31, v63
	v_add_co_u32 v69, s4, v69, s8
	v_add_co_ci_u32_e64 v70, s4, s9, v70, s4
	s_add_u32 s14, s14, s10
	s_addc_u32 s15, s15, s11
	s_or_b32 s34, s3, s34
	s_delay_alu instid0(SALU_CYCLE_1)
	s_and_not1_b32 exec_lo, exec_lo, s34
	s_cbranch_execz .LBB255_27
.LBB255_22:                             ; =>This Inner Loop Header: Depth=1
	s_and_saveexec_b32 s4, vcc_lo
	s_cbranch_execz .LBB255_21
; %bb.23:                               ;   in Loop: Header=BB255_22 Depth=1
	v_add_co_u32 v20, s3, s14, v12
	s_delay_alu instid0(VALU_DEP_1) | instskip(SKIP_1) | instid1(VALU_DEP_1)
	v_add_co_ci_u32_e64 v21, s3, s15, v13, s3
	v_add_co_u32 v22, s3, s14, v14
	v_add_co_ci_u32_e64 v23, s3, s15, v15, s3
	v_add_co_u32 v24, s3, s14, v18
	s_delay_alu instid0(VALU_DEP_1) | instskip(SKIP_1) | instid1(VALU_DEP_1)
	v_add_co_ci_u32_e64 v25, s3, s15, v19, s3
	v_add_co_u32 v26, s3, s14, v16
	v_add_co_ci_u32_e64 v27, s3, s15, v17, s3
	;; [unrolled: 5-line block ×4, first 2 shown]
	s_clause 0x3
	flat_load_b64 v[20:21], v[20:21]
	flat_load_b64 v[22:23], v[22:23]
	;; [unrolled: 1-line block ×8, first 2 shown]
	s_and_saveexec_b32 s3, s0
	s_cbranch_execz .LBB255_20
; %bb.24:                               ;   in Loop: Header=BB255_22 Depth=1
	flat_load_b64 v[44:45], v[36:37] offset:512
	flat_load_b64 v[46:47], v[38:39] offset:512
	flat_load_b64 v[48:49], v[40:41] offset:512
	flat_load_b64 v[50:51], v[42:43] offset:512
	s_and_saveexec_b32 s35, s1
	s_cbranch_execz .LBB255_19
; %bb.25:                               ;   in Loop: Header=BB255_22 Depth=1
	flat_load_b64 v[52:53], v[36:37] offset:1024
	flat_load_b64 v[54:55], v[38:39] offset:1024
	flat_load_b64 v[56:57], v[40:41] offset:1024
	flat_load_b64 v[58:59], v[42:43] offset:1024
	;; [unrolled: 7-line block ×3, first 2 shown]
	s_waitcnt vmcnt(3) lgkmcnt(3)
	v_fma_f64 v[2:3], v[20:21], v[36:37], v[2:3]
	s_waitcnt vmcnt(2) lgkmcnt(2)
	s_delay_alu instid0(VALU_DEP_1) | instskip(SKIP_1) | instid1(VALU_DEP_1)
	v_fma_f64 v[2:3], v[22:23], v[38:39], v[2:3]
	s_waitcnt vmcnt(1) lgkmcnt(1)
	v_fma_f64 v[2:3], v[24:25], v[40:41], v[2:3]
	s_waitcnt vmcnt(0) lgkmcnt(0)
	s_delay_alu instid0(VALU_DEP_1)
	v_fma_f64 v[2:3], v[26:27], v[42:43], v[2:3]
	s_branch .LBB255_18
.LBB255_27:
	s_or_b32 exec_lo, exec_lo, s34
.LBB255_28:
	s_delay_alu instid0(SALU_CYCLE_1) | instskip(SKIP_1) | instid1(SALU_CYCLE_1)
	s_or_b32 exec_lo, exec_lo, s33
	s_sub_i32 s0, s7, s31
	s_cmp_lt_i32 s0, 1
	s_cbranch_scc1 .LBB255_46
; %bb.29:
	v_mov_b32_e32 v14, 0
	v_mov_b32_e32 v15, 0
	v_cmp_gt_i32_e32 vcc_lo, s7, v63
	v_or_b32_e32 v20, 1, v63
	s_delay_alu instid0(VALU_DEP_4) | instskip(NEXT) | instid1(VALU_DEP_4)
	v_mov_b32_e32 v12, v14
	v_dual_mov_b32 v10, v14 :: v_dual_mov_b32 v11, v15
	v_dual_mov_b32 v17, v15 :: v_dual_mov_b32 v16, v14
	v_mov_b32_e32 v13, v15
	s_and_saveexec_b32 s1, vcc_lo
	s_cbranch_execz .LBB255_37
; %bb.30:
	v_mad_u64_u32 v[10:11], null, v63, s20, 0
	s_mov_b32 s2, exec_lo
	s_delay_alu instid0(VALU_DEP_1) | instskip(NEXT) | instid1(VALU_DEP_1)
	v_mov_b32_e32 v1, v11
	v_mad_u64_u32 v[11:12], null, v63, s21, v[1:2]
	v_mov_b32_e32 v12, 0
	v_mov_b32_e32 v13, 0
	s_delay_alu instid0(VALU_DEP_1) | instskip(NEXT) | instid1(VALU_DEP_4)
	v_dual_mov_b32 v17, v13 :: v_dual_mov_b32 v16, v12
	v_lshlrev_b64 v[10:11], 3, v[10:11]
	v_dual_mov_b32 v15, v13 :: v_dual_mov_b32 v14, v12
	s_delay_alu instid0(VALU_DEP_2) | instskip(NEXT) | instid1(VALU_DEP_1)
	v_add_co_u32 v10, s0, s22, v10
	v_add_co_ci_u32_e64 v11, s0, s23, v11, s0
	flat_load_b64 v[10:11], v[10:11]
	v_cmpx_gt_i32_e64 s7, v20
	s_cbranch_execz .LBB255_36
; %bb.31:
	v_mad_u64_u32 v[12:13], null, v20, s20, 0
	s_mov_b32 s3, exec_lo
	v_mov_b32_e32 v16, 0
	v_mov_b32_e32 v17, 0
	s_delay_alu instid0(VALU_DEP_3) | instskip(NEXT) | instid1(VALU_DEP_1)
	v_mov_b32_e32 v1, v13
	v_mad_u64_u32 v[13:14], null, v20, s21, v[1:2]
	v_or_b32_e32 v1, 2, v63
	s_delay_alu instid0(VALU_DEP_4) | instskip(NEXT) | instid1(VALU_DEP_3)
	v_dual_mov_b32 v14, v16 :: v_dual_mov_b32 v15, v17
	v_lshlrev_b64 v[12:13], 3, v[12:13]
	s_delay_alu instid0(VALU_DEP_1) | instskip(NEXT) | instid1(VALU_DEP_1)
	v_add_co_u32 v12, s0, s22, v12
	v_add_co_ci_u32_e64 v13, s0, s23, v13, s0
	flat_load_b64 v[12:13], v[12:13]
	v_cmpx_gt_i32_e64 s7, v1
	s_cbranch_execz .LBB255_35
; %bb.32:
	v_mad_u64_u32 v[14:15], null, v1, s20, 0
	s_mov_b32 s4, exec_lo
	s_delay_alu instid0(VALU_DEP_1) | instskip(SKIP_1) | instid1(VALU_DEP_2)
	v_mad_u64_u32 v[16:17], null, v1, s21, v[15:16]
	v_or_b32_e32 v1, 3, v63
	v_mov_b32_e32 v15, v16
	s_delay_alu instid0(VALU_DEP_1) | instskip(NEXT) | instid1(VALU_DEP_1)
	v_lshlrev_b64 v[14:15], 3, v[14:15]
	v_add_co_u32 v14, s0, s22, v14
	s_delay_alu instid0(VALU_DEP_1)
	v_add_co_ci_u32_e64 v15, s0, s23, v15, s0
	flat_load_b64 v[16:17], v[14:15]
	v_mov_b32_e32 v14, 0
	v_mov_b32_e32 v15, 0
	v_cmpx_gt_i32_e64 s7, v1
	s_cbranch_execz .LBB255_34
; %bb.33:
	v_mad_u64_u32 v[14:15], null, v1, s20, 0
	s_waitcnt vmcnt(0) lgkmcnt(0)
	s_delay_alu instid0(VALU_DEP_1) | instskip(NEXT) | instid1(VALU_DEP_1)
	v_mad_u64_u32 v[18:19], null, v1, s21, v[15:16]
	v_mov_b32_e32 v15, v18
	s_delay_alu instid0(VALU_DEP_1) | instskip(NEXT) | instid1(VALU_DEP_1)
	v_lshlrev_b64 v[14:15], 3, v[14:15]
	v_add_co_u32 v14, s0, s22, v14
	s_delay_alu instid0(VALU_DEP_1)
	v_add_co_ci_u32_e64 v15, s0, s23, v15, s0
	flat_load_b64 v[14:15], v[14:15]
.LBB255_34:
	s_or_b32 exec_lo, exec_lo, s4
.LBB255_35:
	s_delay_alu instid0(SALU_CYCLE_1)
	s_or_b32 exec_lo, exec_lo, s3
.LBB255_36:
	s_delay_alu instid0(SALU_CYCLE_1)
	s_or_b32 exec_lo, exec_lo, s2
.LBB255_37:
	s_delay_alu instid0(SALU_CYCLE_1) | instskip(NEXT) | instid1(SALU_CYCLE_1)
	s_or_b32 exec_lo, exec_lo, s1
	s_mov_b32 s1, exec_lo
	v_cmpx_gt_i32_e64 s6, v0
	s_cbranch_execz .LBB255_45
; %bb.38:
	v_mad_u64_u32 v[18:19], null, v63, s26, 0
	v_mad_u64_u32 v[24:25], null, v20, s26, 0
	v_or_b32_e32 v27, 2, v63
	v_or_b32_e32 v36, 3, v63
	s_mov_b32 s0, exec_lo
	s_delay_alu instid0(VALU_DEP_4) | instskip(NEXT) | instid1(VALU_DEP_1)
	v_dual_mov_b32 v1, v19 :: v_dual_cndmask_b32 v18, 0, v18
	v_mad_u64_u32 v[21:22], null, v63, s27, v[1:2]
	v_ashrrev_i32_e32 v1, 31, v0
	s_delay_alu instid0(VALU_DEP_1) | instskip(NEXT) | instid1(VALU_DEP_3)
	v_lshlrev_b64 v[22:23], 3, v[0:1]
	v_cndmask_b32_e32 v19, 0, v21, vcc_lo
	s_delay_alu instid0(VALU_DEP_1) | instskip(NEXT) | instid1(VALU_DEP_1)
	v_lshlrev_b64 v[18:19], 3, v[18:19]
	v_add_co_u32 v1, vcc_lo, s24, v18
	s_delay_alu instid0(VALU_DEP_2) | instskip(NEXT) | instid1(VALU_DEP_2)
	v_add_co_ci_u32_e32 v19, vcc_lo, s25, v19, vcc_lo
	v_add_co_u32 v18, vcc_lo, v1, v22
	s_delay_alu instid0(VALU_DEP_2) | instskip(SKIP_4) | instid1(VALU_DEP_1)
	v_add_co_ci_u32_e32 v19, vcc_lo, v19, v23, vcc_lo
	v_mov_b32_e32 v1, v25
	v_cmp_gt_i32_e32 vcc_lo, s7, v20
	flat_load_b64 v[28:29], v[18:19]
	v_mad_u64_u32 v[25:26], null, v20, s27, v[1:2]
	v_dual_cndmask_b32 v20, 0, v24 :: v_dual_cndmask_b32 v21, 0, v25
	v_mad_u64_u32 v[24:25], null, v27, s26, 0
	s_delay_alu instid0(VALU_DEP_2) | instskip(NEXT) | instid1(VALU_DEP_1)
	v_lshlrev_b64 v[20:21], 3, v[20:21]
	v_add_co_u32 v1, vcc_lo, s24, v20
	s_delay_alu instid0(VALU_DEP_2) | instskip(NEXT) | instid1(VALU_DEP_2)
	v_add_co_ci_u32_e32 v21, vcc_lo, s25, v21, vcc_lo
	v_add_co_u32 v20, vcc_lo, v1, v22
	s_delay_alu instid0(VALU_DEP_2)
	v_add_co_ci_u32_e32 v21, vcc_lo, v21, v23, vcc_lo
	v_mov_b32_e32 v1, v25
	v_cmp_gt_i32_e32 vcc_lo, s7, v27
	flat_load_b64 v[30:31], v[20:21]
	v_mad_u64_u32 v[25:26], null, v27, s27, v[1:2]
	v_cndmask_b32_e32 v24, 0, v24, vcc_lo
	v_mad_u64_u32 v[26:27], null, v36, s26, 0
	s_delay_alu instid0(VALU_DEP_3) | instskip(NEXT) | instid1(VALU_DEP_1)
	v_cndmask_b32_e32 v25, 0, v25, vcc_lo
	v_lshlrev_b64 v[24:25], 3, v[24:25]
	s_delay_alu instid0(VALU_DEP_1) | instskip(NEXT) | instid1(VALU_DEP_2)
	v_add_co_u32 v1, vcc_lo, s24, v24
	v_add_co_ci_u32_e32 v25, vcc_lo, s25, v25, vcc_lo
	s_delay_alu instid0(VALU_DEP_2) | instskip(NEXT) | instid1(VALU_DEP_2)
	v_add_co_u32 v24, vcc_lo, v1, v22
	v_add_co_ci_u32_e32 v25, vcc_lo, v25, v23, vcc_lo
	v_mov_b32_e32 v1, v27
	v_cmp_gt_i32_e32 vcc_lo, s7, v36
	flat_load_b64 v[32:33], v[24:25]
	v_mad_u64_u32 v[34:35], null, v36, s27, v[1:2]
	v_cndmask_b32_e32 v26, 0, v26, vcc_lo
	s_delay_alu instid0(VALU_DEP_2) | instskip(NEXT) | instid1(VALU_DEP_1)
	v_cndmask_b32_e32 v27, 0, v34, vcc_lo
	v_lshlrev_b64 v[26:27], 3, v[26:27]
	s_delay_alu instid0(VALU_DEP_1) | instskip(NEXT) | instid1(VALU_DEP_2)
	v_add_co_u32 v1, vcc_lo, s24, v26
	v_add_co_ci_u32_e32 v27, vcc_lo, s25, v27, vcc_lo
	s_delay_alu instid0(VALU_DEP_2) | instskip(NEXT) | instid1(VALU_DEP_2)
	v_add_co_u32 v26, vcc_lo, v1, v22
	v_add_co_ci_u32_e32 v27, vcc_lo, v27, v23, vcc_lo
	v_add_nc_u32_e32 v1, 64, v0
	flat_load_b64 v[22:23], v[26:27]
	s_waitcnt vmcnt(3) lgkmcnt(3)
	v_fma_f64 v[8:9], v[10:11], v[28:29], v[8:9]
	s_waitcnt vmcnt(2) lgkmcnt(2)
	s_delay_alu instid0(VALU_DEP_1) | instskip(SKIP_1) | instid1(VALU_DEP_1)
	v_fma_f64 v[8:9], v[12:13], v[30:31], v[8:9]
	s_waitcnt vmcnt(1) lgkmcnt(1)
	v_fma_f64 v[8:9], v[16:17], v[32:33], v[8:9]
	v_cmpx_gt_i32_e64 s6, v1
	s_cbranch_execz .LBB255_44
; %bb.39:
	s_clause 0x3
	flat_load_b64 v[30:31], v[18:19] offset:512
	flat_load_b64 v[32:33], v[20:21] offset:512
	;; [unrolled: 1-line block ×4, first 2 shown]
	v_add_nc_u32_e32 v1, 0x80, v0
	s_mov_b32 s2, exec_lo
	s_waitcnt vmcnt(3) lgkmcnt(3)
	v_fma_f64 v[6:7], v[10:11], v[30:31], v[6:7]
	s_waitcnt vmcnt(2) lgkmcnt(2)
	s_delay_alu instid0(VALU_DEP_1) | instskip(SKIP_1) | instid1(VALU_DEP_1)
	v_fma_f64 v[6:7], v[12:13], v[32:33], v[6:7]
	s_waitcnt vmcnt(1) lgkmcnt(1)
	v_fma_f64 v[6:7], v[16:17], v[34:35], v[6:7]
	v_cmpx_gt_i32_e64 s6, v1
	s_cbranch_execz .LBB255_43
; %bb.40:
	s_clause 0x3
	flat_load_b64 v[32:33], v[18:19] offset:1024
	flat_load_b64 v[34:35], v[20:21] offset:1024
	;; [unrolled: 1-line block ×4, first 2 shown]
	v_add_nc_u32_e32 v0, 0xc0, v0
	s_mov_b32 s3, exec_lo
	s_waitcnt vmcnt(3) lgkmcnt(3)
	v_fma_f64 v[4:5], v[10:11], v[32:33], v[4:5]
	s_waitcnt vmcnt(2) lgkmcnt(2)
	s_delay_alu instid0(VALU_DEP_1) | instskip(SKIP_1) | instid1(VALU_DEP_1)
	v_fma_f64 v[4:5], v[12:13], v[34:35], v[4:5]
	s_waitcnt vmcnt(1) lgkmcnt(1)
	v_fma_f64 v[4:5], v[16:17], v[36:37], v[4:5]
	v_cmpx_gt_i32_e64 s6, v0
	s_cbranch_execz .LBB255_42
; %bb.41:
	s_clause 0x3
	flat_load_b64 v[0:1], v[18:19] offset:1536
	flat_load_b64 v[18:19], v[20:21] offset:1536
	;; [unrolled: 1-line block ×4, first 2 shown]
	s_waitcnt vmcnt(3) lgkmcnt(3)
	v_fma_f64 v[0:1], v[10:11], v[0:1], v[2:3]
	s_waitcnt vmcnt(2) lgkmcnt(2)
	s_delay_alu instid0(VALU_DEP_1) | instskip(SKIP_1) | instid1(VALU_DEP_1)
	v_fma_f64 v[0:1], v[12:13], v[18:19], v[0:1]
	s_waitcnt vmcnt(1) lgkmcnt(1)
	v_fma_f64 v[0:1], v[16:17], v[20:21], v[0:1]
	s_waitcnt vmcnt(0) lgkmcnt(0)
	s_delay_alu instid0(VALU_DEP_1)
	v_fma_f64 v[2:3], v[14:15], v[24:25], v[0:1]
.LBB255_42:
	s_or_b32 exec_lo, exec_lo, s3
	s_waitcnt vmcnt(0) lgkmcnt(0)
	s_delay_alu instid0(VALU_DEP_2)
	v_fma_f64 v[4:5], v[14:15], v[30:31], v[4:5]
.LBB255_43:
	s_or_b32 exec_lo, exec_lo, s2
	s_waitcnt vmcnt(0) lgkmcnt(0)
	s_delay_alu instid0(VALU_DEP_2)
	v_fma_f64 v[6:7], v[14:15], v[28:29], v[6:7]
.LBB255_44:
	s_or_b32 exec_lo, exec_lo, s0
	s_waitcnt vmcnt(0) lgkmcnt(0)
	s_delay_alu instid0(VALU_DEP_2)
	v_fma_f64 v[8:9], v[14:15], v[22:23], v[8:9]
.LBB255_45:
	s_or_b32 exec_lo, exec_lo, s1
.LBB255_46:
	v_lshlrev_b32_e32 v0, 8, v62
	s_mov_b32 s0, exec_lo
	s_delay_alu instid0(VALU_DEP_1)
	v_add_lshl_u32 v0, v0, v61, 3
	ds_store_2addr_stride64_b64 v0, v[8:9], v[6:7] offset1:1
	ds_store_2addr_stride64_b64 v0, v[4:5], v[2:3] offset0:2 offset1:3
	s_waitcnt vmcnt(0) lgkmcnt(0)
	s_barrier
	buffer_gl0_inv
                                        ; implicit-def: $vgpr2_vgpr3
                                        ; implicit-def: $vgpr0_vgpr1
	v_cmpx_gt_u32_e32 0x100, v60
	s_cbranch_execz .LBB255_52
; %bb.47:
	v_lshlrev_b32_e32 v7, 3, v60
	v_or_b32_e32 v6, s30, v60
	s_mov_b32 s2, s29
	s_mov_b32 s1, exec_lo
	ds_load_2addr_stride64_b64 v[0:3], v7 offset1:4
	s_waitcnt lgkmcnt(0)
	v_add_f64 v[4:5], v[0:1], v[2:3]
	ds_load_2addr_stride64_b64 v[0:3], v7 offset0:8 offset1:12
	s_waitcnt lgkmcnt(0)
	v_add_f64 v[0:1], v[0:1], v[4:5]
	s_delay_alu instid0(VALU_DEP_1) | instskip(SKIP_3) | instid1(VALU_DEP_1)
	v_add_f64 v[4:5], v[2:3], v[0:1]
	ds_load_2addr_stride64_b64 v[0:3], v7 offset0:16 offset1:20
	s_waitcnt lgkmcnt(0)
	v_add_f64 v[0:1], v[0:1], v[4:5]
	v_add_f64 v[4:5], v[2:3], v[0:1]
	ds_load_2addr_stride64_b64 v[0:3], v7 offset0:24 offset1:28
	s_waitcnt lgkmcnt(0)
	v_add_f64 v[0:1], v[0:1], v[4:5]
	s_delay_alu instid0(VALU_DEP_1) | instskip(SKIP_3) | instid1(VALU_DEP_1)
	v_add_f64 v[4:5], v[2:3], v[0:1]
	ds_load_2addr_stride64_b64 v[0:3], v7 offset0:32 offset1:36
	s_waitcnt lgkmcnt(0)
	v_add_f64 v[0:1], v[0:1], v[4:5]
	;; [unrolled: 9-line block ×3, first 2 shown]
	v_add_f64 v[4:5], v[2:3], v[0:1]
	ds_load_2addr_stride64_b64 v[0:3], v7 offset0:56 offset1:60
	s_waitcnt lgkmcnt(0)
	v_add_f64 v[0:1], v[0:1], v[4:5]
	s_delay_alu instid0(VALU_DEP_1)
	v_add_f64 v[4:5], v[2:3], v[0:1]
                                        ; implicit-def: $vgpr2_vgpr3
                                        ; implicit-def: $vgpr0_vgpr1
	ds_store_b64 v7, v[4:5]
	v_cmpx_gt_i32_e64 s6, v6
	s_cbranch_execz .LBB255_51
; %bb.48:
	v_cmp_eq_f64_e64 s2, s[12:13], 0
	v_mul_f64 v[2:3], s[16:17], v[4:5]
	v_ashrrev_i32_e32 v0, 31, v6
	v_mul_lo_u32 v4, v6, s19
	s_delay_alu instid0(VALU_DEP_2) | instskip(SKIP_1) | instid1(VALU_DEP_1)
	v_mul_lo_u32 v5, v0, s18
	v_mad_u64_u32 v[0:1], null, v6, s18, 0
	v_add3_u32 v1, v1, v4, v5
	s_and_b32 vcc_lo, exec_lo, s2
	s_cbranch_vccnz .LBB255_50
; %bb.49:
	s_delay_alu instid0(VALU_DEP_1) | instskip(NEXT) | instid1(VALU_DEP_1)
	v_lshlrev_b64 v[4:5], 3, v[0:1]
	v_add_co_u32 v4, vcc_lo, s5, v4
	s_delay_alu instid0(VALU_DEP_2)
	v_add_co_ci_u32_e32 v5, vcc_lo, s28, v5, vcc_lo
	global_load_b64 v[4:5], v[4:5], off
	s_waitcnt vmcnt(0)
	v_fma_f64 v[2:3], s[12:13], v[4:5], v[2:3]
.LBB255_50:
	s_or_b32 s2, s29, exec_lo
.LBB255_51:
	s_or_b32 exec_lo, exec_lo, s1
	s_delay_alu instid0(SALU_CYCLE_1) | instskip(SKIP_1) | instid1(SALU_CYCLE_1)
	s_and_not1_b32 s1, s29, exec_lo
	s_and_b32 s2, s2, exec_lo
	s_or_b32 s29, s1, s2
.LBB255_52:
	s_or_b32 exec_lo, exec_lo, s0
.LBB255_53:
	s_and_saveexec_b32 s0, s29
	s_cbranch_execz .LBB255_55
; %bb.54:
	v_lshlrev_b64 v[0:1], 3, v[0:1]
	s_delay_alu instid0(VALU_DEP_1) | instskip(NEXT) | instid1(VALU_DEP_2)
	v_add_co_u32 v0, vcc_lo, s5, v0
	v_add_co_ci_u32_e32 v1, vcc_lo, s28, v1, vcc_lo
	global_store_b64 v[0:1], v[2:3], off
.LBB255_55:
	s_nop 0
	s_sendmsg sendmsg(MSG_DEALLOC_VGPRS)
	s_endpgm
	.section	.rodata,"a",@progbits
	.p2align	6, 0x0
	.amdhsa_kernel _ZL20rocblas_gemvn_kernelILi64ELi16ElPKdS1_KPdEviiT3_lPKT2_lT1_lS7_lS8_lS4_lPT4_lS8_li
		.amdhsa_group_segment_fixed_size 32768
		.amdhsa_private_segment_fixed_size 0
		.amdhsa_kernarg_size 400
		.amdhsa_user_sgpr_count 14
		.amdhsa_user_sgpr_dispatch_ptr 0
		.amdhsa_user_sgpr_queue_ptr 0
		.amdhsa_user_sgpr_kernarg_segment_ptr 1
		.amdhsa_user_sgpr_dispatch_id 0
		.amdhsa_user_sgpr_private_segment_size 0
		.amdhsa_wavefront_size32 1
		.amdhsa_uses_dynamic_stack 0
		.amdhsa_enable_private_segment 0
		.amdhsa_system_sgpr_workgroup_id_x 1
		.amdhsa_system_sgpr_workgroup_id_y 0
		.amdhsa_system_sgpr_workgroup_id_z 1
		.amdhsa_system_sgpr_workgroup_info 0
		.amdhsa_system_vgpr_workitem_id 1
		.amdhsa_next_free_vgpr 71
		.amdhsa_next_free_sgpr 37
		.amdhsa_reserve_vcc 1
		.amdhsa_float_round_mode_32 0
		.amdhsa_float_round_mode_16_64 0
		.amdhsa_float_denorm_mode_32 3
		.amdhsa_float_denorm_mode_16_64 3
		.amdhsa_dx10_clamp 1
		.amdhsa_ieee_mode 1
		.amdhsa_fp16_overflow 0
		.amdhsa_workgroup_processor_mode 1
		.amdhsa_memory_ordered 1
		.amdhsa_forward_progress 0
		.amdhsa_shared_vgpr_count 0
		.amdhsa_exception_fp_ieee_invalid_op 0
		.amdhsa_exception_fp_denorm_src 0
		.amdhsa_exception_fp_ieee_div_zero 0
		.amdhsa_exception_fp_ieee_overflow 0
		.amdhsa_exception_fp_ieee_underflow 0
		.amdhsa_exception_fp_ieee_inexact 0
		.amdhsa_exception_int_div_zero 0
	.end_amdhsa_kernel
	.section	.text._ZL20rocblas_gemvn_kernelILi64ELi16ElPKdS1_KPdEviiT3_lPKT2_lT1_lS7_lS8_lS4_lPT4_lS8_li,"axG",@progbits,_ZL20rocblas_gemvn_kernelILi64ELi16ElPKdS1_KPdEviiT3_lPKT2_lT1_lS7_lS8_lS4_lPT4_lS8_li,comdat
.Lfunc_end255:
	.size	_ZL20rocblas_gemvn_kernelILi64ELi16ElPKdS1_KPdEviiT3_lPKT2_lT1_lS7_lS8_lS4_lPT4_lS8_li, .Lfunc_end255-_ZL20rocblas_gemvn_kernelILi64ELi16ElPKdS1_KPdEviiT3_lPKT2_lT1_lS7_lS8_lS4_lPT4_lS8_li
                                        ; -- End function
	.section	.AMDGPU.csdata,"",@progbits
; Kernel info:
; codeLenInByte = 3712
; NumSgprs: 39
; NumVgprs: 71
; ScratchSize: 0
; MemoryBound: 1
; FloatMode: 240
; IeeeMode: 1
; LDSByteSize: 32768 bytes/workgroup (compile time only)
; SGPRBlocks: 4
; VGPRBlocks: 8
; NumSGPRsForWavesPerEU: 39
; NumVGPRsForWavesPerEU: 71
; Occupancy: 16
; WaveLimiterHint : 1
; COMPUTE_PGM_RSRC2:SCRATCH_EN: 0
; COMPUTE_PGM_RSRC2:USER_SGPR: 14
; COMPUTE_PGM_RSRC2:TRAP_HANDLER: 0
; COMPUTE_PGM_RSRC2:TGID_X_EN: 1
; COMPUTE_PGM_RSRC2:TGID_Y_EN: 0
; COMPUTE_PGM_RSRC2:TGID_Z_EN: 1
; COMPUTE_PGM_RSRC2:TIDIG_COMP_CNT: 1
	.section	.text._ZL20rocblas_gemvn_kernelILi64ELi16EiPKddKPdEviiT3_lPKT2_lT1_lS7_lS8_lS4_lPT4_lS8_li,"axG",@progbits,_ZL20rocblas_gemvn_kernelILi64ELi16EiPKddKPdEviiT3_lPKT2_lT1_lS7_lS8_lS4_lPT4_lS8_li,comdat
	.globl	_ZL20rocblas_gemvn_kernelILi64ELi16EiPKddKPdEviiT3_lPKT2_lT1_lS7_lS8_lS4_lPT4_lS8_li ; -- Begin function _ZL20rocblas_gemvn_kernelILi64ELi16EiPKddKPdEviiT3_lPKT2_lT1_lS7_lS8_lS4_lPT4_lS8_li
	.p2align	8
	.type	_ZL20rocblas_gemvn_kernelILi64ELi16EiPKddKPdEviiT3_lPKT2_lT1_lS7_lS8_lS4_lPT4_lS8_li,@function
_ZL20rocblas_gemvn_kernelILi64ELi16EiPKddKPdEviiT3_lPKT2_lT1_lS7_lS8_lS4_lPT4_lS8_li: ; @_ZL20rocblas_gemvn_kernelILi64ELi16EiPKddKPdEviiT3_lPKT2_lT1_lS7_lS8_lS4_lPT4_lS8_li
; %bb.0:
	s_load_b64 s[4:5], s[0:1], 0x9c
	s_waitcnt lgkmcnt(0)
	s_lshr_b32 s3, s4, 16
	s_and_b32 s4, s4, 0xffff
	s_and_b32 s5, s5, 0xffff
	s_mul_i32 s3, s3, s4
	s_delay_alu instid0(SALU_CYCLE_1) | instskip(NEXT) | instid1(SALU_CYCLE_1)
	s_mul_i32 s3, s3, s5
	s_cmpk_lg_i32 s3, 0x400
	s_cbranch_scc1 .LBB256_57
; %bb.1:
	s_clause 0x1
	s_load_b64 s[6:7], s[0:1], 0x8
	s_load_b64 s[4:5], s[0:1], 0x58
	s_waitcnt lgkmcnt(0)
	v_cmp_eq_f64_e64 s16, s[6:7], 0
	v_cmp_eq_f64_e64 s3, s[4:5], 1.0
	s_delay_alu instid0(VALU_DEP_1) | instskip(NEXT) | instid1(SALU_CYCLE_1)
	s_and_b32 s3, s16, s3
	s_and_b32 vcc_lo, exec_lo, s3
	s_cbranch_vccnz .LBB256_57
; %bb.2:
	v_cmp_neq_f64_e64 s8, s[6:7], 0
	s_mov_b32 s2, s15
	s_delay_alu instid0(VALU_DEP_1)
	s_and_b32 vcc_lo, exec_lo, s8
	s_cbranch_vccnz .LBB256_4
; %bb.3:
	s_mov_b32 s3, 0
	s_mov_b64 s[10:11], 0
	s_cbranch_execz .LBB256_5
	s_branch .LBB256_6
.LBB256_4:
	s_mov_b32 s3, -1
                                        ; implicit-def: $sgpr10_sgpr11
.LBB256_5:
	s_load_b128 s[20:23], s[0:1], 0x18
	s_mov_b32 s3, 0
	s_delay_alu instid0(SALU_CYCLE_1)
	s_lshl_b64 s[10:11], s[2:3], 3
	s_waitcnt lgkmcnt(0)
	s_add_u32 s10, s20, s10
	s_addc_u32 s11, s21, s11
	s_lshl_b64 s[12:13], s[22:23], 3
	s_load_b64 s[10:11], s[10:11], 0x0
	s_waitcnt lgkmcnt(0)
	s_add_u32 s10, s10, s12
	s_addc_u32 s11, s11, s13
.LBB256_6:
	s_and_not1_b32 vcc_lo, exec_lo, s8
	s_cbranch_vccnz .LBB256_8
; %bb.7:
	s_load_b128 s[20:23], s[0:1], 0x38
	s_lshl_b64 s[8:9], s[2:3], 3
	s_waitcnt lgkmcnt(0)
	s_add_u32 s8, s20, s8
	s_addc_u32 s9, s21, s9
	s_lshl_b64 s[12:13], s[22:23], 3
	s_load_b64 s[8:9], s[8:9], 0x0
	s_waitcnt lgkmcnt(0)
	s_add_u32 s12, s8, s12
	s_addc_u32 s13, s9, s13
	s_branch .LBB256_9
.LBB256_8:
	s_mov_b64 s[12:13], 0
.LBB256_9:
	s_load_b128 s[20:23], s[0:1], 0x68
	s_lshl_b64 s[2:3], s[2:3], 3
	v_and_b32_e32 v1, 0x3ff, v0
	v_bfe_u32 v0, v0, 10, 10
	s_delay_alu instid0(VALU_DEP_1)
	v_lshl_add_u32 v53, v0, 6, v1
	s_waitcnt lgkmcnt(0)
	s_add_u32 s2, s20, s2
	s_addc_u32 s3, s21, s3
	s_lshl_b64 s[22:23], s[22:23], 3
	s_load_b64 s[20:21], s[2:3], 0x0
	s_clause 0x1
	s_load_b64 s[8:9], s[0:1], 0x0
	s_load_b32 s18, s[0:1], 0x78
	v_cmp_gt_u32_e64 s2, 0x100, v53
	s_waitcnt lgkmcnt(0)
	s_add_u32 s15, s20, s22
	s_addc_u32 s17, s21, s23
	s_and_not1_b32 vcc_lo, exec_lo, s16
	s_cbranch_vccnz .LBB256_16
; %bb.10:
	s_mov_b32 s3, 0
	s_mov_b32 s19, 0
                                        ; implicit-def: $vgpr4_vgpr5
                                        ; implicit-def: $vgpr2_vgpr3
	s_and_saveexec_b32 s16, s2
	s_cbranch_execz .LBB256_17
; %bb.11:
	v_lshl_or_b32 v6, s14, 8, v53
	v_mov_b32_e32 v7, 0
	s_ashr_i32 s21, s8, 31
	s_mov_b32 s20, s8
	s_mov_b32 s2, exec_lo
                                        ; implicit-def: $vgpr4_vgpr5
                                        ; implicit-def: $vgpr2_vgpr3
	s_delay_alu instid0(VALU_DEP_1)
	v_cmpx_gt_i64_e64 s[20:21], v[6:7]
	s_cbranch_execz .LBB256_15
; %bb.12:
	v_cmp_eq_f64_e64 s19, s[4:5], 0
	v_mad_u64_u32 v[2:3], null, s18, v6, 0
	s_ashr_i32 s20, s18, 31
	s_delay_alu instid0(VALU_DEP_1) | instid1(SALU_CYCLE_1)
	v_mad_u64_u32 v[4:5], null, s20, v6, v[3:4]
	s_delay_alu instid0(VALU_DEP_1)
	v_dual_mov_b32 v3, v4 :: v_dual_mov_b32 v4, 0
	v_mov_b32_e32 v5, 0
	s_and_b32 vcc_lo, exec_lo, s19
	s_cbranch_vccnz .LBB256_14
; %bb.13:
	s_delay_alu instid0(VALU_DEP_2) | instskip(NEXT) | instid1(VALU_DEP_1)
	v_lshlrev_b64 v[4:5], 3, v[2:3]
	v_add_co_u32 v4, vcc_lo, s15, v4
	s_delay_alu instid0(VALU_DEP_2)
	v_add_co_ci_u32_e32 v5, vcc_lo, s17, v5, vcc_lo
	global_load_b64 v[4:5], v[4:5], off
	s_waitcnt vmcnt(0)
	v_mul_f64 v[4:5], v[4:5], s[4:5]
.LBB256_14:
	s_mov_b32 s19, exec_lo
.LBB256_15:
	s_or_b32 exec_lo, exec_lo, s2
	s_delay_alu instid0(SALU_CYCLE_1) | instskip(SKIP_1) | instid1(SALU_CYCLE_1)
	s_and_b32 s19, s19, exec_lo
	s_or_b32 exec_lo, exec_lo, s16
	s_and_b32 vcc_lo, exec_lo, s3
	s_cbranch_vccnz .LBB256_18
	s_branch .LBB256_55
.LBB256_16:
	s_mov_b32 s19, 0
                                        ; implicit-def: $vgpr4_vgpr5
                                        ; implicit-def: $vgpr2_vgpr3
	s_cbranch_execnz .LBB256_18
	s_branch .LBB256_55
.LBB256_17:
	s_or_b32 exec_lo, exec_lo, s16
	s_delay_alu instid0(SALU_CYCLE_1)
	s_and_b32 vcc_lo, exec_lo, s3
	s_cbranch_vccz .LBB256_55
.LBB256_18:
	s_clause 0x1
	s_load_b32 s20, s[0:1], 0x28
	s_load_b32 s16, s[0:1], 0x48
	v_dual_mov_b32 v8, 0 :: v_dual_lshlrev_b32 v55, 2, v0
	s_lshl_b32 s14, s14, 8
	s_delay_alu instid0(SALU_CYCLE_1) | instskip(SKIP_1) | instid1(VALU_DEP_2)
	v_dual_mov_b32 v9, 0 :: v_dual_add_nc_u32 v54, s14, v1
	s_ashr_i32 s0, s9, 31
	v_mov_b32_e32 v6, v8
	s_lshr_b32 s0, s0, 26
	s_delay_alu instid0(VALU_DEP_2)
	v_dual_mov_b32 v7, v9 :: v_dual_mov_b32 v4, v8
	v_dual_mov_b32 v5, v9 :: v_dual_mov_b32 v2, v8
	v_mov_b32_e32 v3, v9
	s_add_i32 s21, s9, s0
	s_mov_b32 s22, exec_lo
	s_and_not1_b32 s21, s21, 63
	s_delay_alu instid0(SALU_CYCLE_1)
	v_cmpx_gt_i32_e64 s21, v55
	s_cbranch_execz .LBB256_30
; %bb.19:
	s_waitcnt lgkmcnt(0)
	v_mul_lo_u32 v3, s20, v55
	v_dual_mov_b32 v8, 0 :: v_dual_add_nc_u32 v5, 0xc0, v54
	v_dual_mov_b32 v9, 0 :: v_dual_add_nc_u32 v2, 64, v54
	v_add_nc_u32_e32 v4, 0x80, v54
	s_delay_alu instid0(VALU_DEP_3) | instskip(SKIP_1) | instid1(VALU_DEP_4)
	v_cmp_gt_i32_e64 s2, s8, v5
	v_mul_lo_u32 v5, v0, s16
	v_cmp_gt_i32_e64 s0, s8, v2
	v_add_nc_u32_e32 v2, 2, v55
	v_mov_b32_e32 v6, v8
	v_add3_u32 v56, v3, s20, v1
	v_mul_lo_u32 v3, v0, s20
	v_mov_b32_e32 v7, v9
	v_cmp_gt_i32_e64 s1, s8, v4
	v_add_nc_u32_e32 v4, 3, v55
	v_mad_u64_u32 v[10:11], null, s20, v2, v[1:2]
	v_lshlrev_b32_e32 v60, 2, v5
	v_cmp_gt_i32_e32 vcc_lo, s8, v54
	s_delay_alu instid0(VALU_DEP_4)
	v_mad_u64_u32 v[11:12], null, s20, v4, v[1:2]
	v_mul_lo_u32 v59, s16, v4
	v_mov_b32_e32 v4, v8
	v_mad_u64_u32 v[12:13], null, s16, v55, s[16:17]
	v_mov_b32_e32 v5, v9
	v_mul_lo_u32 v58, s16, v2
	v_lshl_add_u32 v57, v3, 2, v1
	v_dual_mov_b32 v2, v8 :: v_dual_mov_b32 v3, v9
	s_lshl_b32 s23, s20, 6
	s_lshl_b32 s25, s16, 6
	s_mov_b32 s24, 0
	s_mov_b32 s26, 0
	s_branch .LBB256_24
.LBB256_20:                             ;   in Loop: Header=BB256_24 Depth=1
	s_or_b32 exec_lo, exec_lo, s29
	s_waitcnt vmcnt(3) lgkmcnt(3)
	v_fma_f64 v[4:5], v[13:14], v[45:46], v[4:5]
	s_waitcnt vmcnt(2) lgkmcnt(2)
	s_delay_alu instid0(VALU_DEP_1) | instskip(SKIP_1) | instid1(VALU_DEP_1)
	v_fma_f64 v[4:5], v[15:16], v[47:48], v[4:5]
	s_waitcnt vmcnt(1) lgkmcnt(1)
	v_fma_f64 v[4:5], v[17:18], v[49:50], v[4:5]
	s_waitcnt vmcnt(0) lgkmcnt(0)
	s_delay_alu instid0(VALU_DEP_1)
	v_fma_f64 v[4:5], v[19:20], v[51:52], v[4:5]
.LBB256_21:                             ;   in Loop: Header=BB256_24 Depth=1
	s_or_b32 exec_lo, exec_lo, s28
	s_waitcnt vmcnt(3) lgkmcnt(3)
	v_fma_f64 v[6:7], v[13:14], v[37:38], v[6:7]
	s_waitcnt vmcnt(2) lgkmcnt(2)
	s_delay_alu instid0(VALU_DEP_1) | instskip(SKIP_1) | instid1(VALU_DEP_1)
	v_fma_f64 v[6:7], v[15:16], v[39:40], v[6:7]
	s_waitcnt vmcnt(1) lgkmcnt(1)
	v_fma_f64 v[6:7], v[17:18], v[41:42], v[6:7]
	s_waitcnt vmcnt(0) lgkmcnt(0)
	s_delay_alu instid0(VALU_DEP_1)
	v_fma_f64 v[6:7], v[19:20], v[43:44], v[6:7]
.LBB256_22:                             ;   in Loop: Header=BB256_24 Depth=1
	s_or_b32 exec_lo, exec_lo, s3
	s_waitcnt vmcnt(3) lgkmcnt(3)
	v_fma_f64 v[8:9], v[13:14], v[21:22], v[8:9]
	s_waitcnt vmcnt(2) lgkmcnt(2)
	s_delay_alu instid0(VALU_DEP_1) | instskip(SKIP_1) | instid1(VALU_DEP_1)
	v_fma_f64 v[8:9], v[15:16], v[23:24], v[8:9]
	s_waitcnt vmcnt(1) lgkmcnt(1)
	v_fma_f64 v[8:9], v[17:18], v[25:26], v[8:9]
	s_waitcnt vmcnt(0) lgkmcnt(0)
	s_delay_alu instid0(VALU_DEP_1)
	v_fma_f64 v[8:9], v[19:20], v[27:28], v[8:9]
.LBB256_23:                             ;   in Loop: Header=BB256_24 Depth=1
	s_or_b32 exec_lo, exec_lo, s27
	v_add_nc_u32_e32 v55, 64, v55
	v_add_nc_u32_e32 v56, s23, v56
	;; [unrolled: 1-line block ×5, first 2 shown]
	v_cmp_le_i32_e64 s3, s21, v55
	s_add_i32 s26, s26, s25
	s_delay_alu instid0(VALU_DEP_1) | instskip(NEXT) | instid1(SALU_CYCLE_1)
	s_or_b32 s24, s3, s24
	s_and_not1_b32 exec_lo, exec_lo, s24
	s_cbranch_execz .LBB256_29
.LBB256_24:                             ; =>This Inner Loop Header: Depth=1
	s_and_saveexec_b32 s27, vcc_lo
	s_cbranch_execz .LBB256_23
; %bb.25:                               ;   in Loop: Header=BB256_24 Depth=1
	v_add_nc_u32_e32 v13, s26, v60
	v_add_nc_u32_e32 v15, s26, v12
	;; [unrolled: 1-line block ×5, first 2 shown]
	v_ashrrev_i32_e32 v14, 31, v13
	v_ashrrev_i32_e32 v16, 31, v15
	;; [unrolled: 1-line block ×4, first 2 shown]
	v_add_nc_u32_e32 v23, s14, v56
	v_lshlrev_b64 v[13:14], 3, v[13:14]
	v_lshlrev_b64 v[15:16], 3, v[15:16]
	;; [unrolled: 1-line block ×3, first 2 shown]
	v_ashrrev_i32_e32 v22, 31, v21
	v_lshlrev_b64 v[19:20], 3, v[19:20]
	v_ashrrev_i32_e32 v24, 31, v23
	v_add_co_u32 v13, s3, s12, v13
	s_delay_alu instid0(VALU_DEP_1)
	v_add_co_ci_u32_e64 v14, s3, s13, v14, s3
	v_add_co_u32 v15, s3, s12, v15
	v_add_nc_u32_e32 v25, s14, v10
	v_add_co_ci_u32_e64 v16, s3, s13, v16, s3
	v_add_co_u32 v17, s3, s12, v17
	v_lshlrev_b64 v[21:22], 3, v[21:22]
	v_add_nc_u32_e32 v27, s14, v11
	v_add_co_ci_u32_e64 v18, s3, s13, v18, s3
	v_add_co_u32 v19, s3, s12, v19
	v_lshlrev_b64 v[23:24], 3, v[23:24]
	v_ashrrev_i32_e32 v26, 31, v25
	v_add_co_ci_u32_e64 v20, s3, s13, v20, s3
	v_add_co_u32 v29, s3, s10, v21
	v_ashrrev_i32_e32 v28, 31, v27
	v_add_co_ci_u32_e64 v30, s3, s11, v22, s3
	v_lshlrev_b64 v[21:22], 3, v[25:26]
	v_add_co_u32 v31, s3, s10, v23
	s_delay_alu instid0(VALU_DEP_1) | instskip(SKIP_1) | instid1(VALU_DEP_4)
	v_add_co_ci_u32_e64 v32, s3, s11, v24, s3
	v_lshlrev_b64 v[23:24], 3, v[27:28]
	v_add_co_u32 v33, s3, s10, v21
	s_delay_alu instid0(VALU_DEP_1) | instskip(NEXT) | instid1(VALU_DEP_3)
	v_add_co_ci_u32_e64 v34, s3, s11, v22, s3
	v_add_co_u32 v35, s3, s10, v23
	s_delay_alu instid0(VALU_DEP_1)
	v_add_co_ci_u32_e64 v36, s3, s11, v24, s3
	s_clause 0x3
	flat_load_b64 v[13:14], v[13:14]
	flat_load_b64 v[15:16], v[15:16]
	;; [unrolled: 1-line block ×4, first 2 shown]
	s_clause 0x3
	flat_load_b64 v[21:22], v[29:30]
	flat_load_b64 v[23:24], v[31:32]
	;; [unrolled: 1-line block ×4, first 2 shown]
	s_and_saveexec_b32 s3, s0
	s_cbranch_execz .LBB256_22
; %bb.26:                               ;   in Loop: Header=BB256_24 Depth=1
	s_clause 0x3
	flat_load_b64 v[37:38], v[29:30] offset:512
	flat_load_b64 v[39:40], v[31:32] offset:512
	flat_load_b64 v[41:42], v[33:34] offset:512
	flat_load_b64 v[43:44], v[35:36] offset:512
	s_and_saveexec_b32 s28, s1
	s_cbranch_execz .LBB256_21
; %bb.27:                               ;   in Loop: Header=BB256_24 Depth=1
	s_clause 0x3
	flat_load_b64 v[45:46], v[29:30] offset:1024
	flat_load_b64 v[47:48], v[31:32] offset:1024
	flat_load_b64 v[49:50], v[33:34] offset:1024
	flat_load_b64 v[51:52], v[35:36] offset:1024
	;; [unrolled: 8-line block ×3, first 2 shown]
	s_waitcnt vmcnt(3) lgkmcnt(3)
	v_fma_f64 v[2:3], v[13:14], v[29:30], v[2:3]
	s_waitcnt vmcnt(2) lgkmcnt(2)
	s_delay_alu instid0(VALU_DEP_1) | instskip(SKIP_1) | instid1(VALU_DEP_1)
	v_fma_f64 v[2:3], v[15:16], v[31:32], v[2:3]
	s_waitcnt vmcnt(1) lgkmcnt(1)
	v_fma_f64 v[2:3], v[17:18], v[33:34], v[2:3]
	s_waitcnt vmcnt(0) lgkmcnt(0)
	s_delay_alu instid0(VALU_DEP_1)
	v_fma_f64 v[2:3], v[19:20], v[35:36], v[2:3]
	s_branch .LBB256_20
.LBB256_29:
	s_or_b32 exec_lo, exec_lo, s24
.LBB256_30:
	s_delay_alu instid0(SALU_CYCLE_1) | instskip(SKIP_1) | instid1(SALU_CYCLE_1)
	s_or_b32 exec_lo, exec_lo, s22
	s_sub_i32 s0, s9, s21
	s_cmp_lt_i32 s0, 1
	s_cbranch_scc1 .LBB256_48
; %bb.31:
	v_mov_b32_e32 v14, 0
	v_mov_b32_e32 v15, 0
	v_cmp_gt_i32_e32 vcc_lo, s9, v55
	v_or_b32_e32 v20, 1, v55
	s_delay_alu instid0(VALU_DEP_4) | instskip(NEXT) | instid1(VALU_DEP_4)
	v_mov_b32_e32 v12, v14
	v_dual_mov_b32 v10, v14 :: v_dual_mov_b32 v11, v15
	v_dual_mov_b32 v17, v15 :: v_dual_mov_b32 v16, v14
	v_mov_b32_e32 v13, v15
	s_and_saveexec_b32 s1, vcc_lo
	s_cbranch_execz .LBB256_39
; %bb.32:
	s_waitcnt lgkmcnt(0)
	v_mul_lo_u32 v10, v55, s16
	v_mov_b32_e32 v12, 0
	v_mov_b32_e32 v13, 0
	s_mov_b32 s2, exec_lo
	s_delay_alu instid0(VALU_DEP_1) | instskip(NEXT) | instid1(VALU_DEP_4)
	v_dual_mov_b32 v17, v13 :: v_dual_mov_b32 v16, v12
	v_ashrrev_i32_e32 v11, 31, v10
	v_dual_mov_b32 v15, v13 :: v_dual_mov_b32 v14, v12
	s_delay_alu instid0(VALU_DEP_2) | instskip(NEXT) | instid1(VALU_DEP_1)
	v_lshlrev_b64 v[10:11], 3, v[10:11]
	v_add_co_u32 v10, s0, s12, v10
	s_delay_alu instid0(VALU_DEP_1)
	v_add_co_ci_u32_e64 v11, s0, s13, v11, s0
	flat_load_b64 v[10:11], v[10:11]
	v_cmpx_gt_i32_e64 s9, v20
	s_cbranch_execz .LBB256_38
; %bb.33:
	v_mul_lo_u32 v12, v20, s16
	v_mov_b32_e32 v16, 0
	v_mov_b32_e32 v17, 0
	v_or_b32_e32 v18, 2, v55
	s_delay_alu instid0(VALU_DEP_3) | instskip(SKIP_1) | instid1(VALU_DEP_3)
	v_mov_b32_e32 v14, v16
	s_mov_b32 s3, exec_lo
	v_mov_b32_e32 v15, v17
	v_ashrrev_i32_e32 v13, 31, v12
	s_delay_alu instid0(VALU_DEP_1) | instskip(NEXT) | instid1(VALU_DEP_1)
	v_lshlrev_b64 v[12:13], 3, v[12:13]
	v_add_co_u32 v12, s0, s12, v12
	s_delay_alu instid0(VALU_DEP_1)
	v_add_co_ci_u32_e64 v13, s0, s13, v13, s0
	flat_load_b64 v[12:13], v[12:13]
	v_cmpx_gt_i32_e64 s9, v18
	s_cbranch_execz .LBB256_37
; %bb.34:
	v_mul_lo_u32 v14, v18, s16
	v_or_b32_e32 v18, 3, v55
	s_mov_b32 s21, exec_lo
	s_delay_alu instid0(VALU_DEP_2) | instskip(NEXT) | instid1(VALU_DEP_1)
	v_ashrrev_i32_e32 v15, 31, v14
	v_lshlrev_b64 v[14:15], 3, v[14:15]
	s_delay_alu instid0(VALU_DEP_1) | instskip(NEXT) | instid1(VALU_DEP_1)
	v_add_co_u32 v14, s0, s12, v14
	v_add_co_ci_u32_e64 v15, s0, s13, v15, s0
	flat_load_b64 v[16:17], v[14:15]
	v_mov_b32_e32 v14, 0
	v_mov_b32_e32 v15, 0
	v_cmpx_gt_i32_e64 s9, v18
	s_cbranch_execz .LBB256_36
; %bb.35:
	v_mul_lo_u32 v14, v18, s16
	s_delay_alu instid0(VALU_DEP_1) | instskip(NEXT) | instid1(VALU_DEP_1)
	v_ashrrev_i32_e32 v15, 31, v14
	v_lshlrev_b64 v[14:15], 3, v[14:15]
	s_delay_alu instid0(VALU_DEP_1) | instskip(NEXT) | instid1(VALU_DEP_1)
	v_add_co_u32 v14, s0, s12, v14
	v_add_co_ci_u32_e64 v15, s0, s13, v15, s0
	flat_load_b64 v[14:15], v[14:15]
.LBB256_36:
	s_or_b32 exec_lo, exec_lo, s21
.LBB256_37:
	s_delay_alu instid0(SALU_CYCLE_1)
	s_or_b32 exec_lo, exec_lo, s3
.LBB256_38:
	s_delay_alu instid0(SALU_CYCLE_1)
	s_or_b32 exec_lo, exec_lo, s2
.LBB256_39:
	s_delay_alu instid0(SALU_CYCLE_1) | instskip(NEXT) | instid1(SALU_CYCLE_1)
	s_or_b32 exec_lo, exec_lo, s1
	s_mov_b32 s1, exec_lo
	v_cmpx_gt_i32_e64 s8, v54
	s_cbranch_execz .LBB256_47
; %bb.40:
	s_waitcnt lgkmcnt(0)
	v_mul_lo_u32 v18, v55, s20
	v_mul_lo_u32 v21, v20, s20
	v_or_b32_e32 v22, 2, v55
	s_mov_b32 s0, exec_lo
	s_delay_alu instid0(VALU_DEP_1) | instskip(NEXT) | instid1(VALU_DEP_4)
	v_mul_lo_u32 v23, v22, s20
	v_cndmask_b32_e32 v18, 0, v18, vcc_lo
	s_delay_alu instid0(VALU_DEP_1) | instskip(NEXT) | instid1(VALU_DEP_1)
	v_add_nc_u32_e32 v18, v18, v54
	v_ashrrev_i32_e32 v19, 31, v18
	s_delay_alu instid0(VALU_DEP_1) | instskip(NEXT) | instid1(VALU_DEP_1)
	v_lshlrev_b64 v[18:19], 3, v[18:19]
	v_add_co_u32 v18, vcc_lo, s10, v18
	s_delay_alu instid0(VALU_DEP_2) | instskip(SKIP_3) | instid1(VALU_DEP_1)
	v_add_co_ci_u32_e32 v19, vcc_lo, s11, v19, vcc_lo
	v_cmp_gt_i32_e32 vcc_lo, s9, v20
	flat_load_b64 v[28:29], v[18:19]
	v_cndmask_b32_e32 v20, 0, v21, vcc_lo
	v_add_nc_u32_e32 v20, v20, v54
	s_delay_alu instid0(VALU_DEP_1) | instskip(NEXT) | instid1(VALU_DEP_1)
	v_ashrrev_i32_e32 v21, 31, v20
	v_lshlrev_b64 v[20:21], 3, v[20:21]
	s_delay_alu instid0(VALU_DEP_1) | instskip(NEXT) | instid1(VALU_DEP_2)
	v_add_co_u32 v20, vcc_lo, s10, v20
	v_add_co_ci_u32_e32 v21, vcc_lo, s11, v21, vcc_lo
	v_cmp_gt_i32_e32 vcc_lo, s9, v22
	flat_load_b64 v[30:31], v[20:21]
	v_cndmask_b32_e32 v22, 0, v23, vcc_lo
	s_delay_alu instid0(VALU_DEP_1) | instskip(NEXT) | instid1(VALU_DEP_1)
	v_add_nc_u32_e32 v22, v22, v54
	v_ashrrev_i32_e32 v23, 31, v22
	s_delay_alu instid0(VALU_DEP_1) | instskip(NEXT) | instid1(VALU_DEP_1)
	v_lshlrev_b64 v[22:23], 3, v[22:23]
	v_add_co_u32 v24, vcc_lo, s10, v22
	s_delay_alu instid0(VALU_DEP_2) | instskip(SKIP_4) | instid1(VALU_DEP_2)
	v_add_co_ci_u32_e32 v25, vcc_lo, s11, v23, vcc_lo
	v_or_b32_e32 v22, 3, v55
	flat_load_b64 v[32:33], v[24:25]
	v_mul_lo_u32 v23, v22, s20
	v_cmp_gt_i32_e32 vcc_lo, s9, v22
	v_cndmask_b32_e32 v22, 0, v23, vcc_lo
	s_delay_alu instid0(VALU_DEP_1) | instskip(NEXT) | instid1(VALU_DEP_1)
	v_add_nc_u32_e32 v22, v22, v54
	v_ashrrev_i32_e32 v23, 31, v22
	s_delay_alu instid0(VALU_DEP_1) | instskip(NEXT) | instid1(VALU_DEP_1)
	v_lshlrev_b64 v[22:23], 3, v[22:23]
	v_add_co_u32 v26, vcc_lo, s10, v22
	s_delay_alu instid0(VALU_DEP_2)
	v_add_co_ci_u32_e32 v27, vcc_lo, s11, v23, vcc_lo
	flat_load_b64 v[22:23], v[26:27]
	s_waitcnt vmcnt(3) lgkmcnt(3)
	v_fma_f64 v[8:9], v[10:11], v[28:29], v[8:9]
	v_add_nc_u32_e32 v28, 64, v54
	s_waitcnt vmcnt(2) lgkmcnt(2)
	s_delay_alu instid0(VALU_DEP_2) | instskip(SKIP_1) | instid1(VALU_DEP_1)
	v_fma_f64 v[8:9], v[12:13], v[30:31], v[8:9]
	s_waitcnt vmcnt(1) lgkmcnt(1)
	v_fma_f64 v[8:9], v[16:17], v[32:33], v[8:9]
	v_cmpx_gt_i32_e64 s8, v28
	s_cbranch_execz .LBB256_46
; %bb.41:
	s_clause 0x3
	flat_load_b64 v[30:31], v[18:19] offset:512
	flat_load_b64 v[32:33], v[20:21] offset:512
	;; [unrolled: 1-line block ×4, first 2 shown]
	s_mov_b32 s2, exec_lo
	s_waitcnt vmcnt(3) lgkmcnt(3)
	v_fma_f64 v[6:7], v[10:11], v[30:31], v[6:7]
	v_add_nc_u32_e32 v30, 0x80, v54
	s_waitcnt vmcnt(2) lgkmcnt(2)
	s_delay_alu instid0(VALU_DEP_2) | instskip(SKIP_1) | instid1(VALU_DEP_1)
	v_fma_f64 v[6:7], v[12:13], v[32:33], v[6:7]
	s_waitcnt vmcnt(1) lgkmcnt(1)
	v_fma_f64 v[6:7], v[16:17], v[34:35], v[6:7]
	v_cmpx_gt_i32_e64 s8, v30
	s_cbranch_execz .LBB256_45
; %bb.42:
	s_clause 0x3
	flat_load_b64 v[32:33], v[18:19] offset:1024
	flat_load_b64 v[34:35], v[20:21] offset:1024
	;; [unrolled: 1-line block ×4, first 2 shown]
	s_mov_b32 s3, exec_lo
	s_waitcnt vmcnt(3) lgkmcnt(3)
	v_fma_f64 v[4:5], v[10:11], v[32:33], v[4:5]
	v_add_nc_u32_e32 v32, 0xc0, v54
	s_waitcnt vmcnt(2) lgkmcnt(2)
	s_delay_alu instid0(VALU_DEP_2) | instskip(SKIP_1) | instid1(VALU_DEP_1)
	v_fma_f64 v[4:5], v[12:13], v[34:35], v[4:5]
	s_waitcnt vmcnt(1) lgkmcnt(1)
	v_fma_f64 v[4:5], v[16:17], v[36:37], v[4:5]
	v_cmpx_gt_i32_e64 s8, v32
	s_cbranch_execz .LBB256_44
; %bb.43:
	s_clause 0x3
	flat_load_b64 v[18:19], v[18:19] offset:1536
	flat_load_b64 v[20:21], v[20:21] offset:1536
	;; [unrolled: 1-line block ×4, first 2 shown]
	s_waitcnt vmcnt(3) lgkmcnt(3)
	v_fma_f64 v[2:3], v[10:11], v[18:19], v[2:3]
	s_waitcnt vmcnt(2) lgkmcnt(2)
	s_delay_alu instid0(VALU_DEP_1) | instskip(SKIP_1) | instid1(VALU_DEP_1)
	v_fma_f64 v[2:3], v[12:13], v[20:21], v[2:3]
	s_waitcnt vmcnt(1) lgkmcnt(1)
	v_fma_f64 v[2:3], v[16:17], v[24:25], v[2:3]
	s_waitcnt vmcnt(0) lgkmcnt(0)
	s_delay_alu instid0(VALU_DEP_1)
	v_fma_f64 v[2:3], v[14:15], v[26:27], v[2:3]
.LBB256_44:
	s_or_b32 exec_lo, exec_lo, s3
	s_waitcnt vmcnt(0) lgkmcnt(0)
	s_delay_alu instid0(VALU_DEP_2)
	v_fma_f64 v[4:5], v[14:15], v[30:31], v[4:5]
.LBB256_45:
	s_or_b32 exec_lo, exec_lo, s2
	s_waitcnt vmcnt(0) lgkmcnt(0)
	s_delay_alu instid0(VALU_DEP_2)
	v_fma_f64 v[6:7], v[14:15], v[28:29], v[6:7]
.LBB256_46:
	s_or_b32 exec_lo, exec_lo, s0
	s_waitcnt vmcnt(0) lgkmcnt(0)
	s_delay_alu instid0(VALU_DEP_2)
	v_fma_f64 v[8:9], v[14:15], v[22:23], v[8:9]
.LBB256_47:
	s_or_b32 exec_lo, exec_lo, s1
.LBB256_48:
	v_lshlrev_b32_e32 v0, 8, v0
	s_mov_b32 s0, exec_lo
	s_delay_alu instid0(VALU_DEP_1)
	v_add_lshl_u32 v0, v0, v1, 3
	ds_store_2addr_stride64_b64 v0, v[8:9], v[6:7] offset1:1
	ds_store_2addr_stride64_b64 v0, v[4:5], v[2:3] offset0:2 offset1:3
	s_waitcnt vmcnt(0) lgkmcnt(0)
	s_barrier
	buffer_gl0_inv
                                        ; implicit-def: $vgpr4_vgpr5
                                        ; implicit-def: $vgpr2_vgpr3
	v_cmpx_gt_u32_e32 0x100, v53
	s_cbranch_execz .LBB256_54
; %bb.49:
	v_lshlrev_b32_e32 v7, 3, v53
	v_or_b32_e32 v6, s14, v53
	s_mov_b32 s2, s19
	s_mov_b32 s1, exec_lo
	ds_load_2addr_stride64_b64 v[0:3], v7 offset1:4
	s_waitcnt lgkmcnt(0)
	v_add_f64 v[4:5], v[0:1], v[2:3]
	ds_load_2addr_stride64_b64 v[0:3], v7 offset0:8 offset1:12
	s_waitcnt lgkmcnt(0)
	v_add_f64 v[0:1], v[0:1], v[4:5]
	s_delay_alu instid0(VALU_DEP_1) | instskip(SKIP_3) | instid1(VALU_DEP_1)
	v_add_f64 v[4:5], v[2:3], v[0:1]
	ds_load_2addr_stride64_b64 v[0:3], v7 offset0:16 offset1:20
	s_waitcnt lgkmcnt(0)
	v_add_f64 v[0:1], v[0:1], v[4:5]
	v_add_f64 v[4:5], v[2:3], v[0:1]
	ds_load_2addr_stride64_b64 v[0:3], v7 offset0:24 offset1:28
	s_waitcnt lgkmcnt(0)
	v_add_f64 v[0:1], v[0:1], v[4:5]
	s_delay_alu instid0(VALU_DEP_1) | instskip(SKIP_3) | instid1(VALU_DEP_1)
	v_add_f64 v[4:5], v[2:3], v[0:1]
	ds_load_2addr_stride64_b64 v[0:3], v7 offset0:32 offset1:36
	s_waitcnt lgkmcnt(0)
	v_add_f64 v[0:1], v[0:1], v[4:5]
	v_add_f64 v[4:5], v[2:3], v[0:1]
	ds_load_2addr_stride64_b64 v[0:3], v7 offset0:40 offset1:44
	s_waitcnt lgkmcnt(0)
	v_add_f64 v[0:1], v[0:1], v[4:5]
	s_delay_alu instid0(VALU_DEP_1) | instskip(SKIP_3) | instid1(VALU_DEP_1)
	v_add_f64 v[4:5], v[2:3], v[0:1]
	ds_load_2addr_stride64_b64 v[0:3], v7 offset0:48 offset1:52
	s_waitcnt lgkmcnt(0)
	v_add_f64 v[0:1], v[0:1], v[4:5]
	v_add_f64 v[4:5], v[2:3], v[0:1]
	ds_load_2addr_stride64_b64 v[0:3], v7 offset0:56 offset1:60
	s_waitcnt lgkmcnt(0)
	v_add_f64 v[0:1], v[0:1], v[4:5]
                                        ; implicit-def: $vgpr4_vgpr5
	s_delay_alu instid0(VALU_DEP_1)
	v_add_f64 v[0:1], v[2:3], v[0:1]
                                        ; implicit-def: $vgpr2_vgpr3
	ds_store_b64 v7, v[0:1]
	v_cmpx_gt_i32_e64 s8, v6
	s_cbranch_execz .LBB256_53
; %bb.50:
	v_cmp_eq_f64_e64 s2, s[4:5], 0
	v_mul_f64 v[4:5], v[0:1], s[6:7]
	v_mul_lo_u32 v2, v6, s18
	s_delay_alu instid0(VALU_DEP_1) | instskip(NEXT) | instid1(VALU_DEP_4)
	v_ashrrev_i32_e32 v3, 31, v2
	s_and_b32 vcc_lo, exec_lo, s2
	s_cbranch_vccnz .LBB256_52
; %bb.51:
	s_delay_alu instid0(VALU_DEP_1) | instskip(NEXT) | instid1(VALU_DEP_1)
	v_lshlrev_b64 v[0:1], 3, v[2:3]
	v_add_co_u32 v0, vcc_lo, s15, v0
	s_delay_alu instid0(VALU_DEP_2)
	v_add_co_ci_u32_e32 v1, vcc_lo, s17, v1, vcc_lo
	global_load_b64 v[0:1], v[0:1], off
	s_waitcnt vmcnt(0)
	v_fma_f64 v[4:5], v[0:1], s[4:5], v[4:5]
.LBB256_52:
	s_or_b32 s2, s19, exec_lo
.LBB256_53:
	s_or_b32 exec_lo, exec_lo, s1
	s_delay_alu instid0(SALU_CYCLE_1) | instskip(SKIP_1) | instid1(SALU_CYCLE_1)
	s_and_not1_b32 s1, s19, exec_lo
	s_and_b32 s2, s2, exec_lo
	s_or_b32 s19, s1, s2
.LBB256_54:
	s_or_b32 exec_lo, exec_lo, s0
.LBB256_55:
	s_and_saveexec_b32 s0, s19
	s_cbranch_execz .LBB256_57
; %bb.56:
	v_lshlrev_b64 v[0:1], 3, v[2:3]
	s_delay_alu instid0(VALU_DEP_1) | instskip(NEXT) | instid1(VALU_DEP_2)
	v_add_co_u32 v0, vcc_lo, s15, v0
	v_add_co_ci_u32_e32 v1, vcc_lo, s17, v1, vcc_lo
	global_store_b64 v[0:1], v[4:5], off
.LBB256_57:
	s_nop 0
	s_sendmsg sendmsg(MSG_DEALLOC_VGPRS)
	s_endpgm
	.section	.rodata,"a",@progbits
	.p2align	6, 0x0
	.amdhsa_kernel _ZL20rocblas_gemvn_kernelILi64ELi16EiPKddKPdEviiT3_lPKT2_lT1_lS7_lS8_lS4_lPT4_lS8_li
		.amdhsa_group_segment_fixed_size 32768
		.amdhsa_private_segment_fixed_size 0
		.amdhsa_kernarg_size 400
		.amdhsa_user_sgpr_count 14
		.amdhsa_user_sgpr_dispatch_ptr 0
		.amdhsa_user_sgpr_queue_ptr 0
		.amdhsa_user_sgpr_kernarg_segment_ptr 1
		.amdhsa_user_sgpr_dispatch_id 0
		.amdhsa_user_sgpr_private_segment_size 0
		.amdhsa_wavefront_size32 1
		.amdhsa_uses_dynamic_stack 0
		.amdhsa_enable_private_segment 0
		.amdhsa_system_sgpr_workgroup_id_x 1
		.amdhsa_system_sgpr_workgroup_id_y 0
		.amdhsa_system_sgpr_workgroup_id_z 1
		.amdhsa_system_sgpr_workgroup_info 0
		.amdhsa_system_vgpr_workitem_id 1
		.amdhsa_next_free_vgpr 61
		.amdhsa_next_free_sgpr 30
		.amdhsa_reserve_vcc 1
		.amdhsa_float_round_mode_32 0
		.amdhsa_float_round_mode_16_64 0
		.amdhsa_float_denorm_mode_32 3
		.amdhsa_float_denorm_mode_16_64 3
		.amdhsa_dx10_clamp 1
		.amdhsa_ieee_mode 1
		.amdhsa_fp16_overflow 0
		.amdhsa_workgroup_processor_mode 1
		.amdhsa_memory_ordered 1
		.amdhsa_forward_progress 0
		.amdhsa_shared_vgpr_count 0
		.amdhsa_exception_fp_ieee_invalid_op 0
		.amdhsa_exception_fp_denorm_src 0
		.amdhsa_exception_fp_ieee_div_zero 0
		.amdhsa_exception_fp_ieee_overflow 0
		.amdhsa_exception_fp_ieee_underflow 0
		.amdhsa_exception_fp_ieee_inexact 0
		.amdhsa_exception_int_div_zero 0
	.end_amdhsa_kernel
	.section	.text._ZL20rocblas_gemvn_kernelILi64ELi16EiPKddKPdEviiT3_lPKT2_lT1_lS7_lS8_lS4_lPT4_lS8_li,"axG",@progbits,_ZL20rocblas_gemvn_kernelILi64ELi16EiPKddKPdEviiT3_lPKT2_lT1_lS7_lS8_lS4_lPT4_lS8_li,comdat
.Lfunc_end256:
	.size	_ZL20rocblas_gemvn_kernelILi64ELi16EiPKddKPdEviiT3_lPKT2_lT1_lS7_lS8_lS4_lPT4_lS8_li, .Lfunc_end256-_ZL20rocblas_gemvn_kernelILi64ELi16EiPKddKPdEviiT3_lPKT2_lT1_lS7_lS8_lS4_lPT4_lS8_li
                                        ; -- End function
	.section	.AMDGPU.csdata,"",@progbits
; Kernel info:
; codeLenInByte = 3320
; NumSgprs: 32
; NumVgprs: 61
; ScratchSize: 0
; MemoryBound: 0
; FloatMode: 240
; IeeeMode: 1
; LDSByteSize: 32768 bytes/workgroup (compile time only)
; SGPRBlocks: 3
; VGPRBlocks: 7
; NumSGPRsForWavesPerEU: 32
; NumVGPRsForWavesPerEU: 61
; Occupancy: 16
; WaveLimiterHint : 1
; COMPUTE_PGM_RSRC2:SCRATCH_EN: 0
; COMPUTE_PGM_RSRC2:USER_SGPR: 14
; COMPUTE_PGM_RSRC2:TRAP_HANDLER: 0
; COMPUTE_PGM_RSRC2:TGID_X_EN: 1
; COMPUTE_PGM_RSRC2:TGID_Y_EN: 0
; COMPUTE_PGM_RSRC2:TGID_Z_EN: 1
; COMPUTE_PGM_RSRC2:TIDIG_COMP_CNT: 1
	.section	.text._ZL20rocblas_gemvn_kernelILi64ELi16ElPKddKPdEviiT3_lPKT2_lT1_lS7_lS8_lS4_lPT4_lS8_li,"axG",@progbits,_ZL20rocblas_gemvn_kernelILi64ELi16ElPKddKPdEviiT3_lPKT2_lT1_lS7_lS8_lS4_lPT4_lS8_li,comdat
	.globl	_ZL20rocblas_gemvn_kernelILi64ELi16ElPKddKPdEviiT3_lPKT2_lT1_lS7_lS8_lS4_lPT4_lS8_li ; -- Begin function _ZL20rocblas_gemvn_kernelILi64ELi16ElPKddKPdEviiT3_lPKT2_lT1_lS7_lS8_lS4_lPT4_lS8_li
	.p2align	8
	.type	_ZL20rocblas_gemvn_kernelILi64ELi16ElPKddKPdEviiT3_lPKT2_lT1_lS7_lS8_lS4_lPT4_lS8_li,@function
_ZL20rocblas_gemvn_kernelILi64ELi16ElPKddKPdEviiT3_lPKT2_lT1_lS7_lS8_lS4_lPT4_lS8_li: ; @_ZL20rocblas_gemvn_kernelILi64ELi16ElPKddKPdEviiT3_lPKT2_lT1_lS7_lS8_lS4_lPT4_lS8_li
; %bb.0:
	s_load_b64 s[4:5], s[0:1], 0x9c
	s_waitcnt lgkmcnt(0)
	s_lshr_b32 s3, s4, 16
	s_and_b32 s4, s4, 0xffff
	s_and_b32 s5, s5, 0xffff
	s_mul_i32 s3, s3, s4
	s_delay_alu instid0(SALU_CYCLE_1) | instskip(NEXT) | instid1(SALU_CYCLE_1)
	s_mul_i32 s3, s3, s5
	s_cmpk_lg_i32 s3, 0x400
	s_cbranch_scc1 .LBB257_57
; %bb.1:
	s_clause 0x1
	s_load_b64 s[10:11], s[0:1], 0x8
	s_load_b64 s[8:9], s[0:1], 0x58
	s_mov_b32 s2, s15
	s_waitcnt lgkmcnt(0)
	v_cmp_eq_f64_e64 s15, s[10:11], 0
	v_cmp_eq_f64_e64 s3, s[8:9], 1.0
	s_delay_alu instid0(VALU_DEP_1) | instskip(NEXT) | instid1(SALU_CYCLE_1)
	s_and_b32 s3, s15, s3
	s_and_b32 vcc_lo, exec_lo, s3
	s_cbranch_vccnz .LBB257_57
; %bb.2:
	v_cmp_neq_f64_e64 s12, s[10:11], 0
	s_clause 0x1
	s_load_b128 s[4:7], s[0:1], 0x18
	s_load_b64 s[16:17], s[0:1], 0x28
	s_delay_alu instid0(VALU_DEP_1)
	s_and_b32 vcc_lo, exec_lo, s12
	s_cbranch_vccnz .LBB257_4
; %bb.3:
	s_mov_b32 s3, 0
	s_mov_b64 s[18:19], 0
	s_cbranch_execz .LBB257_5
	s_branch .LBB257_6
.LBB257_4:
	s_mov_b32 s3, -1
                                        ; implicit-def: $sgpr18_sgpr19
.LBB257_5:
	s_mov_b32 s3, 0
	s_delay_alu instid0(SALU_CYCLE_1)
	s_lshl_b64 s[18:19], s[2:3], 3
	s_waitcnt lgkmcnt(0)
	s_add_u32 s4, s4, s18
	s_addc_u32 s5, s5, s19
	s_lshl_b64 s[6:7], s[6:7], 3
	s_load_b64 s[4:5], s[4:5], 0x0
	s_waitcnt lgkmcnt(0)
	s_add_u32 s18, s4, s6
	s_addc_u32 s19, s5, s7
.LBB257_6:
	s_waitcnt lgkmcnt(0)
	s_clause 0x1
	s_load_b128 s[4:7], s[0:1], 0x38
	s_load_b64 s[20:21], s[0:1], 0x48
	s_and_not1_b32 vcc_lo, exec_lo, s12
	s_cbranch_vccnz .LBB257_8
; %bb.7:
	s_lshl_b64 s[12:13], s[2:3], 3
	s_waitcnt lgkmcnt(0)
	s_add_u32 s4, s4, s12
	s_addc_u32 s5, s5, s13
	s_lshl_b64 s[6:7], s[6:7], 3
	s_load_b64 s[4:5], s[4:5], 0x0
	s_waitcnt lgkmcnt(0)
	s_add_u32 s22, s4, s6
	s_addc_u32 s23, s5, s7
	s_branch .LBB257_9
.LBB257_8:
	s_mov_b64 s[22:23], 0
.LBB257_9:
	s_load_b128 s[24:27], s[0:1], 0x68
	s_lshl_b64 s[2:3], s[2:3], 3
	v_and_b32_e32 v61, 0x3ff, v0
	v_bfe_u32 v62, v0, 10, 10
	s_delay_alu instid0(VALU_DEP_1)
	v_lshl_add_u32 v60, v62, 6, v61
	s_waitcnt lgkmcnt(0)
	s_add_u32 s2, s24, s2
	s_addc_u32 s3, s25, s3
	s_lshl_b64 s[24:25], s[26:27], 3
	s_load_b64 s[2:3], s[2:3], 0x0
	s_clause 0x1
	s_load_b64 s[12:13], s[0:1], 0x0
	s_load_b64 s[6:7], s[0:1], 0x78
	v_cmp_gt_u32_e64 s0, 0x100, v60
	s_waitcnt lgkmcnt(0)
	s_add_u32 s5, s2, s24
	s_addc_u32 s28, s3, s25
	s_and_not1_b32 vcc_lo, exec_lo, s15
	s_cbranch_vccnz .LBB257_16
; %bb.10:
	s_mov_b32 s1, 0
	s_mov_b32 s29, 0
                                        ; implicit-def: $vgpr2_vgpr3
                                        ; implicit-def: $vgpr0_vgpr1
	s_and_saveexec_b32 s2, s0
	s_cbranch_execz .LBB257_17
; %bb.11:
	v_lshl_or_b32 v4, s14, 8, v60
	v_mov_b32_e32 v5, 0
	s_ashr_i32 s25, s12, 31
	s_mov_b32 s24, s12
	s_mov_b32 s3, 0
	s_mov_b32 s0, exec_lo
                                        ; implicit-def: $vgpr2_vgpr3
                                        ; implicit-def: $vgpr0_vgpr1
	v_cmpx_gt_i64_e64 s[24:25], v[4:5]
	s_cbranch_execz .LBB257_15
; %bb.12:
	v_cmp_eq_f64_e64 s3, s[8:9], 0
	v_mad_u64_u32 v[0:1], null, v4, s6, 0
	s_delay_alu instid0(VALU_DEP_1) | instskip(NEXT) | instid1(VALU_DEP_1)
	v_mad_u64_u32 v[2:3], null, v4, s7, v[1:2]
	v_dual_mov_b32 v1, v2 :: v_dual_mov_b32 v2, 0
	v_mov_b32_e32 v3, 0
	s_and_b32 vcc_lo, exec_lo, s3
	s_cbranch_vccnz .LBB257_14
; %bb.13:
	s_delay_alu instid0(VALU_DEP_2) | instskip(NEXT) | instid1(VALU_DEP_1)
	v_lshlrev_b64 v[2:3], 3, v[0:1]
	v_add_co_u32 v2, vcc_lo, s5, v2
	s_delay_alu instid0(VALU_DEP_2)
	v_add_co_ci_u32_e32 v3, vcc_lo, s28, v3, vcc_lo
	global_load_b64 v[2:3], v[2:3], off
	s_waitcnt vmcnt(0)
	v_mul_f64 v[2:3], v[2:3], s[8:9]
.LBB257_14:
	s_mov_b32 s3, exec_lo
.LBB257_15:
	s_or_b32 exec_lo, exec_lo, s0
	s_delay_alu instid0(SALU_CYCLE_1) | instskip(SKIP_1) | instid1(SALU_CYCLE_1)
	s_and_b32 s29, s3, exec_lo
	s_or_b32 exec_lo, exec_lo, s2
	s_and_b32 vcc_lo, exec_lo, s1
	s_cbranch_vccnz .LBB257_18
	s_branch .LBB257_55
.LBB257_16:
	s_mov_b32 s29, 0
                                        ; implicit-def: $vgpr2_vgpr3
                                        ; implicit-def: $vgpr0_vgpr1
	s_cbranch_execnz .LBB257_18
	s_branch .LBB257_55
.LBB257_17:
	s_or_b32 exec_lo, exec_lo, s2
	s_delay_alu instid0(SALU_CYCLE_1)
	s_and_b32 vcc_lo, exec_lo, s1
	s_cbranch_vccz .LBB257_55
.LBB257_18:
	v_dual_mov_b32 v8, 0 :: v_dual_lshlrev_b32 v63, 2, v62
	s_lshl_b32 s30, s14, 8
	s_delay_alu instid0(SALU_CYCLE_1) | instskip(SKIP_1) | instid1(VALU_DEP_2)
	v_dual_mov_b32 v9, 0 :: v_dual_add_nc_u32 v0, s30, v61
	s_ashr_i32 s0, s13, 31
	v_mov_b32_e32 v6, v8
	s_lshr_b32 s0, s0, 26
	s_delay_alu instid0(VALU_DEP_2)
	v_dual_mov_b32 v7, v9 :: v_dual_mov_b32 v4, v8
	v_dual_mov_b32 v5, v9 :: v_dual_mov_b32 v2, v8
	v_mov_b32_e32 v3, v9
	s_add_i32 s31, s13, s0
	s_mov_b32 s33, exec_lo
	s_and_not1_b32 s31, s31, 63
	s_delay_alu instid0(SALU_CYCLE_1)
	v_cmpx_gt_i32_e64 s31, v63
	s_cbranch_execz .LBB257_30
; %bb.19:
	v_lshlrev_b32_e32 v25, 2, v62
	v_mad_u64_u32 v[4:5], null, s20, v62, 0
	v_mad_u64_u32 v[6:7], null, s16, v62, 0
	s_delay_alu instid0(VALU_DEP_3)
	v_or_b32_e32 v22, 3, v25
	v_ashrrev_i32_e32 v1, 31, v0
	v_add_nc_u32_e32 v8, 64, v0
	v_add_nc_u32_e32 v10, 0xc0, v0
	v_or_b32_e32 v26, 2, v25
	v_mad_u64_u32 v[2:3], null, s16, v22, 0
	v_mad_u64_u32 v[16:17], null, s20, v22, 0
	v_add_nc_u32_e32 v9, 0x80, v0
	v_cmp_gt_i32_e64 s2, s12, v10
	v_lshlrev_b64 v[10:11], 3, v[0:1]
	v_mov_b32_e32 v1, v7
	v_cmp_gt_i32_e64 s0, s12, v8
	v_cmp_gt_i32_e64 s1, s12, v9
	v_mad_u64_u32 v[8:9], null, s17, v22, v[3:4]
	v_mad_u64_u32 v[12:13], null, s21, v62, v[5:6]
	;; [unrolled: 1-line block ×4, first 2 shown]
	s_delay_alu instid0(VALU_DEP_4)
	v_mov_b32_e32 v3, v8
	v_cmp_gt_i32_e32 vcc_lo, s12, v0
	v_mov_b32_e32 v5, v12
	s_lshl_b64 s[14:15], s[16:17], 9
	v_mov_b32_e32 v7, v13
	v_lshlrev_b64 v[1:2], 3, v[2:3]
	s_lshl_b64 s[24:25], s[20:21], 9
	v_lshlrev_b64 v[12:13], 5, v[4:5]
	s_mov_b32 s34, 0
	s_mov_b64 s[26:27], s[22:23]
	s_delay_alu instid0(VALU_DEP_2) | instskip(NEXT) | instid1(VALU_DEP_1)
	v_add_co_u32 v1, s3, s18, v1
	v_add_co_ci_u32_e64 v64, s3, s19, v2, s3
	v_mov_b32_e32 v2, v15
	v_mad_u64_u32 v[8:9], null, s20, v25, s[20:21]
	v_mad_u64_u32 v[4:5], null, s16, v25, s[16:17]
	s_delay_alu instid0(VALU_DEP_2) | instskip(NEXT) | instid1(VALU_DEP_1)
	v_mov_b32_e32 v3, v9
	v_mad_u64_u32 v[18:19], null, s17, v26, v[2:3]
	v_mov_b32_e32 v2, v17
	s_delay_alu instid0(VALU_DEP_4) | instskip(NEXT) | instid1(VALU_DEP_2)
	v_mad_u64_u32 v[19:20], null, s21, v25, v[3:4]
	v_mad_u64_u32 v[20:21], null, s21, v22, v[2:3]
	;; [unrolled: 1-line block ×3, first 2 shown]
	v_dual_mov_b32 v2, v5 :: v_dual_mov_b32 v15, v18
	s_delay_alu instid0(VALU_DEP_4) | instskip(NEXT) | instid1(VALU_DEP_4)
	v_mov_b32_e32 v9, v19
	v_mov_b32_e32 v17, v20
	s_delay_alu instid0(VALU_DEP_3) | instskip(SKIP_1) | instid1(VALU_DEP_3)
	v_mad_u64_u32 v[23:24], null, s17, v25, v[2:3]
	v_mov_b32_e32 v2, v22
	v_lshlrev_b64 v[16:17], 3, v[16:17]
	s_delay_alu instid0(VALU_DEP_2) | instskip(NEXT) | instid1(VALU_DEP_1)
	v_mad_u64_u32 v[18:19], null, s21, v26, v[2:3]
	v_mov_b32_e32 v22, v18
	v_lshlrev_b64 v[6:7], 5, v[6:7]
	s_delay_alu instid0(VALU_DEP_2) | instskip(NEXT) | instid1(VALU_DEP_2)
	v_lshlrev_b64 v[18:19], 3, v[21:22]
	v_add_co_u32 v65, s3, s18, v6
	s_delay_alu instid0(VALU_DEP_1)
	v_add_co_ci_u32_e64 v66, s3, s19, v7, s3
	v_lshlrev_b64 v[6:7], 3, v[14:15]
	v_lshlrev_b64 v[14:15], 3, v[8:9]
	v_mov_b32_e32 v8, 0
	v_mov_b32_e32 v9, 0
	;; [unrolled: 1-line block ×3, first 2 shown]
	v_add_co_u32 v67, s3, s18, v6
	s_delay_alu instid0(VALU_DEP_1) | instskip(SKIP_1) | instid1(VALU_DEP_4)
	v_add_co_ci_u32_e64 v68, s3, s19, v7, s3
	v_mov_b32_e32 v6, v8
	v_lshlrev_b64 v[2:3], 3, v[4:5]
	v_dual_mov_b32 v7, v9 :: v_dual_mov_b32 v4, v8
	v_mov_b32_e32 v5, v9
	s_delay_alu instid0(VALU_DEP_3) | instskip(NEXT) | instid1(VALU_DEP_1)
	v_add_co_u32 v69, s3, s18, v2
	v_add_co_ci_u32_e64 v70, s3, s19, v3, s3
	v_dual_mov_b32 v2, v8 :: v_dual_mov_b32 v3, v9
	s_branch .LBB257_24
.LBB257_20:                             ;   in Loop: Header=BB257_24 Depth=1
	s_or_b32 exec_lo, exec_lo, s36
	s_waitcnt vmcnt(3) lgkmcnt(3)
	v_fma_f64 v[4:5], v[20:21], v[52:53], v[4:5]
	s_waitcnt vmcnt(2) lgkmcnt(2)
	s_delay_alu instid0(VALU_DEP_1) | instskip(SKIP_1) | instid1(VALU_DEP_1)
	v_fma_f64 v[4:5], v[22:23], v[54:55], v[4:5]
	s_waitcnt vmcnt(1) lgkmcnt(1)
	v_fma_f64 v[4:5], v[24:25], v[56:57], v[4:5]
	s_waitcnt vmcnt(0) lgkmcnt(0)
	s_delay_alu instid0(VALU_DEP_1)
	v_fma_f64 v[4:5], v[26:27], v[58:59], v[4:5]
.LBB257_21:                             ;   in Loop: Header=BB257_24 Depth=1
	s_or_b32 exec_lo, exec_lo, s35
	s_waitcnt vmcnt(3) lgkmcnt(3)
	v_fma_f64 v[6:7], v[20:21], v[44:45], v[6:7]
	s_waitcnt vmcnt(2) lgkmcnt(2)
	s_delay_alu instid0(VALU_DEP_1) | instskip(SKIP_1) | instid1(VALU_DEP_1)
	v_fma_f64 v[6:7], v[22:23], v[46:47], v[6:7]
	s_waitcnt vmcnt(1) lgkmcnt(1)
	v_fma_f64 v[6:7], v[24:25], v[48:49], v[6:7]
	s_waitcnt vmcnt(0) lgkmcnt(0)
	s_delay_alu instid0(VALU_DEP_1)
	v_fma_f64 v[6:7], v[26:27], v[50:51], v[6:7]
.LBB257_22:                             ;   in Loop: Header=BB257_24 Depth=1
	s_or_b32 exec_lo, exec_lo, s3
	s_waitcnt vmcnt(3) lgkmcnt(3)
	v_fma_f64 v[8:9], v[20:21], v[28:29], v[8:9]
	s_waitcnt vmcnt(2) lgkmcnt(2)
	s_delay_alu instid0(VALU_DEP_1) | instskip(SKIP_1) | instid1(VALU_DEP_1)
	v_fma_f64 v[8:9], v[22:23], v[30:31], v[8:9]
	s_waitcnt vmcnt(1) lgkmcnt(1)
	v_fma_f64 v[8:9], v[24:25], v[32:33], v[8:9]
	s_waitcnt vmcnt(0) lgkmcnt(0)
	s_delay_alu instid0(VALU_DEP_1)
	v_fma_f64 v[8:9], v[26:27], v[34:35], v[8:9]
.LBB257_23:                             ;   in Loop: Header=BB257_24 Depth=1
	s_or_b32 exec_lo, exec_lo, s4
	v_add_co_u32 v1, s3, v1, s14
	s_delay_alu instid0(VALU_DEP_1) | instskip(SKIP_4) | instid1(VALU_DEP_1)
	v_add_co_ci_u32_e64 v64, s3, s15, v64, s3
	v_add_co_u32 v65, s3, v65, s14
	v_add_nc_u32_e32 v63, 64, v63
	v_add_co_ci_u32_e64 v66, s3, s15, v66, s3
	v_add_co_u32 v67, s3, v67, s14
	v_add_co_ci_u32_e64 v68, s3, s15, v68, s3
	s_delay_alu instid0(VALU_DEP_4) | instskip(SKIP_1) | instid1(VALU_DEP_1)
	v_cmp_le_i32_e64 s3, s31, v63
	v_add_co_u32 v69, s4, v69, s14
	v_add_co_ci_u32_e64 v70, s4, s15, v70, s4
	s_add_u32 s26, s26, s24
	s_addc_u32 s27, s27, s25
	s_or_b32 s34, s3, s34
	s_delay_alu instid0(SALU_CYCLE_1)
	s_and_not1_b32 exec_lo, exec_lo, s34
	s_cbranch_execz .LBB257_29
.LBB257_24:                             ; =>This Inner Loop Header: Depth=1
	s_and_saveexec_b32 s4, vcc_lo
	s_cbranch_execz .LBB257_23
; %bb.25:                               ;   in Loop: Header=BB257_24 Depth=1
	v_add_co_u32 v20, s3, s26, v12
	s_delay_alu instid0(VALU_DEP_1) | instskip(SKIP_1) | instid1(VALU_DEP_1)
	v_add_co_ci_u32_e64 v21, s3, s27, v13, s3
	v_add_co_u32 v22, s3, s26, v14
	v_add_co_ci_u32_e64 v23, s3, s27, v15, s3
	v_add_co_u32 v24, s3, s26, v18
	s_delay_alu instid0(VALU_DEP_1) | instskip(SKIP_1) | instid1(VALU_DEP_1)
	v_add_co_ci_u32_e64 v25, s3, s27, v19, s3
	v_add_co_u32 v26, s3, s26, v16
	v_add_co_ci_u32_e64 v27, s3, s27, v17, s3
	;; [unrolled: 5-line block ×4, first 2 shown]
	s_clause 0x3
	flat_load_b64 v[20:21], v[20:21]
	flat_load_b64 v[22:23], v[22:23]
	;; [unrolled: 1-line block ×8, first 2 shown]
	s_and_saveexec_b32 s3, s0
	s_cbranch_execz .LBB257_22
; %bb.26:                               ;   in Loop: Header=BB257_24 Depth=1
	flat_load_b64 v[44:45], v[36:37] offset:512
	flat_load_b64 v[46:47], v[38:39] offset:512
	flat_load_b64 v[48:49], v[40:41] offset:512
	flat_load_b64 v[50:51], v[42:43] offset:512
	s_and_saveexec_b32 s35, s1
	s_cbranch_execz .LBB257_21
; %bb.27:                               ;   in Loop: Header=BB257_24 Depth=1
	flat_load_b64 v[52:53], v[36:37] offset:1024
	flat_load_b64 v[54:55], v[38:39] offset:1024
	flat_load_b64 v[56:57], v[40:41] offset:1024
	flat_load_b64 v[58:59], v[42:43] offset:1024
	s_and_saveexec_b32 s36, s2
	s_cbranch_execz .LBB257_20
; %bb.28:                               ;   in Loop: Header=BB257_24 Depth=1
	flat_load_b64 v[36:37], v[36:37] offset:1536
	flat_load_b64 v[38:39], v[38:39] offset:1536
	flat_load_b64 v[40:41], v[40:41] offset:1536
	flat_load_b64 v[42:43], v[42:43] offset:1536
	s_waitcnt vmcnt(3) lgkmcnt(3)
	v_fma_f64 v[2:3], v[20:21], v[36:37], v[2:3]
	s_waitcnt vmcnt(2) lgkmcnt(2)
	s_delay_alu instid0(VALU_DEP_1) | instskip(SKIP_1) | instid1(VALU_DEP_1)
	v_fma_f64 v[2:3], v[22:23], v[38:39], v[2:3]
	s_waitcnt vmcnt(1) lgkmcnt(1)
	v_fma_f64 v[2:3], v[24:25], v[40:41], v[2:3]
	s_waitcnt vmcnt(0) lgkmcnt(0)
	s_delay_alu instid0(VALU_DEP_1)
	v_fma_f64 v[2:3], v[26:27], v[42:43], v[2:3]
	s_branch .LBB257_20
.LBB257_29:
	s_or_b32 exec_lo, exec_lo, s34
.LBB257_30:
	s_delay_alu instid0(SALU_CYCLE_1) | instskip(SKIP_1) | instid1(SALU_CYCLE_1)
	s_or_b32 exec_lo, exec_lo, s33
	s_sub_i32 s0, s13, s31
	s_cmp_lt_i32 s0, 1
	s_cbranch_scc1 .LBB257_48
; %bb.31:
	v_mov_b32_e32 v14, 0
	v_mov_b32_e32 v15, 0
	v_cmp_gt_i32_e32 vcc_lo, s13, v63
	v_or_b32_e32 v20, 1, v63
	s_delay_alu instid0(VALU_DEP_4) | instskip(NEXT) | instid1(VALU_DEP_4)
	v_mov_b32_e32 v12, v14
	v_dual_mov_b32 v10, v14 :: v_dual_mov_b32 v11, v15
	v_dual_mov_b32 v17, v15 :: v_dual_mov_b32 v16, v14
	v_mov_b32_e32 v13, v15
	s_and_saveexec_b32 s1, vcc_lo
	s_cbranch_execz .LBB257_39
; %bb.32:
	v_mad_u64_u32 v[10:11], null, v63, s20, 0
	s_mov_b32 s2, exec_lo
	s_delay_alu instid0(VALU_DEP_1) | instskip(NEXT) | instid1(VALU_DEP_1)
	v_mov_b32_e32 v1, v11
	v_mad_u64_u32 v[11:12], null, v63, s21, v[1:2]
	v_mov_b32_e32 v12, 0
	v_mov_b32_e32 v13, 0
	s_delay_alu instid0(VALU_DEP_1) | instskip(NEXT) | instid1(VALU_DEP_4)
	v_dual_mov_b32 v17, v13 :: v_dual_mov_b32 v16, v12
	v_lshlrev_b64 v[10:11], 3, v[10:11]
	v_dual_mov_b32 v15, v13 :: v_dual_mov_b32 v14, v12
	s_delay_alu instid0(VALU_DEP_2) | instskip(NEXT) | instid1(VALU_DEP_1)
	v_add_co_u32 v10, s0, s22, v10
	v_add_co_ci_u32_e64 v11, s0, s23, v11, s0
	flat_load_b64 v[10:11], v[10:11]
	v_cmpx_gt_i32_e64 s13, v20
	s_cbranch_execz .LBB257_38
; %bb.33:
	v_mad_u64_u32 v[12:13], null, v20, s20, 0
	s_mov_b32 s3, exec_lo
	v_mov_b32_e32 v16, 0
	v_mov_b32_e32 v17, 0
	s_delay_alu instid0(VALU_DEP_3) | instskip(NEXT) | instid1(VALU_DEP_1)
	v_mov_b32_e32 v1, v13
	v_mad_u64_u32 v[13:14], null, v20, s21, v[1:2]
	v_or_b32_e32 v1, 2, v63
	s_delay_alu instid0(VALU_DEP_4) | instskip(NEXT) | instid1(VALU_DEP_3)
	v_dual_mov_b32 v14, v16 :: v_dual_mov_b32 v15, v17
	v_lshlrev_b64 v[12:13], 3, v[12:13]
	s_delay_alu instid0(VALU_DEP_1) | instskip(NEXT) | instid1(VALU_DEP_1)
	v_add_co_u32 v12, s0, s22, v12
	v_add_co_ci_u32_e64 v13, s0, s23, v13, s0
	flat_load_b64 v[12:13], v[12:13]
	v_cmpx_gt_i32_e64 s13, v1
	s_cbranch_execz .LBB257_37
; %bb.34:
	v_mad_u64_u32 v[14:15], null, v1, s20, 0
	s_mov_b32 s4, exec_lo
	s_delay_alu instid0(VALU_DEP_1) | instskip(SKIP_1) | instid1(VALU_DEP_2)
	v_mad_u64_u32 v[16:17], null, v1, s21, v[15:16]
	v_or_b32_e32 v1, 3, v63
	v_mov_b32_e32 v15, v16
	s_delay_alu instid0(VALU_DEP_1) | instskip(NEXT) | instid1(VALU_DEP_1)
	v_lshlrev_b64 v[14:15], 3, v[14:15]
	v_add_co_u32 v14, s0, s22, v14
	s_delay_alu instid0(VALU_DEP_1)
	v_add_co_ci_u32_e64 v15, s0, s23, v15, s0
	flat_load_b64 v[16:17], v[14:15]
	v_mov_b32_e32 v14, 0
	v_mov_b32_e32 v15, 0
	v_cmpx_gt_i32_e64 s13, v1
	s_cbranch_execz .LBB257_36
; %bb.35:
	v_mad_u64_u32 v[14:15], null, v1, s20, 0
	s_waitcnt vmcnt(0) lgkmcnt(0)
	s_delay_alu instid0(VALU_DEP_1) | instskip(NEXT) | instid1(VALU_DEP_1)
	v_mad_u64_u32 v[18:19], null, v1, s21, v[15:16]
	v_mov_b32_e32 v15, v18
	s_delay_alu instid0(VALU_DEP_1) | instskip(NEXT) | instid1(VALU_DEP_1)
	v_lshlrev_b64 v[14:15], 3, v[14:15]
	v_add_co_u32 v14, s0, s22, v14
	s_delay_alu instid0(VALU_DEP_1)
	v_add_co_ci_u32_e64 v15, s0, s23, v15, s0
	flat_load_b64 v[14:15], v[14:15]
.LBB257_36:
	s_or_b32 exec_lo, exec_lo, s4
.LBB257_37:
	s_delay_alu instid0(SALU_CYCLE_1)
	s_or_b32 exec_lo, exec_lo, s3
.LBB257_38:
	s_delay_alu instid0(SALU_CYCLE_1)
	s_or_b32 exec_lo, exec_lo, s2
.LBB257_39:
	s_delay_alu instid0(SALU_CYCLE_1) | instskip(NEXT) | instid1(SALU_CYCLE_1)
	s_or_b32 exec_lo, exec_lo, s1
	s_mov_b32 s1, exec_lo
	v_cmpx_gt_i32_e64 s12, v0
	s_cbranch_execz .LBB257_47
; %bb.40:
	v_mad_u64_u32 v[18:19], null, v63, s16, 0
	v_mad_u64_u32 v[24:25], null, v20, s16, 0
	v_or_b32_e32 v27, 2, v63
	v_or_b32_e32 v36, 3, v63
	s_mov_b32 s0, exec_lo
	s_delay_alu instid0(VALU_DEP_4) | instskip(NEXT) | instid1(VALU_DEP_1)
	v_dual_mov_b32 v1, v19 :: v_dual_cndmask_b32 v18, 0, v18
	v_mad_u64_u32 v[21:22], null, v63, s17, v[1:2]
	v_ashrrev_i32_e32 v1, 31, v0
	s_delay_alu instid0(VALU_DEP_1) | instskip(NEXT) | instid1(VALU_DEP_3)
	v_lshlrev_b64 v[22:23], 3, v[0:1]
	v_cndmask_b32_e32 v19, 0, v21, vcc_lo
	s_delay_alu instid0(VALU_DEP_1) | instskip(NEXT) | instid1(VALU_DEP_1)
	v_lshlrev_b64 v[18:19], 3, v[18:19]
	v_add_co_u32 v1, vcc_lo, s18, v18
	s_delay_alu instid0(VALU_DEP_2) | instskip(NEXT) | instid1(VALU_DEP_2)
	v_add_co_ci_u32_e32 v19, vcc_lo, s19, v19, vcc_lo
	v_add_co_u32 v18, vcc_lo, v1, v22
	s_delay_alu instid0(VALU_DEP_2) | instskip(SKIP_4) | instid1(VALU_DEP_1)
	v_add_co_ci_u32_e32 v19, vcc_lo, v19, v23, vcc_lo
	v_mov_b32_e32 v1, v25
	v_cmp_gt_i32_e32 vcc_lo, s13, v20
	flat_load_b64 v[28:29], v[18:19]
	v_mad_u64_u32 v[25:26], null, v20, s17, v[1:2]
	v_dual_cndmask_b32 v20, 0, v24 :: v_dual_cndmask_b32 v21, 0, v25
	v_mad_u64_u32 v[24:25], null, v27, s16, 0
	s_delay_alu instid0(VALU_DEP_2) | instskip(NEXT) | instid1(VALU_DEP_1)
	v_lshlrev_b64 v[20:21], 3, v[20:21]
	v_add_co_u32 v1, vcc_lo, s18, v20
	s_delay_alu instid0(VALU_DEP_2) | instskip(NEXT) | instid1(VALU_DEP_2)
	v_add_co_ci_u32_e32 v21, vcc_lo, s19, v21, vcc_lo
	v_add_co_u32 v20, vcc_lo, v1, v22
	s_delay_alu instid0(VALU_DEP_2)
	v_add_co_ci_u32_e32 v21, vcc_lo, v21, v23, vcc_lo
	v_mov_b32_e32 v1, v25
	v_cmp_gt_i32_e32 vcc_lo, s13, v27
	flat_load_b64 v[30:31], v[20:21]
	v_mad_u64_u32 v[25:26], null, v27, s17, v[1:2]
	v_cndmask_b32_e32 v24, 0, v24, vcc_lo
	v_mad_u64_u32 v[26:27], null, v36, s16, 0
	s_delay_alu instid0(VALU_DEP_3) | instskip(NEXT) | instid1(VALU_DEP_1)
	v_cndmask_b32_e32 v25, 0, v25, vcc_lo
	v_lshlrev_b64 v[24:25], 3, v[24:25]
	s_delay_alu instid0(VALU_DEP_1) | instskip(NEXT) | instid1(VALU_DEP_2)
	v_add_co_u32 v1, vcc_lo, s18, v24
	v_add_co_ci_u32_e32 v25, vcc_lo, s19, v25, vcc_lo
	s_delay_alu instid0(VALU_DEP_2) | instskip(NEXT) | instid1(VALU_DEP_2)
	v_add_co_u32 v24, vcc_lo, v1, v22
	v_add_co_ci_u32_e32 v25, vcc_lo, v25, v23, vcc_lo
	v_mov_b32_e32 v1, v27
	v_cmp_gt_i32_e32 vcc_lo, s13, v36
	flat_load_b64 v[32:33], v[24:25]
	v_mad_u64_u32 v[34:35], null, v36, s17, v[1:2]
	v_cndmask_b32_e32 v26, 0, v26, vcc_lo
	s_delay_alu instid0(VALU_DEP_2) | instskip(NEXT) | instid1(VALU_DEP_1)
	v_cndmask_b32_e32 v27, 0, v34, vcc_lo
	v_lshlrev_b64 v[26:27], 3, v[26:27]
	s_delay_alu instid0(VALU_DEP_1) | instskip(NEXT) | instid1(VALU_DEP_2)
	v_add_co_u32 v1, vcc_lo, s18, v26
	v_add_co_ci_u32_e32 v27, vcc_lo, s19, v27, vcc_lo
	s_delay_alu instid0(VALU_DEP_2) | instskip(NEXT) | instid1(VALU_DEP_2)
	v_add_co_u32 v26, vcc_lo, v1, v22
	v_add_co_ci_u32_e32 v27, vcc_lo, v27, v23, vcc_lo
	v_add_nc_u32_e32 v1, 64, v0
	flat_load_b64 v[22:23], v[26:27]
	s_waitcnt vmcnt(3) lgkmcnt(3)
	v_fma_f64 v[8:9], v[10:11], v[28:29], v[8:9]
	s_waitcnt vmcnt(2) lgkmcnt(2)
	s_delay_alu instid0(VALU_DEP_1) | instskip(SKIP_1) | instid1(VALU_DEP_1)
	v_fma_f64 v[8:9], v[12:13], v[30:31], v[8:9]
	s_waitcnt vmcnt(1) lgkmcnt(1)
	v_fma_f64 v[8:9], v[16:17], v[32:33], v[8:9]
	v_cmpx_gt_i32_e64 s12, v1
	s_cbranch_execz .LBB257_46
; %bb.41:
	s_clause 0x3
	flat_load_b64 v[30:31], v[18:19] offset:512
	flat_load_b64 v[32:33], v[20:21] offset:512
	;; [unrolled: 1-line block ×4, first 2 shown]
	v_add_nc_u32_e32 v1, 0x80, v0
	s_mov_b32 s2, exec_lo
	s_waitcnt vmcnt(3) lgkmcnt(3)
	v_fma_f64 v[6:7], v[10:11], v[30:31], v[6:7]
	s_waitcnt vmcnt(2) lgkmcnt(2)
	s_delay_alu instid0(VALU_DEP_1) | instskip(SKIP_1) | instid1(VALU_DEP_1)
	v_fma_f64 v[6:7], v[12:13], v[32:33], v[6:7]
	s_waitcnt vmcnt(1) lgkmcnt(1)
	v_fma_f64 v[6:7], v[16:17], v[34:35], v[6:7]
	v_cmpx_gt_i32_e64 s12, v1
	s_cbranch_execz .LBB257_45
; %bb.42:
	s_clause 0x3
	flat_load_b64 v[32:33], v[18:19] offset:1024
	flat_load_b64 v[34:35], v[20:21] offset:1024
	;; [unrolled: 1-line block ×4, first 2 shown]
	v_add_nc_u32_e32 v0, 0xc0, v0
	s_mov_b32 s3, exec_lo
	s_waitcnt vmcnt(3) lgkmcnt(3)
	v_fma_f64 v[4:5], v[10:11], v[32:33], v[4:5]
	s_waitcnt vmcnt(2) lgkmcnt(2)
	s_delay_alu instid0(VALU_DEP_1) | instskip(SKIP_1) | instid1(VALU_DEP_1)
	v_fma_f64 v[4:5], v[12:13], v[34:35], v[4:5]
	s_waitcnt vmcnt(1) lgkmcnt(1)
	v_fma_f64 v[4:5], v[16:17], v[36:37], v[4:5]
	v_cmpx_gt_i32_e64 s12, v0
	s_cbranch_execz .LBB257_44
; %bb.43:
	s_clause 0x3
	flat_load_b64 v[0:1], v[18:19] offset:1536
	flat_load_b64 v[18:19], v[20:21] offset:1536
	;; [unrolled: 1-line block ×4, first 2 shown]
	s_waitcnt vmcnt(3) lgkmcnt(3)
	v_fma_f64 v[0:1], v[10:11], v[0:1], v[2:3]
	s_waitcnt vmcnt(2) lgkmcnt(2)
	s_delay_alu instid0(VALU_DEP_1) | instskip(SKIP_1) | instid1(VALU_DEP_1)
	v_fma_f64 v[0:1], v[12:13], v[18:19], v[0:1]
	s_waitcnt vmcnt(1) lgkmcnt(1)
	v_fma_f64 v[0:1], v[16:17], v[20:21], v[0:1]
	s_waitcnt vmcnt(0) lgkmcnt(0)
	s_delay_alu instid0(VALU_DEP_1)
	v_fma_f64 v[2:3], v[14:15], v[24:25], v[0:1]
.LBB257_44:
	s_or_b32 exec_lo, exec_lo, s3
	s_waitcnt vmcnt(0) lgkmcnt(0)
	s_delay_alu instid0(VALU_DEP_2)
	v_fma_f64 v[4:5], v[14:15], v[30:31], v[4:5]
.LBB257_45:
	s_or_b32 exec_lo, exec_lo, s2
	s_waitcnt vmcnt(0) lgkmcnt(0)
	s_delay_alu instid0(VALU_DEP_2)
	v_fma_f64 v[6:7], v[14:15], v[28:29], v[6:7]
.LBB257_46:
	s_or_b32 exec_lo, exec_lo, s0
	s_waitcnt vmcnt(0) lgkmcnt(0)
	s_delay_alu instid0(VALU_DEP_2)
	v_fma_f64 v[8:9], v[14:15], v[22:23], v[8:9]
.LBB257_47:
	s_or_b32 exec_lo, exec_lo, s1
.LBB257_48:
	v_lshlrev_b32_e32 v0, 8, v62
	s_mov_b32 s0, exec_lo
	s_delay_alu instid0(VALU_DEP_1)
	v_add_lshl_u32 v0, v0, v61, 3
	ds_store_2addr_stride64_b64 v0, v[8:9], v[6:7] offset1:1
	ds_store_2addr_stride64_b64 v0, v[4:5], v[2:3] offset0:2 offset1:3
	s_waitcnt vmcnt(0) lgkmcnt(0)
	s_barrier
	buffer_gl0_inv
                                        ; implicit-def: $vgpr2_vgpr3
                                        ; implicit-def: $vgpr0_vgpr1
	v_cmpx_gt_u32_e32 0x100, v60
	s_cbranch_execz .LBB257_54
; %bb.49:
	v_lshlrev_b32_e32 v7, 3, v60
	v_or_b32_e32 v6, s30, v60
	s_mov_b32 s2, s29
	s_mov_b32 s1, exec_lo
	ds_load_2addr_stride64_b64 v[0:3], v7 offset1:4
	s_waitcnt lgkmcnt(0)
	v_add_f64 v[4:5], v[0:1], v[2:3]
	ds_load_2addr_stride64_b64 v[0:3], v7 offset0:8 offset1:12
	s_waitcnt lgkmcnt(0)
	v_add_f64 v[0:1], v[0:1], v[4:5]
	s_delay_alu instid0(VALU_DEP_1) | instskip(SKIP_3) | instid1(VALU_DEP_1)
	v_add_f64 v[4:5], v[2:3], v[0:1]
	ds_load_2addr_stride64_b64 v[0:3], v7 offset0:16 offset1:20
	s_waitcnt lgkmcnt(0)
	v_add_f64 v[0:1], v[0:1], v[4:5]
	v_add_f64 v[4:5], v[2:3], v[0:1]
	ds_load_2addr_stride64_b64 v[0:3], v7 offset0:24 offset1:28
	s_waitcnt lgkmcnt(0)
	v_add_f64 v[0:1], v[0:1], v[4:5]
	s_delay_alu instid0(VALU_DEP_1) | instskip(SKIP_3) | instid1(VALU_DEP_1)
	v_add_f64 v[4:5], v[2:3], v[0:1]
	ds_load_2addr_stride64_b64 v[0:3], v7 offset0:32 offset1:36
	s_waitcnt lgkmcnt(0)
	v_add_f64 v[0:1], v[0:1], v[4:5]
	v_add_f64 v[4:5], v[2:3], v[0:1]
	ds_load_2addr_stride64_b64 v[0:3], v7 offset0:40 offset1:44
	s_waitcnt lgkmcnt(0)
	v_add_f64 v[0:1], v[0:1], v[4:5]
	s_delay_alu instid0(VALU_DEP_1) | instskip(SKIP_3) | instid1(VALU_DEP_1)
	v_add_f64 v[4:5], v[2:3], v[0:1]
	ds_load_2addr_stride64_b64 v[0:3], v7 offset0:48 offset1:52
	s_waitcnt lgkmcnt(0)
	v_add_f64 v[0:1], v[0:1], v[4:5]
	v_add_f64 v[4:5], v[2:3], v[0:1]
	ds_load_2addr_stride64_b64 v[0:3], v7 offset0:56 offset1:60
	s_waitcnt lgkmcnt(0)
	v_add_f64 v[0:1], v[0:1], v[4:5]
	s_delay_alu instid0(VALU_DEP_1)
	v_add_f64 v[4:5], v[2:3], v[0:1]
                                        ; implicit-def: $vgpr2_vgpr3
                                        ; implicit-def: $vgpr0_vgpr1
	ds_store_b64 v7, v[4:5]
	v_cmpx_gt_i32_e64 s12, v6
	s_cbranch_execz .LBB257_53
; %bb.50:
	v_cmp_eq_f64_e64 s2, s[8:9], 0
	v_mul_f64 v[2:3], v[4:5], s[10:11]
	v_ashrrev_i32_e32 v0, 31, v6
	v_mul_lo_u32 v4, v6, s7
	s_delay_alu instid0(VALU_DEP_2) | instskip(SKIP_1) | instid1(VALU_DEP_1)
	v_mul_lo_u32 v5, v0, s6
	v_mad_u64_u32 v[0:1], null, v6, s6, 0
	v_add3_u32 v1, v1, v4, v5
	s_and_b32 vcc_lo, exec_lo, s2
	s_cbranch_vccnz .LBB257_52
; %bb.51:
	s_delay_alu instid0(VALU_DEP_1) | instskip(NEXT) | instid1(VALU_DEP_1)
	v_lshlrev_b64 v[4:5], 3, v[0:1]
	v_add_co_u32 v4, vcc_lo, s5, v4
	s_delay_alu instid0(VALU_DEP_2)
	v_add_co_ci_u32_e32 v5, vcc_lo, s28, v5, vcc_lo
	global_load_b64 v[4:5], v[4:5], off
	s_waitcnt vmcnt(0)
	v_fma_f64 v[2:3], v[4:5], s[8:9], v[2:3]
.LBB257_52:
	s_or_b32 s2, s29, exec_lo
.LBB257_53:
	s_or_b32 exec_lo, exec_lo, s1
	s_delay_alu instid0(SALU_CYCLE_1) | instskip(SKIP_1) | instid1(SALU_CYCLE_1)
	s_and_not1_b32 s1, s29, exec_lo
	s_and_b32 s2, s2, exec_lo
	s_or_b32 s29, s1, s2
.LBB257_54:
	s_or_b32 exec_lo, exec_lo, s0
.LBB257_55:
	s_and_saveexec_b32 s0, s29
	s_cbranch_execz .LBB257_57
; %bb.56:
	v_lshlrev_b64 v[0:1], 3, v[0:1]
	s_delay_alu instid0(VALU_DEP_1) | instskip(NEXT) | instid1(VALU_DEP_2)
	v_add_co_u32 v0, vcc_lo, s5, v0
	v_add_co_ci_u32_e32 v1, vcc_lo, s28, v1, vcc_lo
	global_store_b64 v[0:1], v[2:3], off
.LBB257_57:
	s_nop 0
	s_sendmsg sendmsg(MSG_DEALLOC_VGPRS)
	s_endpgm
	.section	.rodata,"a",@progbits
	.p2align	6, 0x0
	.amdhsa_kernel _ZL20rocblas_gemvn_kernelILi64ELi16ElPKddKPdEviiT3_lPKT2_lT1_lS7_lS8_lS4_lPT4_lS8_li
		.amdhsa_group_segment_fixed_size 32768
		.amdhsa_private_segment_fixed_size 0
		.amdhsa_kernarg_size 400
		.amdhsa_user_sgpr_count 14
		.amdhsa_user_sgpr_dispatch_ptr 0
		.amdhsa_user_sgpr_queue_ptr 0
		.amdhsa_user_sgpr_kernarg_segment_ptr 1
		.amdhsa_user_sgpr_dispatch_id 0
		.amdhsa_user_sgpr_private_segment_size 0
		.amdhsa_wavefront_size32 1
		.amdhsa_uses_dynamic_stack 0
		.amdhsa_enable_private_segment 0
		.amdhsa_system_sgpr_workgroup_id_x 1
		.amdhsa_system_sgpr_workgroup_id_y 0
		.amdhsa_system_sgpr_workgroup_id_z 1
		.amdhsa_system_sgpr_workgroup_info 0
		.amdhsa_system_vgpr_workitem_id 1
		.amdhsa_next_free_vgpr 71
		.amdhsa_next_free_sgpr 37
		.amdhsa_reserve_vcc 1
		.amdhsa_float_round_mode_32 0
		.amdhsa_float_round_mode_16_64 0
		.amdhsa_float_denorm_mode_32 3
		.amdhsa_float_denorm_mode_16_64 3
		.amdhsa_dx10_clamp 1
		.amdhsa_ieee_mode 1
		.amdhsa_fp16_overflow 0
		.amdhsa_workgroup_processor_mode 1
		.amdhsa_memory_ordered 1
		.amdhsa_forward_progress 0
		.amdhsa_shared_vgpr_count 0
		.amdhsa_exception_fp_ieee_invalid_op 0
		.amdhsa_exception_fp_denorm_src 0
		.amdhsa_exception_fp_ieee_div_zero 0
		.amdhsa_exception_fp_ieee_overflow 0
		.amdhsa_exception_fp_ieee_underflow 0
		.amdhsa_exception_fp_ieee_inexact 0
		.amdhsa_exception_int_div_zero 0
	.end_amdhsa_kernel
	.section	.text._ZL20rocblas_gemvn_kernelILi64ELi16ElPKddKPdEviiT3_lPKT2_lT1_lS7_lS8_lS4_lPT4_lS8_li,"axG",@progbits,_ZL20rocblas_gemvn_kernelILi64ELi16ElPKddKPdEviiT3_lPKT2_lT1_lS7_lS8_lS4_lPT4_lS8_li,comdat
.Lfunc_end257:
	.size	_ZL20rocblas_gemvn_kernelILi64ELi16ElPKddKPdEviiT3_lPKT2_lT1_lS7_lS8_lS4_lPT4_lS8_li, .Lfunc_end257-_ZL20rocblas_gemvn_kernelILi64ELi16ElPKddKPdEviiT3_lPKT2_lT1_lS7_lS8_lS4_lPT4_lS8_li
                                        ; -- End function
	.section	.AMDGPU.csdata,"",@progbits
; Kernel info:
; codeLenInByte = 3676
; NumSgprs: 39
; NumVgprs: 71
; ScratchSize: 0
; MemoryBound: 1
; FloatMode: 240
; IeeeMode: 1
; LDSByteSize: 32768 bytes/workgroup (compile time only)
; SGPRBlocks: 4
; VGPRBlocks: 8
; NumSGPRsForWavesPerEU: 39
; NumVGPRsForWavesPerEU: 71
; Occupancy: 16
; WaveLimiterHint : 1
; COMPUTE_PGM_RSRC2:SCRATCH_EN: 0
; COMPUTE_PGM_RSRC2:USER_SGPR: 14
; COMPUTE_PGM_RSRC2:TRAP_HANDLER: 0
; COMPUTE_PGM_RSRC2:TGID_X_EN: 1
; COMPUTE_PGM_RSRC2:TGID_Y_EN: 0
; COMPUTE_PGM_RSRC2:TGID_Z_EN: 1
; COMPUTE_PGM_RSRC2:TIDIG_COMP_CNT: 1
	.section	.text._ZL22rocblas_gemvtsm_kernelILb0ELi256EPKdS1_KPdEviiT2_lPKT1_lilS7_lilS4_lPT3_lil,"axG",@progbits,_ZL22rocblas_gemvtsm_kernelILb0ELi256EPKdS1_KPdEviiT2_lPKT1_lilS7_lilS4_lPT3_lil,comdat
	.globl	_ZL22rocblas_gemvtsm_kernelILb0ELi256EPKdS1_KPdEviiT2_lPKT1_lilS7_lilS4_lPT3_lil ; -- Begin function _ZL22rocblas_gemvtsm_kernelILb0ELi256EPKdS1_KPdEviiT2_lPKT1_lilS7_lilS4_lPT3_lil
	.p2align	8
	.type	_ZL22rocblas_gemvtsm_kernelILb0ELi256EPKdS1_KPdEviiT2_lPKT1_lilS7_lilS4_lPT3_lil,@function
_ZL22rocblas_gemvtsm_kernelILb0ELi256EPKdS1_KPdEviiT2_lPKT1_lilS7_lilS4_lPT3_lil: ; @_ZL22rocblas_gemvtsm_kernelILb0ELi256EPKdS1_KPdEviiT2_lPKT1_lilS7_lilS4_lPT3_lil
; %bb.0:
	s_mov_b32 s2, s15
	s_clause 0x1
	s_load_b256 s[12:19], s[0:1], 0x8
	s_load_b256 s[4:11], s[0:1], 0x58
	s_waitcnt lgkmcnt(0)
	s_mul_i32 s3, s2, s15
	s_mul_hi_u32 s15, s2, s14
	s_mul_i32 s14, s2, s14
	s_add_i32 s15, s15, s3
	s_mul_i32 s3, s2, s7
	s_lshl_b64 s[14:15], s[14:15], 3
	s_mul_hi_u32 s7, s2, s6
	s_add_u32 s12, s12, s14
	s_addc_u32 s13, s13, s15
	s_add_i32 s7, s7, s3
	s_mul_i32 s6, s2, s6
	s_delay_alu instid0(SALU_CYCLE_1) | instskip(NEXT) | instid1(SALU_CYCLE_1)
	s_lshl_b64 s[6:7], s[6:7], 3
	s_add_u32 s4, s4, s6
	s_addc_u32 s5, s5, s7
	s_load_b64 s[14:15], s[12:13], 0x0
	s_load_b64 s[4:5], s[4:5], 0x0
	s_mov_b64 s[12:13], 0
	s_waitcnt lgkmcnt(0)
	v_cmp_eq_f64_e64 s20, s[14:15], 0
	v_cmp_eq_f64_e64 s3, s[4:5], 1.0
	s_delay_alu instid0(VALU_DEP_1) | instskip(NEXT) | instid1(SALU_CYCLE_1)
	s_and_b32 s3, s20, s3
	s_and_b32 vcc_lo, exec_lo, s3
	s_cbranch_vccnz .LBB258_39
; %bb.1:
	v_cmp_neq_f64_e64 s6, s[14:15], 0
	s_and_b32 vcc_lo, exec_lo, s20
	s_mov_b32 s3, 0
	s_cbranch_vccnz .LBB258_3
; %bb.2:
	s_lshl_b64 s[12:13], s[2:3], 3
	s_delay_alu instid0(SALU_CYCLE_1)
	s_add_u32 s12, s16, s12
	s_addc_u32 s13, s17, s13
	s_lshl_b64 s[16:17], s[18:19], 3
	s_load_b64 s[12:13], s[12:13], 0x0
	s_waitcnt lgkmcnt(0)
	s_add_u32 s12, s12, s16
	s_addc_u32 s13, s13, s17
.LBB258_3:
	s_delay_alu instid0(VALU_DEP_1)
	s_and_not1_b32 vcc_lo, exec_lo, s6
	s_cbranch_vccnz .LBB258_5
; %bb.4:
	s_load_b128 s[16:19], s[0:1], 0x38
	s_lshl_b64 s[6:7], s[2:3], 3
	s_waitcnt lgkmcnt(0)
	s_add_u32 s6, s16, s6
	s_addc_u32 s7, s17, s7
	s_lshl_b64 s[16:17], s[18:19], 3
	s_load_b64 s[6:7], s[6:7], 0x0
	s_waitcnt lgkmcnt(0)
	s_add_u32 s18, s6, s16
	s_addc_u32 s19, s7, s17
	s_branch .LBB258_6
.LBB258_5:
	s_mov_b64 s[18:19], 0
.LBB258_6:
	s_lshl_b64 s[2:3], s[2:3], 3
	s_delay_alu instid0(SALU_CYCLE_1)
	s_add_u32 s2, s8, s2
	s_addc_u32 s3, s9, s3
	s_clause 0x1
	s_load_b64 s[6:7], s[0:1], 0x0
	s_load_b32 s8, s[0:1], 0x78
	s_load_b64 s[16:17], s[2:3], 0x0
	s_and_not1_b32 vcc_lo, exec_lo, s20
	s_mov_b32 s2, -1
	s_cbranch_vccnz .LBB258_21
; %bb.7:
	v_cmp_neq_f64_e64 s2, s[4:5], 0
	s_waitcnt lgkmcnt(0)
	s_cmp_gt_i32 s7, 0
	s_cselect_b32 s20, -1, 0
	s_delay_alu instid0(SALU_CYCLE_1) | instskip(NEXT) | instid1(VALU_DEP_2)
	v_cndmask_b32_e64 v1, 0, 1, s20
	s_and_b32 vcc_lo, exec_lo, s2
	s_delay_alu instid0(VALU_DEP_1)
	v_cmp_ne_u32_e64 s2, 1, v1
	s_cbranch_vccnz .LBB258_14
; %bb.8:
	s_delay_alu instid0(VALU_DEP_1)
	s_and_b32 vcc_lo, exec_lo, s2
	s_cbranch_vccnz .LBB258_13
; %bb.9:
	v_mad_i64_i32 v[1:2], null, s8, v0, 0
	s_lshl_b64 s[2:3], s[10:11], 3
	s_ashr_i32 s9, s8, 31
	s_add_u32 s2, s16, s2
	s_addc_u32 s3, s17, s3
	v_mov_b32_e32 v3, 0
	s_delay_alu instid0(VALU_DEP_2) | instskip(NEXT) | instid1(VALU_DEP_1)
	v_lshlrev_b64 v[1:2], 3, v[1:2]
	v_add_co_u32 v1, vcc_lo, s2, v1
	s_delay_alu instid0(VALU_DEP_2)
	v_add_co_ci_u32_e32 v2, vcc_lo, s3, v2, vcc_lo
	s_lshl_b64 s[2:3], s[8:9], 11
	s_mov_b32 s9, 0
	s_branch .LBB258_11
.LBB258_10:                             ;   in Loop: Header=BB258_11 Depth=1
	s_or_b32 exec_lo, exec_lo, s21
	v_add_co_u32 v1, vcc_lo, v1, s2
	v_add_co_ci_u32_e32 v2, vcc_lo, s3, v2, vcc_lo
	s_addk_i32 s9, 0x100
	s_delay_alu instid0(SALU_CYCLE_1)
	s_cmp_ge_i32 s9, s7
	s_cbranch_scc1 .LBB258_13
.LBB258_11:                             ; =>This Inner Loop Header: Depth=1
	v_add_nc_u32_e32 v4, s9, v0
	s_mov_b32 s21, exec_lo
	s_delay_alu instid0(VALU_DEP_1)
	v_cmpx_gt_i32_e64 s7, v4
	s_cbranch_execz .LBB258_10
; %bb.12:                               ;   in Loop: Header=BB258_11 Depth=1
	v_mov_b32_e32 v4, v3
	global_store_b64 v[1:2], v[3:4], off
	s_branch .LBB258_10
.LBB258_13:
	s_cbranch_execz .LBB258_15
	s_branch .LBB258_20
.LBB258_14:
.LBB258_15:
	s_and_not1_b32 vcc_lo, exec_lo, s20
	s_cbranch_vccnz .LBB258_20
; %bb.16:
	v_mad_i64_i32 v[1:2], null, s8, v0, 0
	s_lshl_b64 s[2:3], s[10:11], 3
	s_ashr_i32 s9, s8, 31
	s_add_u32 s2, s16, s2
	s_addc_u32 s3, s17, s3
	s_delay_alu instid0(VALU_DEP_1) | instskip(NEXT) | instid1(VALU_DEP_1)
	v_lshlrev_b64 v[1:2], 3, v[1:2]
	v_add_co_u32 v1, vcc_lo, s2, v1
	s_delay_alu instid0(VALU_DEP_2)
	v_add_co_ci_u32_e32 v2, vcc_lo, s3, v2, vcc_lo
	s_lshl_b64 s[2:3], s[8:9], 11
	s_mov_b32 s9, 0
	s_branch .LBB258_18
	.p2align	6
.LBB258_17:                             ;   in Loop: Header=BB258_18 Depth=1
	s_or_b32 exec_lo, exec_lo, s20
	v_add_co_u32 v1, vcc_lo, v1, s2
	v_add_co_ci_u32_e32 v2, vcc_lo, s3, v2, vcc_lo
	s_addk_i32 s9, 0x100
	s_delay_alu instid0(SALU_CYCLE_1)
	s_cmp_ge_i32 s9, s7
	s_cbranch_scc1 .LBB258_20
.LBB258_18:                             ; =>This Inner Loop Header: Depth=1
	v_add_nc_u32_e32 v3, s9, v0
	s_mov_b32 s20, exec_lo
	s_delay_alu instid0(VALU_DEP_1)
	v_cmpx_gt_i32_e64 s7, v3
	s_cbranch_execz .LBB258_17
; %bb.19:                               ;   in Loop: Header=BB258_18 Depth=1
	global_load_b64 v[3:4], v[1:2], off
	s_waitcnt vmcnt(0)
	v_mul_f64 v[3:4], s[4:5], v[3:4]
	global_store_b64 v[1:2], v[3:4], off
	s_branch .LBB258_17
.LBB258_20:
	s_mov_b32 s2, 0
.LBB258_21:
	s_delay_alu instid0(SALU_CYCLE_1)
	s_and_not1_b32 vcc_lo, exec_lo, s2
	s_cbranch_vccnz .LBB258_39
; %bb.22:
	s_mov_b32 s2, exec_lo
	s_waitcnt lgkmcnt(0)
	v_cmpx_gt_i32_e64 s6, v0
	s_cbranch_execz .LBB258_24
; %bb.23:
	s_load_b32 s3, s[0:1], 0x48
	v_lshlrev_b32_e32 v3, 3, v0
	s_waitcnt lgkmcnt(0)
	v_mad_i64_i32 v[1:2], null, s3, v0, 0
	s_delay_alu instid0(VALU_DEP_1) | instskip(NEXT) | instid1(VALU_DEP_1)
	v_lshlrev_b64 v[1:2], 3, v[1:2]
	v_add_co_u32 v1, vcc_lo, s18, v1
	s_delay_alu instid0(VALU_DEP_2)
	v_add_co_ci_u32_e32 v2, vcc_lo, s19, v2, vcc_lo
	flat_load_b64 v[1:2], v[1:2]
	s_waitcnt vmcnt(0) lgkmcnt(0)
	v_mul_f64 v[1:2], s[14:15], v[1:2]
	ds_store_b64 v3, v[1:2]
.LBB258_24:
	s_or_b32 exec_lo, exec_lo, s2
	s_cmp_lt_i32 s7, 1
	s_waitcnt lgkmcnt(0)
	s_waitcnt_vscnt null, 0x0
	s_barrier
	buffer_gl0_inv
	s_cbranch_scc1 .LBB258_39
; %bb.25:
	s_load_b32 s2, s[0:1], 0x28
	v_cmp_neq_f64_e64 s14, s[4:5], 0
	s_lshl_b64 s[0:1], s[10:11], 3
	s_delay_alu instid0(SALU_CYCLE_1)
	s_add_u32 s9, s16, s0
	s_addc_u32 s10, s17, s1
	s_ashr_i32 s11, s8, 31
	s_mov_b32 s1, 0
	s_waitcnt lgkmcnt(0)
	v_mad_i64_i32 v[1:2], null, s2, v0, 0
	s_ashr_i32 s3, s2, 31
	s_cmp_gt_i32 s6, 0
	s_cselect_b32 s15, -1, 0
	s_and_b32 s16, s6, 7
	s_cmp_gt_u32 s6, 7
	s_delay_alu instid0(VALU_DEP_1) | instskip(SKIP_3) | instid1(VALU_DEP_1)
	v_lshlrev_b64 v[1:2], 3, v[1:2]
	s_cselect_b32 s17, -1, 0
	s_and_b32 s6, s6, 0x7ffffff8
	s_cmp_lg_u32 s16, 0
	v_add_co_u32 v1, vcc_lo, s12, v1
	s_delay_alu instid0(VALU_DEP_2)
	v_add_co_ci_u32_e32 v2, vcc_lo, s13, v2, vcc_lo
	s_cselect_b32 s12, -1, 0
	s_lshl_b64 s[2:3], s[2:3], 11
	s_mov_b32 s13, 0
	s_branch .LBB258_28
.LBB258_26:                             ;   in Loop: Header=BB258_28 Depth=1
	v_add_co_u32 v3, vcc_lo, s9, v3
	v_add_co_ci_u32_e32 v4, vcc_lo, s10, v4, vcc_lo
	global_store_b64 v[3:4], v[5:6], off
.LBB258_27:                             ;   in Loop: Header=BB258_28 Depth=1
	s_or_b32 exec_lo, exec_lo, s18
	v_add_co_u32 v1, vcc_lo, v1, s2
	v_add_co_ci_u32_e32 v2, vcc_lo, s3, v2, vcc_lo
	s_addk_i32 s13, 0x100
	s_delay_alu instid0(SALU_CYCLE_1)
	s_cmp_ge_i32 s13, s7
	s_cbranch_scc1 .LBB258_39
.LBB258_28:                             ; =>This Loop Header: Depth=1
                                        ;     Child Loop BB258_34 Depth 2
                                        ;     Child Loop BB258_38 Depth 2
	v_add_nc_u32_e32 v3, s13, v0
	s_mov_b32 s18, exec_lo
	s_delay_alu instid0(VALU_DEP_1)
	v_cmpx_gt_i32_e64 s7, v3
	s_cbranch_execz .LBB258_27
; %bb.29:                               ;   in Loop: Header=BB258_28 Depth=1
	v_mad_u64_u32 v[4:5], null, v3, s8, 0
	s_and_not1_b32 vcc_lo, exec_lo, s14
	s_delay_alu instid0(VALU_DEP_1) | instskip(NEXT) | instid1(VALU_DEP_1)
	v_mad_u64_u32 v[6:7], null, v3, s11, v[5:6]
	v_mov_b32_e32 v5, v6
	s_delay_alu instid0(VALU_DEP_1)
	v_lshlrev_b64 v[3:4], 3, v[4:5]
	s_cbranch_vccnz .LBB258_31
; %bb.30:                               ;   in Loop: Header=BB258_28 Depth=1
	s_delay_alu instid0(VALU_DEP_1) | instskip(NEXT) | instid1(VALU_DEP_2)
	v_add_co_u32 v5, vcc_lo, s9, v3
	v_add_co_ci_u32_e32 v6, vcc_lo, s10, v4, vcc_lo
	global_load_b64 v[5:6], v[5:6], off
	s_waitcnt vmcnt(0)
	v_mul_f64 v[5:6], s[4:5], v[5:6]
	s_and_not1_b32 vcc_lo, exec_lo, s15
	s_cbranch_vccz .LBB258_32
	s_branch .LBB258_26
.LBB258_31:                             ;   in Loop: Header=BB258_28 Depth=1
	v_mov_b32_e32 v5, 0
	v_mov_b32_e32 v6, 0
	s_and_not1_b32 vcc_lo, exec_lo, s15
	s_cbranch_vccnz .LBB258_26
.LBB258_32:                             ;   in Loop: Header=BB258_28 Depth=1
	s_and_not1_b32 vcc_lo, exec_lo, s17
	s_cbranch_vccnz .LBB258_36
; %bb.33:                               ;   in Loop: Header=BB258_28 Depth=1
	v_dual_mov_b32 v8, v2 :: v_dual_mov_b32 v7, v1
	s_mov_b32 s0, 0
	s_mov_b32 s19, 0
	s_set_inst_prefetch_distance 0x1
	.p2align	6
.LBB258_34:                             ;   Parent Loop BB258_28 Depth=1
                                        ; =>  This Inner Loop Header: Depth=2
	s_clause 0x3
	flat_load_b128 v[9:12], v[7:8]
	flat_load_b128 v[13:16], v[7:8] offset:16
	flat_load_b128 v[17:20], v[7:8] offset:32
	;; [unrolled: 1-line block ×3, first 2 shown]
	v_mov_b32_e32 v33, s0
	v_add_co_u32 v7, vcc_lo, v7, 64
	v_add_co_ci_u32_e32 v8, vcc_lo, 0, v8, vcc_lo
	ds_load_b128 v[25:28], v33
	ds_load_b128 v[29:32], v33 offset:16
	s_add_i32 s19, s19, 8
	s_add_i32 s0, s0, 64
	s_cmp_eq_u32 s6, s19
	s_waitcnt vmcnt(3) lgkmcnt(1)
	v_fma_f64 v[5:6], v[25:26], v[9:10], v[5:6]
	s_delay_alu instid0(VALU_DEP_1) | instskip(SKIP_1) | instid1(VALU_DEP_1)
	v_fma_f64 v[5:6], v[27:28], v[11:12], v[5:6]
	s_waitcnt vmcnt(2) lgkmcnt(0)
	v_fma_f64 v[5:6], v[29:30], v[13:14], v[5:6]
	s_delay_alu instid0(VALU_DEP_1) | instskip(SKIP_4) | instid1(VALU_DEP_1)
	v_fma_f64 v[5:6], v[31:32], v[15:16], v[5:6]
	ds_load_b128 v[9:12], v33 offset:32
	ds_load_b128 v[13:16], v33 offset:48
	s_waitcnt vmcnt(1) lgkmcnt(1)
	v_fma_f64 v[5:6], v[9:10], v[17:18], v[5:6]
	v_fma_f64 v[5:6], v[11:12], v[19:20], v[5:6]
	s_waitcnt vmcnt(0) lgkmcnt(0)
	s_delay_alu instid0(VALU_DEP_1) | instskip(NEXT) | instid1(VALU_DEP_1)
	v_fma_f64 v[5:6], v[13:14], v[21:22], v[5:6]
	v_fma_f64 v[5:6], v[15:16], v[23:24], v[5:6]
	s_cbranch_scc0 .LBB258_34
; %bb.35:                               ;   in Loop: Header=BB258_28 Depth=1
	s_set_inst_prefetch_distance 0x2
	s_mov_b32 s0, s6
	s_and_not1_b32 vcc_lo, exec_lo, s12
	s_cbranch_vccz .LBB258_37
	s_branch .LBB258_26
.LBB258_36:                             ;   in Loop: Header=BB258_28 Depth=1
	s_mov_b32 s0, 0
	s_and_not1_b32 vcc_lo, exec_lo, s12
	s_cbranch_vccnz .LBB258_26
.LBB258_37:                             ;   in Loop: Header=BB258_28 Depth=1
	s_lshl_b64 s[20:21], s[0:1], 3
	s_lshl_b32 s0, s0, 3
	v_add_co_u32 v7, vcc_lo, v1, s20
	v_add_co_ci_u32_e32 v8, vcc_lo, s21, v2, vcc_lo
	s_mov_b32 s19, s16
.LBB258_38:                             ;   Parent Loop BB258_28 Depth=1
                                        ; =>  This Inner Loop Header: Depth=2
	flat_load_b64 v[9:10], v[7:8]
	v_mov_b32_e32 v11, s0
	v_add_co_u32 v7, vcc_lo, v7, 8
	v_add_co_ci_u32_e32 v8, vcc_lo, 0, v8, vcc_lo
	ds_load_b64 v[11:12], v11
	s_add_i32 s19, s19, -1
	s_add_i32 s0, s0, 8
	s_cmp_lg_u32 s19, 0
	s_waitcnt vmcnt(0) lgkmcnt(0)
	v_fma_f64 v[5:6], v[11:12], v[9:10], v[5:6]
	s_cbranch_scc1 .LBB258_38
	s_branch .LBB258_26
.LBB258_39:
	s_nop 0
	s_sendmsg sendmsg(MSG_DEALLOC_VGPRS)
	s_endpgm
	.section	.rodata,"a",@progbits
	.p2align	6, 0x0
	.amdhsa_kernel _ZL22rocblas_gemvtsm_kernelILb0ELi256EPKdS1_KPdEviiT2_lPKT1_lilS7_lilS4_lPT3_lil
		.amdhsa_group_segment_fixed_size 512
		.amdhsa_private_segment_fixed_size 0
		.amdhsa_kernarg_size 136
		.amdhsa_user_sgpr_count 15
		.amdhsa_user_sgpr_dispatch_ptr 0
		.amdhsa_user_sgpr_queue_ptr 0
		.amdhsa_user_sgpr_kernarg_segment_ptr 1
		.amdhsa_user_sgpr_dispatch_id 0
		.amdhsa_user_sgpr_private_segment_size 0
		.amdhsa_wavefront_size32 1
		.amdhsa_uses_dynamic_stack 0
		.amdhsa_enable_private_segment 0
		.amdhsa_system_sgpr_workgroup_id_x 1
		.amdhsa_system_sgpr_workgroup_id_y 0
		.amdhsa_system_sgpr_workgroup_id_z 0
		.amdhsa_system_sgpr_workgroup_info 0
		.amdhsa_system_vgpr_workitem_id 0
		.amdhsa_next_free_vgpr 34
		.amdhsa_next_free_sgpr 22
		.amdhsa_reserve_vcc 1
		.amdhsa_float_round_mode_32 0
		.amdhsa_float_round_mode_16_64 0
		.amdhsa_float_denorm_mode_32 3
		.amdhsa_float_denorm_mode_16_64 3
		.amdhsa_dx10_clamp 1
		.amdhsa_ieee_mode 1
		.amdhsa_fp16_overflow 0
		.amdhsa_workgroup_processor_mode 1
		.amdhsa_memory_ordered 1
		.amdhsa_forward_progress 0
		.amdhsa_shared_vgpr_count 0
		.amdhsa_exception_fp_ieee_invalid_op 0
		.amdhsa_exception_fp_denorm_src 0
		.amdhsa_exception_fp_ieee_div_zero 0
		.amdhsa_exception_fp_ieee_overflow 0
		.amdhsa_exception_fp_ieee_underflow 0
		.amdhsa_exception_fp_ieee_inexact 0
		.amdhsa_exception_int_div_zero 0
	.end_amdhsa_kernel
	.section	.text._ZL22rocblas_gemvtsm_kernelILb0ELi256EPKdS1_KPdEviiT2_lPKT1_lilS7_lilS4_lPT3_lil,"axG",@progbits,_ZL22rocblas_gemvtsm_kernelILb0ELi256EPKdS1_KPdEviiT2_lPKT1_lilS7_lilS4_lPT3_lil,comdat
.Lfunc_end258:
	.size	_ZL22rocblas_gemvtsm_kernelILb0ELi256EPKdS1_KPdEviiT2_lPKT1_lilS7_lilS4_lPT3_lil, .Lfunc_end258-_ZL22rocblas_gemvtsm_kernelILb0ELi256EPKdS1_KPdEviiT2_lPKT1_lilS7_lilS4_lPT3_lil
                                        ; -- End function
	.section	.AMDGPU.csdata,"",@progbits
; Kernel info:
; codeLenInByte = 1516
; NumSgprs: 24
; NumVgprs: 34
; ScratchSize: 0
; MemoryBound: 0
; FloatMode: 240
; IeeeMode: 1
; LDSByteSize: 512 bytes/workgroup (compile time only)
; SGPRBlocks: 2
; VGPRBlocks: 4
; NumSGPRsForWavesPerEU: 24
; NumVGPRsForWavesPerEU: 34
; Occupancy: 16
; WaveLimiterHint : 1
; COMPUTE_PGM_RSRC2:SCRATCH_EN: 0
; COMPUTE_PGM_RSRC2:USER_SGPR: 15
; COMPUTE_PGM_RSRC2:TRAP_HANDLER: 0
; COMPUTE_PGM_RSRC2:TGID_X_EN: 1
; COMPUTE_PGM_RSRC2:TGID_Y_EN: 0
; COMPUTE_PGM_RSRC2:TGID_Z_EN: 0
; COMPUTE_PGM_RSRC2:TIDIG_COMP_CNT: 0
	.section	.text._ZL22rocblas_gemvtsm_kernelILb0ELi256EPKddKPdEviiT2_lPKT1_lilS7_lilS4_lPT3_lil,"axG",@progbits,_ZL22rocblas_gemvtsm_kernelILb0ELi256EPKddKPdEviiT2_lPKT1_lilS7_lilS4_lPT3_lil,comdat
	.globl	_ZL22rocblas_gemvtsm_kernelILb0ELi256EPKddKPdEviiT2_lPKT1_lilS7_lilS4_lPT3_lil ; -- Begin function _ZL22rocblas_gemvtsm_kernelILb0ELi256EPKddKPdEviiT2_lPKT1_lilS7_lilS4_lPT3_lil
	.p2align	8
	.type	_ZL22rocblas_gemvtsm_kernelILb0ELi256EPKddKPdEviiT2_lPKT1_lilS7_lilS4_lPT3_lil,@function
_ZL22rocblas_gemvtsm_kernelILb0ELi256EPKddKPdEviiT2_lPKT1_lilS7_lilS4_lPT3_lil: ; @_ZL22rocblas_gemvtsm_kernelILb0ELi256EPKddKPdEviiT2_lPKT1_lilS7_lilS4_lPT3_lil
; %bb.0:
	s_mov_b32 s2, s15
	s_clause 0x1
	s_load_b64 s[14:15], s[0:1], 0x8
	s_load_b64 s[8:9], s[0:1], 0x58
	s_waitcnt lgkmcnt(0)
	v_cmp_eq_f64_e64 s20, s[14:15], 0
	v_cmp_eq_f64_e64 s3, s[8:9], 1.0
	s_delay_alu instid0(VALU_DEP_1) | instskip(NEXT) | instid1(SALU_CYCLE_1)
	s_and_b32 s3, s20, s3
	s_and_b32 vcc_lo, exec_lo, s3
	s_cbranch_vccnz .LBB259_41
; %bb.1:
	v_cmp_neq_f64_e64 s4, s[14:15], 0
	s_delay_alu instid0(VALU_DEP_1)
	s_and_b32 vcc_lo, exec_lo, s4
	s_cbranch_vccnz .LBB259_3
; %bb.2:
	s_mov_b32 s3, 0
	s_mov_b64 s[12:13], 0
	s_cbranch_execz .LBB259_4
	s_branch .LBB259_5
.LBB259_3:
	s_mov_b32 s3, -1
                                        ; implicit-def: $sgpr12_sgpr13
.LBB259_4:
	s_load_b128 s[16:19], s[0:1], 0x18
	s_mov_b32 s3, 0
	s_delay_alu instid0(SALU_CYCLE_1)
	s_lshl_b64 s[6:7], s[2:3], 3
	s_waitcnt lgkmcnt(0)
	s_add_u32 s6, s16, s6
	s_addc_u32 s7, s17, s7
	s_lshl_b64 s[10:11], s[18:19], 3
	s_load_b64 s[6:7], s[6:7], 0x0
	s_waitcnt lgkmcnt(0)
	s_add_u32 s12, s6, s10
	s_addc_u32 s13, s7, s11
.LBB259_5:
	s_and_not1_b32 vcc_lo, exec_lo, s4
	s_cbranch_vccnz .LBB259_7
; %bb.6:
	s_load_b128 s[4:7], s[0:1], 0x38
	s_lshl_b64 s[10:11], s[2:3], 3
	s_waitcnt lgkmcnt(0)
	s_add_u32 s4, s4, s10
	s_addc_u32 s5, s5, s11
	s_lshl_b64 s[6:7], s[6:7], 3
	s_load_b64 s[4:5], s[4:5], 0x0
	s_waitcnt lgkmcnt(0)
	s_add_u32 s18, s4, s6
	s_addc_u32 s19, s5, s7
	s_branch .LBB259_8
.LBB259_7:
	s_mov_b64 s[18:19], 0
.LBB259_8:
	s_clause 0x1
	s_load_b128 s[4:7], s[0:1], 0x68
	s_load_b64 s[10:11], s[0:1], 0x0
	s_lshl_b64 s[2:3], s[2:3], 3
	s_waitcnt lgkmcnt(0)
	s_add_u32 s2, s4, s2
	s_addc_u32 s3, s5, s3
	s_load_b32 s4, s[0:1], 0x78
	s_load_b64 s[16:17], s[2:3], 0x0
	s_and_not1_b32 vcc_lo, exec_lo, s20
	s_mov_b32 s2, -1
	s_cbranch_vccnz .LBB259_23
; %bb.9:
	v_cmp_neq_f64_e64 s2, s[8:9], 0
	s_cmp_gt_i32 s11, 0
	s_cselect_b32 s20, -1, 0
	s_delay_alu instid0(SALU_CYCLE_1) | instskip(NEXT) | instid1(VALU_DEP_2)
	v_cndmask_b32_e64 v1, 0, 1, s20
	s_and_b32 vcc_lo, exec_lo, s2
	s_delay_alu instid0(VALU_DEP_1)
	v_cmp_ne_u32_e64 s2, 1, v1
	s_cbranch_vccnz .LBB259_16
; %bb.10:
	s_delay_alu instid0(VALU_DEP_1)
	s_and_b32 vcc_lo, exec_lo, s2
	s_cbranch_vccnz .LBB259_15
; %bb.11:
	s_waitcnt lgkmcnt(0)
	v_mad_i64_i32 v[1:2], null, s4, v0, 0
	s_lshl_b64 s[2:3], s[6:7], 3
	s_ashr_i32 s5, s4, 31
	s_add_u32 s2, s16, s2
	s_addc_u32 s3, s17, s3
	v_mov_b32_e32 v3, 0
	s_delay_alu instid0(VALU_DEP_2) | instskip(NEXT) | instid1(VALU_DEP_1)
	v_lshlrev_b64 v[1:2], 3, v[1:2]
	v_add_co_u32 v1, vcc_lo, s2, v1
	s_delay_alu instid0(VALU_DEP_2)
	v_add_co_ci_u32_e32 v2, vcc_lo, s3, v2, vcc_lo
	s_lshl_b64 s[2:3], s[4:5], 11
	s_mov_b32 s5, 0
	s_branch .LBB259_13
.LBB259_12:                             ;   in Loop: Header=BB259_13 Depth=1
	s_or_b32 exec_lo, exec_lo, s21
	v_add_co_u32 v1, vcc_lo, v1, s2
	v_add_co_ci_u32_e32 v2, vcc_lo, s3, v2, vcc_lo
	s_addk_i32 s5, 0x100
	s_delay_alu instid0(SALU_CYCLE_1)
	s_cmp_ge_i32 s5, s11
	s_cbranch_scc1 .LBB259_15
.LBB259_13:                             ; =>This Inner Loop Header: Depth=1
	v_add_nc_u32_e32 v4, s5, v0
	s_mov_b32 s21, exec_lo
	s_delay_alu instid0(VALU_DEP_1)
	v_cmpx_gt_i32_e64 s11, v4
	s_cbranch_execz .LBB259_12
; %bb.14:                               ;   in Loop: Header=BB259_13 Depth=1
	v_mov_b32_e32 v4, v3
	global_store_b64 v[1:2], v[3:4], off
	s_branch .LBB259_12
.LBB259_15:
	s_cbranch_execz .LBB259_17
	s_branch .LBB259_22
.LBB259_16:
.LBB259_17:
	s_and_not1_b32 vcc_lo, exec_lo, s20
	s_cbranch_vccnz .LBB259_22
; %bb.18:
	s_waitcnt lgkmcnt(0)
	v_mad_i64_i32 v[1:2], null, s4, v0, 0
	s_lshl_b64 s[2:3], s[6:7], 3
	s_ashr_i32 s5, s4, 31
	s_add_u32 s2, s16, s2
	s_addc_u32 s3, s17, s3
	s_delay_alu instid0(VALU_DEP_1) | instskip(NEXT) | instid1(VALU_DEP_1)
	v_lshlrev_b64 v[1:2], 3, v[1:2]
	v_add_co_u32 v1, vcc_lo, s2, v1
	s_delay_alu instid0(VALU_DEP_2)
	v_add_co_ci_u32_e32 v2, vcc_lo, s3, v2, vcc_lo
	s_lshl_b64 s[2:3], s[4:5], 11
	s_mov_b32 s5, 0
	s_branch .LBB259_20
	.p2align	6
.LBB259_19:                             ;   in Loop: Header=BB259_20 Depth=1
	s_or_b32 exec_lo, exec_lo, s20
	v_add_co_u32 v1, vcc_lo, v1, s2
	v_add_co_ci_u32_e32 v2, vcc_lo, s3, v2, vcc_lo
	s_addk_i32 s5, 0x100
	s_delay_alu instid0(SALU_CYCLE_1)
	s_cmp_ge_i32 s5, s11
	s_cbranch_scc1 .LBB259_22
.LBB259_20:                             ; =>This Inner Loop Header: Depth=1
	v_add_nc_u32_e32 v3, s5, v0
	s_mov_b32 s20, exec_lo
	s_delay_alu instid0(VALU_DEP_1)
	v_cmpx_gt_i32_e64 s11, v3
	s_cbranch_execz .LBB259_19
; %bb.21:                               ;   in Loop: Header=BB259_20 Depth=1
	global_load_b64 v[3:4], v[1:2], off
	s_waitcnt vmcnt(0)
	v_mul_f64 v[3:4], v[3:4], s[8:9]
	global_store_b64 v[1:2], v[3:4], off
	s_branch .LBB259_19
.LBB259_22:
	s_mov_b32 s2, 0
.LBB259_23:
	s_delay_alu instid0(SALU_CYCLE_1)
	s_and_not1_b32 vcc_lo, exec_lo, s2
	s_cbranch_vccnz .LBB259_41
; %bb.24:
	s_mov_b32 s2, exec_lo
	v_cmpx_gt_i32_e64 s10, v0
	s_cbranch_execz .LBB259_26
; %bb.25:
	s_load_b32 s3, s[0:1], 0x48
	v_lshlrev_b32_e32 v3, 3, v0
	s_waitcnt lgkmcnt(0)
	v_mad_i64_i32 v[1:2], null, s3, v0, 0
	s_delay_alu instid0(VALU_DEP_1) | instskip(NEXT) | instid1(VALU_DEP_1)
	v_lshlrev_b64 v[1:2], 3, v[1:2]
	v_add_co_u32 v1, vcc_lo, s18, v1
	s_delay_alu instid0(VALU_DEP_2)
	v_add_co_ci_u32_e32 v2, vcc_lo, s19, v2, vcc_lo
	flat_load_b64 v[1:2], v[1:2]
	s_waitcnt vmcnt(0) lgkmcnt(0)
	v_mul_f64 v[1:2], v[1:2], s[14:15]
	ds_store_b64 v3, v[1:2]
.LBB259_26:
	s_or_b32 exec_lo, exec_lo, s2
	s_cmp_lt_i32 s11, 1
	s_waitcnt lgkmcnt(0)
	s_waitcnt_vscnt null, 0x0
	s_barrier
	buffer_gl0_inv
	s_cbranch_scc1 .LBB259_41
; %bb.27:
	s_load_b32 s2, s[0:1], 0x28
	v_cmp_neq_f64_e64 s14, s[8:9], 0
	s_lshl_b64 s[0:1], s[6:7], 3
	s_delay_alu instid0(SALU_CYCLE_1)
	s_add_u32 s5, s16, s0
	s_addc_u32 s6, s17, s1
	s_ashr_i32 s7, s4, 31
	s_mov_b32 s1, 0
	s_waitcnt lgkmcnt(0)
	v_mad_i64_i32 v[1:2], null, s2, v0, 0
	s_ashr_i32 s3, s2, 31
	s_cmp_gt_i32 s10, 0
	s_cselect_b32 s15, -1, 0
	s_and_b32 s16, s10, 7
	s_cmp_gt_u32 s10, 7
	s_delay_alu instid0(VALU_DEP_1) | instskip(SKIP_3) | instid1(VALU_DEP_1)
	v_lshlrev_b64 v[1:2], 3, v[1:2]
	s_cselect_b32 s17, -1, 0
	s_and_b32 s10, s10, 0x7ffffff8
	s_cmp_lg_u32 s16, 0
	v_add_co_u32 v1, vcc_lo, s12, v1
	s_delay_alu instid0(VALU_DEP_2)
	v_add_co_ci_u32_e32 v2, vcc_lo, s13, v2, vcc_lo
	s_cselect_b32 s12, -1, 0
	s_lshl_b64 s[2:3], s[2:3], 11
	s_mov_b32 s13, 0
	s_branch .LBB259_30
.LBB259_28:                             ;   in Loop: Header=BB259_30 Depth=1
	v_add_co_u32 v3, vcc_lo, s5, v3
	v_add_co_ci_u32_e32 v4, vcc_lo, s6, v4, vcc_lo
	global_store_b64 v[3:4], v[5:6], off
.LBB259_29:                             ;   in Loop: Header=BB259_30 Depth=1
	s_or_b32 exec_lo, exec_lo, s18
	v_add_co_u32 v1, vcc_lo, v1, s2
	v_add_co_ci_u32_e32 v2, vcc_lo, s3, v2, vcc_lo
	s_addk_i32 s13, 0x100
	s_delay_alu instid0(SALU_CYCLE_1)
	s_cmp_ge_i32 s13, s11
	s_cbranch_scc1 .LBB259_41
.LBB259_30:                             ; =>This Loop Header: Depth=1
                                        ;     Child Loop BB259_36 Depth 2
                                        ;     Child Loop BB259_40 Depth 2
	v_add_nc_u32_e32 v3, s13, v0
	s_mov_b32 s18, exec_lo
	s_delay_alu instid0(VALU_DEP_1)
	v_cmpx_gt_i32_e64 s11, v3
	s_cbranch_execz .LBB259_29
; %bb.31:                               ;   in Loop: Header=BB259_30 Depth=1
	v_mad_u64_u32 v[4:5], null, v3, s4, 0
	s_and_not1_b32 vcc_lo, exec_lo, s14
	s_delay_alu instid0(VALU_DEP_1) | instskip(NEXT) | instid1(VALU_DEP_1)
	v_mad_u64_u32 v[6:7], null, v3, s7, v[5:6]
	v_mov_b32_e32 v5, v6
	s_delay_alu instid0(VALU_DEP_1)
	v_lshlrev_b64 v[3:4], 3, v[4:5]
	s_cbranch_vccnz .LBB259_33
; %bb.32:                               ;   in Loop: Header=BB259_30 Depth=1
	s_delay_alu instid0(VALU_DEP_1) | instskip(NEXT) | instid1(VALU_DEP_2)
	v_add_co_u32 v5, vcc_lo, s5, v3
	v_add_co_ci_u32_e32 v6, vcc_lo, s6, v4, vcc_lo
	global_load_b64 v[5:6], v[5:6], off
	s_waitcnt vmcnt(0)
	v_mul_f64 v[5:6], v[5:6], s[8:9]
	s_and_not1_b32 vcc_lo, exec_lo, s15
	s_cbranch_vccz .LBB259_34
	s_branch .LBB259_28
.LBB259_33:                             ;   in Loop: Header=BB259_30 Depth=1
	v_mov_b32_e32 v5, 0
	v_mov_b32_e32 v6, 0
	s_and_not1_b32 vcc_lo, exec_lo, s15
	s_cbranch_vccnz .LBB259_28
.LBB259_34:                             ;   in Loop: Header=BB259_30 Depth=1
	s_and_not1_b32 vcc_lo, exec_lo, s17
	s_cbranch_vccnz .LBB259_38
; %bb.35:                               ;   in Loop: Header=BB259_30 Depth=1
	v_dual_mov_b32 v8, v2 :: v_dual_mov_b32 v7, v1
	s_mov_b32 s0, 0
	s_mov_b32 s19, 0
	s_set_inst_prefetch_distance 0x1
	.p2align	6
.LBB259_36:                             ;   Parent Loop BB259_30 Depth=1
                                        ; =>  This Inner Loop Header: Depth=2
	s_clause 0x3
	flat_load_b128 v[9:12], v[7:8]
	flat_load_b128 v[13:16], v[7:8] offset:16
	flat_load_b128 v[17:20], v[7:8] offset:32
	;; [unrolled: 1-line block ×3, first 2 shown]
	v_mov_b32_e32 v33, s0
	v_add_co_u32 v7, vcc_lo, v7, 64
	v_add_co_ci_u32_e32 v8, vcc_lo, 0, v8, vcc_lo
	ds_load_b128 v[25:28], v33
	ds_load_b128 v[29:32], v33 offset:16
	s_add_i32 s19, s19, 8
	s_add_i32 s0, s0, 64
	s_cmp_eq_u32 s10, s19
	s_waitcnt vmcnt(3) lgkmcnt(1)
	v_fma_f64 v[5:6], v[25:26], v[9:10], v[5:6]
	s_delay_alu instid0(VALU_DEP_1) | instskip(SKIP_1) | instid1(VALU_DEP_1)
	v_fma_f64 v[5:6], v[27:28], v[11:12], v[5:6]
	s_waitcnt vmcnt(2) lgkmcnt(0)
	v_fma_f64 v[5:6], v[29:30], v[13:14], v[5:6]
	s_delay_alu instid0(VALU_DEP_1) | instskip(SKIP_4) | instid1(VALU_DEP_1)
	v_fma_f64 v[5:6], v[31:32], v[15:16], v[5:6]
	ds_load_b128 v[9:12], v33 offset:32
	ds_load_b128 v[13:16], v33 offset:48
	s_waitcnt vmcnt(1) lgkmcnt(1)
	v_fma_f64 v[5:6], v[9:10], v[17:18], v[5:6]
	v_fma_f64 v[5:6], v[11:12], v[19:20], v[5:6]
	s_waitcnt vmcnt(0) lgkmcnt(0)
	s_delay_alu instid0(VALU_DEP_1) | instskip(NEXT) | instid1(VALU_DEP_1)
	v_fma_f64 v[5:6], v[13:14], v[21:22], v[5:6]
	v_fma_f64 v[5:6], v[15:16], v[23:24], v[5:6]
	s_cbranch_scc0 .LBB259_36
; %bb.37:                               ;   in Loop: Header=BB259_30 Depth=1
	s_set_inst_prefetch_distance 0x2
	s_mov_b32 s0, s10
	s_and_not1_b32 vcc_lo, exec_lo, s12
	s_cbranch_vccz .LBB259_39
	s_branch .LBB259_28
.LBB259_38:                             ;   in Loop: Header=BB259_30 Depth=1
	s_mov_b32 s0, 0
	s_and_not1_b32 vcc_lo, exec_lo, s12
	s_cbranch_vccnz .LBB259_28
.LBB259_39:                             ;   in Loop: Header=BB259_30 Depth=1
	s_lshl_b64 s[20:21], s[0:1], 3
	s_lshl_b32 s0, s0, 3
	v_add_co_u32 v7, vcc_lo, v1, s20
	v_add_co_ci_u32_e32 v8, vcc_lo, s21, v2, vcc_lo
	s_mov_b32 s19, s16
.LBB259_40:                             ;   Parent Loop BB259_30 Depth=1
                                        ; =>  This Inner Loop Header: Depth=2
	flat_load_b64 v[9:10], v[7:8]
	v_mov_b32_e32 v11, s0
	v_add_co_u32 v7, vcc_lo, v7, 8
	v_add_co_ci_u32_e32 v8, vcc_lo, 0, v8, vcc_lo
	ds_load_b64 v[11:12], v11
	s_add_i32 s19, s19, -1
	s_add_i32 s0, s0, 8
	s_cmp_lg_u32 s19, 0
	s_waitcnt vmcnt(0) lgkmcnt(0)
	v_fma_f64 v[5:6], v[11:12], v[9:10], v[5:6]
	s_cbranch_scc1 .LBB259_40
	s_branch .LBB259_28
.LBB259_41:
	s_nop 0
	s_sendmsg sendmsg(MSG_DEALLOC_VGPRS)
	s_endpgm
	.section	.rodata,"a",@progbits
	.p2align	6, 0x0
	.amdhsa_kernel _ZL22rocblas_gemvtsm_kernelILb0ELi256EPKddKPdEviiT2_lPKT1_lilS7_lilS4_lPT3_lil
		.amdhsa_group_segment_fixed_size 512
		.amdhsa_private_segment_fixed_size 0
		.amdhsa_kernarg_size 136
		.amdhsa_user_sgpr_count 15
		.amdhsa_user_sgpr_dispatch_ptr 0
		.amdhsa_user_sgpr_queue_ptr 0
		.amdhsa_user_sgpr_kernarg_segment_ptr 1
		.amdhsa_user_sgpr_dispatch_id 0
		.amdhsa_user_sgpr_private_segment_size 0
		.amdhsa_wavefront_size32 1
		.amdhsa_uses_dynamic_stack 0
		.amdhsa_enable_private_segment 0
		.amdhsa_system_sgpr_workgroup_id_x 1
		.amdhsa_system_sgpr_workgroup_id_y 0
		.amdhsa_system_sgpr_workgroup_id_z 0
		.amdhsa_system_sgpr_workgroup_info 0
		.amdhsa_system_vgpr_workitem_id 0
		.amdhsa_next_free_vgpr 34
		.amdhsa_next_free_sgpr 22
		.amdhsa_reserve_vcc 1
		.amdhsa_float_round_mode_32 0
		.amdhsa_float_round_mode_16_64 0
		.amdhsa_float_denorm_mode_32 3
		.amdhsa_float_denorm_mode_16_64 3
		.amdhsa_dx10_clamp 1
		.amdhsa_ieee_mode 1
		.amdhsa_fp16_overflow 0
		.amdhsa_workgroup_processor_mode 1
		.amdhsa_memory_ordered 1
		.amdhsa_forward_progress 0
		.amdhsa_shared_vgpr_count 0
		.amdhsa_exception_fp_ieee_invalid_op 0
		.amdhsa_exception_fp_denorm_src 0
		.amdhsa_exception_fp_ieee_div_zero 0
		.amdhsa_exception_fp_ieee_overflow 0
		.amdhsa_exception_fp_ieee_underflow 0
		.amdhsa_exception_fp_ieee_inexact 0
		.amdhsa_exception_int_div_zero 0
	.end_amdhsa_kernel
	.section	.text._ZL22rocblas_gemvtsm_kernelILb0ELi256EPKddKPdEviiT2_lPKT1_lilS7_lilS4_lPT3_lil,"axG",@progbits,_ZL22rocblas_gemvtsm_kernelILb0ELi256EPKddKPdEviiT2_lPKT1_lilS7_lilS4_lPT3_lil,comdat
.Lfunc_end259:
	.size	_ZL22rocblas_gemvtsm_kernelILb0ELi256EPKddKPdEviiT2_lPKT1_lilS7_lilS4_lPT3_lil, .Lfunc_end259-_ZL22rocblas_gemvtsm_kernelILb0ELi256EPKddKPdEviiT2_lPKT1_lilS7_lilS4_lPT3_lil
                                        ; -- End function
	.section	.AMDGPU.csdata,"",@progbits
; Kernel info:
; codeLenInByte = 1472
; NumSgprs: 24
; NumVgprs: 34
; ScratchSize: 0
; MemoryBound: 0
; FloatMode: 240
; IeeeMode: 1
; LDSByteSize: 512 bytes/workgroup (compile time only)
; SGPRBlocks: 2
; VGPRBlocks: 4
; NumSGPRsForWavesPerEU: 24
; NumVGPRsForWavesPerEU: 34
; Occupancy: 16
; WaveLimiterHint : 1
; COMPUTE_PGM_RSRC2:SCRATCH_EN: 0
; COMPUTE_PGM_RSRC2:USER_SGPR: 15
; COMPUTE_PGM_RSRC2:TRAP_HANDLER: 0
; COMPUTE_PGM_RSRC2:TGID_X_EN: 1
; COMPUTE_PGM_RSRC2:TGID_Y_EN: 0
; COMPUTE_PGM_RSRC2:TGID_Z_EN: 0
; COMPUTE_PGM_RSRC2:TIDIG_COMP_CNT: 0
	.section	.text._ZL23rocblas_gemvt_sn_kernelILb0ELi256ELi4EiPKdS1_dEviiT4_lPKT3_lilS5_lilPT5_i,"axG",@progbits,_ZL23rocblas_gemvt_sn_kernelILb0ELi256ELi4EiPKdS1_dEviiT4_lPKT3_lilS5_lilPT5_i,comdat
	.globl	_ZL23rocblas_gemvt_sn_kernelILb0ELi256ELi4EiPKdS1_dEviiT4_lPKT3_lilS5_lilPT5_i ; -- Begin function _ZL23rocblas_gemvt_sn_kernelILb0ELi256ELi4EiPKdS1_dEviiT4_lPKT3_lilS5_lilPT5_i
	.p2align	8
	.type	_ZL23rocblas_gemvt_sn_kernelILb0ELi256ELi4EiPKdS1_dEviiT4_lPKT3_lilS5_lilPT5_i,@function
_ZL23rocblas_gemvt_sn_kernelILb0ELi256ELi4EiPKdS1_dEviiT4_lPKT3_lilS5_lilPT5_i: ; @_ZL23rocblas_gemvt_sn_kernelILb0ELi256ELi4EiPKdS1_dEviiT4_lPKT3_lilS5_lilPT5_i
; %bb.0:
	s_load_b256 s[4:11], s[0:1], 0x8
	s_mov_b32 s16, s15
	s_mov_b32 s17, 0
	s_mov_b64 s[24:25], 0
	s_waitcnt lgkmcnt(0)
	s_mul_i32 s2, s15, s7
	s_mul_hi_u32 s3, s15, s6
	s_delay_alu instid0(SALU_CYCLE_1) | instskip(SKIP_1) | instid1(SALU_CYCLE_1)
	s_add_i32 s3, s3, s2
	s_mul_i32 s2, s15, s6
	s_lshl_b64 s[2:3], s[2:3], 3
	s_delay_alu instid0(SALU_CYCLE_1)
	s_add_u32 s2, s4, s2
	s_addc_u32 s3, s5, s3
	s_load_b64 s[12:13], s[2:3], 0x0
	s_mov_b64 s[2:3], 0
	s_waitcnt lgkmcnt(0)
	v_cmp_eq_f64_e64 s4, s[12:13], 0
	v_cmp_neq_f64_e64 s5, s[12:13], 0
	s_delay_alu instid0(VALU_DEP_2)
	s_and_b32 vcc_lo, exec_lo, s4
	s_cbranch_vccnz .LBB260_2
; %bb.1:
	s_lshl_b64 s[2:3], s[16:17], 3
	s_delay_alu instid0(SALU_CYCLE_1)
	s_add_u32 s2, s8, s2
	s_addc_u32 s3, s9, s3
	s_lshl_b64 s[6:7], s[10:11], 3
	s_load_b64 s[2:3], s[2:3], 0x0
	s_waitcnt lgkmcnt(0)
	s_add_u32 s2, s2, s6
	s_addc_u32 s3, s3, s7
.LBB260_2:
	s_delay_alu instid0(VALU_DEP_1)
	s_and_not1_b32 vcc_lo, exec_lo, s5
	s_cbranch_vccnz .LBB260_4
; %bb.3:
	s_load_b128 s[8:11], s[0:1], 0x38
	s_lshl_b64 s[6:7], s[16:17], 3
	s_waitcnt lgkmcnt(0)
	s_add_u32 s6, s8, s6
	s_addc_u32 s7, s9, s7
	s_lshl_b64 s[8:9], s[10:11], 3
	s_load_b64 s[6:7], s[6:7], 0x0
	s_waitcnt lgkmcnt(0)
	s_add_u32 s24, s6, s8
	s_addc_u32 s25, s7, s9
.LBB260_4:
	s_clause 0x2
	s_load_b64 s[10:11], s[0:1], 0x0
	s_load_b32 s26, s[0:1], 0x68
	s_load_b64 s[6:7], s[0:1], 0x58
	s_mov_b32 s27, 0
	s_waitcnt lgkmcnt(0)
	s_ashr_i32 s8, s11, 31
	s_mul_hi_u32 s5, s11, s16
	s_mul_i32 s9, s8, s16
	s_mul_i32 s15, s11, s16
	s_add_i32 s5, s5, s9
	s_mul_hi_u32 s9, s15, s26
	s_mul_i32 s5, s5, s26
	s_mul_i32 s16, s15, s26
	s_add_i32 s17, s9, s5
	s_delay_alu instid0(SALU_CYCLE_1) | instskip(NEXT) | instid1(SALU_CYCLE_1)
	s_lshl_b64 s[16:17], s[16:17], 3
	s_add_u32 s33, s6, s16
	s_addc_u32 s36, s7, s17
	s_and_not1_b32 vcc_lo, exec_lo, s4
	s_mov_b32 s4, -1
	s_cbranch_vccnz .LBB260_9
; %bb.5:
	v_cmp_eq_u32_e32 vcc_lo, 0, v0
	s_cmp_gt_i32 s11, 0
	s_cselect_b32 s4, -1, 0
	s_delay_alu instid0(SALU_CYCLE_1) | instskip(NEXT) | instid1(SALU_CYCLE_1)
	s_and_b32 s4, vcc_lo, s4
	s_and_saveexec_b32 s9, s4
	s_cbranch_execz .LBB260_8
; %bb.6:
	v_mov_b32_e32 v1, 0
	s_mov_b32 s15, 0
	s_delay_alu instid0(SALU_CYCLE_1) | instskip(SKIP_1) | instid1(VALU_DEP_1)
	s_lshl_b64 s[4:5], s[14:15], 3
	s_mov_b32 s15, s11
	v_mov_b32_e32 v2, v1
	s_add_u32 s4, s33, s4
	s_addc_u32 s5, s36, s5
	s_lshl_b64 s[6:7], s[26:27], 3
.LBB260_7:                              ; =>This Inner Loop Header: Depth=1
	s_add_i32 s15, s15, -1
	global_store_b64 v1, v[1:2], s[4:5]
	s_add_u32 s4, s4, s6
	s_addc_u32 s5, s5, s7
	s_cmp_eq_u32 s15, 0
	s_cbranch_scc0 .LBB260_7
.LBB260_8:
	s_or_b32 exec_lo, exec_lo, s9
	s_mov_b32 s4, 0
.LBB260_9:
	s_delay_alu instid0(SALU_CYCLE_1)
	s_and_not1_b32 vcc_lo, exec_lo, s4
	s_cbranch_vccnz .LBB260_61
; %bb.10:
	s_clause 0x1
	s_load_b32 s28, s[0:1], 0x28
	s_load_b32 s9, s[0:1], 0x48
	s_lshl_b32 s4, s14, 10
	s_ashr_i32 s0, s10, 31
	v_lshl_or_b32 v1, v0, 2, s4
	s_lshr_b32 s0, s0, 30
	s_lshr_b32 s1, s8, 30
	s_add_i32 s0, s10, s0
	s_add_i32 s1, s11, s1
	v_ashrrev_i32_e32 v2, 31, v1
	s_and_b32 s0, s0, -4
	s_and_b32 s15, s1, -4
	s_sub_i32 s27, s10, s0
	v_add_nc_u32_e32 v37, 4, v1
	v_lshlrev_b64 v[2:3], 3, v[1:2]
	v_add_nc_u32_e32 v38, s27, v1
	v_and_b32_e32 v34, 31, v0
	v_cmp_gt_u32_e64 s0, 32, v0
	v_mbcnt_lo_u32_b32 v36, -1, 0
	v_cmp_gt_u32_e64 s1, 8, v0
	v_add_co_u32 v32, vcc_lo, s2, v2
	s_waitcnt lgkmcnt(0)
	v_mul_lo_u32 v17, v1, s9
	v_add_co_ci_u32_e32 v33, vcc_lo, s3, v3, vcc_lo
	v_lshrrev_b32_e32 v35, 2, v0
	v_cmp_eq_u32_e64 s2, 0, v0
	s_cmp_lt_i32 s15, 1
	s_cbranch_scc1 .LBB260_36
; %bb.11:
	v_cmp_gt_u32_e32 vcc_lo, 16, v36
	v_mul_lo_u32 v18, v1, s9
	s_mov_b32 s16, 0
	v_cmp_ge_i32_e64 s3, s10, v37
	v_cmp_ge_i32_e64 s4, s10, v38
	v_cndmask_b32_e64 v2, 0, 1, vcc_lo
	v_cmp_gt_u32_e32 vcc_lo, 24, v36
	v_cmp_eq_u32_e64 s5, 0, v34
	v_lshlrev_b32_e32 v44, 3, v34
	v_ashrrev_i32_e32 v19, 31, v18
	v_dual_mov_b32 v27, 0 :: v_dual_lshlrev_b32 v2, 4, v2
	v_cndmask_b32_e64 v3, 0, 1, vcc_lo
	v_cmp_gt_u32_e32 vcc_lo, 28, v36
	v_and_b32_e32 v45, 56, v35
	s_delay_alu instid0(VALU_DEP_4)
	v_add_lshl_u32 v39, v2, v36, 2
	s_cmp_gt_i32 s27, 0
	v_lshlrev_b32_e32 v2, 3, v3
	v_cndmask_b32_e64 v4, 0, 1, vcc_lo
	v_cmp_gt_u32_e32 vcc_lo, 30, v36
	s_mov_b32 s29, s16
	s_cselect_b32 s37, -1, 0
	v_add_lshl_u32 v40, v2, v36, 2
	v_lshlrev_b32_e32 v1, 2, v4
	v_cndmask_b32_e64 v5, 0, 1, vcc_lo
	v_cmp_ne_u32_e32 vcc_lo, 31, v36
	s_lshl_b32 s38, s28, 2
	s_lshl_b32 s39, s28, 1
	v_add_lshl_u32 v41, v1, v36, 2
	v_lshlrev_b32_e32 v3, 1, v5
	v_add_nc_u32_e32 v1, s9, v18
	v_add_co_ci_u32_e32 v4, vcc_lo, 0, v36, vcc_lo
	v_lshlrev_b64 v[5:6], 3, v[18:19]
	s_delay_alu instid0(VALU_DEP_4) | instskip(NEXT) | instid1(VALU_DEP_4)
	v_add_lshl_u32 v42, v3, v36, 2
	v_add_nc_u32_e32 v3, s9, v1
	v_ashrrev_i32_e32 v2, 31, v1
	v_lshlrev_b32_e32 v43, 2, v4
	s_mov_b32 s40, s16
	v_add_co_u32 v19, vcc_lo, s24, v5
	v_add_nc_u32_e32 v7, s9, v3
	v_lshlrev_b64 v[1:2], 3, v[1:2]
	v_ashrrev_i32_e32 v4, 31, v3
	v_add_co_ci_u32_e32 v20, vcc_lo, s25, v6, vcc_lo
	s_delay_alu instid0(VALU_DEP_4) | instskip(SKIP_1) | instid1(VALU_DEP_3)
	v_ashrrev_i32_e32 v8, 31, v7
	s_mul_i32 s41, s28, 3
	v_lshlrev_b64 v[3:4], 3, v[3:4]
	v_add_co_u32 v21, vcc_lo, s24, v1
	v_add_co_ci_u32_e32 v22, vcc_lo, s25, v2, vcc_lo
	v_lshlrev_b64 v[1:2], 3, v[7:8]
	s_delay_alu instid0(VALU_DEP_4) | instskip(SKIP_2) | instid1(VALU_DEP_3)
	v_add_co_u32 v23, vcc_lo, s24, v3
	v_add_co_ci_u32_e32 v24, vcc_lo, s25, v4, vcc_lo
	s_mov_b32 s42, s16
	v_add_co_u32 v25, vcc_lo, s24, v1
	s_delay_alu instid0(VALU_DEP_4)
	v_add_co_ci_u32_e32 v26, vcc_lo, s25, v2, vcc_lo
	s_mov_b32 s30, 0
	s_mov_b64 s[34:35], s[28:29]
	s_mov_b32 s29, 0
                                        ; implicit-def: $vgpr1_vgpr2_vgpr3_vgpr4_vgpr5_vgpr6_vgpr7_vgpr8
	s_branch .LBB260_13
.LBB260_12:                             ;   in Loop: Header=BB260_13 Depth=1
	s_or_b32 exec_lo, exec_lo, s6
	s_add_i32 s29, s29, 4
	s_add_u32 s34, s34, s38
	s_addc_u32 s35, s35, 0
	s_add_u32 s39, s39, s38
	s_addc_u32 s40, s40, 0
	;; [unrolled: 2-line block ×3, first 2 shown]
	s_add_i32 s30, s30, s38
	s_cmp_ge_i32 s29, s15
	s_cbranch_scc1 .LBB260_37
.LBB260_13:                             ; =>This Loop Header: Depth=1
                                        ;     Child Loop BB260_19 Depth 2
                                        ;     Child Loop BB260_22 Depth 2
	;; [unrolled: 1-line block ×3, first 2 shown]
                                        ; implicit-def: $vgpr9_vgpr10_vgpr11_vgpr12_vgpr13_vgpr14_vgpr15_vgpr16
	s_and_saveexec_b32 s6, s3
	s_delay_alu instid0(SALU_CYCLE_1)
	s_xor_b32 s6, exec_lo, s6
	s_cbranch_execz .LBB260_15
; %bb.14:                               ;   in Loop: Header=BB260_13 Depth=1
	s_mul_i32 s18, s29, s28
	s_delay_alu instid0(SALU_CYCLE_1)
	s_ashr_i32 s19, s18, 31
	s_add_i32 s20, s18, s28
	s_lshl_b64 s[18:19], s[18:19], 3
	s_ashr_i32 s21, s20, 31
	v_add_co_u32 v7, vcc_lo, v32, s18
	v_add_co_ci_u32_e32 v8, vcc_lo, s19, v33, vcc_lo
	s_lshl_b64 s[18:19], s[20:21], 3
	s_add_i32 s20, s20, s28
	v_add_co_u32 v54, vcc_lo, v32, s18
	s_ashr_i32 s21, s20, 31
	s_add_i32 s18, s20, s28
	s_lshl_b64 s[20:21], s[20:21], 3
	v_add_co_ci_u32_e32 v55, vcc_lo, s19, v33, vcc_lo
	s_ashr_i32 s19, s18, 31
	v_add_co_u32 v58, vcc_lo, v32, s20
	s_lshl_b64 s[18:19], s[18:19], 3
	v_add_co_ci_u32_e32 v59, vcc_lo, s21, v33, vcc_lo
	v_add_co_u32 v62, vcc_lo, v32, s18
	v_add_co_ci_u32_e32 v63, vcc_lo, s19, v33, vcc_lo
	flat_load_b128 v[9:12], v[7:8]
	flat_load_b64 v[1:2], v[19:20]
	s_clause 0x2
	flat_load_b128 v[13:16], v[54:55]
	flat_load_b128 v[28:31], v[58:59]
	flat_load_b128 v[46:49], v[62:63]
	s_clause 0x1
	flat_load_b64 v[3:4], v[21:22]
	flat_load_b64 v[5:6], v[23:24]
	s_clause 0x3
	flat_load_b128 v[50:53], v[7:8] offset:16
	flat_load_b128 v[54:57], v[54:55] offset:16
	;; [unrolled: 1-line block ×4, first 2 shown]
	flat_load_b64 v[7:8], v[25:26]
	s_waitcnt vmcnt(10) lgkmcnt(10)
	v_fma_f64 v[9:10], v[1:2], v[9:10], 0
	s_waitcnt vmcnt(9) lgkmcnt(9)
	v_fma_f64 v[13:14], v[1:2], v[13:14], 0
	;; [unrolled: 2-line block ×4, first 2 shown]
	s_waitcnt vmcnt(6) lgkmcnt(6)
	s_delay_alu instid0(VALU_DEP_4) | instskip(NEXT) | instid1(VALU_DEP_4)
	v_fma_f64 v[9:10], v[3:4], v[11:12], v[9:10]
	v_fma_f64 v[11:12], v[3:4], v[15:16], v[13:14]
	s_delay_alu instid0(VALU_DEP_4) | instskip(NEXT) | instid1(VALU_DEP_4)
	v_fma_f64 v[13:14], v[3:4], v[30:31], v[28:29]
	v_fma_f64 v[15:16], v[3:4], v[48:49], v[46:47]
	s_waitcnt vmcnt(4) lgkmcnt(4)
	s_delay_alu instid0(VALU_DEP_4) | instskip(SKIP_1) | instid1(VALU_DEP_4)
	v_fma_f64 v[9:10], v[5:6], v[50:51], v[9:10]
	s_waitcnt vmcnt(3) lgkmcnt(3)
	v_fma_f64 v[11:12], v[5:6], v[54:55], v[11:12]
	s_waitcnt vmcnt(2) lgkmcnt(2)
	s_delay_alu instid0(VALU_DEP_4) | instskip(SKIP_1) | instid1(VALU_DEP_4)
	v_fma_f64 v[13:14], v[5:6], v[58:59], v[13:14]
	s_waitcnt vmcnt(1) lgkmcnt(1)
	v_fma_f64 v[15:16], v[5:6], v[62:63], v[15:16]
	s_waitcnt vmcnt(0) lgkmcnt(0)
	s_delay_alu instid0(VALU_DEP_4) | instskip(NEXT) | instid1(VALU_DEP_4)
	v_fma_f64 v[9:10], v[7:8], v[52:53], v[9:10]
	v_fma_f64 v[11:12], v[7:8], v[56:57], v[11:12]
	s_delay_alu instid0(VALU_DEP_4) | instskip(NEXT) | instid1(VALU_DEP_4)
	v_fma_f64 v[13:14], v[7:8], v[60:61], v[13:14]
	v_fma_f64 v[15:16], v[7:8], v[64:65], v[15:16]
.LBB260_15:                             ;   in Loop: Header=BB260_13 Depth=1
	s_and_not1_saveexec_b32 s43, s6
	s_cbranch_execz .LBB260_24
; %bb.16:                               ;   in Loop: Header=BB260_13 Depth=1
	s_mov_b32 s17, s16
	s_mov_b32 s18, s16
	;; [unrolled: 1-line block ×7, first 2 shown]
	v_dual_mov_b32 v9, s16 :: v_dual_mov_b32 v10, s17
	v_dual_mov_b32 v11, s18 :: v_dual_mov_b32 v12, s19
	;; [unrolled: 1-line block ×4, first 2 shown]
	s_and_saveexec_b32 s44, s4
	s_cbranch_execz .LBB260_23
; %bb.17:                               ;   in Loop: Header=BB260_13 Depth=1
	s_and_not1_b32 vcc_lo, exec_lo, s37
	s_cbranch_vccnz .LBB260_20
; %bb.18:                               ;   in Loop: Header=BB260_13 Depth=1
	v_mov_b32_e32 v9, v18
	s_mov_b64 s[18:19], 0
	s_set_inst_prefetch_distance 0x1
	.p2align	6
.LBB260_19:                             ;   Parent Loop BB260_13 Depth=1
                                        ; =>  This Inner Loop Header: Depth=2
	s_delay_alu instid0(VALU_DEP_1) | instskip(SKIP_1) | instid1(VALU_DEP_1)
	v_ashrrev_i32_e32 v10, 31, v9
	s_cmp_eq_u32 s18, 3
	v_lshlrev_b64 v[10:11], 3, v[9:10]
	s_delay_alu instid0(VALU_DEP_1) | instskip(NEXT) | instid1(VALU_DEP_2)
	v_add_co_u32 v10, vcc_lo, s24, v10
	v_add_co_ci_u32_e32 v11, vcc_lo, s25, v11, vcc_lo
	s_cselect_b32 vcc_lo, -1, 0
	s_cmp_eq_u32 s18, 2
	s_cselect_b32 s6, -1, 0
	flat_load_b64 v[10:11], v[10:11]
	s_cmp_eq_u32 s18, 1
	v_add_nc_u32_e32 v9, s9, v9
	s_cselect_b32 s7, -1, 0
	s_cmp_eq_u32 s18, 0
	s_cselect_b32 s8, -1, 0
	s_add_u32 s18, s18, 1
	s_addc_u32 s19, s19, 0
	s_cmp_eq_u32 s27, s18
	s_waitcnt vmcnt(0) lgkmcnt(0)
	v_dual_cndmask_b32 v8, v8, v11 :: v_dual_cndmask_b32 v7, v7, v10
	v_cndmask_b32_e64 v6, v6, v11, s6
	v_cndmask_b32_e64 v5, v5, v10, s6
	;; [unrolled: 1-line block ×6, first 2 shown]
	s_cbranch_scc0 .LBB260_19
.LBB260_20:                             ;   in Loop: Header=BB260_13 Depth=1
	s_set_inst_prefetch_distance 0x2
	s_mov_b32 s17, s16
	s_mov_b32 s18, s16
	;; [unrolled: 1-line block ×7, first 2 shown]
	v_dual_mov_b32 v9, s16 :: v_dual_mov_b32 v10, s17
	v_dual_mov_b32 v11, s18 :: v_dual_mov_b32 v12, s19
	;; [unrolled: 1-line block ×4, first 2 shown]
	s_and_not1_b32 vcc_lo, exec_lo, s37
	s_cbranch_vccnz .LBB260_23
; %bb.21:                               ;   in Loop: Header=BB260_13 Depth=1
	s_ashr_i32 s31, s30, 31
	v_mov_b32_e32 v9, 0
	v_mov_b32_e32 v10, 0
	s_lshl_b64 s[6:7], s[30:31], 3
	s_mov_b64 s[18:19], 0
	v_add_co_u32 v28, vcc_lo, v32, s6
	v_add_co_ci_u32_e32 v29, vcc_lo, s7, v33, vcc_lo
	v_dual_mov_b32 v12, v10 :: v_dual_mov_b32 v11, v9
	v_dual_mov_b32 v14, v10 :: v_dual_mov_b32 v13, v9
	;; [unrolled: 1-line block ×3, first 2 shown]
.LBB260_22:                             ;   Parent Loop BB260_13 Depth=1
                                        ; =>  This Inner Loop Header: Depth=2
	s_cmp_eq_u32 s18, 1
	s_cselect_b32 vcc_lo, -1, 0
	s_cmp_eq_u32 s18, 2
	v_dual_cndmask_b32 v30, v2, v4 :: v_dual_cndmask_b32 v53, v1, v3
	s_cselect_b32 s6, -1, 0
	s_cmp_eq_u32 s18, 3
	s_cselect_b32 s7, -1, 0
	s_add_i32 s20, s34, s18
	s_add_i32 s22, s39, s18
	s_ashr_i32 s21, s20, 31
	s_ashr_i32 s23, s22, 31
	s_lshl_b64 s[20:21], s[20:21], 3
	v_cndmask_b32_e64 v52, v30, v6, s6
	s_add_i32 s46, s41, s18
	v_add_co_u32 v30, s8, v32, s20
	s_lshl_b64 s[22:23], s[22:23], 3
	s_ashr_i32 s47, s46, 31
	v_add_co_ci_u32_e64 v31, s8, s21, v33, s8
	v_add_co_u32 v46, s8, v32, s22
	s_lshl_b64 s[46:47], s[46:47], 3
	v_add_co_ci_u32_e64 v47, s8, s23, v33, s8
	v_add_co_u32 v48, s8, v32, s46
	s_delay_alu instid0(VALU_DEP_1)
	v_add_co_ci_u32_e64 v49, s8, s47, v33, s8
	flat_load_b64 v[50:51], v[28:29]
	s_clause 0x2
	flat_load_b64 v[30:31], v[30:31]
	flat_load_b64 v[46:47], v[46:47]
	;; [unrolled: 1-line block ×3, first 2 shown]
	v_cndmask_b32_e64 v54, v53, v5, s6
	v_cndmask_b32_e64 v53, v52, v8, s7
	v_add_co_u32 v28, vcc_lo, v28, 8
	v_add_co_ci_u32_e32 v29, vcc_lo, 0, v29, vcc_lo
	s_delay_alu instid0(VALU_DEP_4)
	v_cndmask_b32_e64 v52, v54, v7, s7
	s_add_u32 s18, s18, 1
	s_addc_u32 s19, s19, 0
	s_cmp_lg_u32 s27, s18
	s_waitcnt vmcnt(3) lgkmcnt(3)
	v_fma_f64 v[9:10], v[52:53], v[50:51], v[9:10]
	s_waitcnt vmcnt(2) lgkmcnt(2)
	v_fma_f64 v[11:12], v[52:53], v[30:31], v[11:12]
	;; [unrolled: 2-line block ×4, first 2 shown]
	s_cbranch_scc1 .LBB260_22
.LBB260_23:                             ;   in Loop: Header=BB260_13 Depth=1
	s_or_b32 exec_lo, exec_lo, s44
.LBB260_24:                             ;   in Loop: Header=BB260_13 Depth=1
	s_delay_alu instid0(SALU_CYCLE_1)
	s_or_b32 exec_lo, exec_lo, s43
	s_mov_b64 s[6:7], 0
	s_branch .LBB260_26
.LBB260_25:                             ;   in Loop: Header=BB260_26 Depth=2
	s_or_b32 exec_lo, exec_lo, s8
	s_cmp_eq_u32 s6, 3
	s_cselect_b32 vcc_lo, -1, 0
	s_cmp_eq_u32 s6, 2
	s_waitcnt lgkmcnt(0)
	s_delay_alu instid0(VALU_DEP_1)
	v_dual_cndmask_b32 v16, v16, v29 :: v_dual_cndmask_b32 v15, v15, v28
	s_cselect_b32 vcc_lo, -1, 0
	s_cmp_eq_u32 s6, 1
	v_dual_cndmask_b32 v14, v14, v29 :: v_dual_cndmask_b32 v13, v13, v28
	s_cselect_b32 vcc_lo, -1, 0
	s_cmp_eq_u32 s6, 0
	v_dual_cndmask_b32 v12, v12, v29 :: v_dual_cndmask_b32 v11, v11, v28
	s_cselect_b32 vcc_lo, -1, 0
	s_add_u32 s6, s6, 1
	v_dual_cndmask_b32 v10, v10, v29 :: v_dual_cndmask_b32 v9, v9, v28
	s_addc_u32 s7, s7, 0
	s_cmp_eq_u32 s6, 4
	s_cbranch_scc1 .LBB260_34
.LBB260_26:                             ;   Parent Loop BB260_13 Depth=1
                                        ; =>  This Inner Loop Header: Depth=2
	s_and_saveexec_b32 s8, s0
	s_cbranch_execz .LBB260_28
; %bb.27:                               ;   in Loop: Header=BB260_26 Depth=2
	v_mov_b32_e32 v28, v27
	ds_store_b64 v44, v[27:28]
.LBB260_28:                             ;   in Loop: Header=BB260_26 Depth=2
	s_or_b32 exec_lo, exec_lo, s8
	s_cmp_eq_u32 s6, 1
	s_waitcnt lgkmcnt(0)
	s_waitcnt_vscnt null, 0x0
	s_cselect_b32 vcc_lo, -1, 0
	s_cmp_eq_u32 s6, 2
	s_delay_alu instid0(VALU_DEP_1) | instskip(SKIP_3) | instid1(VALU_DEP_1)
	v_dual_cndmask_b32 v28, v10, v12 :: v_dual_cndmask_b32 v29, v9, v11
	s_cselect_b32 vcc_lo, -1, 0
	s_cmp_eq_u32 s6, 3
	s_barrier
	v_cndmask_b32_e32 v28, v28, v14, vcc_lo
	s_delay_alu instid0(VALU_DEP_4)
	v_cndmask_b32_e32 v30, v29, v13, vcc_lo
	s_cselect_b32 vcc_lo, -1, 0
	buffer_gl0_inv
	v_dual_cndmask_b32 v29, v28, v16 :: v_dual_cndmask_b32 v28, v30, v15
	ds_bpermute_b32 v31, v39, v29
	ds_bpermute_b32 v30, v39, v28
	s_waitcnt lgkmcnt(0)
	v_add_f64 v[28:29], v[28:29], v[30:31]
	ds_bpermute_b32 v30, v40, v28
	ds_bpermute_b32 v31, v40, v29
	s_waitcnt lgkmcnt(0)
	v_add_f64 v[28:29], v[28:29], v[30:31]
	;; [unrolled: 4-line block ×4, first 2 shown]
	ds_bpermute_b32 v30, v43, v28
	ds_bpermute_b32 v31, v43, v29
	s_and_saveexec_b32 s8, s5
	s_cbranch_execz .LBB260_30
; %bb.29:                               ;   in Loop: Header=BB260_26 Depth=2
	s_waitcnt lgkmcnt(0)
	v_add_f64 v[28:29], v[28:29], v[30:31]
	ds_store_b64 v45, v[28:29]
.LBB260_30:                             ;   in Loop: Header=BB260_26 Depth=2
	s_or_b32 exec_lo, exec_lo, s8
	v_mov_b32_e32 v28, 0
	v_mov_b32_e32 v29, 0
	s_waitcnt lgkmcnt(0)
	s_barrier
	buffer_gl0_inv
	s_and_saveexec_b32 s8, s1
	s_cbranch_execz .LBB260_32
; %bb.31:                               ;   in Loop: Header=BB260_26 Depth=2
	ds_load_b64 v[28:29], v44
.LBB260_32:                             ;   in Loop: Header=BB260_26 Depth=2
	s_or_b32 exec_lo, exec_lo, s8
	s_and_saveexec_b32 s8, s0
	s_cbranch_execz .LBB260_25
; %bb.33:                               ;   in Loop: Header=BB260_26 Depth=2
	s_waitcnt lgkmcnt(0)
	ds_bpermute_b32 v30, v41, v28
	ds_bpermute_b32 v31, v41, v29
	s_waitcnt lgkmcnt(0)
	v_add_f64 v[28:29], v[28:29], v[30:31]
	ds_bpermute_b32 v30, v42, v28
	ds_bpermute_b32 v31, v42, v29
	s_waitcnt lgkmcnt(0)
	v_add_f64 v[28:29], v[28:29], v[30:31]
	ds_bpermute_b32 v30, v43, v28
	ds_bpermute_b32 v31, v43, v29
	s_waitcnt lgkmcnt(0)
	v_add_f64 v[28:29], v[28:29], v[30:31]
	s_branch .LBB260_25
.LBB260_34:                             ;   in Loop: Header=BB260_13 Depth=1
	s_and_saveexec_b32 s6, s2
	s_cbranch_execz .LBB260_12
; %bb.35:                               ;   in Loop: Header=BB260_13 Depth=1
	v_mul_f64 v[9:10], s[12:13], v[9:10]
	v_mul_f64 v[11:12], s[12:13], v[11:12]
	;; [unrolled: 1-line block ×4, first 2 shown]
	s_mul_i32 s7, s29, s26
	s_mov_b32 s19, s16
	s_add_i32 s18, s7, s14
	s_delay_alu instid0(SALU_CYCLE_1) | instskip(NEXT) | instid1(SALU_CYCLE_1)
	s_lshl_b64 s[20:21], s[18:19], 3
	s_add_u32 s20, s33, s20
	s_addc_u32 s21, s36, s21
	s_add_i32 s18, s18, s26
	s_delay_alu instid0(SALU_CYCLE_1) | instskip(NEXT) | instid1(SALU_CYCLE_1)
	s_lshl_b64 s[22:23], s[18:19], 3
	s_add_u32 s22, s33, s22
	s_addc_u32 s23, s36, s23
	s_add_i32 s18, s18, s26
	s_delay_alu instid0(SALU_CYCLE_1) | instskip(NEXT) | instid1(SALU_CYCLE_1)
	s_lshl_b64 s[44:45], s[18:19], 3
	s_add_u32 s44, s33, s44
	s_addc_u32 s45, s36, s45
	s_add_i32 s18, s18, s26
	s_delay_alu instid0(SALU_CYCLE_1) | instskip(NEXT) | instid1(SALU_CYCLE_1)
	s_lshl_b64 s[18:19], s[18:19], 3
	s_add_u32 s18, s33, s18
	s_addc_u32 s19, s36, s19
	s_clause 0x3
	global_store_b64 v27, v[9:10], s[20:21]
	global_store_b64 v27, v[11:12], s[22:23]
	;; [unrolled: 1-line block ×4, first 2 shown]
	s_branch .LBB260_12
.LBB260_36:
	s_mov_b32 s29, 0
                                        ; implicit-def: $vgpr1_vgpr2_vgpr3_vgpr4_vgpr5_vgpr6_vgpr7_vgpr8
.LBB260_37:
	s_delay_alu instid0(SALU_CYCLE_1)
	s_cmp_ge_i32 s29, s11
	s_cbranch_scc1 .LBB260_61
; %bb.38:
	v_cmp_gt_u32_e32 vcc_lo, 16, v36
	v_ashrrev_i32_e32 v18, 31, v17
	s_cmp_gt_i32 s27, 0
	s_mov_b32 s15, 0
	v_cmp_ge_i32_e64 s0, s10, v37
	v_cndmask_b32_e64 v9, 0, 1, vcc_lo
	v_cmp_gt_u32_e32 vcc_lo, 24, v36
	v_cmp_ge_i32_e64 s1, s10, v38
	s_cselect_b32 s10, -1, 0
	v_cmp_gt_u32_e64 s2, 32, v0
	v_lshlrev_b32_e32 v9, 4, v9
	v_cndmask_b32_e64 v10, 0, 1, vcc_lo
	v_cmp_gt_u32_e32 vcc_lo, 28, v36
	v_lshlrev_b32_e32 v24, 3, v34
	v_cmp_eq_u32_e64 s3, 0, v34
	v_add_lshl_u32 v25, v9, v36, 2
	v_add_nc_u32_e32 v9, s9, v17
	v_cndmask_b32_e64 v11, 0, 1, vcc_lo
	v_cmp_gt_u32_e32 vcc_lo, 30, v36
	v_lshlrev_b32_e32 v10, 3, v10
	v_and_b32_e32 v30, 56, v35
	v_cmp_gt_u32_e64 s4, 8, v0
	v_lshlrev_b32_e32 v11, 2, v11
	v_cndmask_b32_e64 v12, 0, 1, vcc_lo
	v_cmp_ne_u32_e32 vcc_lo, 31, v36
	v_add_lshl_u32 v26, v10, v36, 2
	v_ashrrev_i32_e32 v10, 31, v9
	v_add_lshl_u32 v27, v11, v36, 2
	v_add_nc_u32_e32 v11, s9, v9
	v_add_co_ci_u32_e32 v13, vcc_lo, 0, v36, vcc_lo
	v_lshlrev_b32_e32 v12, 1, v12
	v_lshlrev_b64 v[15:16], 3, v[9:10]
	v_cmp_eq_u32_e64 s5, 0, v0
	s_delay_alu instid0(VALU_DEP_4)
	v_lshlrev_b32_e32 v29, 2, v13
	v_lshlrev_b64 v[13:14], 3, v[17:18]
	v_add_nc_u32_e32 v18, s9, v11
	v_add_lshl_u32 v28, v12, v36, 2
	v_ashrrev_i32_e32 v12, 31, v11
	s_lshl_b64 s[6:7], s[14:15], 3
	s_mul_i32 s16, s29, s28
	v_add_co_u32 v9, vcc_lo, s24, v13
	v_ashrrev_i32_e32 v19, 31, v18
	v_add_co_ci_u32_e32 v10, vcc_lo, s25, v14, vcc_lo
	v_lshlrev_b64 v[13:14], 3, v[11:12]
	v_add_co_u32 v11, vcc_lo, s24, v15
	v_add_co_ci_u32_e32 v12, vcc_lo, s25, v16, vcc_lo
	v_lshlrev_b64 v[15:16], 3, v[18:19]
	v_mov_b32_e32 v18, 0
	v_add_co_u32 v13, vcc_lo, s24, v13
	v_add_co_ci_u32_e32 v14, vcc_lo, s25, v14, vcc_lo
	s_delay_alu instid0(VALU_DEP_4)
	v_add_co_u32 v15, vcc_lo, s24, v15
	v_add_co_ci_u32_e32 v16, vcc_lo, s25, v16, vcc_lo
	s_add_u32 s14, s33, s6
	s_addc_u32 s20, s36, s7
	s_branch .LBB260_40
.LBB260_39:                             ;   in Loop: Header=BB260_40 Depth=1
	s_or_b32 exec_lo, exec_lo, s6
	s_add_i32 s29, s29, 1
	s_add_i32 s16, s16, s28
	s_cmp_ge_i32 s29, s11
	s_cbranch_scc1 .LBB260_61
.LBB260_40:                             ; =>This Loop Header: Depth=1
                                        ;     Child Loop BB260_53 Depth 2
                                        ;     Child Loop BB260_56 Depth 2
	s_waitcnt lgkmcnt(0)
	v_dual_mov_b32 v20, s15 :: v_dual_mov_b32 v21, s15
	s_and_saveexec_b32 s6, s0
	s_delay_alu instid0(SALU_CYCLE_1)
	s_xor_b32 s6, exec_lo, s6
	s_cbranch_execnz .LBB260_49
; %bb.41:                               ;   in Loop: Header=BB260_40 Depth=1
	s_and_not1_saveexec_b32 s21, s6
	s_cbranch_execnz .LBB260_50
.LBB260_42:                             ;   in Loop: Header=BB260_40 Depth=1
	s_or_b32 exec_lo, exec_lo, s21
	s_and_saveexec_b32 s6, s2
	s_cbranch_execz .LBB260_44
.LBB260_43:                             ;   in Loop: Header=BB260_40 Depth=1
	v_mov_b32_e32 v19, v18
	ds_store_b64 v24, v[18:19]
.LBB260_44:                             ;   in Loop: Header=BB260_40 Depth=1
	s_or_b32 exec_lo, exec_lo, s6
	ds_bpermute_b32 v22, v25, v20
	ds_bpermute_b32 v23, v25, v21
	s_waitcnt lgkmcnt(0)
	s_waitcnt_vscnt null, 0x0
	s_barrier
	buffer_gl0_inv
	v_add_f64 v[19:20], v[20:21], v[22:23]
	ds_bpermute_b32 v21, v26, v19
	ds_bpermute_b32 v22, v26, v20
	s_waitcnt lgkmcnt(0)
	v_add_f64 v[19:20], v[19:20], v[21:22]
	ds_bpermute_b32 v21, v27, v19
	ds_bpermute_b32 v22, v27, v20
	s_waitcnt lgkmcnt(0)
	;; [unrolled: 4-line block ×3, first 2 shown]
	v_add_f64 v[19:20], v[19:20], v[21:22]
	ds_bpermute_b32 v21, v29, v19
	ds_bpermute_b32 v22, v29, v20
	s_and_saveexec_b32 s6, s3
	s_cbranch_execz .LBB260_46
; %bb.45:                               ;   in Loop: Header=BB260_40 Depth=1
	s_waitcnt lgkmcnt(0)
	v_add_f64 v[19:20], v[19:20], v[21:22]
	ds_store_b64 v30, v[19:20]
.LBB260_46:                             ;   in Loop: Header=BB260_40 Depth=1
	s_or_b32 exec_lo, exec_lo, s6
	v_mov_b32_e32 v19, 0
	v_mov_b32_e32 v20, 0
	s_waitcnt lgkmcnt(0)
	s_barrier
	buffer_gl0_inv
	s_and_saveexec_b32 s6, s4
	s_cbranch_execnz .LBB260_58
; %bb.47:                               ;   in Loop: Header=BB260_40 Depth=1
	s_or_b32 exec_lo, exec_lo, s6
	s_and_saveexec_b32 s6, s2
	s_cbranch_execnz .LBB260_59
.LBB260_48:                             ;   in Loop: Header=BB260_40 Depth=1
	s_or_b32 exec_lo, exec_lo, s6
	s_and_saveexec_b32 s6, s5
	s_cbranch_execz .LBB260_39
	s_branch .LBB260_60
.LBB260_49:                             ;   in Loop: Header=BB260_40 Depth=1
	s_mul_i32 s18, s29, s28
	s_delay_alu instid0(SALU_CYCLE_1) | instskip(NEXT) | instid1(SALU_CYCLE_1)
	s_ashr_i32 s19, s18, 31
	s_lshl_b64 s[18:19], s[18:19], 3
	s_delay_alu instid0(SALU_CYCLE_1)
	v_add_co_u32 v5, vcc_lo, v32, s18
	v_add_co_ci_u32_e32 v6, vcc_lo, s19, v33, vcc_lo
	flat_load_b128 v[19:22], v[5:6]
	s_clause 0x1
	flat_load_b64 v[1:2], v[9:10]
	flat_load_b64 v[3:4], v[11:12]
	flat_load_b128 v[34:37], v[5:6] offset:16
	s_clause 0x1
	flat_load_b64 v[5:6], v[13:14]
	flat_load_b64 v[7:8], v[15:16]
	s_waitcnt vmcnt(4) lgkmcnt(4)
	v_fma_f64 v[19:20], v[1:2], v[19:20], 0
	s_waitcnt vmcnt(3) lgkmcnt(3)
	s_delay_alu instid0(VALU_DEP_1) | instskip(SKIP_1) | instid1(VALU_DEP_1)
	v_fma_f64 v[19:20], v[3:4], v[21:22], v[19:20]
	s_waitcnt vmcnt(1) lgkmcnt(1)
	v_fma_f64 v[19:20], v[5:6], v[34:35], v[19:20]
	s_waitcnt vmcnt(0) lgkmcnt(0)
	s_delay_alu instid0(VALU_DEP_1)
	v_fma_f64 v[20:21], v[7:8], v[36:37], v[19:20]
	s_and_not1_saveexec_b32 s21, s6
	s_cbranch_execz .LBB260_42
.LBB260_50:                             ;   in Loop: Header=BB260_40 Depth=1
	s_and_saveexec_b32 s22, s1
	s_cbranch_execz .LBB260_57
; %bb.51:                               ;   in Loop: Header=BB260_40 Depth=1
	s_and_not1_b32 vcc_lo, exec_lo, s10
	s_cbranch_vccnz .LBB260_54
; %bb.52:                               ;   in Loop: Header=BB260_40 Depth=1
	v_mov_b32_e32 v22, v17
	s_mov_b64 s[18:19], 0
	s_set_inst_prefetch_distance 0x1
	.p2align	6
.LBB260_53:                             ;   Parent Loop BB260_40 Depth=1
                                        ; =>  This Inner Loop Header: Depth=2
	s_delay_alu instid0(VALU_DEP_1) | instskip(SKIP_1) | instid1(VALU_DEP_1)
	v_ashrrev_i32_e32 v23, 31, v22
	s_cmp_eq_u32 s18, 3
	v_lshlrev_b64 v[34:35], 3, v[22:23]
	v_add_nc_u32_e32 v22, s9, v22
	s_delay_alu instid0(VALU_DEP_2) | instskip(NEXT) | instid1(VALU_DEP_3)
	v_add_co_u32 v34, vcc_lo, s24, v34
	v_add_co_ci_u32_e32 v35, vcc_lo, s25, v35, vcc_lo
	s_cselect_b32 vcc_lo, -1, 0
	s_cmp_eq_u32 s18, 2
	s_cselect_b32 s6, -1, 0
	flat_load_b64 v[34:35], v[34:35]
	s_cmp_eq_u32 s18, 1
	s_cselect_b32 s7, -1, 0
	s_cmp_eq_u32 s18, 0
	s_cselect_b32 s8, -1, 0
	s_add_u32 s18, s18, 1
	s_addc_u32 s19, s19, 0
	s_cmp_eq_u32 s27, s18
	s_waitcnt vmcnt(0) lgkmcnt(0)
	v_dual_cndmask_b32 v8, v8, v35 :: v_dual_cndmask_b32 v7, v7, v34
	v_cndmask_b32_e64 v6, v6, v35, s6
	v_cndmask_b32_e64 v5, v5, v34, s6
	;; [unrolled: 1-line block ×6, first 2 shown]
	s_cbranch_scc0 .LBB260_53
.LBB260_54:                             ;   in Loop: Header=BB260_40 Depth=1
	s_set_inst_prefetch_distance 0x2
	s_and_not1_b32 vcc_lo, exec_lo, s10
	s_cbranch_vccnz .LBB260_57
; %bb.55:                               ;   in Loop: Header=BB260_40 Depth=1
	s_ashr_i32 s17, s16, 31
	s_delay_alu instid0(SALU_CYCLE_1) | instskip(NEXT) | instid1(SALU_CYCLE_1)
	s_lshl_b64 s[6:7], s[16:17], 3
	v_add_co_u32 v22, vcc_lo, v32, s6
	v_add_co_ci_u32_e32 v23, vcc_lo, s7, v33, vcc_lo
	s_mov_b64 s[6:7], 0
	.p2align	6
.LBB260_56:                             ;   Parent Loop BB260_40 Depth=1
                                        ; =>  This Inner Loop Header: Depth=2
	flat_load_b64 v[34:35], v[22:23]
	s_cmp_eq_u32 s6, 1
	s_cselect_b32 vcc_lo, -1, 0
	s_cmp_eq_u32 s6, 2
	v_dual_cndmask_b32 v0, v2, v4 :: v_dual_cndmask_b32 v19, v1, v3
	s_cselect_b32 vcc_lo, -1, 0
	s_cmp_eq_u32 s6, 3
	s_delay_alu instid0(VALU_DEP_1) | instskip(SKIP_3) | instid1(VALU_DEP_1)
	v_dual_cndmask_b32 v0, v0, v6 :: v_dual_cndmask_b32 v19, v19, v5
	s_cselect_b32 vcc_lo, -1, 0
	s_add_u32 s6, s6, 1
	s_addc_u32 s7, s7, 0
	v_dual_cndmask_b32 v37, v0, v8 :: v_dual_cndmask_b32 v36, v19, v7
	v_add_co_u32 v22, vcc_lo, v22, 8
	v_add_co_ci_u32_e32 v23, vcc_lo, 0, v23, vcc_lo
	s_cmp_lg_u32 s27, s6
	s_waitcnt vmcnt(0) lgkmcnt(0)
	v_fma_f64 v[20:21], v[36:37], v[34:35], v[20:21]
	s_cbranch_scc1 .LBB260_56
.LBB260_57:                             ;   in Loop: Header=BB260_40 Depth=1
	s_or_b32 exec_lo, exec_lo, s22
	s_delay_alu instid0(SALU_CYCLE_1)
	s_or_b32 exec_lo, exec_lo, s21
	s_and_saveexec_b32 s6, s2
	s_cbranch_execnz .LBB260_43
	s_branch .LBB260_44
.LBB260_58:                             ;   in Loop: Header=BB260_40 Depth=1
	ds_load_b64 v[19:20], v24
	s_or_b32 exec_lo, exec_lo, s6
	s_and_saveexec_b32 s6, s2
	s_cbranch_execz .LBB260_48
.LBB260_59:                             ;   in Loop: Header=BB260_40 Depth=1
	s_waitcnt lgkmcnt(0)
	ds_bpermute_b32 v21, v27, v19
	ds_bpermute_b32 v22, v27, v20
	s_waitcnt lgkmcnt(0)
	v_add_f64 v[19:20], v[19:20], v[21:22]
	ds_bpermute_b32 v21, v28, v19
	ds_bpermute_b32 v22, v28, v20
	s_waitcnt lgkmcnt(0)
	v_add_f64 v[19:20], v[19:20], v[21:22]
	;; [unrolled: 4-line block ×3, first 2 shown]
	s_or_b32 exec_lo, exec_lo, s6
	s_and_saveexec_b32 s6, s5
	s_cbranch_execz .LBB260_39
.LBB260_60:                             ;   in Loop: Header=BB260_40 Depth=1
	s_waitcnt lgkmcnt(0)
	s_delay_alu instid0(VALU_DEP_1) | instskip(SKIP_2) | instid1(SALU_CYCLE_1)
	v_mul_f64 v[19:20], s[12:13], v[19:20]
	s_mul_hi_u32 s19, s29, s26
	s_mul_i32 s18, s29, s26
	s_lshl_b64 s[18:19], s[18:19], 3
	s_delay_alu instid0(SALU_CYCLE_1)
	s_add_u32 s18, s14, s18
	s_addc_u32 s19, s20, s19
	global_store_b64 v18, v[19:20], s[18:19]
	s_branch .LBB260_39
.LBB260_61:
	s_nop 0
	s_sendmsg sendmsg(MSG_DEALLOC_VGPRS)
	s_endpgm
	.section	.rodata,"a",@progbits
	.p2align	6, 0x0
	.amdhsa_kernel _ZL23rocblas_gemvt_sn_kernelILb0ELi256ELi4EiPKdS1_dEviiT4_lPKT3_lilS5_lilPT5_i
		.amdhsa_group_segment_fixed_size 256
		.amdhsa_private_segment_fixed_size 0
		.amdhsa_kernarg_size 360
		.amdhsa_user_sgpr_count 14
		.amdhsa_user_sgpr_dispatch_ptr 0
		.amdhsa_user_sgpr_queue_ptr 0
		.amdhsa_user_sgpr_kernarg_segment_ptr 1
		.amdhsa_user_sgpr_dispatch_id 0
		.amdhsa_user_sgpr_private_segment_size 0
		.amdhsa_wavefront_size32 1
		.amdhsa_uses_dynamic_stack 0
		.amdhsa_enable_private_segment 0
		.amdhsa_system_sgpr_workgroup_id_x 1
		.amdhsa_system_sgpr_workgroup_id_y 0
		.amdhsa_system_sgpr_workgroup_id_z 1
		.amdhsa_system_sgpr_workgroup_info 0
		.amdhsa_system_vgpr_workitem_id 0
		.amdhsa_next_free_vgpr 66
		.amdhsa_next_free_sgpr 48
		.amdhsa_reserve_vcc 1
		.amdhsa_float_round_mode_32 0
		.amdhsa_float_round_mode_16_64 0
		.amdhsa_float_denorm_mode_32 3
		.amdhsa_float_denorm_mode_16_64 3
		.amdhsa_dx10_clamp 1
		.amdhsa_ieee_mode 1
		.amdhsa_fp16_overflow 0
		.amdhsa_workgroup_processor_mode 1
		.amdhsa_memory_ordered 1
		.amdhsa_forward_progress 0
		.amdhsa_shared_vgpr_count 0
		.amdhsa_exception_fp_ieee_invalid_op 0
		.amdhsa_exception_fp_denorm_src 0
		.amdhsa_exception_fp_ieee_div_zero 0
		.amdhsa_exception_fp_ieee_overflow 0
		.amdhsa_exception_fp_ieee_underflow 0
		.amdhsa_exception_fp_ieee_inexact 0
		.amdhsa_exception_int_div_zero 0
	.end_amdhsa_kernel
	.section	.text._ZL23rocblas_gemvt_sn_kernelILb0ELi256ELi4EiPKdS1_dEviiT4_lPKT3_lilS5_lilPT5_i,"axG",@progbits,_ZL23rocblas_gemvt_sn_kernelILb0ELi256ELi4EiPKdS1_dEviiT4_lPKT3_lilS5_lilPT5_i,comdat
.Lfunc_end260:
	.size	_ZL23rocblas_gemvt_sn_kernelILb0ELi256ELi4EiPKdS1_dEviiT4_lPKT3_lilS5_lilPT5_i, .Lfunc_end260-_ZL23rocblas_gemvt_sn_kernelILb0ELi256ELi4EiPKdS1_dEviiT4_lPKT3_lilS5_lilPT5_i
                                        ; -- End function
	.section	.AMDGPU.csdata,"",@progbits
; Kernel info:
; codeLenInByte = 4024
; NumSgprs: 50
; NumVgprs: 66
; ScratchSize: 0
; MemoryBound: 1
; FloatMode: 240
; IeeeMode: 1
; LDSByteSize: 256 bytes/workgroup (compile time only)
; SGPRBlocks: 6
; VGPRBlocks: 8
; NumSGPRsForWavesPerEU: 50
; NumVGPRsForWavesPerEU: 66
; Occupancy: 16
; WaveLimiterHint : 0
; COMPUTE_PGM_RSRC2:SCRATCH_EN: 0
; COMPUTE_PGM_RSRC2:USER_SGPR: 14
; COMPUTE_PGM_RSRC2:TRAP_HANDLER: 0
; COMPUTE_PGM_RSRC2:TGID_X_EN: 1
; COMPUTE_PGM_RSRC2:TGID_Y_EN: 0
; COMPUTE_PGM_RSRC2:TGID_Z_EN: 1
; COMPUTE_PGM_RSRC2:TIDIG_COMP_CNT: 0
	.section	.text._ZL23rocblas_gemvt_sn_kernelILb0ELi256ELi4ElPKdS1_dEviiT4_lPKT3_lilS5_lilPT5_i,"axG",@progbits,_ZL23rocblas_gemvt_sn_kernelILb0ELi256ELi4ElPKdS1_dEviiT4_lPKT3_lilS5_lilPT5_i,comdat
	.globl	_ZL23rocblas_gemvt_sn_kernelILb0ELi256ELi4ElPKdS1_dEviiT4_lPKT3_lilS5_lilPT5_i ; -- Begin function _ZL23rocblas_gemvt_sn_kernelILb0ELi256ELi4ElPKdS1_dEviiT4_lPKT3_lilS5_lilPT5_i
	.p2align	8
	.type	_ZL23rocblas_gemvt_sn_kernelILb0ELi256ELi4ElPKdS1_dEviiT4_lPKT3_lilS5_lilPT5_i,@function
_ZL23rocblas_gemvt_sn_kernelILb0ELi256ELi4ElPKdS1_dEviiT4_lPKT3_lilS5_lilPT5_i: ; @_ZL23rocblas_gemvt_sn_kernelILb0ELi256ELi4ElPKdS1_dEviiT4_lPKT3_lilS5_lilPT5_i
; %bb.0:
	s_load_b256 s[4:11], s[0:1], 0x8
	s_mov_b32 s2, s15
	s_mov_b64 s[30:31], 0
	s_mov_b64 s[28:29], 0
	s_waitcnt lgkmcnt(0)
	s_mul_i32 s3, s15, s7
	s_mul_hi_u32 s7, s15, s6
	s_mul_i32 s6, s15, s6
	s_add_i32 s7, s7, s3
	s_mov_b32 s3, 0
	s_lshl_b64 s[6:7], s[6:7], 3
	s_delay_alu instid0(SALU_CYCLE_1)
	s_add_u32 s4, s4, s6
	s_addc_u32 s5, s5, s7
	s_load_b64 s[12:13], s[4:5], 0x0
	s_waitcnt lgkmcnt(0)
	v_cmp_eq_f64_e64 s4, s[12:13], 0
	v_cmp_neq_f64_e64 s5, s[12:13], 0
	s_delay_alu instid0(VALU_DEP_2)
	s_and_b32 vcc_lo, exec_lo, s4
	s_cbranch_vccnz .LBB261_2
; %bb.1:
	s_lshl_b64 s[6:7], s[2:3], 3
	s_delay_alu instid0(SALU_CYCLE_1)
	s_add_u32 s6, s8, s6
	s_addc_u32 s7, s9, s7
	s_lshl_b64 s[8:9], s[10:11], 3
	s_load_b64 s[6:7], s[6:7], 0x0
	s_waitcnt lgkmcnt(0)
	s_add_u32 s28, s6, s8
	s_addc_u32 s29, s7, s9
.LBB261_2:
	s_delay_alu instid0(VALU_DEP_1)
	s_and_not1_b32 vcc_lo, exec_lo, s5
	s_cbranch_vccnz .LBB261_4
; %bb.3:
	s_load_b128 s[8:11], s[0:1], 0x38
	s_lshl_b64 s[6:7], s[2:3], 3
	s_waitcnt lgkmcnt(0)
	s_add_u32 s6, s8, s6
	s_addc_u32 s7, s9, s7
	s_lshl_b64 s[8:9], s[10:11], 3
	s_load_b64 s[6:7], s[6:7], 0x0
	s_waitcnt lgkmcnt(0)
	s_add_u32 s30, s6, s8
	s_addc_u32 s31, s7, s9
.LBB261_4:
	s_clause 0x2
	s_load_b64 s[10:11], s[0:1], 0x0
	s_load_b32 s24, s[0:1], 0x68
	s_load_b64 s[8:9], s[0:1], 0x58
	s_mov_b32 s25, 0
	s_waitcnt lgkmcnt(0)
	s_ashr_i32 s6, s11, 31
	s_mul_hi_u32 s3, s11, s2
	s_mul_i32 s5, s6, s2
	s_mul_i32 s2, s11, s2
	s_add_i32 s3, s3, s5
	s_mul_hi_u32 s5, s2, s24
	s_mul_i32 s3, s3, s24
	s_mul_i32 s2, s2, s24
	s_add_i32 s3, s5, s3
	s_delay_alu instid0(SALU_CYCLE_1) | instskip(NEXT) | instid1(SALU_CYCLE_1)
	s_lshl_b64 s[2:3], s[2:3], 3
	s_add_u32 s44, s8, s2
	s_addc_u32 s45, s9, s3
	s_and_not1_b32 vcc_lo, exec_lo, s4
	s_mov_b32 s2, -1
	s_cbranch_vccnz .LBB261_9
; %bb.5:
	v_cmp_eq_u32_e32 vcc_lo, 0, v0
	s_cmp_gt_i32 s11, 0
	s_cselect_b32 s2, -1, 0
	s_delay_alu instid0(SALU_CYCLE_1) | instskip(NEXT) | instid1(SALU_CYCLE_1)
	s_and_b32 s2, vcc_lo, s2
	s_and_saveexec_b32 s7, s2
	s_cbranch_execz .LBB261_8
; %bb.6:
	v_mov_b32_e32 v1, 0
	s_mov_b32 s15, 0
	s_mov_b32 s8, s11
	s_lshl_b64 s[2:3], s[14:15], 3
	s_delay_alu instid0(SALU_CYCLE_1)
	s_add_u32 s2, s44, s2
	v_mov_b32_e32 v2, v1
	s_addc_u32 s3, s45, s3
	s_lshl_b64 s[4:5], s[24:25], 3
.LBB261_7:                              ; =>This Inner Loop Header: Depth=1
	s_add_i32 s8, s8, -1
	global_store_b64 v1, v[1:2], s[2:3]
	s_add_u32 s2, s2, s4
	s_addc_u32 s3, s3, s5
	s_cmp_eq_u32 s8, 0
	s_cbranch_scc0 .LBB261_7
.LBB261_8:
	s_or_b32 exec_lo, exec_lo, s7
	s_mov_b32 s2, 0
.LBB261_9:
	s_delay_alu instid0(SALU_CYCLE_1)
	s_and_not1_b32 vcc_lo, exec_lo, s2
	s_cbranch_vccnz .LBB261_61
; %bb.10:
	s_lshl_b32 s2, s14, 10
	s_clause 0x1
	s_load_b32 s26, s[0:1], 0x28
	s_load_b32 s34, s[0:1], 0x48
	v_lshl_or_b32 v21, v0, 2, s2
	s_ashr_i32 s2, s10, 31
	s_lshr_b32 s1, s6, 30
	s_lshr_b32 s0, s2, 30
	s_add_i32 s1, s11, s1
	v_ashrrev_i32_e32 v22, 31, v21
	s_add_i32 s0, s10, s0
	s_and_b32 s46, s1, -4
	s_and_b32 s0, s0, -4
	v_add_nc_u32_e32 v44, 4, v21
	v_lshlrev_b64 v[19:20], 3, v[21:22]
	s_sub_i32 s25, s10, s0
	v_and_b32_e32 v41, 31, v0
	v_add_nc_u32_e32 v45, s25, v21
	v_cmp_gt_u32_e64 s0, 32, v0
	v_mbcnt_lo_u32_b32 v43, -1, 0
	v_add_co_u32 v17, vcc_lo, s28, v19
	v_add_co_ci_u32_e32 v18, vcc_lo, s29, v20, vcc_lo
	v_cmp_gt_u32_e64 s1, 8, v0
	v_lshrrev_b32_e32 v42, 2, v0
	v_cmp_eq_u32_e64 s2, 0, v0
	v_or_b32_e32 v40, 1, v21
	v_or_b32_e32 v39, 2, v21
	;; [unrolled: 1-line block ×3, first 2 shown]
	s_waitcnt lgkmcnt(0)
	s_ashr_i32 s27, s26, 31
	s_ashr_i32 s35, s34, 31
	s_cmp_lt_i32 s46, 1
	s_cbranch_scc1 .LBB261_36
; %bb.11:
	v_cmp_gt_u32_e32 vcc_lo, 16, v43
	v_mad_i64_i32 v[7:8], null, s34, v38, 0
	s_mov_b32 s16, 0
	s_cmp_gt_i32 s25, 0
	v_cndmask_b32_e64 v1, 0, 1, vcc_lo
	v_cmp_gt_u32_e32 vcc_lo, 24, v43
	s_mov_b32 s15, s16
	v_cmp_ge_i32_e64 s3, s10, v44
	v_cmp_ge_i32_e64 s4, s10, v45
	v_dual_mov_b32 v30, 0 :: v_dual_lshlrev_b32 v1, 4, v1
	v_cndmask_b32_e64 v2, 0, 1, vcc_lo
	v_cmp_gt_u32_e32 vcc_lo, 28, v43
	s_cselect_b32 s47, -1, 0
	s_delay_alu instid0(VALU_DEP_3) | instskip(NEXT) | instid1(VALU_DEP_3)
	v_add_lshl_u32 v46, v1, v43, 2
	v_dual_mov_b32 v33, v18 :: v_dual_lshlrev_b32 v2, 3, v2
	v_cndmask_b32_e64 v3, 0, 1, vcc_lo
	v_cmp_gt_u32_e32 vcc_lo, 30, v43
	v_mov_b32_e32 v32, v17
	v_cmp_eq_u32_e64 s5, 0, v41
	v_add_lshl_u32 v47, v2, v43, 2
	v_lshlrev_b32_e32 v3, 2, v3
	v_cndmask_b32_e64 v4, 0, 1, vcc_lo
	v_cmp_ne_u32_e32 vcc_lo, 31, v43
	v_mad_i64_i32 v[1:2], null, s34, v21, 0
	s_delay_alu instid0(VALU_DEP_4) | instskip(NEXT) | instid1(VALU_DEP_4)
	v_add_lshl_u32 v48, v3, v43, 2
	v_lshlrev_b32_e32 v4, 1, v4
	v_add_co_ci_u32_e32 v5, vcc_lo, 0, v43, vcc_lo
	v_lshlrev_b32_e32 v51, 3, v41
	s_lshl_b64 s[6:7], s[14:15], 3
	s_delay_alu instid0(VALU_DEP_3)
	v_add_lshl_u32 v49, v4, v43, 2
	v_mad_i64_i32 v[3:4], null, s34, v40, 0
	v_lshlrev_b32_e32 v50, 2, v5
	v_lshlrev_b64 v[1:2], 3, v[1:2]
	v_mad_i64_i32 v[5:6], null, s34, v39, 0
	v_and_b32_e32 v52, 56, v42
	s_add_u32 s15, s44, s6
	v_lshlrev_b64 v[3:4], 3, v[3:4]
	s_delay_alu instid0(VALU_DEP_4) | instskip(SKIP_2) | instid1(VALU_DEP_4)
	v_add_co_u32 v22, vcc_lo, s30, v1
	v_add_co_ci_u32_e32 v23, vcc_lo, s31, v2, vcc_lo
	v_lshlrev_b64 v[1:2], 3, v[5:6]
	v_add_co_u32 v24, vcc_lo, s30, v3
	v_add_co_ci_u32_e32 v25, vcc_lo, s31, v4, vcc_lo
	v_lshlrev_b64 v[3:4], 3, v[7:8]
	s_delay_alu instid0(VALU_DEP_4) | instskip(SKIP_2) | instid1(VALU_DEP_3)
	v_add_co_u32 v26, vcc_lo, s30, v1
	v_add_co_ci_u32_e32 v27, vcc_lo, s31, v2, vcc_lo
	s_addc_u32 s48, s45, s7
	v_add_co_u32 v28, vcc_lo, s30, v3
	s_delay_alu instid0(VALU_DEP_4)
	v_add_co_ci_u32_e32 v29, vcc_lo, s31, v4, vcc_lo
	s_lshl_b64 s[36:37], s[34:35], 3
	s_mul_hi_i32 s49, s26, 24
	s_mul_i32 s50, s26, 24
	s_lshl_b64 s[38:39], s[26:27], 5
	s_lshl_b64 s[40:41], s[26:27], 4
	;; [unrolled: 1-line block ×3, first 2 shown]
	s_mov_b32 s33, 0
                                        ; implicit-def: $vgpr1_vgpr2_vgpr3_vgpr4_vgpr5_vgpr6_vgpr7_vgpr8
	s_branch .LBB261_13
.LBB261_12:                             ;   in Loop: Header=BB261_13 Depth=1
	s_or_b32 exec_lo, exec_lo, s6
	v_add_co_u32 v32, vcc_lo, v32, s38
	v_add_co_ci_u32_e32 v33, vcc_lo, s39, v33, vcc_lo
	s_add_i32 s33, s33, 4
	s_delay_alu instid0(SALU_CYCLE_1)
	s_cmp_ge_i32 s33, s46
	s_cbranch_scc1 .LBB261_37
.LBB261_13:                             ; =>This Loop Header: Depth=1
                                        ;     Child Loop BB261_19 Depth 2
                                        ;     Child Loop BB261_22 Depth 2
                                        ;     Child Loop BB261_26 Depth 2
                                        ; implicit-def: $vgpr9_vgpr10_vgpr11_vgpr12_vgpr13_vgpr14_vgpr15_vgpr16
	s_and_saveexec_b32 s6, s3
	s_delay_alu instid0(SALU_CYCLE_1)
	s_xor_b32 s6, exec_lo, s6
	s_cbranch_execz .LBB261_15
; %bb.14:                               ;   in Loop: Header=BB261_13 Depth=1
	s_mul_i32 s7, s33, s27
	s_mul_hi_u32 s8, s33, s26
	s_delay_alu instid0(SALU_CYCLE_1)
	s_add_i32 s9, s8, s7
	s_mul_i32 s8, s33, s26
	s_or_b32 s7, s33, 1
	s_lshl_b64 s[8:9], s[8:9], 3
	s_mul_i32 s17, s7, s27
	s_mul_hi_u32 s18, s7, s26
	v_add_co_u32 v7, vcc_lo, v17, s8
	v_add_co_ci_u32_e32 v8, vcc_lo, s9, v18, vcc_lo
	s_add_i32 s9, s18, s17
	s_mul_i32 s8, s7, s26
	s_or_b32 s7, s33, 2
	s_lshl_b64 s[8:9], s[8:9], 3
	s_mul_i32 s17, s7, s27
	s_mul_hi_u32 s18, s7, s26
	v_add_co_u32 v61, vcc_lo, v17, s8
	v_add_co_ci_u32_e32 v62, vcc_lo, s9, v18, vcc_lo
	s_add_i32 s9, s18, s17
	s_or_b32 s17, s33, 3
	s_mul_i32 s8, s7, s26
	s_mul_i32 s7, s17, s27
	s_mul_hi_u32 s18, s17, s26
	s_lshl_b64 s[8:9], s[8:9], 3
	s_add_i32 s19, s18, s7
	s_mul_i32 s18, s17, s26
	v_add_co_u32 v65, vcc_lo, v17, s8
	v_add_co_ci_u32_e32 v66, vcc_lo, s9, v18, vcc_lo
	s_lshl_b64 s[8:9], s[18:19], 3
	s_delay_alu instid0(SALU_CYCLE_1)
	v_add_co_u32 v69, vcc_lo, v17, s8
	v_add_co_ci_u32_e32 v70, vcc_lo, s9, v18, vcc_lo
	flat_load_b128 v[9:12], v[7:8]
	flat_load_b64 v[1:2], v[22:23]
	s_clause 0x2
	flat_load_b128 v[13:16], v[61:62]
	flat_load_b128 v[34:37], v[65:66]
	;; [unrolled: 1-line block ×3, first 2 shown]
	s_clause 0x1
	flat_load_b64 v[3:4], v[24:25]
	flat_load_b64 v[5:6], v[26:27]
	s_clause 0x3
	flat_load_b128 v[57:60], v[7:8] offset:16
	flat_load_b128 v[61:64], v[61:62] offset:16
	;; [unrolled: 1-line block ×4, first 2 shown]
	flat_load_b64 v[7:8], v[28:29]
	s_waitcnt vmcnt(10) lgkmcnt(10)
	v_fma_f64 v[9:10], v[1:2], v[9:10], 0
	s_waitcnt vmcnt(9) lgkmcnt(9)
	v_fma_f64 v[13:14], v[1:2], v[13:14], 0
	;; [unrolled: 2-line block ×4, first 2 shown]
	s_waitcnt vmcnt(6) lgkmcnt(6)
	s_delay_alu instid0(VALU_DEP_4) | instskip(NEXT) | instid1(VALU_DEP_4)
	v_fma_f64 v[9:10], v[3:4], v[11:12], v[9:10]
	v_fma_f64 v[11:12], v[3:4], v[15:16], v[13:14]
	s_delay_alu instid0(VALU_DEP_4) | instskip(NEXT) | instid1(VALU_DEP_4)
	v_fma_f64 v[13:14], v[3:4], v[36:37], v[34:35]
	v_fma_f64 v[15:16], v[3:4], v[55:56], v[53:54]
	s_waitcnt vmcnt(4) lgkmcnt(4)
	s_delay_alu instid0(VALU_DEP_4) | instskip(SKIP_1) | instid1(VALU_DEP_4)
	v_fma_f64 v[9:10], v[5:6], v[57:58], v[9:10]
	s_waitcnt vmcnt(3) lgkmcnt(3)
	v_fma_f64 v[11:12], v[5:6], v[61:62], v[11:12]
	s_waitcnt vmcnt(2) lgkmcnt(2)
	s_delay_alu instid0(VALU_DEP_4) | instskip(SKIP_1) | instid1(VALU_DEP_4)
	v_fma_f64 v[13:14], v[5:6], v[65:66], v[13:14]
	s_waitcnt vmcnt(1) lgkmcnt(1)
	v_fma_f64 v[15:16], v[5:6], v[69:70], v[15:16]
	s_waitcnt vmcnt(0) lgkmcnt(0)
	s_delay_alu instid0(VALU_DEP_4) | instskip(NEXT) | instid1(VALU_DEP_4)
	v_fma_f64 v[9:10], v[7:8], v[59:60], v[9:10]
	v_fma_f64 v[11:12], v[7:8], v[63:64], v[11:12]
	s_delay_alu instid0(VALU_DEP_4) | instskip(NEXT) | instid1(VALU_DEP_4)
	v_fma_f64 v[13:14], v[7:8], v[67:68], v[13:14]
	v_fma_f64 v[15:16], v[7:8], v[71:72], v[15:16]
.LBB261_15:                             ;   in Loop: Header=BB261_13 Depth=1
	s_and_not1_saveexec_b32 s51, s6
	s_cbranch_execz .LBB261_24
; %bb.16:                               ;   in Loop: Header=BB261_13 Depth=1
	s_mov_b32 s17, s16
	s_mov_b32 s18, s16
	;; [unrolled: 1-line block ×7, first 2 shown]
	v_dual_mov_b32 v9, s16 :: v_dual_mov_b32 v10, s17
	v_dual_mov_b32 v11, s18 :: v_dual_mov_b32 v12, s19
	;; [unrolled: 1-line block ×4, first 2 shown]
	s_and_saveexec_b32 s52, s4
	s_cbranch_execz .LBB261_23
; %bb.17:                               ;   in Loop: Header=BB261_13 Depth=1
	s_and_not1_b32 vcc_lo, exec_lo, s47
	s_cbranch_vccnz .LBB261_20
; %bb.18:                               ;   in Loop: Header=BB261_13 Depth=1
	v_dual_mov_b32 v9, v22 :: v_dual_mov_b32 v10, v23
	s_mov_b64 s[18:19], 0
	.p2align	6
.LBB261_19:                             ;   Parent Loop BB261_13 Depth=1
                                        ; =>  This Inner Loop Header: Depth=2
	flat_load_b64 v[11:12], v[9:10]
	v_add_co_u32 v9, vcc_lo, v9, s36
	s_cmp_eq_u32 s18, 3
	v_add_co_ci_u32_e32 v10, vcc_lo, s37, v10, vcc_lo
	s_cselect_b32 vcc_lo, -1, 0
	s_cmp_eq_u32 s18, 2
	s_cselect_b32 s6, -1, 0
	s_cmp_eq_u32 s18, 1
	s_cselect_b32 s7, -1, 0
	;; [unrolled: 2-line block ×3, first 2 shown]
	s_add_u32 s18, s18, 1
	s_addc_u32 s19, s19, 0
	s_cmp_eq_u32 s25, s18
	s_waitcnt vmcnt(0) lgkmcnt(0)
	v_dual_cndmask_b32 v8, v8, v12 :: v_dual_cndmask_b32 v7, v7, v11
	v_cndmask_b32_e64 v6, v6, v12, s6
	v_cndmask_b32_e64 v5, v5, v11, s6
	;; [unrolled: 1-line block ×6, first 2 shown]
	s_cbranch_scc0 .LBB261_19
.LBB261_20:                             ;   in Loop: Header=BB261_13 Depth=1
	s_mov_b32 s17, s16
	s_mov_b32 s18, s16
	;; [unrolled: 1-line block ×7, first 2 shown]
	v_dual_mov_b32 v9, s16 :: v_dual_mov_b32 v10, s17
	v_dual_mov_b32 v11, s18 :: v_dual_mov_b32 v12, s19
	;; [unrolled: 1-line block ×4, first 2 shown]
	s_and_not1_b32 vcc_lo, exec_lo, s47
	s_cbranch_vccnz .LBB261_23
; %bb.21:                               ;   in Loop: Header=BB261_13 Depth=1
	v_mov_b32_e32 v9, 0
	v_dual_mov_b32 v10, 0 :: v_dual_mov_b32 v35, v33
	v_mov_b32_e32 v34, v32
	s_mov_b64 s[8:9], 0
	s_delay_alu instid0(VALU_DEP_2)
	v_dual_mov_b32 v12, v10 :: v_dual_mov_b32 v11, v9
	v_dual_mov_b32 v14, v10 :: v_dual_mov_b32 v13, v9
	;; [unrolled: 1-line block ×3, first 2 shown]
	s_set_inst_prefetch_distance 0x1
	.p2align	6
.LBB261_22:                             ;   Parent Loop BB261_13 Depth=1
                                        ; =>  This Inner Loop Header: Depth=2
	v_add_co_u32 v36, vcc_lo, v34, s42
	v_add_co_ci_u32_e32 v37, vcc_lo, s43, v35, vcc_lo
	v_add_co_u32 v53, vcc_lo, v34, s40
	v_add_co_ci_u32_e32 v54, vcc_lo, s41, v35, vcc_lo
	;; [unrolled: 2-line block ×3, first 2 shown]
	s_clause 0x3
	flat_load_b64 v[57:58], v[34:35]
	flat_load_b64 v[36:37], v[36:37]
	flat_load_b64 v[53:54], v[53:54]
	flat_load_b64 v[55:56], v[55:56]
	s_cmp_eq_u32 s8, 1
	s_cselect_b32 vcc_lo, -1, 0
	s_cmp_eq_u32 s8, 2
	v_cndmask_b32_e32 v31, v2, v4, vcc_lo
	v_cndmask_b32_e32 v59, v1, v3, vcc_lo
	s_cselect_b32 vcc_lo, -1, 0
	s_cmp_eq_u32 s8, 3
	s_delay_alu instid0(VALU_DEP_2) | instskip(NEXT) | instid1(VALU_DEP_2)
	v_cndmask_b32_e32 v31, v31, v6, vcc_lo
	v_cndmask_b32_e32 v59, v59, v5, vcc_lo
	s_cselect_b32 s6, -1, 0
	v_add_co_u32 v34, vcc_lo, v34, 8
	s_delay_alu instid0(VALU_DEP_3) | instskip(NEXT) | instid1(VALU_DEP_3)
	v_cndmask_b32_e64 v60, v31, v8, s6
	v_cndmask_b32_e64 v59, v59, v7, s6
	v_add_co_ci_u32_e32 v35, vcc_lo, 0, v35, vcc_lo
	s_add_u32 s8, s8, 1
	s_addc_u32 s9, s9, 0
	s_cmp_lg_u32 s25, s8
	s_waitcnt vmcnt(3) lgkmcnt(3)
	v_fma_f64 v[9:10], v[59:60], v[57:58], v[9:10]
	s_waitcnt vmcnt(2) lgkmcnt(2)
	v_fma_f64 v[11:12], v[59:60], v[36:37], v[11:12]
	;; [unrolled: 2-line block ×4, first 2 shown]
	s_cbranch_scc1 .LBB261_22
.LBB261_23:                             ;   in Loop: Header=BB261_13 Depth=1
	s_set_inst_prefetch_distance 0x2
	s_or_b32 exec_lo, exec_lo, s52
.LBB261_24:                             ;   in Loop: Header=BB261_13 Depth=1
	s_delay_alu instid0(SALU_CYCLE_1)
	s_or_b32 exec_lo, exec_lo, s51
	s_mov_b64 s[6:7], 0
	s_branch .LBB261_26
.LBB261_25:                             ;   in Loop: Header=BB261_26 Depth=2
	s_or_b32 exec_lo, exec_lo, s8
	s_cmp_eq_u32 s6, 3
	s_cselect_b32 vcc_lo, -1, 0
	s_cmp_eq_u32 s6, 2
	s_waitcnt lgkmcnt(0)
	s_delay_alu instid0(VALU_DEP_1)
	v_dual_cndmask_b32 v16, v16, v35 :: v_dual_cndmask_b32 v15, v15, v34
	s_cselect_b32 vcc_lo, -1, 0
	s_cmp_eq_u32 s6, 1
	v_dual_cndmask_b32 v14, v14, v35 :: v_dual_cndmask_b32 v13, v13, v34
	s_cselect_b32 vcc_lo, -1, 0
	s_cmp_eq_u32 s6, 0
	v_dual_cndmask_b32 v12, v12, v35 :: v_dual_cndmask_b32 v11, v11, v34
	s_cselect_b32 vcc_lo, -1, 0
	s_add_u32 s6, s6, 1
	v_dual_cndmask_b32 v10, v10, v35 :: v_dual_cndmask_b32 v9, v9, v34
	s_addc_u32 s7, s7, 0
	s_cmp_eq_u32 s6, 4
	s_cbranch_scc1 .LBB261_34
.LBB261_26:                             ;   Parent Loop BB261_13 Depth=1
                                        ; =>  This Inner Loop Header: Depth=2
	s_and_saveexec_b32 s8, s0
	s_cbranch_execz .LBB261_28
; %bb.27:                               ;   in Loop: Header=BB261_26 Depth=2
	v_mov_b32_e32 v31, v30
	ds_store_b64 v51, v[30:31]
.LBB261_28:                             ;   in Loop: Header=BB261_26 Depth=2
	s_or_b32 exec_lo, exec_lo, s8
	s_cmp_eq_u32 s6, 1
	s_waitcnt lgkmcnt(0)
	s_waitcnt_vscnt null, 0x0
	s_cselect_b32 vcc_lo, -1, 0
	s_cmp_eq_u32 s6, 2
	s_delay_alu instid0(VALU_DEP_1) | instskip(SKIP_3) | instid1(VALU_DEP_1)
	v_dual_cndmask_b32 v31, v10, v12 :: v_dual_cndmask_b32 v34, v9, v11
	s_cselect_b32 vcc_lo, -1, 0
	s_cmp_eq_u32 s6, 3
	s_barrier
	v_dual_cndmask_b32 v31, v31, v14 :: v_dual_cndmask_b32 v34, v34, v13
	s_cselect_b32 vcc_lo, -1, 0
	buffer_gl0_inv
	v_dual_cndmask_b32 v35, v31, v16 :: v_dual_cndmask_b32 v34, v34, v15
	ds_bpermute_b32 v37, v46, v35
	ds_bpermute_b32 v36, v46, v34
	s_waitcnt lgkmcnt(0)
	v_add_f64 v[34:35], v[34:35], v[36:37]
	ds_bpermute_b32 v36, v47, v34
	ds_bpermute_b32 v37, v47, v35
	s_waitcnt lgkmcnt(0)
	v_add_f64 v[34:35], v[34:35], v[36:37]
	;; [unrolled: 4-line block ×4, first 2 shown]
	ds_bpermute_b32 v36, v50, v34
	ds_bpermute_b32 v37, v50, v35
	s_and_saveexec_b32 s8, s5
	s_cbranch_execz .LBB261_30
; %bb.29:                               ;   in Loop: Header=BB261_26 Depth=2
	s_waitcnt lgkmcnt(0)
	v_add_f64 v[34:35], v[34:35], v[36:37]
	ds_store_b64 v52, v[34:35]
.LBB261_30:                             ;   in Loop: Header=BB261_26 Depth=2
	s_or_b32 exec_lo, exec_lo, s8
	v_mov_b32_e32 v34, 0
	v_mov_b32_e32 v35, 0
	s_waitcnt lgkmcnt(0)
	s_barrier
	buffer_gl0_inv
	s_and_saveexec_b32 s8, s1
	s_cbranch_execz .LBB261_32
; %bb.31:                               ;   in Loop: Header=BB261_26 Depth=2
	ds_load_b64 v[34:35], v51
.LBB261_32:                             ;   in Loop: Header=BB261_26 Depth=2
	s_or_b32 exec_lo, exec_lo, s8
	s_and_saveexec_b32 s8, s0
	s_cbranch_execz .LBB261_25
; %bb.33:                               ;   in Loop: Header=BB261_26 Depth=2
	s_waitcnt lgkmcnt(0)
	ds_bpermute_b32 v36, v48, v34
	ds_bpermute_b32 v37, v48, v35
	s_waitcnt lgkmcnt(0)
	v_add_f64 v[34:35], v[34:35], v[36:37]
	ds_bpermute_b32 v36, v49, v34
	ds_bpermute_b32 v37, v49, v35
	s_waitcnt lgkmcnt(0)
	v_add_f64 v[34:35], v[34:35], v[36:37]
	;; [unrolled: 4-line block ×3, first 2 shown]
	s_branch .LBB261_25
.LBB261_34:                             ;   in Loop: Header=BB261_13 Depth=1
	s_and_saveexec_b32 s6, s2
	s_cbranch_execz .LBB261_12
; %bb.35:                               ;   in Loop: Header=BB261_13 Depth=1
	v_mul_f64 v[9:10], s[12:13], v[9:10]
	v_mul_f64 v[11:12], s[12:13], v[11:12]
	;; [unrolled: 1-line block ×4, first 2 shown]
	s_mul_hi_u32 s9, s33, s24
	s_mul_i32 s8, s33, s24
	s_delay_alu instid0(SALU_CYCLE_1) | instskip(NEXT) | instid1(SALU_CYCLE_1)
	s_lshl_b64 s[8:9], s[8:9], 3
	s_add_u32 s8, s15, s8
	s_addc_u32 s9, s48, s9
	s_or_b32 s7, s33, 1
	s_delay_alu instid0(SALU_CYCLE_1) | instskip(SKIP_1) | instid1(SALU_CYCLE_1)
	s_mul_hi_u32 s19, s7, s24
	s_mul_i32 s18, s7, s24
	s_lshl_b64 s[18:19], s[18:19], 3
	s_delay_alu instid0(SALU_CYCLE_1) | instskip(SKIP_2) | instid1(SALU_CYCLE_1)
	s_add_u32 s18, s15, s18
	s_addc_u32 s19, s48, s19
	s_or_b32 s7, s33, 2
	s_mul_hi_u32 s21, s7, s24
	s_mul_i32 s20, s7, s24
	s_delay_alu instid0(SALU_CYCLE_1) | instskip(NEXT) | instid1(SALU_CYCLE_1)
	s_lshl_b64 s[20:21], s[20:21], 3
	s_add_u32 s20, s15, s20
	s_addc_u32 s21, s48, s21
	s_or_b32 s7, s33, 3
	s_delay_alu instid0(SALU_CYCLE_1) | instskip(SKIP_1) | instid1(SALU_CYCLE_1)
	s_mul_hi_u32 s23, s7, s24
	s_mul_i32 s22, s7, s24
	s_lshl_b64 s[22:23], s[22:23], 3
	s_delay_alu instid0(SALU_CYCLE_1)
	s_add_u32 s22, s15, s22
	s_addc_u32 s23, s48, s23
	s_clause 0x3
	global_store_b64 v30, v[9:10], s[8:9]
	global_store_b64 v30, v[11:12], s[18:19]
	;; [unrolled: 1-line block ×4, first 2 shown]
	s_branch .LBB261_12
.LBB261_36:
	s_mov_b32 s33, 0
                                        ; implicit-def: $vgpr1_vgpr2_vgpr3_vgpr4_vgpr5_vgpr6_vgpr7_vgpr8
.LBB261_37:
	s_delay_alu instid0(SALU_CYCLE_1)
	s_cmp_ge_i32 s33, s11
	s_cbranch_scc1 .LBB261_61
; %bb.38:
	v_cmp_gt_u32_e32 vcc_lo, 16, v43
	v_mad_i64_i32 v[15:16], null, s34, v38, 0
	s_cmp_gt_i32 s25, 0
	s_mov_b32 s15, 0
	v_cndmask_b32_e64 v9, 0, 1, vcc_lo
	v_cmp_gt_u32_e32 vcc_lo, 24, v43
	s_cselect_b32 s9, -1, 0
	s_lshl_b64 s[6:7], s[14:15], 3
	v_cmp_ge_i32_e64 s0, s10, v44
	v_lshlrev_b32_e32 v9, 4, v9
	v_cndmask_b32_e64 v10, 0, 1, vcc_lo
	v_cmp_gt_u32_e32 vcc_lo, 28, v43
	v_cmp_ge_i32_e64 s1, s10, v45
	s_add_u32 s10, s44, s6
	v_add_lshl_u32 v28, v9, v43, 2
	v_lshlrev_b32_e32 v10, 3, v10
	v_cndmask_b32_e64 v11, 0, 1, vcc_lo
	v_cmp_gt_u32_e32 vcc_lo, 30, v43
	v_lshlrev_b64 v[15:16], 3, v[15:16]
	s_addc_u32 s14, s45, s7
	v_add_lshl_u32 v29, v10, v43, 2
	v_lshlrev_b32_e32 v11, 2, v11
	v_cndmask_b32_e64 v12, 0, 1, vcc_lo
	v_cmp_ne_u32_e32 vcc_lo, 31, v43
	v_mad_i64_i32 v[9:10], null, s34, v21, 0
	s_delay_alu instid0(VALU_DEP_3) | instskip(SKIP_3) | instid1(VALU_DEP_3)
	v_dual_mov_b32 v21, 0 :: v_dual_lshlrev_b32 v12, 1, v12
	v_add_co_ci_u32_e32 v13, vcc_lo, 0, v43, vcc_lo
	v_add_lshl_u32 v30, v11, v43, 2
	s_mul_i32 s6, s27, s33
	v_add_lshl_u32 v31, v12, v43, 2
	v_mad_i64_i32 v[11:12], null, s34, v40, 0
	v_lshlrev_b32_e32 v32, 2, v13
	v_mad_i64_i32 v[13:14], null, s34, v39, 0
	v_lshlrev_b64 v[9:10], 3, v[9:10]
	s_mul_hi_u32 s7, s26, s33
	s_lshl_b64 s[16:17], s[34:35], 3
	s_delay_alu instid0(VALU_DEP_4)
	v_lshlrev_b64 v[11:12], 3, v[11:12]
	s_add_i32 s7, s7, s6
	s_mul_i32 s6, s26, s33
	v_add_co_u32 v9, vcc_lo, s30, v9
	v_lshlrev_b64 v[13:14], 3, v[13:14]
	v_add_co_ci_u32_e32 v10, vcc_lo, s31, v10, vcc_lo
	v_add_co_u32 v11, vcc_lo, s30, v11
	v_add_co_ci_u32_e32 v12, vcc_lo, s31, v12, vcc_lo
	s_delay_alu instid0(VALU_DEP_4)
	v_add_co_u32 v13, vcc_lo, s30, v13
	v_add_co_ci_u32_e32 v14, vcc_lo, s31, v14, vcc_lo
	s_lshl_b64 s[6:7], s[6:7], 3
	v_add_co_u32 v15, vcc_lo, s30, v15
	s_add_u32 s6, s28, s6
	v_add_co_ci_u32_e32 v16, vcc_lo, s31, v16, vcc_lo
	s_addc_u32 s7, s29, s7
	v_add_co_u32 v19, vcc_lo, s6, v19
	v_cmp_gt_u32_e64 s2, 32, v0
	v_lshlrev_b32_e32 v27, 3, v41
	v_cmp_eq_u32_e64 s3, 0, v41
	v_and_b32_e32 v33, 56, v42
	v_cmp_gt_u32_e64 s4, 8, v0
	v_cmp_eq_u32_e64 s5, 0, v0
	v_add_co_ci_u32_e32 v20, vcc_lo, s7, v20, vcc_lo
	s_lshl_b64 s[18:19], s[26:27], 3
	s_branch .LBB261_40
.LBB261_39:                             ;   in Loop: Header=BB261_40 Depth=1
	s_or_b32 exec_lo, exec_lo, s6
	v_add_co_u32 v19, vcc_lo, v19, s18
	v_add_co_ci_u32_e32 v20, vcc_lo, s19, v20, vcc_lo
	s_add_i32 s33, s33, 1
	s_delay_alu instid0(SALU_CYCLE_1)
	s_cmp_ge_i32 s33, s11
	s_cbranch_scc1 .LBB261_61
.LBB261_40:                             ; =>This Loop Header: Depth=1
                                        ;     Child Loop BB261_53 Depth 2
                                        ;     Child Loop BB261_56 Depth 2
	s_waitcnt lgkmcnt(0)
	v_dual_mov_b32 v23, s15 :: v_dual_mov_b32 v24, s15
	s_and_saveexec_b32 s6, s0
	s_delay_alu instid0(SALU_CYCLE_1)
	s_xor_b32 s6, exec_lo, s6
	s_cbranch_execnz .LBB261_49
; %bb.41:                               ;   in Loop: Header=BB261_40 Depth=1
	s_and_not1_saveexec_b32 s22, s6
	s_cbranch_execnz .LBB261_50
.LBB261_42:                             ;   in Loop: Header=BB261_40 Depth=1
	s_or_b32 exec_lo, exec_lo, s22
	s_and_saveexec_b32 s6, s2
	s_cbranch_execz .LBB261_44
.LBB261_43:                             ;   in Loop: Header=BB261_40 Depth=1
	v_mov_b32_e32 v22, v21
	ds_store_b64 v27, v[21:22]
.LBB261_44:                             ;   in Loop: Header=BB261_40 Depth=1
	s_or_b32 exec_lo, exec_lo, s6
	ds_bpermute_b32 v25, v28, v23
	ds_bpermute_b32 v26, v28, v24
	s_waitcnt lgkmcnt(0)
	s_waitcnt_vscnt null, 0x0
	s_barrier
	buffer_gl0_inv
	v_add_f64 v[22:23], v[23:24], v[25:26]
	ds_bpermute_b32 v24, v29, v22
	ds_bpermute_b32 v25, v29, v23
	s_waitcnt lgkmcnt(0)
	v_add_f64 v[22:23], v[22:23], v[24:25]
	ds_bpermute_b32 v24, v30, v22
	ds_bpermute_b32 v25, v30, v23
	s_waitcnt lgkmcnt(0)
	;; [unrolled: 4-line block ×3, first 2 shown]
	v_add_f64 v[22:23], v[22:23], v[24:25]
	ds_bpermute_b32 v24, v32, v22
	ds_bpermute_b32 v25, v32, v23
	s_and_saveexec_b32 s6, s3
	s_cbranch_execz .LBB261_46
; %bb.45:                               ;   in Loop: Header=BB261_40 Depth=1
	s_waitcnt lgkmcnt(0)
	v_add_f64 v[22:23], v[22:23], v[24:25]
	ds_store_b64 v33, v[22:23]
.LBB261_46:                             ;   in Loop: Header=BB261_40 Depth=1
	s_or_b32 exec_lo, exec_lo, s6
	v_mov_b32_e32 v22, 0
	v_mov_b32_e32 v23, 0
	s_waitcnt lgkmcnt(0)
	s_barrier
	buffer_gl0_inv
	s_and_saveexec_b32 s6, s4
	s_cbranch_execnz .LBB261_58
; %bb.47:                               ;   in Loop: Header=BB261_40 Depth=1
	s_or_b32 exec_lo, exec_lo, s6
	s_and_saveexec_b32 s6, s2
	s_cbranch_execnz .LBB261_59
.LBB261_48:                             ;   in Loop: Header=BB261_40 Depth=1
	s_or_b32 exec_lo, exec_lo, s6
	s_and_saveexec_b32 s6, s5
	s_cbranch_execz .LBB261_39
	s_branch .LBB261_60
.LBB261_49:                             ;   in Loop: Header=BB261_40 Depth=1
	s_mul_i32 s7, s33, s27
	s_mul_hi_u32 s8, s33, s26
	s_mul_i32 s20, s33, s26
	s_add_i32 s21, s8, s7
	s_delay_alu instid0(SALU_CYCLE_1) | instskip(NEXT) | instid1(SALU_CYCLE_1)
	s_lshl_b64 s[20:21], s[20:21], 3
	v_add_co_u32 v5, vcc_lo, v17, s20
	v_add_co_ci_u32_e32 v6, vcc_lo, s21, v18, vcc_lo
	flat_load_b128 v[22:25], v[5:6]
	s_clause 0x1
	flat_load_b64 v[1:2], v[9:10]
	flat_load_b64 v[3:4], v[11:12]
	flat_load_b128 v[34:37], v[5:6] offset:16
	s_clause 0x1
	flat_load_b64 v[5:6], v[13:14]
	flat_load_b64 v[7:8], v[15:16]
	s_waitcnt vmcnt(4) lgkmcnt(4)
	v_fma_f64 v[22:23], v[1:2], v[22:23], 0
	s_waitcnt vmcnt(3) lgkmcnt(3)
	s_delay_alu instid0(VALU_DEP_1) | instskip(SKIP_1) | instid1(VALU_DEP_1)
	v_fma_f64 v[22:23], v[3:4], v[24:25], v[22:23]
	s_waitcnt vmcnt(1) lgkmcnt(1)
	v_fma_f64 v[22:23], v[5:6], v[34:35], v[22:23]
	s_waitcnt vmcnt(0) lgkmcnt(0)
	s_delay_alu instid0(VALU_DEP_1)
	v_fma_f64 v[23:24], v[7:8], v[36:37], v[22:23]
	s_and_not1_saveexec_b32 s22, s6
	s_cbranch_execz .LBB261_42
.LBB261_50:                             ;   in Loop: Header=BB261_40 Depth=1
	s_and_saveexec_b32 s23, s1
	s_cbranch_execz .LBB261_57
; %bb.51:                               ;   in Loop: Header=BB261_40 Depth=1
	s_and_not1_b32 vcc_lo, exec_lo, s9
	s_cbranch_vccnz .LBB261_54
; %bb.52:                               ;   in Loop: Header=BB261_40 Depth=1
	v_dual_mov_b32 v26, v10 :: v_dual_mov_b32 v25, v9
	s_mov_b64 s[20:21], 0
	.p2align	6
.LBB261_53:                             ;   Parent Loop BB261_40 Depth=1
                                        ; =>  This Inner Loop Header: Depth=2
	flat_load_b64 v[34:35], v[25:26]
	v_add_co_u32 v25, vcc_lo, v25, s16
	s_cmp_eq_u32 s20, 3
	v_add_co_ci_u32_e32 v26, vcc_lo, s17, v26, vcc_lo
	s_cselect_b32 vcc_lo, -1, 0
	s_cmp_eq_u32 s20, 2
	s_cselect_b32 s6, -1, 0
	s_cmp_eq_u32 s20, 1
	s_cselect_b32 s7, -1, 0
	;; [unrolled: 2-line block ×3, first 2 shown]
	s_add_u32 s20, s20, 1
	s_addc_u32 s21, s21, 0
	s_cmp_eq_u32 s25, s20
	s_waitcnt vmcnt(0) lgkmcnt(0)
	v_dual_cndmask_b32 v8, v8, v35 :: v_dual_cndmask_b32 v7, v7, v34
	v_cndmask_b32_e64 v6, v6, v35, s6
	v_cndmask_b32_e64 v5, v5, v34, s6
	;; [unrolled: 1-line block ×6, first 2 shown]
	s_cbranch_scc0 .LBB261_53
.LBB261_54:                             ;   in Loop: Header=BB261_40 Depth=1
	s_and_not1_b32 vcc_lo, exec_lo, s9
	s_cbranch_vccnz .LBB261_57
; %bb.55:                               ;   in Loop: Header=BB261_40 Depth=1
	v_dual_mov_b32 v26, v20 :: v_dual_mov_b32 v25, v19
	s_mov_b64 s[6:7], 0
	.p2align	6
.LBB261_56:                             ;   Parent Loop BB261_40 Depth=1
                                        ; =>  This Inner Loop Header: Depth=2
	flat_load_b64 v[34:35], v[25:26]
	s_cmp_eq_u32 s6, 1
	s_cselect_b32 vcc_lo, -1, 0
	s_cmp_eq_u32 s6, 2
	v_cndmask_b32_e32 v0, v2, v4, vcc_lo
	v_cndmask_b32_e32 v22, v1, v3, vcc_lo
	s_cselect_b32 vcc_lo, -1, 0
	s_cmp_eq_u32 s6, 3
	s_delay_alu instid0(VALU_DEP_2) | instskip(NEXT) | instid1(VALU_DEP_2)
	v_cndmask_b32_e32 v0, v0, v6, vcc_lo
	v_cndmask_b32_e32 v22, v22, v5, vcc_lo
	s_cselect_b32 vcc_lo, -1, 0
	s_add_u32 s6, s6, 1
	s_addc_u32 s7, s7, 0
	s_delay_alu instid0(VALU_DEP_1)
	v_dual_cndmask_b32 v37, v0, v8 :: v_dual_cndmask_b32 v36, v22, v7
	v_add_co_u32 v25, vcc_lo, v25, 8
	v_add_co_ci_u32_e32 v26, vcc_lo, 0, v26, vcc_lo
	s_cmp_lg_u32 s25, s6
	s_waitcnt vmcnt(0) lgkmcnt(0)
	v_fma_f64 v[23:24], v[36:37], v[34:35], v[23:24]
	s_cbranch_scc1 .LBB261_56
.LBB261_57:                             ;   in Loop: Header=BB261_40 Depth=1
	s_or_b32 exec_lo, exec_lo, s23
	s_delay_alu instid0(SALU_CYCLE_1)
	s_or_b32 exec_lo, exec_lo, s22
	s_and_saveexec_b32 s6, s2
	s_cbranch_execnz .LBB261_43
	s_branch .LBB261_44
.LBB261_58:                             ;   in Loop: Header=BB261_40 Depth=1
	ds_load_b64 v[22:23], v27
	s_or_b32 exec_lo, exec_lo, s6
	s_and_saveexec_b32 s6, s2
	s_cbranch_execz .LBB261_48
.LBB261_59:                             ;   in Loop: Header=BB261_40 Depth=1
	s_waitcnt lgkmcnt(0)
	ds_bpermute_b32 v24, v30, v22
	ds_bpermute_b32 v25, v30, v23
	s_waitcnt lgkmcnt(0)
	v_add_f64 v[22:23], v[22:23], v[24:25]
	ds_bpermute_b32 v24, v31, v22
	ds_bpermute_b32 v25, v31, v23
	s_waitcnt lgkmcnt(0)
	v_add_f64 v[22:23], v[22:23], v[24:25]
	;; [unrolled: 4-line block ×3, first 2 shown]
	s_or_b32 exec_lo, exec_lo, s6
	s_and_saveexec_b32 s6, s5
	s_cbranch_execz .LBB261_39
.LBB261_60:                             ;   in Loop: Header=BB261_40 Depth=1
	s_waitcnt lgkmcnt(0)
	s_delay_alu instid0(VALU_DEP_1) | instskip(SKIP_2) | instid1(SALU_CYCLE_1)
	v_mul_f64 v[22:23], s[12:13], v[22:23]
	s_mul_hi_u32 s21, s33, s24
	s_mul_i32 s20, s33, s24
	s_lshl_b64 s[20:21], s[20:21], 3
	s_delay_alu instid0(SALU_CYCLE_1)
	s_add_u32 s20, s10, s20
	s_addc_u32 s21, s14, s21
	global_store_b64 v21, v[22:23], s[20:21]
	s_branch .LBB261_39
.LBB261_61:
	s_nop 0
	s_sendmsg sendmsg(MSG_DEALLOC_VGPRS)
	s_endpgm
	.section	.rodata,"a",@progbits
	.p2align	6, 0x0
	.amdhsa_kernel _ZL23rocblas_gemvt_sn_kernelILb0ELi256ELi4ElPKdS1_dEviiT4_lPKT3_lilS5_lilPT5_i
		.amdhsa_group_segment_fixed_size 256
		.amdhsa_private_segment_fixed_size 0
		.amdhsa_kernarg_size 360
		.amdhsa_user_sgpr_count 14
		.amdhsa_user_sgpr_dispatch_ptr 0
		.amdhsa_user_sgpr_queue_ptr 0
		.amdhsa_user_sgpr_kernarg_segment_ptr 1
		.amdhsa_user_sgpr_dispatch_id 0
		.amdhsa_user_sgpr_private_segment_size 0
		.amdhsa_wavefront_size32 1
		.amdhsa_uses_dynamic_stack 0
		.amdhsa_enable_private_segment 0
		.amdhsa_system_sgpr_workgroup_id_x 1
		.amdhsa_system_sgpr_workgroup_id_y 0
		.amdhsa_system_sgpr_workgroup_id_z 1
		.amdhsa_system_sgpr_workgroup_info 0
		.amdhsa_system_vgpr_workitem_id 0
		.amdhsa_next_free_vgpr 73
		.amdhsa_next_free_sgpr 53
		.amdhsa_reserve_vcc 1
		.amdhsa_float_round_mode_32 0
		.amdhsa_float_round_mode_16_64 0
		.amdhsa_float_denorm_mode_32 3
		.amdhsa_float_denorm_mode_16_64 3
		.amdhsa_dx10_clamp 1
		.amdhsa_ieee_mode 1
		.amdhsa_fp16_overflow 0
		.amdhsa_workgroup_processor_mode 1
		.amdhsa_memory_ordered 1
		.amdhsa_forward_progress 0
		.amdhsa_shared_vgpr_count 0
		.amdhsa_exception_fp_ieee_invalid_op 0
		.amdhsa_exception_fp_denorm_src 0
		.amdhsa_exception_fp_ieee_div_zero 0
		.amdhsa_exception_fp_ieee_overflow 0
		.amdhsa_exception_fp_ieee_underflow 0
		.amdhsa_exception_fp_ieee_inexact 0
		.amdhsa_exception_int_div_zero 0
	.end_amdhsa_kernel
	.section	.text._ZL23rocblas_gemvt_sn_kernelILb0ELi256ELi4ElPKdS1_dEviiT4_lPKT3_lilS5_lilPT5_i,"axG",@progbits,_ZL23rocblas_gemvt_sn_kernelILb0ELi256ELi4ElPKdS1_dEviiT4_lPKT3_lilS5_lilPT5_i,comdat
.Lfunc_end261:
	.size	_ZL23rocblas_gemvt_sn_kernelILb0ELi256ELi4ElPKdS1_dEviiT4_lPKT3_lilS5_lilPT5_i, .Lfunc_end261-_ZL23rocblas_gemvt_sn_kernelILb0ELi256ELi4ElPKdS1_dEviiT4_lPKT3_lilS5_lilPT5_i
                                        ; -- End function
	.section	.AMDGPU.csdata,"",@progbits
; Kernel info:
; codeLenInByte = 4052
; NumSgprs: 55
; NumVgprs: 73
; ScratchSize: 0
; MemoryBound: 1
; FloatMode: 240
; IeeeMode: 1
; LDSByteSize: 256 bytes/workgroup (compile time only)
; SGPRBlocks: 6
; VGPRBlocks: 9
; NumSGPRsForWavesPerEU: 55
; NumVGPRsForWavesPerEU: 73
; Occupancy: 16
; WaveLimiterHint : 0
; COMPUTE_PGM_RSRC2:SCRATCH_EN: 0
; COMPUTE_PGM_RSRC2:USER_SGPR: 14
; COMPUTE_PGM_RSRC2:TRAP_HANDLER: 0
; COMPUTE_PGM_RSRC2:TGID_X_EN: 1
; COMPUTE_PGM_RSRC2:TGID_Y_EN: 0
; COMPUTE_PGM_RSRC2:TGID_Z_EN: 1
; COMPUTE_PGM_RSRC2:TIDIG_COMP_CNT: 0
	.section	.text._ZL23rocblas_gemvt_sn_reduceILi256ELi8EdPKdKPdEviT2_lPT3_lilPT1_i,"axG",@progbits,_ZL23rocblas_gemvt_sn_reduceILi256ELi8EdPKdKPdEviT2_lPT3_lilPT1_i,comdat
	.globl	_ZL23rocblas_gemvt_sn_reduceILi256ELi8EdPKdKPdEviT2_lPT3_lilPT1_i ; -- Begin function _ZL23rocblas_gemvt_sn_reduceILi256ELi8EdPKdKPdEviT2_lPT3_lilPT1_i
	.p2align	8
	.type	_ZL23rocblas_gemvt_sn_reduceILi256ELi8EdPKdKPdEviT2_lPT3_lilPT1_i,@function
_ZL23rocblas_gemvt_sn_reduceILi256ELi8EdPKdKPdEviT2_lPT3_lilPT1_i: ; @_ZL23rocblas_gemvt_sn_reduceILi256ELi8EdPKdKPdEviT2_lPT3_lilPT1_i
; %bb.0:
	s_mov_b32 s2, s15
	s_clause 0x1
	s_load_b32 s15, s[0:1], 0x0
	s_load_b256 s[4:11], s[0:1], 0x8
	s_mov_b32 s3, 0
	s_load_b32 s17, s[0:1], 0x4c
	s_lshl_b64 s[12:13], s[2:3], 3
	v_mov_b32_e32 v1, 0
	v_dual_mov_b32 v2, 0 :: v_dual_lshlrev_b32 v5, 3, v0
	s_waitcnt lgkmcnt(0)
	s_ashr_i32 s18, s15, 31
	s_mul_i32 s7, s2, s7
	s_mul_hi_u32 s16, s2, s6
	s_add_u32 s12, s8, s12
	s_addc_u32 s13, s9, s13
	s_add_i32 s7, s16, s7
	s_mul_i32 s6, s2, s6
	s_load_b64 s[8:9], s[0:1], 0x38
	s_lshl_b64 s[6:7], s[6:7], 3
	s_mul_i32 s2, s17, s2
	s_add_u32 s4, s4, s6
	s_addc_u32 s5, s5, s7
	s_load_b64 s[6:7], s[12:13], 0x0
	s_load_b64 s[4:5], s[4:5], 0x0
	s_add_u32 s16, s0, 0x48
	s_addc_u32 s17, s1, 0
	s_add_i32 s2, s2, s14
	s_lshr_b32 s13, s18, 29
	s_mul_i32 s12, s2, s18
	s_add_i32 s13, s15, s13
	s_mul_hi_u32 s19, s2, s15
	s_and_b32 s18, s13, -8
	s_add_i32 s13, s19, s12
	s_mul_i32 s12, s2, s15
	s_mov_b32 s19, exec_lo
	v_cmpx_gt_i32_e64 s18, v5
	s_cbranch_execz .LBB262_4
; %bb.1:
	s_load_b32 s2, s[16:17], 0xc
	v_lshlrev_b32_e32 v1, 6, v0
	s_lshl_b64 s[20:21], s[12:13], 3
	s_waitcnt lgkmcnt(0)
	s_and_b32 s2, s2, 0xffff
	s_delay_alu instid0(SALU_CYCLE_1) | instskip(SKIP_3) | instid1(VALU_DEP_1)
	s_lshl_b32 s16, s2, 3
	s_add_u32 s17, s8, s20
	s_addc_u32 s20, s9, s21
	v_add_co_u32 v3, s17, s17, v1
	v_add_co_ci_u32_e64 v4, null, s20, 0, s17
	v_mov_b32_e32 v1, 0
	s_delay_alu instid0(VALU_DEP_3) | instskip(SKIP_1) | instid1(VALU_DEP_4)
	v_add_co_u32 v3, vcc_lo, v3, 56
	v_mov_b32_e32 v2, 0
	v_add_co_ci_u32_e32 v4, vcc_lo, 0, v4, vcc_lo
	s_lshl_b32 s17, s2, 6
	s_set_inst_prefetch_distance 0x1
	.p2align	6
.LBB262_2:                              ; =>This Inner Loop Header: Depth=1
	s_clause 0x3
	global_load_b128 v[6:9], v[3:4], off offset:-56
	global_load_b128 v[10:13], v[3:4], off offset:-40
	;; [unrolled: 1-line block ×4, first 2 shown]
	v_add_nc_u32_e32 v5, s16, v5
	v_add_co_u32 v3, s2, v3, s17
	s_delay_alu instid0(VALU_DEP_1) | instskip(NEXT) | instid1(VALU_DEP_3)
	v_add_co_ci_u32_e64 v4, s2, 0, v4, s2
	v_cmp_le_i32_e32 vcc_lo, s18, v5
	s_or_b32 s3, vcc_lo, s3
	s_waitcnt vmcnt(3)
	v_add_f64 v[1:2], v[1:2], v[6:7]
	s_delay_alu instid0(VALU_DEP_1) | instskip(SKIP_1) | instid1(VALU_DEP_1)
	v_add_f64 v[1:2], v[1:2], v[8:9]
	s_waitcnt vmcnt(2)
	v_add_f64 v[1:2], v[1:2], v[10:11]
	s_delay_alu instid0(VALU_DEP_1) | instskip(SKIP_1) | instid1(VALU_DEP_1)
	v_add_f64 v[1:2], v[1:2], v[12:13]
	;; [unrolled: 4-line block ×3, first 2 shown]
	s_waitcnt vmcnt(0)
	v_add_f64 v[1:2], v[1:2], v[18:19]
	s_delay_alu instid0(VALU_DEP_1)
	v_add_f64 v[1:2], v[1:2], v[20:21]
	s_and_not1_b32 exec_lo, exec_lo, s3
	s_cbranch_execnz .LBB262_2
; %bb.3:
	s_set_inst_prefetch_distance 0x2
	s_or_b32 exec_lo, exec_lo, s3
.LBB262_4:
	s_delay_alu instid0(SALU_CYCLE_1) | instskip(SKIP_1) | instid1(SALU_CYCLE_1)
	s_or_b32 exec_lo, exec_lo, s19
	s_sub_i32 s2, s15, s18
	v_cmp_gt_u32_e32 vcc_lo, s2, v0
	s_and_saveexec_b32 s2, vcc_lo
	s_cbranch_execz .LBB262_6
; %bb.5:
	v_xad_u32 v3, v0, -1, s15
	v_mov_b32_e32 v4, 0
	s_lshl_b64 s[12:13], s[12:13], 3
	s_waitcnt lgkmcnt(0)
	s_add_u32 s3, s8, s12
	s_addc_u32 s8, s9, s13
	v_lshlrev_b64 v[3:4], 3, v[3:4]
	s_delay_alu instid0(VALU_DEP_1) | instskip(NEXT) | instid1(VALU_DEP_2)
	v_add_co_u32 v3, vcc_lo, s3, v3
	v_add_co_ci_u32_e32 v4, vcc_lo, s8, v4, vcc_lo
	global_load_b64 v[3:4], v[3:4], off
	s_waitcnt vmcnt(0)
	v_add_f64 v[1:2], v[1:2], v[3:4]
.LBB262_6:
	s_or_b32 exec_lo, exec_lo, s2
	v_and_b32_e32 v8, 31, v0
	v_cmp_gt_u32_e32 vcc_lo, 32, v0
	s_delay_alu instid0(VALU_DEP_2)
	v_lshlrev_b32_e32 v5, 3, v8
	s_and_saveexec_b32 s2, vcc_lo
	s_cbranch_execz .LBB262_8
; %bb.7:
	v_mov_b32_e32 v3, 0
	s_delay_alu instid0(VALU_DEP_1)
	v_mov_b32_e32 v4, v3
	ds_store_b64 v5, v[3:4]
.LBB262_8:
	s_or_b32 exec_lo, exec_lo, s2
	v_mbcnt_lo_u32_b32 v9, -1, 0
	s_mov_b32 s3, exec_lo
	s_waitcnt lgkmcnt(0)
	s_barrier
	buffer_gl0_inv
	v_cmp_gt_u32_e64 s2, 16, v9
	s_delay_alu instid0(VALU_DEP_1) | instskip(SKIP_1) | instid1(VALU_DEP_2)
	v_cndmask_b32_e64 v3, 0, 1, s2
	v_cmp_gt_u32_e64 s2, 24, v9
	v_lshlrev_b32_e32 v3, 4, v3
	s_delay_alu instid0(VALU_DEP_1)
	v_add_lshl_u32 v4, v3, v9, 2
	ds_bpermute_b32 v3, v4, v1
	ds_bpermute_b32 v4, v4, v2
	s_waitcnt lgkmcnt(0)
	v_add_f64 v[1:2], v[1:2], v[3:4]
	v_cndmask_b32_e64 v3, 0, 1, s2
	v_cmp_gt_u32_e64 s2, 28, v9
	s_delay_alu instid0(VALU_DEP_2) | instskip(NEXT) | instid1(VALU_DEP_1)
	v_lshlrev_b32_e32 v3, 3, v3
	v_add_lshl_u32 v4, v3, v9, 2
	ds_bpermute_b32 v3, v4, v1
	ds_bpermute_b32 v4, v4, v2
	s_waitcnt lgkmcnt(0)
	v_add_f64 v[1:2], v[1:2], v[3:4]
	v_cndmask_b32_e64 v3, 0, 1, s2
	v_cmp_gt_u32_e64 s2, 30, v9
	s_delay_alu instid0(VALU_DEP_2) | instskip(NEXT) | instid1(VALU_DEP_1)
	v_lshlrev_b32_e32 v3, 2, v3
	v_add_lshl_u32 v6, v3, v9, 2
	ds_bpermute_b32 v3, v6, v1
	ds_bpermute_b32 v4, v6, v2
	s_waitcnt lgkmcnt(0)
	v_add_f64 v[1:2], v[1:2], v[3:4]
	v_cndmask_b32_e64 v3, 0, 1, s2
	v_cmp_ne_u32_e64 s2, 31, v9
	s_delay_alu instid0(VALU_DEP_2) | instskip(NEXT) | instid1(VALU_DEP_1)
	v_lshlrev_b32_e32 v3, 1, v3
	v_add_lshl_u32 v7, v3, v9, 2
	ds_bpermute_b32 v3, v7, v1
	ds_bpermute_b32 v4, v7, v2
	s_waitcnt lgkmcnt(0)
	v_add_f64 v[1:2], v[1:2], v[3:4]
	v_add_co_ci_u32_e64 v3, s2, 0, v9, s2
	s_delay_alu instid0(VALU_DEP_1)
	v_lshlrev_b32_e32 v9, 2, v3
	ds_bpermute_b32 v3, v9, v1
	ds_bpermute_b32 v4, v9, v2
	v_cmpx_eq_u32_e32 0, v8
	s_cbranch_execz .LBB262_10
; %bb.9:
	s_waitcnt lgkmcnt(0)
	v_add_f64 v[1:2], v[1:2], v[3:4]
	v_lshrrev_b32_e32 v3, 2, v0
	s_delay_alu instid0(VALU_DEP_1)
	v_and_b32_e32 v3, 56, v3
	ds_store_b64 v3, v[1:2]
.LBB262_10:
	s_or_b32 exec_lo, exec_lo, s3
	v_mov_b32_e32 v1, 0
	v_mov_b32_e32 v2, 0
	s_mov_b32 s3, exec_lo
	s_waitcnt lgkmcnt(0)
	s_barrier
	buffer_gl0_inv
	v_cmpx_gt_u32_e32 8, v0
	s_cbranch_execz .LBB262_12
; %bb.11:
	ds_load_b64 v[1:2], v5
.LBB262_12:
	s_or_b32 exec_lo, exec_lo, s3
	s_and_saveexec_b32 s2, vcc_lo
	s_cbranch_execz .LBB262_14
; %bb.13:
	s_waitcnt lgkmcnt(0)
	ds_bpermute_b32 v3, v6, v1
	ds_bpermute_b32 v4, v6, v2
	s_waitcnt lgkmcnt(0)
	v_add_f64 v[1:2], v[1:2], v[3:4]
	ds_bpermute_b32 v3, v7, v1
	ds_bpermute_b32 v4, v7, v2
	s_waitcnt lgkmcnt(0)
	v_add_f64 v[1:2], v[1:2], v[3:4]
	;; [unrolled: 4-line block ×3, first 2 shown]
.LBB262_14:
	s_or_b32 exec_lo, exec_lo, s2
	s_delay_alu instid0(SALU_CYCLE_1)
	s_mov_b32 s2, exec_lo
	v_cmpx_eq_u32_e32 0, v0
	s_cbranch_execz .LBB262_18
; %bb.15:
	v_cmp_eq_f64_e64 s8, s[4:5], 0
	s_load_b32 s9, s[0:1], 0x28
	s_lshl_b64 s[0:1], s[10:11], 3
	s_waitcnt lgkmcnt(0)
	s_ashr_i32 s3, s9, 31
	s_add_u32 s2, s6, s0
	s_mul_hi_u32 s0, s9, s14
	s_mul_i32 s6, s3, s14
	s_addc_u32 s3, s7, s1
	s_add_i32 s1, s0, s6
	s_mul_i32 s0, s9, s14
	s_delay_alu instid0(VALU_DEP_1)
	s_and_b32 vcc_lo, exec_lo, s8
	s_cbranch_vccnz .LBB262_17
; %bb.16:
	s_lshl_b64 s[6:7], s[0:1], 3
	s_delay_alu instid0(SALU_CYCLE_1) | instskip(SKIP_3) | instid1(VALU_DEP_3)
	s_add_u32 s6, s2, s6
	s_addc_u32 s7, s3, s7
	s_load_b64 s[6:7], s[6:7], 0x0
	s_waitcnt lgkmcnt(0)
	v_fma_f64 v[1:2], s[4:5], s[6:7], v[1:2]
.LBB262_17:
	s_lshl_b64 s[0:1], s[0:1], 3
	v_mov_b32_e32 v0, 0
	s_add_u32 s0, s2, s0
	s_addc_u32 s1, s3, s1
	global_store_b64 v0, v[1:2], s[0:1]
.LBB262_18:
	s_nop 0
	s_sendmsg sendmsg(MSG_DEALLOC_VGPRS)
	s_endpgm
	.section	.rodata,"a",@progbits
	.p2align	6, 0x0
	.amdhsa_kernel _ZL23rocblas_gemvt_sn_reduceILi256ELi8EdPKdKPdEviT2_lPT3_lilPT1_i
		.amdhsa_group_segment_fixed_size 256
		.amdhsa_private_segment_fixed_size 0
		.amdhsa_kernarg_size 328
		.amdhsa_user_sgpr_count 13
		.amdhsa_user_sgpr_dispatch_ptr 0
		.amdhsa_user_sgpr_queue_ptr 0
		.amdhsa_user_sgpr_kernarg_segment_ptr 1
		.amdhsa_user_sgpr_dispatch_id 0
		.amdhsa_user_sgpr_private_segment_size 0
		.amdhsa_wavefront_size32 1
		.amdhsa_uses_dynamic_stack 0
		.amdhsa_enable_private_segment 0
		.amdhsa_system_sgpr_workgroup_id_x 1
		.amdhsa_system_sgpr_workgroup_id_y 1
		.amdhsa_system_sgpr_workgroup_id_z 1
		.amdhsa_system_sgpr_workgroup_info 0
		.amdhsa_system_vgpr_workitem_id 0
		.amdhsa_next_free_vgpr 22
		.amdhsa_next_free_sgpr 22
		.amdhsa_reserve_vcc 1
		.amdhsa_float_round_mode_32 0
		.amdhsa_float_round_mode_16_64 0
		.amdhsa_float_denorm_mode_32 3
		.amdhsa_float_denorm_mode_16_64 3
		.amdhsa_dx10_clamp 1
		.amdhsa_ieee_mode 1
		.amdhsa_fp16_overflow 0
		.amdhsa_workgroup_processor_mode 1
		.amdhsa_memory_ordered 1
		.amdhsa_forward_progress 0
		.amdhsa_shared_vgpr_count 0
		.amdhsa_exception_fp_ieee_invalid_op 0
		.amdhsa_exception_fp_denorm_src 0
		.amdhsa_exception_fp_ieee_div_zero 0
		.amdhsa_exception_fp_ieee_overflow 0
		.amdhsa_exception_fp_ieee_underflow 0
		.amdhsa_exception_fp_ieee_inexact 0
		.amdhsa_exception_int_div_zero 0
	.end_amdhsa_kernel
	.section	.text._ZL23rocblas_gemvt_sn_reduceILi256ELi8EdPKdKPdEviT2_lPT3_lilPT1_i,"axG",@progbits,_ZL23rocblas_gemvt_sn_reduceILi256ELi8EdPKdKPdEviT2_lPT3_lilPT1_i,comdat
.Lfunc_end262:
	.size	_ZL23rocblas_gemvt_sn_reduceILi256ELi8EdPKdKPdEviT2_lPT3_lilPT1_i, .Lfunc_end262-_ZL23rocblas_gemvt_sn_reduceILi256ELi8EdPKdKPdEviT2_lPT3_lilPT1_i
                                        ; -- End function
	.section	.AMDGPU.csdata,"",@progbits
; Kernel info:
; codeLenInByte = 1260
; NumSgprs: 24
; NumVgprs: 22
; ScratchSize: 0
; MemoryBound: 1
; FloatMode: 240
; IeeeMode: 1
; LDSByteSize: 256 bytes/workgroup (compile time only)
; SGPRBlocks: 2
; VGPRBlocks: 2
; NumSGPRsForWavesPerEU: 24
; NumVGPRsForWavesPerEU: 22
; Occupancy: 16
; WaveLimiterHint : 1
; COMPUTE_PGM_RSRC2:SCRATCH_EN: 0
; COMPUTE_PGM_RSRC2:USER_SGPR: 13
; COMPUTE_PGM_RSRC2:TRAP_HANDLER: 0
; COMPUTE_PGM_RSRC2:TGID_X_EN: 1
; COMPUTE_PGM_RSRC2:TGID_Y_EN: 1
; COMPUTE_PGM_RSRC2:TGID_Z_EN: 1
; COMPUTE_PGM_RSRC2:TIDIG_COMP_CNT: 0
	.section	.text._ZL23rocblas_gemvt_sn_kernelILb0ELi256ELi4EiPKdddEviiT4_lPKT3_lilS5_lilPT5_i,"axG",@progbits,_ZL23rocblas_gemvt_sn_kernelILb0ELi256ELi4EiPKdddEviiT4_lPKT3_lilS5_lilPT5_i,comdat
	.globl	_ZL23rocblas_gemvt_sn_kernelILb0ELi256ELi4EiPKdddEviiT4_lPKT3_lilS5_lilPT5_i ; -- Begin function _ZL23rocblas_gemvt_sn_kernelILb0ELi256ELi4EiPKdddEviiT4_lPKT3_lilS5_lilPT5_i
	.p2align	8
	.type	_ZL23rocblas_gemvt_sn_kernelILb0ELi256ELi4EiPKdddEviiT4_lPKT3_lilS5_lilPT5_i,@function
_ZL23rocblas_gemvt_sn_kernelILb0ELi256ELi4EiPKdddEviiT4_lPKT3_lilS5_lilPT5_i: ; @_ZL23rocblas_gemvt_sn_kernelILb0ELi256ELi4EiPKdddEviiT4_lPKT3_lilS5_lilPT5_i
; %bb.0:
	s_load_b64 s[10:11], s[0:1], 0x8
	s_mov_b32 s4, s15
	s_mov_b64 s[2:3], 0
	s_waitcnt lgkmcnt(0)
	v_cmp_neq_f64_e64 s7, s[10:11], 0
	v_cmp_eq_f64_e64 s6, s[10:11], 0
	s_delay_alu instid0(VALU_DEP_2)
	s_and_b32 vcc_lo, exec_lo, s7
	s_cbranch_vccnz .LBB263_2
; %bb.1:
	s_mov_b32 s5, 0
	s_cbranch_execz .LBB263_3
	s_branch .LBB263_4
.LBB263_2:
	s_mov_b32 s5, -1
                                        ; implicit-def: $sgpr2_sgpr3
.LBB263_3:
	s_load_b128 s[16:19], s[0:1], 0x18
	s_mov_b32 s5, 0
	s_delay_alu instid0(SALU_CYCLE_1)
	s_lshl_b64 s[2:3], s[4:5], 3
	s_waitcnt lgkmcnt(0)
	s_add_u32 s2, s16, s2
	s_addc_u32 s3, s17, s3
	s_lshl_b64 s[8:9], s[18:19], 3
	s_load_b64 s[2:3], s[2:3], 0x0
	s_waitcnt lgkmcnt(0)
	s_add_u32 s2, s2, s8
	s_addc_u32 s3, s3, s9
.LBB263_4:
	s_and_not1_b32 vcc_lo, exec_lo, s7
	s_cbranch_vccnz .LBB263_6
; %bb.5:
	s_load_b128 s[16:19], s[0:1], 0x38
	s_lshl_b64 s[8:9], s[4:5], 3
	s_waitcnt lgkmcnt(0)
	s_add_u32 s8, s16, s8
	s_addc_u32 s9, s17, s9
	s_lshl_b64 s[12:13], s[18:19], 3
	s_load_b64 s[8:9], s[8:9], 0x0
	s_waitcnt lgkmcnt(0)
	s_add_u32 s12, s8, s12
	s_addc_u32 s13, s9, s13
	s_branch .LBB263_7
.LBB263_6:
	s_mov_b64 s[12:13], 0
.LBB263_7:
	s_clause 0x2
	s_load_b64 s[24:25], s[0:1], 0x0
	s_load_b32 s26, s[0:1], 0x68
	s_load_b64 s[16:17], s[0:1], 0x58
	s_mov_b32 s27, 0
	s_waitcnt lgkmcnt(0)
	s_ashr_i32 s8, s25, 31
	s_mul_hi_u32 s7, s4, s25
	s_mul_i32 s9, s4, s8
	s_mul_i32 s5, s5, s25
	s_add_i32 s7, s7, s9
	s_mul_i32 s4, s4, s25
	s_add_i32 s5, s7, s5
	s_mul_hi_u32 s7, s4, s26
	s_mul_i32 s5, s5, s26
	s_mul_i32 s4, s4, s26
	s_add_i32 s5, s7, s5
	s_delay_alu instid0(SALU_CYCLE_1) | instskip(NEXT) | instid1(SALU_CYCLE_1)
	s_lshl_b64 s[4:5], s[4:5], 3
	s_add_u32 s33, s16, s4
	s_addc_u32 s36, s17, s5
	s_delay_alu instid0(VALU_DEP_1)
	s_and_not1_b32 vcc_lo, exec_lo, s6
	s_mov_b32 s4, -1
	s_cbranch_vccnz .LBB263_12
; %bb.8:
	v_cmp_eq_u32_e32 vcc_lo, 0, v0
	s_cmp_gt_i32 s25, 0
	s_cselect_b32 s4, -1, 0
	s_delay_alu instid0(SALU_CYCLE_1) | instskip(NEXT) | instid1(SALU_CYCLE_1)
	s_and_b32 s4, vcc_lo, s4
	s_and_saveexec_b32 s9, s4
	s_cbranch_execz .LBB263_11
; %bb.9:
	v_mov_b32_e32 v1, 0
	s_mov_b32 s15, 0
	s_delay_alu instid0(SALU_CYCLE_1) | instskip(SKIP_1) | instid1(VALU_DEP_1)
	s_lshl_b64 s[4:5], s[14:15], 3
	s_mov_b32 s15, s25
	v_mov_b32_e32 v2, v1
	s_add_u32 s4, s33, s4
	s_addc_u32 s5, s36, s5
	s_lshl_b64 s[6:7], s[26:27], 3
.LBB263_10:                             ; =>This Inner Loop Header: Depth=1
	s_add_i32 s15, s15, -1
	global_store_b64 v1, v[1:2], s[4:5]
	s_add_u32 s4, s4, s6
	s_addc_u32 s5, s5, s7
	s_cmp_eq_u32 s15, 0
	s_cbranch_scc0 .LBB263_10
.LBB263_11:
	s_or_b32 exec_lo, exec_lo, s9
	s_mov_b32 s4, 0
.LBB263_12:
	s_delay_alu instid0(SALU_CYCLE_1)
	s_and_not1_b32 vcc_lo, exec_lo, s4
	s_cbranch_vccnz .LBB263_64
; %bb.13:
	s_clause 0x1
	s_load_b32 s28, s[0:1], 0x28
	s_load_b32 s9, s[0:1], 0x48
	s_lshl_b32 s4, s14, 10
	s_ashr_i32 s0, s24, 31
	v_lshl_or_b32 v1, v0, 2, s4
	s_lshr_b32 s0, s0, 30
	s_lshr_b32 s1, s8, 30
	s_add_i32 s0, s24, s0
	s_add_i32 s1, s25, s1
	v_ashrrev_i32_e32 v2, 31, v1
	s_and_b32 s0, s0, -4
	s_and_b32 s15, s1, -4
	s_sub_i32 s27, s24, s0
	v_add_nc_u32_e32 v37, 4, v1
	v_lshlrev_b64 v[2:3], 3, v[1:2]
	v_add_nc_u32_e32 v38, s27, v1
	v_and_b32_e32 v34, 31, v0
	v_cmp_gt_u32_e64 s0, 32, v0
	v_mbcnt_lo_u32_b32 v36, -1, 0
	v_cmp_gt_u32_e64 s1, 8, v0
	v_add_co_u32 v32, vcc_lo, s2, v2
	s_waitcnt lgkmcnt(0)
	v_mul_lo_u32 v17, v1, s9
	v_add_co_ci_u32_e32 v33, vcc_lo, s3, v3, vcc_lo
	v_lshrrev_b32_e32 v35, 2, v0
	v_cmp_eq_u32_e64 s2, 0, v0
	s_cmp_lt_i32 s15, 1
	s_cbranch_scc1 .LBB263_39
; %bb.14:
	v_cmp_gt_u32_e32 vcc_lo, 16, v36
	v_mul_lo_u32 v18, v1, s9
	s_mov_b32 s16, 0
	v_cmp_ge_i32_e64 s3, s24, v37
	v_cmp_ge_i32_e64 s4, s24, v38
	v_cndmask_b32_e64 v2, 0, 1, vcc_lo
	v_cmp_gt_u32_e32 vcc_lo, 24, v36
	v_cmp_eq_u32_e64 s5, 0, v34
	v_lshlrev_b32_e32 v44, 3, v34
	v_ashrrev_i32_e32 v19, 31, v18
	v_dual_mov_b32 v27, 0 :: v_dual_lshlrev_b32 v2, 4, v2
	v_cndmask_b32_e64 v3, 0, 1, vcc_lo
	v_cmp_gt_u32_e32 vcc_lo, 28, v36
	v_and_b32_e32 v45, 56, v35
	s_delay_alu instid0(VALU_DEP_4)
	v_add_lshl_u32 v39, v2, v36, 2
	s_cmp_gt_i32 s27, 0
	v_lshlrev_b32_e32 v2, 3, v3
	v_cndmask_b32_e64 v4, 0, 1, vcc_lo
	v_cmp_gt_u32_e32 vcc_lo, 30, v36
	s_mov_b32 s29, s16
	s_cselect_b32 s37, -1, 0
	v_add_lshl_u32 v40, v2, v36, 2
	v_lshlrev_b32_e32 v1, 2, v4
	v_cndmask_b32_e64 v5, 0, 1, vcc_lo
	v_cmp_ne_u32_e32 vcc_lo, 31, v36
	s_lshl_b32 s38, s28, 2
	s_lshl_b32 s39, s28, 1
	v_add_lshl_u32 v41, v1, v36, 2
	v_lshlrev_b32_e32 v3, 1, v5
	v_add_nc_u32_e32 v1, s9, v18
	v_add_co_ci_u32_e32 v4, vcc_lo, 0, v36, vcc_lo
	v_lshlrev_b64 v[5:6], 3, v[18:19]
	s_delay_alu instid0(VALU_DEP_4) | instskip(NEXT) | instid1(VALU_DEP_4)
	v_add_lshl_u32 v42, v3, v36, 2
	v_add_nc_u32_e32 v3, s9, v1
	v_ashrrev_i32_e32 v2, 31, v1
	v_lshlrev_b32_e32 v43, 2, v4
	s_mov_b32 s40, s16
	v_add_co_u32 v19, vcc_lo, s12, v5
	v_add_nc_u32_e32 v7, s9, v3
	v_lshlrev_b64 v[1:2], 3, v[1:2]
	v_ashrrev_i32_e32 v4, 31, v3
	v_add_co_ci_u32_e32 v20, vcc_lo, s13, v6, vcc_lo
	s_delay_alu instid0(VALU_DEP_4) | instskip(SKIP_1) | instid1(VALU_DEP_3)
	v_ashrrev_i32_e32 v8, 31, v7
	s_mul_i32 s41, s28, 3
	v_lshlrev_b64 v[3:4], 3, v[3:4]
	v_add_co_u32 v21, vcc_lo, s12, v1
	v_add_co_ci_u32_e32 v22, vcc_lo, s13, v2, vcc_lo
	v_lshlrev_b64 v[1:2], 3, v[7:8]
	s_delay_alu instid0(VALU_DEP_4) | instskip(SKIP_2) | instid1(VALU_DEP_3)
	v_add_co_u32 v23, vcc_lo, s12, v3
	v_add_co_ci_u32_e32 v24, vcc_lo, s13, v4, vcc_lo
	s_mov_b32 s42, s16
	v_add_co_u32 v25, vcc_lo, s12, v1
	s_delay_alu instid0(VALU_DEP_4)
	v_add_co_ci_u32_e32 v26, vcc_lo, s13, v2, vcc_lo
	s_mov_b32 s30, 0
	s_mov_b64 s[34:35], s[28:29]
	s_mov_b32 s29, 0
                                        ; implicit-def: $vgpr1_vgpr2_vgpr3_vgpr4_vgpr5_vgpr6_vgpr7_vgpr8
	s_branch .LBB263_16
.LBB263_15:                             ;   in Loop: Header=BB263_16 Depth=1
	s_or_b32 exec_lo, exec_lo, s6
	s_add_i32 s29, s29, 4
	s_add_u32 s34, s34, s38
	s_addc_u32 s35, s35, 0
	s_add_u32 s39, s39, s38
	s_addc_u32 s40, s40, 0
	;; [unrolled: 2-line block ×3, first 2 shown]
	s_add_i32 s30, s30, s38
	s_cmp_ge_i32 s29, s15
	s_cbranch_scc1 .LBB263_40
.LBB263_16:                             ; =>This Loop Header: Depth=1
                                        ;     Child Loop BB263_22 Depth 2
                                        ;     Child Loop BB263_25 Depth 2
	;; [unrolled: 1-line block ×3, first 2 shown]
                                        ; implicit-def: $vgpr9_vgpr10_vgpr11_vgpr12_vgpr13_vgpr14_vgpr15_vgpr16
	s_and_saveexec_b32 s6, s3
	s_delay_alu instid0(SALU_CYCLE_1)
	s_xor_b32 s6, exec_lo, s6
	s_cbranch_execz .LBB263_18
; %bb.17:                               ;   in Loop: Header=BB263_16 Depth=1
	s_mul_i32 s18, s29, s28
	s_delay_alu instid0(SALU_CYCLE_1)
	s_ashr_i32 s19, s18, 31
	s_add_i32 s20, s18, s28
	s_lshl_b64 s[18:19], s[18:19], 3
	s_ashr_i32 s21, s20, 31
	v_add_co_u32 v7, vcc_lo, v32, s18
	v_add_co_ci_u32_e32 v8, vcc_lo, s19, v33, vcc_lo
	s_lshl_b64 s[18:19], s[20:21], 3
	s_add_i32 s20, s20, s28
	v_add_co_u32 v54, vcc_lo, v32, s18
	s_ashr_i32 s21, s20, 31
	s_add_i32 s18, s20, s28
	s_lshl_b64 s[20:21], s[20:21], 3
	v_add_co_ci_u32_e32 v55, vcc_lo, s19, v33, vcc_lo
	s_ashr_i32 s19, s18, 31
	v_add_co_u32 v58, vcc_lo, v32, s20
	s_lshl_b64 s[18:19], s[18:19], 3
	v_add_co_ci_u32_e32 v59, vcc_lo, s21, v33, vcc_lo
	v_add_co_u32 v62, vcc_lo, v32, s18
	v_add_co_ci_u32_e32 v63, vcc_lo, s19, v33, vcc_lo
	flat_load_b128 v[9:12], v[7:8]
	flat_load_b64 v[1:2], v[19:20]
	s_clause 0x2
	flat_load_b128 v[13:16], v[54:55]
	flat_load_b128 v[28:31], v[58:59]
	flat_load_b128 v[46:49], v[62:63]
	s_clause 0x1
	flat_load_b64 v[3:4], v[21:22]
	flat_load_b64 v[5:6], v[23:24]
	s_clause 0x3
	flat_load_b128 v[50:53], v[7:8] offset:16
	flat_load_b128 v[54:57], v[54:55] offset:16
	;; [unrolled: 1-line block ×4, first 2 shown]
	flat_load_b64 v[7:8], v[25:26]
	s_waitcnt vmcnt(10) lgkmcnt(10)
	v_fma_f64 v[9:10], v[1:2], v[9:10], 0
	s_waitcnt vmcnt(9) lgkmcnt(9)
	v_fma_f64 v[13:14], v[1:2], v[13:14], 0
	;; [unrolled: 2-line block ×4, first 2 shown]
	s_waitcnt vmcnt(6) lgkmcnt(6)
	s_delay_alu instid0(VALU_DEP_4) | instskip(NEXT) | instid1(VALU_DEP_4)
	v_fma_f64 v[9:10], v[3:4], v[11:12], v[9:10]
	v_fma_f64 v[11:12], v[3:4], v[15:16], v[13:14]
	s_delay_alu instid0(VALU_DEP_4) | instskip(NEXT) | instid1(VALU_DEP_4)
	v_fma_f64 v[13:14], v[3:4], v[30:31], v[28:29]
	v_fma_f64 v[15:16], v[3:4], v[48:49], v[46:47]
	s_waitcnt vmcnt(4) lgkmcnt(4)
	s_delay_alu instid0(VALU_DEP_4) | instskip(SKIP_1) | instid1(VALU_DEP_4)
	v_fma_f64 v[9:10], v[5:6], v[50:51], v[9:10]
	s_waitcnt vmcnt(3) lgkmcnt(3)
	v_fma_f64 v[11:12], v[5:6], v[54:55], v[11:12]
	s_waitcnt vmcnt(2) lgkmcnt(2)
	s_delay_alu instid0(VALU_DEP_4) | instskip(SKIP_1) | instid1(VALU_DEP_4)
	v_fma_f64 v[13:14], v[5:6], v[58:59], v[13:14]
	s_waitcnt vmcnt(1) lgkmcnt(1)
	v_fma_f64 v[15:16], v[5:6], v[62:63], v[15:16]
	s_waitcnt vmcnt(0) lgkmcnt(0)
	s_delay_alu instid0(VALU_DEP_4) | instskip(NEXT) | instid1(VALU_DEP_4)
	v_fma_f64 v[9:10], v[7:8], v[52:53], v[9:10]
	v_fma_f64 v[11:12], v[7:8], v[56:57], v[11:12]
	s_delay_alu instid0(VALU_DEP_4) | instskip(NEXT) | instid1(VALU_DEP_4)
	v_fma_f64 v[13:14], v[7:8], v[60:61], v[13:14]
	v_fma_f64 v[15:16], v[7:8], v[64:65], v[15:16]
.LBB263_18:                             ;   in Loop: Header=BB263_16 Depth=1
	s_and_not1_saveexec_b32 s43, s6
	s_cbranch_execz .LBB263_27
; %bb.19:                               ;   in Loop: Header=BB263_16 Depth=1
	s_mov_b32 s17, s16
	s_mov_b32 s18, s16
	;; [unrolled: 1-line block ×7, first 2 shown]
	v_dual_mov_b32 v9, s16 :: v_dual_mov_b32 v10, s17
	v_dual_mov_b32 v11, s18 :: v_dual_mov_b32 v12, s19
	;; [unrolled: 1-line block ×4, first 2 shown]
	s_and_saveexec_b32 s44, s4
	s_cbranch_execz .LBB263_26
; %bb.20:                               ;   in Loop: Header=BB263_16 Depth=1
	s_and_not1_b32 vcc_lo, exec_lo, s37
	s_cbranch_vccnz .LBB263_23
; %bb.21:                               ;   in Loop: Header=BB263_16 Depth=1
	v_mov_b32_e32 v9, v18
	s_mov_b64 s[18:19], 0
	s_set_inst_prefetch_distance 0x1
	.p2align	6
.LBB263_22:                             ;   Parent Loop BB263_16 Depth=1
                                        ; =>  This Inner Loop Header: Depth=2
	s_delay_alu instid0(VALU_DEP_1) | instskip(SKIP_1) | instid1(VALU_DEP_1)
	v_ashrrev_i32_e32 v10, 31, v9
	s_cmp_eq_u32 s18, 3
	v_lshlrev_b64 v[10:11], 3, v[9:10]
	s_delay_alu instid0(VALU_DEP_1) | instskip(NEXT) | instid1(VALU_DEP_2)
	v_add_co_u32 v10, vcc_lo, s12, v10
	v_add_co_ci_u32_e32 v11, vcc_lo, s13, v11, vcc_lo
	s_cselect_b32 vcc_lo, -1, 0
	s_cmp_eq_u32 s18, 2
	s_cselect_b32 s6, -1, 0
	flat_load_b64 v[10:11], v[10:11]
	s_cmp_eq_u32 s18, 1
	v_add_nc_u32_e32 v9, s9, v9
	s_cselect_b32 s7, -1, 0
	s_cmp_eq_u32 s18, 0
	s_cselect_b32 s8, -1, 0
	s_add_u32 s18, s18, 1
	s_addc_u32 s19, s19, 0
	s_cmp_eq_u32 s27, s18
	s_waitcnt vmcnt(0) lgkmcnt(0)
	v_dual_cndmask_b32 v8, v8, v11 :: v_dual_cndmask_b32 v7, v7, v10
	v_cndmask_b32_e64 v6, v6, v11, s6
	v_cndmask_b32_e64 v5, v5, v10, s6
	;; [unrolled: 1-line block ×6, first 2 shown]
	s_cbranch_scc0 .LBB263_22
.LBB263_23:                             ;   in Loop: Header=BB263_16 Depth=1
	s_set_inst_prefetch_distance 0x2
	s_mov_b32 s17, s16
	s_mov_b32 s18, s16
	;; [unrolled: 1-line block ×7, first 2 shown]
	v_dual_mov_b32 v9, s16 :: v_dual_mov_b32 v10, s17
	v_dual_mov_b32 v11, s18 :: v_dual_mov_b32 v12, s19
	;; [unrolled: 1-line block ×4, first 2 shown]
	s_and_not1_b32 vcc_lo, exec_lo, s37
	s_cbranch_vccnz .LBB263_26
; %bb.24:                               ;   in Loop: Header=BB263_16 Depth=1
	s_ashr_i32 s31, s30, 31
	v_mov_b32_e32 v9, 0
	v_mov_b32_e32 v10, 0
	s_lshl_b64 s[6:7], s[30:31], 3
	s_mov_b64 s[18:19], 0
	v_add_co_u32 v28, vcc_lo, v32, s6
	v_add_co_ci_u32_e32 v29, vcc_lo, s7, v33, vcc_lo
	v_dual_mov_b32 v12, v10 :: v_dual_mov_b32 v11, v9
	v_dual_mov_b32 v14, v10 :: v_dual_mov_b32 v13, v9
	;; [unrolled: 1-line block ×3, first 2 shown]
.LBB263_25:                             ;   Parent Loop BB263_16 Depth=1
                                        ; =>  This Inner Loop Header: Depth=2
	s_cmp_eq_u32 s18, 1
	s_cselect_b32 vcc_lo, -1, 0
	s_cmp_eq_u32 s18, 2
	v_dual_cndmask_b32 v30, v2, v4 :: v_dual_cndmask_b32 v53, v1, v3
	s_cselect_b32 s6, -1, 0
	s_cmp_eq_u32 s18, 3
	s_cselect_b32 s7, -1, 0
	s_add_i32 s20, s34, s18
	s_add_i32 s22, s39, s18
	s_ashr_i32 s21, s20, 31
	s_ashr_i32 s23, s22, 31
	s_lshl_b64 s[20:21], s[20:21], 3
	v_cndmask_b32_e64 v52, v30, v6, s6
	s_add_i32 s46, s41, s18
	v_add_co_u32 v30, s8, v32, s20
	s_lshl_b64 s[22:23], s[22:23], 3
	s_ashr_i32 s47, s46, 31
	v_add_co_ci_u32_e64 v31, s8, s21, v33, s8
	v_add_co_u32 v46, s8, v32, s22
	s_lshl_b64 s[46:47], s[46:47], 3
	v_add_co_ci_u32_e64 v47, s8, s23, v33, s8
	v_add_co_u32 v48, s8, v32, s46
	s_delay_alu instid0(VALU_DEP_1)
	v_add_co_ci_u32_e64 v49, s8, s47, v33, s8
	flat_load_b64 v[50:51], v[28:29]
	s_clause 0x2
	flat_load_b64 v[30:31], v[30:31]
	flat_load_b64 v[46:47], v[46:47]
	;; [unrolled: 1-line block ×3, first 2 shown]
	v_cndmask_b32_e64 v54, v53, v5, s6
	v_cndmask_b32_e64 v53, v52, v8, s7
	v_add_co_u32 v28, vcc_lo, v28, 8
	v_add_co_ci_u32_e32 v29, vcc_lo, 0, v29, vcc_lo
	s_delay_alu instid0(VALU_DEP_4)
	v_cndmask_b32_e64 v52, v54, v7, s7
	s_add_u32 s18, s18, 1
	s_addc_u32 s19, s19, 0
	s_cmp_lg_u32 s27, s18
	s_waitcnt vmcnt(3) lgkmcnt(3)
	v_fma_f64 v[9:10], v[52:53], v[50:51], v[9:10]
	s_waitcnt vmcnt(2) lgkmcnt(2)
	v_fma_f64 v[11:12], v[52:53], v[30:31], v[11:12]
	;; [unrolled: 2-line block ×4, first 2 shown]
	s_cbranch_scc1 .LBB263_25
.LBB263_26:                             ;   in Loop: Header=BB263_16 Depth=1
	s_or_b32 exec_lo, exec_lo, s44
.LBB263_27:                             ;   in Loop: Header=BB263_16 Depth=1
	s_delay_alu instid0(SALU_CYCLE_1)
	s_or_b32 exec_lo, exec_lo, s43
	s_mov_b64 s[6:7], 0
	s_branch .LBB263_29
.LBB263_28:                             ;   in Loop: Header=BB263_29 Depth=2
	s_or_b32 exec_lo, exec_lo, s8
	s_cmp_eq_u32 s6, 3
	s_cselect_b32 vcc_lo, -1, 0
	s_cmp_eq_u32 s6, 2
	s_waitcnt lgkmcnt(0)
	s_delay_alu instid0(VALU_DEP_1)
	v_dual_cndmask_b32 v16, v16, v29 :: v_dual_cndmask_b32 v15, v15, v28
	s_cselect_b32 vcc_lo, -1, 0
	s_cmp_eq_u32 s6, 1
	v_dual_cndmask_b32 v14, v14, v29 :: v_dual_cndmask_b32 v13, v13, v28
	s_cselect_b32 vcc_lo, -1, 0
	s_cmp_eq_u32 s6, 0
	v_dual_cndmask_b32 v12, v12, v29 :: v_dual_cndmask_b32 v11, v11, v28
	s_cselect_b32 vcc_lo, -1, 0
	s_add_u32 s6, s6, 1
	v_dual_cndmask_b32 v10, v10, v29 :: v_dual_cndmask_b32 v9, v9, v28
	s_addc_u32 s7, s7, 0
	s_cmp_eq_u32 s6, 4
	s_cbranch_scc1 .LBB263_37
.LBB263_29:                             ;   Parent Loop BB263_16 Depth=1
                                        ; =>  This Inner Loop Header: Depth=2
	s_and_saveexec_b32 s8, s0
	s_cbranch_execz .LBB263_31
; %bb.30:                               ;   in Loop: Header=BB263_29 Depth=2
	v_mov_b32_e32 v28, v27
	ds_store_b64 v44, v[27:28]
.LBB263_31:                             ;   in Loop: Header=BB263_29 Depth=2
	s_or_b32 exec_lo, exec_lo, s8
	s_cmp_eq_u32 s6, 1
	s_waitcnt lgkmcnt(0)
	s_waitcnt_vscnt null, 0x0
	s_cselect_b32 vcc_lo, -1, 0
	s_cmp_eq_u32 s6, 2
	s_delay_alu instid0(VALU_DEP_1) | instskip(SKIP_3) | instid1(VALU_DEP_1)
	v_dual_cndmask_b32 v28, v10, v12 :: v_dual_cndmask_b32 v29, v9, v11
	s_cselect_b32 vcc_lo, -1, 0
	s_cmp_eq_u32 s6, 3
	s_barrier
	v_cndmask_b32_e32 v28, v28, v14, vcc_lo
	s_delay_alu instid0(VALU_DEP_4)
	v_cndmask_b32_e32 v30, v29, v13, vcc_lo
	s_cselect_b32 vcc_lo, -1, 0
	buffer_gl0_inv
	v_dual_cndmask_b32 v29, v28, v16 :: v_dual_cndmask_b32 v28, v30, v15
	ds_bpermute_b32 v31, v39, v29
	ds_bpermute_b32 v30, v39, v28
	s_waitcnt lgkmcnt(0)
	v_add_f64 v[28:29], v[28:29], v[30:31]
	ds_bpermute_b32 v30, v40, v28
	ds_bpermute_b32 v31, v40, v29
	s_waitcnt lgkmcnt(0)
	v_add_f64 v[28:29], v[28:29], v[30:31]
	;; [unrolled: 4-line block ×4, first 2 shown]
	ds_bpermute_b32 v30, v43, v28
	ds_bpermute_b32 v31, v43, v29
	s_and_saveexec_b32 s8, s5
	s_cbranch_execz .LBB263_33
; %bb.32:                               ;   in Loop: Header=BB263_29 Depth=2
	s_waitcnt lgkmcnt(0)
	v_add_f64 v[28:29], v[28:29], v[30:31]
	ds_store_b64 v45, v[28:29]
.LBB263_33:                             ;   in Loop: Header=BB263_29 Depth=2
	s_or_b32 exec_lo, exec_lo, s8
	v_mov_b32_e32 v28, 0
	v_mov_b32_e32 v29, 0
	s_waitcnt lgkmcnt(0)
	s_barrier
	buffer_gl0_inv
	s_and_saveexec_b32 s8, s1
	s_cbranch_execz .LBB263_35
; %bb.34:                               ;   in Loop: Header=BB263_29 Depth=2
	ds_load_b64 v[28:29], v44
.LBB263_35:                             ;   in Loop: Header=BB263_29 Depth=2
	s_or_b32 exec_lo, exec_lo, s8
	s_and_saveexec_b32 s8, s0
	s_cbranch_execz .LBB263_28
; %bb.36:                               ;   in Loop: Header=BB263_29 Depth=2
	s_waitcnt lgkmcnt(0)
	ds_bpermute_b32 v30, v41, v28
	ds_bpermute_b32 v31, v41, v29
	s_waitcnt lgkmcnt(0)
	v_add_f64 v[28:29], v[28:29], v[30:31]
	ds_bpermute_b32 v30, v42, v28
	ds_bpermute_b32 v31, v42, v29
	s_waitcnt lgkmcnt(0)
	v_add_f64 v[28:29], v[28:29], v[30:31]
	ds_bpermute_b32 v30, v43, v28
	ds_bpermute_b32 v31, v43, v29
	s_waitcnt lgkmcnt(0)
	v_add_f64 v[28:29], v[28:29], v[30:31]
	s_branch .LBB263_28
.LBB263_37:                             ;   in Loop: Header=BB263_16 Depth=1
	s_and_saveexec_b32 s6, s2
	s_cbranch_execz .LBB263_15
; %bb.38:                               ;   in Loop: Header=BB263_16 Depth=1
	v_mul_f64 v[9:10], v[9:10], s[10:11]
	v_mul_f64 v[11:12], v[11:12], s[10:11]
	;; [unrolled: 1-line block ×4, first 2 shown]
	s_mul_i32 s7, s29, s26
	s_mov_b32 s19, s16
	s_add_i32 s18, s7, s14
	s_delay_alu instid0(SALU_CYCLE_1) | instskip(NEXT) | instid1(SALU_CYCLE_1)
	s_lshl_b64 s[20:21], s[18:19], 3
	s_add_u32 s20, s33, s20
	s_addc_u32 s21, s36, s21
	s_add_i32 s18, s18, s26
	s_delay_alu instid0(SALU_CYCLE_1) | instskip(NEXT) | instid1(SALU_CYCLE_1)
	s_lshl_b64 s[22:23], s[18:19], 3
	s_add_u32 s22, s33, s22
	s_addc_u32 s23, s36, s23
	;; [unrolled: 5-line block ×4, first 2 shown]
	s_clause 0x3
	global_store_b64 v27, v[9:10], s[20:21]
	global_store_b64 v27, v[11:12], s[22:23]
	;; [unrolled: 1-line block ×4, first 2 shown]
	s_branch .LBB263_15
.LBB263_39:
	s_mov_b32 s29, 0
                                        ; implicit-def: $vgpr1_vgpr2_vgpr3_vgpr4_vgpr5_vgpr6_vgpr7_vgpr8
.LBB263_40:
	s_delay_alu instid0(SALU_CYCLE_1)
	s_cmp_ge_i32 s29, s25
	s_cbranch_scc1 .LBB263_64
; %bb.41:
	v_cmp_gt_u32_e32 vcc_lo, 16, v36
	v_ashrrev_i32_e32 v18, 31, v17
	s_cmp_gt_i32 s27, 0
	s_mov_b32 s15, 0
	v_cmp_ge_i32_e64 s0, s24, v37
	v_cndmask_b32_e64 v9, 0, 1, vcc_lo
	v_cmp_gt_u32_e32 vcc_lo, 24, v36
	v_cmp_ge_i32_e64 s1, s24, v38
	s_cselect_b32 s20, -1, 0
	v_cmp_gt_u32_e64 s2, 32, v0
	v_lshlrev_b32_e32 v9, 4, v9
	v_cndmask_b32_e64 v10, 0, 1, vcc_lo
	v_cmp_gt_u32_e32 vcc_lo, 28, v36
	v_lshlrev_b32_e32 v24, 3, v34
	v_cmp_eq_u32_e64 s3, 0, v34
	v_add_lshl_u32 v25, v9, v36, 2
	v_add_nc_u32_e32 v9, s9, v17
	v_cndmask_b32_e64 v11, 0, 1, vcc_lo
	v_cmp_gt_u32_e32 vcc_lo, 30, v36
	v_lshlrev_b32_e32 v10, 3, v10
	v_and_b32_e32 v30, 56, v35
	v_cmp_gt_u32_e64 s4, 8, v0
	v_lshlrev_b32_e32 v11, 2, v11
	v_cndmask_b32_e64 v12, 0, 1, vcc_lo
	v_cmp_ne_u32_e32 vcc_lo, 31, v36
	v_add_lshl_u32 v26, v10, v36, 2
	v_ashrrev_i32_e32 v10, 31, v9
	v_add_lshl_u32 v27, v11, v36, 2
	v_add_nc_u32_e32 v11, s9, v9
	v_add_co_ci_u32_e32 v13, vcc_lo, 0, v36, vcc_lo
	v_lshlrev_b32_e32 v12, 1, v12
	v_lshlrev_b64 v[15:16], 3, v[9:10]
	v_cmp_eq_u32_e64 s5, 0, v0
	s_delay_alu instid0(VALU_DEP_4)
	v_lshlrev_b32_e32 v29, 2, v13
	v_lshlrev_b64 v[13:14], 3, v[17:18]
	v_add_nc_u32_e32 v18, s9, v11
	v_add_lshl_u32 v28, v12, v36, 2
	v_ashrrev_i32_e32 v12, 31, v11
	s_lshl_b64 s[6:7], s[14:15], 3
	s_mul_i32 s16, s29, s28
	v_add_co_u32 v9, vcc_lo, s12, v13
	v_ashrrev_i32_e32 v19, 31, v18
	v_add_co_ci_u32_e32 v10, vcc_lo, s13, v14, vcc_lo
	v_lshlrev_b64 v[13:14], 3, v[11:12]
	v_add_co_u32 v11, vcc_lo, s12, v15
	v_add_co_ci_u32_e32 v12, vcc_lo, s13, v16, vcc_lo
	v_lshlrev_b64 v[15:16], 3, v[18:19]
	v_mov_b32_e32 v18, 0
	v_add_co_u32 v13, vcc_lo, s12, v13
	v_add_co_ci_u32_e32 v14, vcc_lo, s13, v14, vcc_lo
	s_delay_alu instid0(VALU_DEP_4)
	v_add_co_u32 v15, vcc_lo, s12, v15
	v_add_co_ci_u32_e32 v16, vcc_lo, s13, v16, vcc_lo
	s_add_u32 s14, s33, s6
	s_addc_u32 s21, s36, s7
	s_branch .LBB263_43
.LBB263_42:                             ;   in Loop: Header=BB263_43 Depth=1
	s_or_b32 exec_lo, exec_lo, s6
	s_add_i32 s29, s29, 1
	s_add_i32 s16, s16, s28
	s_cmp_ge_i32 s29, s25
	s_cbranch_scc1 .LBB263_64
.LBB263_43:                             ; =>This Loop Header: Depth=1
                                        ;     Child Loop BB263_56 Depth 2
                                        ;     Child Loop BB263_59 Depth 2
	s_waitcnt lgkmcnt(0)
	v_dual_mov_b32 v20, s15 :: v_dual_mov_b32 v21, s15
	s_and_saveexec_b32 s6, s0
	s_delay_alu instid0(SALU_CYCLE_1)
	s_xor_b32 s6, exec_lo, s6
	s_cbranch_execnz .LBB263_52
; %bb.44:                               ;   in Loop: Header=BB263_43 Depth=1
	s_and_not1_saveexec_b32 s22, s6
	s_cbranch_execnz .LBB263_53
.LBB263_45:                             ;   in Loop: Header=BB263_43 Depth=1
	s_or_b32 exec_lo, exec_lo, s22
	s_and_saveexec_b32 s6, s2
	s_cbranch_execz .LBB263_47
.LBB263_46:                             ;   in Loop: Header=BB263_43 Depth=1
	v_mov_b32_e32 v19, v18
	ds_store_b64 v24, v[18:19]
.LBB263_47:                             ;   in Loop: Header=BB263_43 Depth=1
	s_or_b32 exec_lo, exec_lo, s6
	ds_bpermute_b32 v22, v25, v20
	ds_bpermute_b32 v23, v25, v21
	s_waitcnt lgkmcnt(0)
	s_waitcnt_vscnt null, 0x0
	s_barrier
	buffer_gl0_inv
	v_add_f64 v[19:20], v[20:21], v[22:23]
	ds_bpermute_b32 v21, v26, v19
	ds_bpermute_b32 v22, v26, v20
	s_waitcnt lgkmcnt(0)
	v_add_f64 v[19:20], v[19:20], v[21:22]
	ds_bpermute_b32 v21, v27, v19
	ds_bpermute_b32 v22, v27, v20
	s_waitcnt lgkmcnt(0)
	;; [unrolled: 4-line block ×3, first 2 shown]
	v_add_f64 v[19:20], v[19:20], v[21:22]
	ds_bpermute_b32 v21, v29, v19
	ds_bpermute_b32 v22, v29, v20
	s_and_saveexec_b32 s6, s3
	s_cbranch_execz .LBB263_49
; %bb.48:                               ;   in Loop: Header=BB263_43 Depth=1
	s_waitcnt lgkmcnt(0)
	v_add_f64 v[19:20], v[19:20], v[21:22]
	ds_store_b64 v30, v[19:20]
.LBB263_49:                             ;   in Loop: Header=BB263_43 Depth=1
	s_or_b32 exec_lo, exec_lo, s6
	v_mov_b32_e32 v19, 0
	v_mov_b32_e32 v20, 0
	s_waitcnt lgkmcnt(0)
	s_barrier
	buffer_gl0_inv
	s_and_saveexec_b32 s6, s4
	s_cbranch_execnz .LBB263_61
; %bb.50:                               ;   in Loop: Header=BB263_43 Depth=1
	s_or_b32 exec_lo, exec_lo, s6
	s_and_saveexec_b32 s6, s2
	s_cbranch_execnz .LBB263_62
.LBB263_51:                             ;   in Loop: Header=BB263_43 Depth=1
	s_or_b32 exec_lo, exec_lo, s6
	s_and_saveexec_b32 s6, s5
	s_cbranch_execz .LBB263_42
	s_branch .LBB263_63
.LBB263_52:                             ;   in Loop: Header=BB263_43 Depth=1
	s_mul_i32 s18, s29, s28
	s_delay_alu instid0(SALU_CYCLE_1) | instskip(NEXT) | instid1(SALU_CYCLE_1)
	s_ashr_i32 s19, s18, 31
	s_lshl_b64 s[18:19], s[18:19], 3
	s_delay_alu instid0(SALU_CYCLE_1)
	v_add_co_u32 v5, vcc_lo, v32, s18
	v_add_co_ci_u32_e32 v6, vcc_lo, s19, v33, vcc_lo
	flat_load_b128 v[19:22], v[5:6]
	s_clause 0x1
	flat_load_b64 v[1:2], v[9:10]
	flat_load_b64 v[3:4], v[11:12]
	flat_load_b128 v[34:37], v[5:6] offset:16
	s_clause 0x1
	flat_load_b64 v[5:6], v[13:14]
	flat_load_b64 v[7:8], v[15:16]
	s_waitcnt vmcnt(4) lgkmcnt(4)
	v_fma_f64 v[19:20], v[1:2], v[19:20], 0
	s_waitcnt vmcnt(3) lgkmcnt(3)
	s_delay_alu instid0(VALU_DEP_1) | instskip(SKIP_1) | instid1(VALU_DEP_1)
	v_fma_f64 v[19:20], v[3:4], v[21:22], v[19:20]
	s_waitcnt vmcnt(1) lgkmcnt(1)
	v_fma_f64 v[19:20], v[5:6], v[34:35], v[19:20]
	s_waitcnt vmcnt(0) lgkmcnt(0)
	s_delay_alu instid0(VALU_DEP_1)
	v_fma_f64 v[20:21], v[7:8], v[36:37], v[19:20]
	s_and_not1_saveexec_b32 s22, s6
	s_cbranch_execz .LBB263_45
.LBB263_53:                             ;   in Loop: Header=BB263_43 Depth=1
	s_and_saveexec_b32 s23, s1
	s_cbranch_execz .LBB263_60
; %bb.54:                               ;   in Loop: Header=BB263_43 Depth=1
	s_and_not1_b32 vcc_lo, exec_lo, s20
	s_cbranch_vccnz .LBB263_57
; %bb.55:                               ;   in Loop: Header=BB263_43 Depth=1
	v_mov_b32_e32 v22, v17
	s_mov_b64 s[18:19], 0
	s_set_inst_prefetch_distance 0x1
	.p2align	6
.LBB263_56:                             ;   Parent Loop BB263_43 Depth=1
                                        ; =>  This Inner Loop Header: Depth=2
	s_delay_alu instid0(VALU_DEP_1) | instskip(SKIP_1) | instid1(VALU_DEP_1)
	v_ashrrev_i32_e32 v23, 31, v22
	s_cmp_eq_u32 s18, 3
	v_lshlrev_b64 v[34:35], 3, v[22:23]
	v_add_nc_u32_e32 v22, s9, v22
	s_delay_alu instid0(VALU_DEP_2) | instskip(NEXT) | instid1(VALU_DEP_3)
	v_add_co_u32 v34, vcc_lo, s12, v34
	v_add_co_ci_u32_e32 v35, vcc_lo, s13, v35, vcc_lo
	s_cselect_b32 vcc_lo, -1, 0
	s_cmp_eq_u32 s18, 2
	s_cselect_b32 s6, -1, 0
	flat_load_b64 v[34:35], v[34:35]
	s_cmp_eq_u32 s18, 1
	s_cselect_b32 s7, -1, 0
	s_cmp_eq_u32 s18, 0
	s_cselect_b32 s8, -1, 0
	s_add_u32 s18, s18, 1
	s_addc_u32 s19, s19, 0
	s_cmp_eq_u32 s27, s18
	s_waitcnt vmcnt(0) lgkmcnt(0)
	v_dual_cndmask_b32 v8, v8, v35 :: v_dual_cndmask_b32 v7, v7, v34
	v_cndmask_b32_e64 v6, v6, v35, s6
	v_cndmask_b32_e64 v5, v5, v34, s6
	;; [unrolled: 1-line block ×6, first 2 shown]
	s_cbranch_scc0 .LBB263_56
.LBB263_57:                             ;   in Loop: Header=BB263_43 Depth=1
	s_set_inst_prefetch_distance 0x2
	s_and_not1_b32 vcc_lo, exec_lo, s20
	s_cbranch_vccnz .LBB263_60
; %bb.58:                               ;   in Loop: Header=BB263_43 Depth=1
	s_ashr_i32 s17, s16, 31
	s_delay_alu instid0(SALU_CYCLE_1) | instskip(NEXT) | instid1(SALU_CYCLE_1)
	s_lshl_b64 s[6:7], s[16:17], 3
	v_add_co_u32 v22, vcc_lo, v32, s6
	v_add_co_ci_u32_e32 v23, vcc_lo, s7, v33, vcc_lo
	s_mov_b64 s[6:7], 0
	.p2align	6
.LBB263_59:                             ;   Parent Loop BB263_43 Depth=1
                                        ; =>  This Inner Loop Header: Depth=2
	flat_load_b64 v[34:35], v[22:23]
	s_cmp_eq_u32 s6, 1
	s_cselect_b32 vcc_lo, -1, 0
	s_cmp_eq_u32 s6, 2
	v_dual_cndmask_b32 v0, v2, v4 :: v_dual_cndmask_b32 v19, v1, v3
	s_cselect_b32 vcc_lo, -1, 0
	s_cmp_eq_u32 s6, 3
	s_delay_alu instid0(VALU_DEP_1) | instskip(SKIP_3) | instid1(VALU_DEP_1)
	v_dual_cndmask_b32 v0, v0, v6 :: v_dual_cndmask_b32 v19, v19, v5
	s_cselect_b32 vcc_lo, -1, 0
	s_add_u32 s6, s6, 1
	s_addc_u32 s7, s7, 0
	v_dual_cndmask_b32 v37, v0, v8 :: v_dual_cndmask_b32 v36, v19, v7
	v_add_co_u32 v22, vcc_lo, v22, 8
	v_add_co_ci_u32_e32 v23, vcc_lo, 0, v23, vcc_lo
	s_cmp_lg_u32 s27, s6
	s_waitcnt vmcnt(0) lgkmcnt(0)
	v_fma_f64 v[20:21], v[36:37], v[34:35], v[20:21]
	s_cbranch_scc1 .LBB263_59
.LBB263_60:                             ;   in Loop: Header=BB263_43 Depth=1
	s_or_b32 exec_lo, exec_lo, s23
	s_delay_alu instid0(SALU_CYCLE_1)
	s_or_b32 exec_lo, exec_lo, s22
	s_and_saveexec_b32 s6, s2
	s_cbranch_execnz .LBB263_46
	s_branch .LBB263_47
.LBB263_61:                             ;   in Loop: Header=BB263_43 Depth=1
	ds_load_b64 v[19:20], v24
	s_or_b32 exec_lo, exec_lo, s6
	s_and_saveexec_b32 s6, s2
	s_cbranch_execz .LBB263_51
.LBB263_62:                             ;   in Loop: Header=BB263_43 Depth=1
	s_waitcnt lgkmcnt(0)
	ds_bpermute_b32 v21, v27, v19
	ds_bpermute_b32 v22, v27, v20
	s_waitcnt lgkmcnt(0)
	v_add_f64 v[19:20], v[19:20], v[21:22]
	ds_bpermute_b32 v21, v28, v19
	ds_bpermute_b32 v22, v28, v20
	s_waitcnt lgkmcnt(0)
	v_add_f64 v[19:20], v[19:20], v[21:22]
	;; [unrolled: 4-line block ×3, first 2 shown]
	s_or_b32 exec_lo, exec_lo, s6
	s_and_saveexec_b32 s6, s5
	s_cbranch_execz .LBB263_42
.LBB263_63:                             ;   in Loop: Header=BB263_43 Depth=1
	s_waitcnt lgkmcnt(0)
	s_delay_alu instid0(VALU_DEP_1) | instskip(SKIP_2) | instid1(SALU_CYCLE_1)
	v_mul_f64 v[19:20], v[19:20], s[10:11]
	s_mul_hi_u32 s19, s29, s26
	s_mul_i32 s18, s29, s26
	s_lshl_b64 s[18:19], s[18:19], 3
	s_delay_alu instid0(SALU_CYCLE_1)
	s_add_u32 s18, s14, s18
	s_addc_u32 s19, s21, s19
	global_store_b64 v18, v[19:20], s[18:19]
	s_branch .LBB263_42
.LBB263_64:
	s_nop 0
	s_sendmsg sendmsg(MSG_DEALLOC_VGPRS)
	s_endpgm
	.section	.rodata,"a",@progbits
	.p2align	6, 0x0
	.amdhsa_kernel _ZL23rocblas_gemvt_sn_kernelILb0ELi256ELi4EiPKdddEviiT4_lPKT3_lilS5_lilPT5_i
		.amdhsa_group_segment_fixed_size 256
		.amdhsa_private_segment_fixed_size 0
		.amdhsa_kernarg_size 360
		.amdhsa_user_sgpr_count 14
		.amdhsa_user_sgpr_dispatch_ptr 0
		.amdhsa_user_sgpr_queue_ptr 0
		.amdhsa_user_sgpr_kernarg_segment_ptr 1
		.amdhsa_user_sgpr_dispatch_id 0
		.amdhsa_user_sgpr_private_segment_size 0
		.amdhsa_wavefront_size32 1
		.amdhsa_uses_dynamic_stack 0
		.amdhsa_enable_private_segment 0
		.amdhsa_system_sgpr_workgroup_id_x 1
		.amdhsa_system_sgpr_workgroup_id_y 0
		.amdhsa_system_sgpr_workgroup_id_z 1
		.amdhsa_system_sgpr_workgroup_info 0
		.amdhsa_system_vgpr_workitem_id 0
		.amdhsa_next_free_vgpr 66
		.amdhsa_next_free_sgpr 48
		.amdhsa_reserve_vcc 1
		.amdhsa_float_round_mode_32 0
		.amdhsa_float_round_mode_16_64 0
		.amdhsa_float_denorm_mode_32 3
		.amdhsa_float_denorm_mode_16_64 3
		.amdhsa_dx10_clamp 1
		.amdhsa_ieee_mode 1
		.amdhsa_fp16_overflow 0
		.amdhsa_workgroup_processor_mode 1
		.amdhsa_memory_ordered 1
		.amdhsa_forward_progress 0
		.amdhsa_shared_vgpr_count 0
		.amdhsa_exception_fp_ieee_invalid_op 0
		.amdhsa_exception_fp_denorm_src 0
		.amdhsa_exception_fp_ieee_div_zero 0
		.amdhsa_exception_fp_ieee_overflow 0
		.amdhsa_exception_fp_ieee_underflow 0
		.amdhsa_exception_fp_ieee_inexact 0
		.amdhsa_exception_int_div_zero 0
	.end_amdhsa_kernel
	.section	.text._ZL23rocblas_gemvt_sn_kernelILb0ELi256ELi4EiPKdddEviiT4_lPKT3_lilS5_lilPT5_i,"axG",@progbits,_ZL23rocblas_gemvt_sn_kernelILb0ELi256ELi4EiPKdddEviiT4_lPKT3_lilS5_lilPT5_i,comdat
.Lfunc_end263:
	.size	_ZL23rocblas_gemvt_sn_kernelILb0ELi256ELi4EiPKdddEviiT4_lPKT3_lilS5_lilPT5_i, .Lfunc_end263-_ZL23rocblas_gemvt_sn_kernelILb0ELi256ELi4EiPKdddEviiT4_lPKT3_lilS5_lilPT5_i
                                        ; -- End function
	.section	.AMDGPU.csdata,"",@progbits
; Kernel info:
; codeLenInByte = 4016
; NumSgprs: 50
; NumVgprs: 66
; ScratchSize: 0
; MemoryBound: 1
; FloatMode: 240
; IeeeMode: 1
; LDSByteSize: 256 bytes/workgroup (compile time only)
; SGPRBlocks: 6
; VGPRBlocks: 8
; NumSGPRsForWavesPerEU: 50
; NumVGPRsForWavesPerEU: 66
; Occupancy: 16
; WaveLimiterHint : 0
; COMPUTE_PGM_RSRC2:SCRATCH_EN: 0
; COMPUTE_PGM_RSRC2:USER_SGPR: 14
; COMPUTE_PGM_RSRC2:TRAP_HANDLER: 0
; COMPUTE_PGM_RSRC2:TGID_X_EN: 1
; COMPUTE_PGM_RSRC2:TGID_Y_EN: 0
; COMPUTE_PGM_RSRC2:TGID_Z_EN: 1
; COMPUTE_PGM_RSRC2:TIDIG_COMP_CNT: 0
	.section	.text._ZL23rocblas_gemvt_sn_kernelILb0ELi256ELi4ElPKdddEviiT4_lPKT3_lilS5_lilPT5_i,"axG",@progbits,_ZL23rocblas_gemvt_sn_kernelILb0ELi256ELi4ElPKdddEviiT4_lPKT3_lilS5_lilPT5_i,comdat
	.globl	_ZL23rocblas_gemvt_sn_kernelILb0ELi256ELi4ElPKdddEviiT4_lPKT3_lilS5_lilPT5_i ; -- Begin function _ZL23rocblas_gemvt_sn_kernelILb0ELi256ELi4ElPKdddEviiT4_lPKT3_lilS5_lilPT5_i
	.p2align	8
	.type	_ZL23rocblas_gemvt_sn_kernelILb0ELi256ELi4ElPKdddEviiT4_lPKT3_lilS5_lilPT5_i,@function
_ZL23rocblas_gemvt_sn_kernelILb0ELi256ELi4ElPKdddEviiT4_lPKT3_lilS5_lilPT5_i: ; @_ZL23rocblas_gemvt_sn_kernelILb0ELi256ELi4ElPKdddEviiT4_lPKT3_lilS5_lilPT5_i
; %bb.0:
	s_load_b64 s[10:11], s[0:1], 0x8
	s_mov_b32 s2, s15
	s_mov_b64 s[28:29], 0
	s_waitcnt lgkmcnt(0)
	v_cmp_neq_f64_e64 s5, s[10:11], 0
	v_cmp_eq_f64_e64 s4, s[10:11], 0
	s_delay_alu instid0(VALU_DEP_2)
	s_and_b32 vcc_lo, exec_lo, s5
	s_cbranch_vccnz .LBB264_2
; %bb.1:
	s_mov_b32 s3, 0
	s_cbranch_execz .LBB264_3
	s_branch .LBB264_4
.LBB264_2:
	s_mov_b32 s3, -1
                                        ; implicit-def: $sgpr28_sgpr29
.LBB264_3:
	s_load_b128 s[16:19], s[0:1], 0x18
	s_mov_b32 s3, 0
	s_delay_alu instid0(SALU_CYCLE_1)
	s_lshl_b64 s[6:7], s[2:3], 3
	s_waitcnt lgkmcnt(0)
	s_add_u32 s6, s16, s6
	s_addc_u32 s7, s17, s7
	s_lshl_b64 s[8:9], s[18:19], 3
	s_load_b64 s[6:7], s[6:7], 0x0
	s_waitcnt lgkmcnt(0)
	s_add_u32 s28, s6, s8
	s_addc_u32 s29, s7, s9
.LBB264_4:
	s_and_not1_b32 vcc_lo, exec_lo, s5
	s_cbranch_vccnz .LBB264_6
; %bb.5:
	s_load_b128 s[16:19], s[0:1], 0x38
	s_lshl_b64 s[6:7], s[2:3], 3
	s_waitcnt lgkmcnt(0)
	s_add_u32 s6, s16, s6
	s_addc_u32 s7, s17, s7
	s_lshl_b64 s[8:9], s[18:19], 3
	s_load_b64 s[6:7], s[6:7], 0x0
	s_waitcnt lgkmcnt(0)
	s_add_u32 s30, s6, s8
	s_addc_u32 s31, s7, s9
	s_branch .LBB264_7
.LBB264_6:
	s_mov_b64 s[30:31], 0
.LBB264_7:
	s_clause 0x2
	s_load_b64 s[12:13], s[0:1], 0x0
	s_load_b32 s24, s[0:1], 0x68
	s_load_b64 s[8:9], s[0:1], 0x58
	s_mov_b32 s25, 0
	s_waitcnt lgkmcnt(0)
	s_ashr_i32 s6, s13, 31
	s_mul_hi_u32 s5, s2, s13
	s_mul_i32 s7, s2, s6
	s_mul_i32 s3, s3, s13
	s_add_i32 s5, s5, s7
	s_mul_i32 s2, s2, s13
	s_add_i32 s3, s5, s3
	s_mul_hi_u32 s5, s2, s24
	s_mul_i32 s3, s3, s24
	s_mul_i32 s2, s2, s24
	s_add_i32 s3, s5, s3
	s_delay_alu instid0(SALU_CYCLE_1) | instskip(NEXT) | instid1(SALU_CYCLE_1)
	s_lshl_b64 s[2:3], s[2:3], 3
	s_add_u32 s44, s8, s2
	s_addc_u32 s45, s9, s3
	s_delay_alu instid0(VALU_DEP_1)
	s_and_not1_b32 vcc_lo, exec_lo, s4
	s_mov_b32 s2, -1
	s_cbranch_vccnz .LBB264_12
; %bb.8:
	v_cmp_eq_u32_e32 vcc_lo, 0, v0
	s_cmp_gt_i32 s13, 0
	s_cselect_b32 s2, -1, 0
	s_delay_alu instid0(SALU_CYCLE_1) | instskip(NEXT) | instid1(SALU_CYCLE_1)
	s_and_b32 s2, vcc_lo, s2
	s_and_saveexec_b32 s7, s2
	s_cbranch_execz .LBB264_11
; %bb.9:
	v_mov_b32_e32 v1, 0
	s_mov_b32 s15, 0
	s_mov_b32 s8, s13
	s_lshl_b64 s[2:3], s[14:15], 3
	s_delay_alu instid0(SALU_CYCLE_1)
	s_add_u32 s2, s44, s2
	v_mov_b32_e32 v2, v1
	s_addc_u32 s3, s45, s3
	s_lshl_b64 s[4:5], s[24:25], 3
.LBB264_10:                             ; =>This Inner Loop Header: Depth=1
	s_add_i32 s8, s8, -1
	global_store_b64 v1, v[1:2], s[2:3]
	s_add_u32 s2, s2, s4
	s_addc_u32 s3, s3, s5
	s_cmp_eq_u32 s8, 0
	s_cbranch_scc0 .LBB264_10
.LBB264_11:
	s_or_b32 exec_lo, exec_lo, s7
	s_mov_b32 s2, 0
.LBB264_12:
	s_delay_alu instid0(SALU_CYCLE_1)
	s_and_not1_b32 vcc_lo, exec_lo, s2
	s_cbranch_vccnz .LBB264_64
; %bb.13:
	s_lshl_b32 s2, s14, 10
	s_clause 0x1
	s_load_b32 s26, s[0:1], 0x28
	s_load_b32 s34, s[0:1], 0x48
	v_lshl_or_b32 v21, v0, 2, s2
	s_ashr_i32 s2, s12, 31
	s_lshr_b32 s1, s6, 30
	s_lshr_b32 s0, s2, 30
	s_add_i32 s1, s13, s1
	v_ashrrev_i32_e32 v22, 31, v21
	s_add_i32 s0, s12, s0
	s_and_b32 s46, s1, -4
	s_and_b32 s0, s0, -4
	v_add_nc_u32_e32 v44, 4, v21
	v_lshlrev_b64 v[19:20], 3, v[21:22]
	s_sub_i32 s25, s12, s0
	v_and_b32_e32 v41, 31, v0
	v_add_nc_u32_e32 v45, s25, v21
	v_cmp_gt_u32_e64 s0, 32, v0
	v_mbcnt_lo_u32_b32 v43, -1, 0
	v_add_co_u32 v17, vcc_lo, s28, v19
	v_add_co_ci_u32_e32 v18, vcc_lo, s29, v20, vcc_lo
	v_cmp_gt_u32_e64 s1, 8, v0
	v_lshrrev_b32_e32 v42, 2, v0
	v_cmp_eq_u32_e64 s2, 0, v0
	v_or_b32_e32 v40, 1, v21
	v_or_b32_e32 v39, 2, v21
	;; [unrolled: 1-line block ×3, first 2 shown]
	s_waitcnt lgkmcnt(0)
	s_ashr_i32 s27, s26, 31
	s_ashr_i32 s35, s34, 31
	s_cmp_lt_i32 s46, 1
	s_cbranch_scc1 .LBB264_39
; %bb.14:
	v_cmp_gt_u32_e32 vcc_lo, 16, v43
	v_mad_i64_i32 v[7:8], null, s34, v38, 0
	s_mov_b32 s16, 0
	s_cmp_gt_i32 s25, 0
	v_cndmask_b32_e64 v1, 0, 1, vcc_lo
	v_cmp_gt_u32_e32 vcc_lo, 24, v43
	s_mov_b32 s15, s16
	v_cmp_ge_i32_e64 s3, s12, v44
	v_cmp_ge_i32_e64 s4, s12, v45
	v_dual_mov_b32 v30, 0 :: v_dual_lshlrev_b32 v1, 4, v1
	v_cndmask_b32_e64 v2, 0, 1, vcc_lo
	v_cmp_gt_u32_e32 vcc_lo, 28, v43
	s_cselect_b32 s47, -1, 0
	s_delay_alu instid0(VALU_DEP_3) | instskip(NEXT) | instid1(VALU_DEP_3)
	v_add_lshl_u32 v46, v1, v43, 2
	v_dual_mov_b32 v33, v18 :: v_dual_lshlrev_b32 v2, 3, v2
	v_cndmask_b32_e64 v3, 0, 1, vcc_lo
	v_cmp_gt_u32_e32 vcc_lo, 30, v43
	v_mov_b32_e32 v32, v17
	v_cmp_eq_u32_e64 s5, 0, v41
	v_add_lshl_u32 v47, v2, v43, 2
	v_lshlrev_b32_e32 v3, 2, v3
	v_cndmask_b32_e64 v4, 0, 1, vcc_lo
	v_cmp_ne_u32_e32 vcc_lo, 31, v43
	v_mad_i64_i32 v[1:2], null, s34, v21, 0
	s_delay_alu instid0(VALU_DEP_4) | instskip(NEXT) | instid1(VALU_DEP_4)
	v_add_lshl_u32 v48, v3, v43, 2
	v_lshlrev_b32_e32 v4, 1, v4
	v_add_co_ci_u32_e32 v5, vcc_lo, 0, v43, vcc_lo
	v_lshlrev_b32_e32 v51, 3, v41
	s_lshl_b64 s[6:7], s[14:15], 3
	s_delay_alu instid0(VALU_DEP_3)
	v_add_lshl_u32 v49, v4, v43, 2
	v_mad_i64_i32 v[3:4], null, s34, v40, 0
	v_lshlrev_b32_e32 v50, 2, v5
	v_lshlrev_b64 v[1:2], 3, v[1:2]
	v_mad_i64_i32 v[5:6], null, s34, v39, 0
	v_and_b32_e32 v52, 56, v42
	s_add_u32 s15, s44, s6
	v_lshlrev_b64 v[3:4], 3, v[3:4]
	s_delay_alu instid0(VALU_DEP_4) | instskip(SKIP_2) | instid1(VALU_DEP_4)
	v_add_co_u32 v22, vcc_lo, s30, v1
	v_add_co_ci_u32_e32 v23, vcc_lo, s31, v2, vcc_lo
	v_lshlrev_b64 v[1:2], 3, v[5:6]
	v_add_co_u32 v24, vcc_lo, s30, v3
	v_add_co_ci_u32_e32 v25, vcc_lo, s31, v4, vcc_lo
	v_lshlrev_b64 v[3:4], 3, v[7:8]
	s_delay_alu instid0(VALU_DEP_4) | instskip(SKIP_2) | instid1(VALU_DEP_3)
	v_add_co_u32 v26, vcc_lo, s30, v1
	v_add_co_ci_u32_e32 v27, vcc_lo, s31, v2, vcc_lo
	s_addc_u32 s48, s45, s7
	v_add_co_u32 v28, vcc_lo, s30, v3
	s_delay_alu instid0(VALU_DEP_4)
	v_add_co_ci_u32_e32 v29, vcc_lo, s31, v4, vcc_lo
	s_lshl_b64 s[36:37], s[34:35], 3
	s_mul_hi_i32 s49, s26, 24
	s_mul_i32 s50, s26, 24
	s_lshl_b64 s[38:39], s[26:27], 5
	s_lshl_b64 s[40:41], s[26:27], 4
	;; [unrolled: 1-line block ×3, first 2 shown]
	s_mov_b32 s33, 0
                                        ; implicit-def: $vgpr1_vgpr2_vgpr3_vgpr4_vgpr5_vgpr6_vgpr7_vgpr8
	s_branch .LBB264_16
.LBB264_15:                             ;   in Loop: Header=BB264_16 Depth=1
	s_or_b32 exec_lo, exec_lo, s6
	v_add_co_u32 v32, vcc_lo, v32, s38
	v_add_co_ci_u32_e32 v33, vcc_lo, s39, v33, vcc_lo
	s_add_i32 s33, s33, 4
	s_delay_alu instid0(SALU_CYCLE_1)
	s_cmp_ge_i32 s33, s46
	s_cbranch_scc1 .LBB264_40
.LBB264_16:                             ; =>This Loop Header: Depth=1
                                        ;     Child Loop BB264_22 Depth 2
                                        ;     Child Loop BB264_25 Depth 2
	;; [unrolled: 1-line block ×3, first 2 shown]
                                        ; implicit-def: $vgpr9_vgpr10_vgpr11_vgpr12_vgpr13_vgpr14_vgpr15_vgpr16
	s_and_saveexec_b32 s6, s3
	s_delay_alu instid0(SALU_CYCLE_1)
	s_xor_b32 s6, exec_lo, s6
	s_cbranch_execz .LBB264_18
; %bb.17:                               ;   in Loop: Header=BB264_16 Depth=1
	s_mul_i32 s7, s33, s27
	s_mul_hi_u32 s8, s33, s26
	s_delay_alu instid0(SALU_CYCLE_1)
	s_add_i32 s9, s8, s7
	s_mul_i32 s8, s33, s26
	s_or_b32 s7, s33, 1
	s_lshl_b64 s[8:9], s[8:9], 3
	s_mul_i32 s17, s7, s27
	s_mul_hi_u32 s18, s7, s26
	v_add_co_u32 v7, vcc_lo, v17, s8
	v_add_co_ci_u32_e32 v8, vcc_lo, s9, v18, vcc_lo
	s_add_i32 s9, s18, s17
	s_mul_i32 s8, s7, s26
	s_or_b32 s7, s33, 2
	s_lshl_b64 s[8:9], s[8:9], 3
	s_mul_i32 s17, s7, s27
	s_mul_hi_u32 s18, s7, s26
	v_add_co_u32 v61, vcc_lo, v17, s8
	v_add_co_ci_u32_e32 v62, vcc_lo, s9, v18, vcc_lo
	s_add_i32 s9, s18, s17
	s_or_b32 s17, s33, 3
	s_mul_i32 s8, s7, s26
	s_mul_i32 s7, s17, s27
	s_mul_hi_u32 s18, s17, s26
	s_lshl_b64 s[8:9], s[8:9], 3
	s_add_i32 s19, s18, s7
	s_mul_i32 s18, s17, s26
	v_add_co_u32 v65, vcc_lo, v17, s8
	v_add_co_ci_u32_e32 v66, vcc_lo, s9, v18, vcc_lo
	s_lshl_b64 s[8:9], s[18:19], 3
	s_delay_alu instid0(SALU_CYCLE_1)
	v_add_co_u32 v69, vcc_lo, v17, s8
	v_add_co_ci_u32_e32 v70, vcc_lo, s9, v18, vcc_lo
	flat_load_b128 v[9:12], v[7:8]
	flat_load_b64 v[1:2], v[22:23]
	s_clause 0x2
	flat_load_b128 v[13:16], v[61:62]
	flat_load_b128 v[34:37], v[65:66]
	;; [unrolled: 1-line block ×3, first 2 shown]
	s_clause 0x1
	flat_load_b64 v[3:4], v[24:25]
	flat_load_b64 v[5:6], v[26:27]
	s_clause 0x3
	flat_load_b128 v[57:60], v[7:8] offset:16
	flat_load_b128 v[61:64], v[61:62] offset:16
	;; [unrolled: 1-line block ×4, first 2 shown]
	flat_load_b64 v[7:8], v[28:29]
	s_waitcnt vmcnt(10) lgkmcnt(10)
	v_fma_f64 v[9:10], v[1:2], v[9:10], 0
	s_waitcnt vmcnt(9) lgkmcnt(9)
	v_fma_f64 v[13:14], v[1:2], v[13:14], 0
	;; [unrolled: 2-line block ×4, first 2 shown]
	s_waitcnt vmcnt(6) lgkmcnt(6)
	s_delay_alu instid0(VALU_DEP_4) | instskip(NEXT) | instid1(VALU_DEP_4)
	v_fma_f64 v[9:10], v[3:4], v[11:12], v[9:10]
	v_fma_f64 v[11:12], v[3:4], v[15:16], v[13:14]
	s_delay_alu instid0(VALU_DEP_4) | instskip(NEXT) | instid1(VALU_DEP_4)
	v_fma_f64 v[13:14], v[3:4], v[36:37], v[34:35]
	v_fma_f64 v[15:16], v[3:4], v[55:56], v[53:54]
	s_waitcnt vmcnt(4) lgkmcnt(4)
	s_delay_alu instid0(VALU_DEP_4) | instskip(SKIP_1) | instid1(VALU_DEP_4)
	v_fma_f64 v[9:10], v[5:6], v[57:58], v[9:10]
	s_waitcnt vmcnt(3) lgkmcnt(3)
	v_fma_f64 v[11:12], v[5:6], v[61:62], v[11:12]
	s_waitcnt vmcnt(2) lgkmcnt(2)
	s_delay_alu instid0(VALU_DEP_4) | instskip(SKIP_1) | instid1(VALU_DEP_4)
	v_fma_f64 v[13:14], v[5:6], v[65:66], v[13:14]
	s_waitcnt vmcnt(1) lgkmcnt(1)
	v_fma_f64 v[15:16], v[5:6], v[69:70], v[15:16]
	s_waitcnt vmcnt(0) lgkmcnt(0)
	s_delay_alu instid0(VALU_DEP_4) | instskip(NEXT) | instid1(VALU_DEP_4)
	v_fma_f64 v[9:10], v[7:8], v[59:60], v[9:10]
	v_fma_f64 v[11:12], v[7:8], v[63:64], v[11:12]
	s_delay_alu instid0(VALU_DEP_4) | instskip(NEXT) | instid1(VALU_DEP_4)
	v_fma_f64 v[13:14], v[7:8], v[67:68], v[13:14]
	v_fma_f64 v[15:16], v[7:8], v[71:72], v[15:16]
.LBB264_18:                             ;   in Loop: Header=BB264_16 Depth=1
	s_and_not1_saveexec_b32 s51, s6
	s_cbranch_execz .LBB264_27
; %bb.19:                               ;   in Loop: Header=BB264_16 Depth=1
	s_mov_b32 s17, s16
	s_mov_b32 s18, s16
	;; [unrolled: 1-line block ×7, first 2 shown]
	v_dual_mov_b32 v9, s16 :: v_dual_mov_b32 v10, s17
	v_dual_mov_b32 v11, s18 :: v_dual_mov_b32 v12, s19
	;; [unrolled: 1-line block ×4, first 2 shown]
	s_and_saveexec_b32 s52, s4
	s_cbranch_execz .LBB264_26
; %bb.20:                               ;   in Loop: Header=BB264_16 Depth=1
	s_and_not1_b32 vcc_lo, exec_lo, s47
	s_cbranch_vccnz .LBB264_23
; %bb.21:                               ;   in Loop: Header=BB264_16 Depth=1
	v_dual_mov_b32 v9, v22 :: v_dual_mov_b32 v10, v23
	s_mov_b64 s[18:19], 0
	.p2align	6
.LBB264_22:                             ;   Parent Loop BB264_16 Depth=1
                                        ; =>  This Inner Loop Header: Depth=2
	flat_load_b64 v[11:12], v[9:10]
	v_add_co_u32 v9, vcc_lo, v9, s36
	s_cmp_eq_u32 s18, 3
	v_add_co_ci_u32_e32 v10, vcc_lo, s37, v10, vcc_lo
	s_cselect_b32 vcc_lo, -1, 0
	s_cmp_eq_u32 s18, 2
	s_cselect_b32 s6, -1, 0
	s_cmp_eq_u32 s18, 1
	s_cselect_b32 s7, -1, 0
	s_cmp_eq_u32 s18, 0
	s_cselect_b32 s8, -1, 0
	s_add_u32 s18, s18, 1
	s_addc_u32 s19, s19, 0
	s_cmp_eq_u32 s25, s18
	s_waitcnt vmcnt(0) lgkmcnt(0)
	v_dual_cndmask_b32 v8, v8, v12 :: v_dual_cndmask_b32 v7, v7, v11
	v_cndmask_b32_e64 v6, v6, v12, s6
	v_cndmask_b32_e64 v5, v5, v11, s6
	;; [unrolled: 1-line block ×6, first 2 shown]
	s_cbranch_scc0 .LBB264_22
.LBB264_23:                             ;   in Loop: Header=BB264_16 Depth=1
	s_mov_b32 s17, s16
	s_mov_b32 s18, s16
	;; [unrolled: 1-line block ×7, first 2 shown]
	v_dual_mov_b32 v9, s16 :: v_dual_mov_b32 v10, s17
	v_dual_mov_b32 v11, s18 :: v_dual_mov_b32 v12, s19
	;; [unrolled: 1-line block ×4, first 2 shown]
	s_and_not1_b32 vcc_lo, exec_lo, s47
	s_cbranch_vccnz .LBB264_26
; %bb.24:                               ;   in Loop: Header=BB264_16 Depth=1
	v_mov_b32_e32 v9, 0
	v_dual_mov_b32 v10, 0 :: v_dual_mov_b32 v35, v33
	v_mov_b32_e32 v34, v32
	s_mov_b64 s[8:9], 0
	s_delay_alu instid0(VALU_DEP_2)
	v_dual_mov_b32 v12, v10 :: v_dual_mov_b32 v11, v9
	v_dual_mov_b32 v14, v10 :: v_dual_mov_b32 v13, v9
	;; [unrolled: 1-line block ×3, first 2 shown]
	s_set_inst_prefetch_distance 0x1
	.p2align	6
.LBB264_25:                             ;   Parent Loop BB264_16 Depth=1
                                        ; =>  This Inner Loop Header: Depth=2
	v_add_co_u32 v36, vcc_lo, v34, s42
	v_add_co_ci_u32_e32 v37, vcc_lo, s43, v35, vcc_lo
	v_add_co_u32 v53, vcc_lo, v34, s40
	v_add_co_ci_u32_e32 v54, vcc_lo, s41, v35, vcc_lo
	;; [unrolled: 2-line block ×3, first 2 shown]
	s_clause 0x3
	flat_load_b64 v[57:58], v[34:35]
	flat_load_b64 v[36:37], v[36:37]
	;; [unrolled: 1-line block ×4, first 2 shown]
	s_cmp_eq_u32 s8, 1
	s_cselect_b32 vcc_lo, -1, 0
	s_cmp_eq_u32 s8, 2
	v_cndmask_b32_e32 v31, v2, v4, vcc_lo
	v_cndmask_b32_e32 v59, v1, v3, vcc_lo
	s_cselect_b32 vcc_lo, -1, 0
	s_cmp_eq_u32 s8, 3
	s_delay_alu instid0(VALU_DEP_2) | instskip(NEXT) | instid1(VALU_DEP_2)
	v_cndmask_b32_e32 v31, v31, v6, vcc_lo
	v_cndmask_b32_e32 v59, v59, v5, vcc_lo
	s_cselect_b32 s6, -1, 0
	v_add_co_u32 v34, vcc_lo, v34, 8
	s_delay_alu instid0(VALU_DEP_3) | instskip(NEXT) | instid1(VALU_DEP_3)
	v_cndmask_b32_e64 v60, v31, v8, s6
	v_cndmask_b32_e64 v59, v59, v7, s6
	v_add_co_ci_u32_e32 v35, vcc_lo, 0, v35, vcc_lo
	s_add_u32 s8, s8, 1
	s_addc_u32 s9, s9, 0
	s_cmp_lg_u32 s25, s8
	s_waitcnt vmcnt(3) lgkmcnt(3)
	v_fma_f64 v[9:10], v[59:60], v[57:58], v[9:10]
	s_waitcnt vmcnt(2) lgkmcnt(2)
	v_fma_f64 v[11:12], v[59:60], v[36:37], v[11:12]
	;; [unrolled: 2-line block ×4, first 2 shown]
	s_cbranch_scc1 .LBB264_25
.LBB264_26:                             ;   in Loop: Header=BB264_16 Depth=1
	s_set_inst_prefetch_distance 0x2
	s_or_b32 exec_lo, exec_lo, s52
.LBB264_27:                             ;   in Loop: Header=BB264_16 Depth=1
	s_delay_alu instid0(SALU_CYCLE_1)
	s_or_b32 exec_lo, exec_lo, s51
	s_mov_b64 s[6:7], 0
	s_branch .LBB264_29
.LBB264_28:                             ;   in Loop: Header=BB264_29 Depth=2
	s_or_b32 exec_lo, exec_lo, s8
	s_cmp_eq_u32 s6, 3
	s_cselect_b32 vcc_lo, -1, 0
	s_cmp_eq_u32 s6, 2
	s_waitcnt lgkmcnt(0)
	s_delay_alu instid0(VALU_DEP_1)
	v_dual_cndmask_b32 v16, v16, v35 :: v_dual_cndmask_b32 v15, v15, v34
	s_cselect_b32 vcc_lo, -1, 0
	s_cmp_eq_u32 s6, 1
	v_dual_cndmask_b32 v14, v14, v35 :: v_dual_cndmask_b32 v13, v13, v34
	s_cselect_b32 vcc_lo, -1, 0
	s_cmp_eq_u32 s6, 0
	v_dual_cndmask_b32 v12, v12, v35 :: v_dual_cndmask_b32 v11, v11, v34
	s_cselect_b32 vcc_lo, -1, 0
	s_add_u32 s6, s6, 1
	v_dual_cndmask_b32 v10, v10, v35 :: v_dual_cndmask_b32 v9, v9, v34
	s_addc_u32 s7, s7, 0
	s_cmp_eq_u32 s6, 4
	s_cbranch_scc1 .LBB264_37
.LBB264_29:                             ;   Parent Loop BB264_16 Depth=1
                                        ; =>  This Inner Loop Header: Depth=2
	s_and_saveexec_b32 s8, s0
	s_cbranch_execz .LBB264_31
; %bb.30:                               ;   in Loop: Header=BB264_29 Depth=2
	v_mov_b32_e32 v31, v30
	ds_store_b64 v51, v[30:31]
.LBB264_31:                             ;   in Loop: Header=BB264_29 Depth=2
	s_or_b32 exec_lo, exec_lo, s8
	s_cmp_eq_u32 s6, 1
	s_waitcnt lgkmcnt(0)
	s_waitcnt_vscnt null, 0x0
	s_cselect_b32 vcc_lo, -1, 0
	s_cmp_eq_u32 s6, 2
	s_delay_alu instid0(VALU_DEP_1) | instskip(SKIP_3) | instid1(VALU_DEP_1)
	v_dual_cndmask_b32 v31, v10, v12 :: v_dual_cndmask_b32 v34, v9, v11
	s_cselect_b32 vcc_lo, -1, 0
	s_cmp_eq_u32 s6, 3
	s_barrier
	v_dual_cndmask_b32 v31, v31, v14 :: v_dual_cndmask_b32 v34, v34, v13
	s_cselect_b32 vcc_lo, -1, 0
	buffer_gl0_inv
	v_dual_cndmask_b32 v35, v31, v16 :: v_dual_cndmask_b32 v34, v34, v15
	ds_bpermute_b32 v37, v46, v35
	ds_bpermute_b32 v36, v46, v34
	s_waitcnt lgkmcnt(0)
	v_add_f64 v[34:35], v[34:35], v[36:37]
	ds_bpermute_b32 v36, v47, v34
	ds_bpermute_b32 v37, v47, v35
	s_waitcnt lgkmcnt(0)
	v_add_f64 v[34:35], v[34:35], v[36:37]
	;; [unrolled: 4-line block ×4, first 2 shown]
	ds_bpermute_b32 v36, v50, v34
	ds_bpermute_b32 v37, v50, v35
	s_and_saveexec_b32 s8, s5
	s_cbranch_execz .LBB264_33
; %bb.32:                               ;   in Loop: Header=BB264_29 Depth=2
	s_waitcnt lgkmcnt(0)
	v_add_f64 v[34:35], v[34:35], v[36:37]
	ds_store_b64 v52, v[34:35]
.LBB264_33:                             ;   in Loop: Header=BB264_29 Depth=2
	s_or_b32 exec_lo, exec_lo, s8
	v_mov_b32_e32 v34, 0
	v_mov_b32_e32 v35, 0
	s_waitcnt lgkmcnt(0)
	s_barrier
	buffer_gl0_inv
	s_and_saveexec_b32 s8, s1
	s_cbranch_execz .LBB264_35
; %bb.34:                               ;   in Loop: Header=BB264_29 Depth=2
	ds_load_b64 v[34:35], v51
.LBB264_35:                             ;   in Loop: Header=BB264_29 Depth=2
	s_or_b32 exec_lo, exec_lo, s8
	s_and_saveexec_b32 s8, s0
	s_cbranch_execz .LBB264_28
; %bb.36:                               ;   in Loop: Header=BB264_29 Depth=2
	s_waitcnt lgkmcnt(0)
	ds_bpermute_b32 v36, v48, v34
	ds_bpermute_b32 v37, v48, v35
	s_waitcnt lgkmcnt(0)
	v_add_f64 v[34:35], v[34:35], v[36:37]
	ds_bpermute_b32 v36, v49, v34
	ds_bpermute_b32 v37, v49, v35
	s_waitcnt lgkmcnt(0)
	v_add_f64 v[34:35], v[34:35], v[36:37]
	;; [unrolled: 4-line block ×3, first 2 shown]
	s_branch .LBB264_28
.LBB264_37:                             ;   in Loop: Header=BB264_16 Depth=1
	s_and_saveexec_b32 s6, s2
	s_cbranch_execz .LBB264_15
; %bb.38:                               ;   in Loop: Header=BB264_16 Depth=1
	v_mul_f64 v[9:10], v[9:10], s[10:11]
	v_mul_f64 v[11:12], v[11:12], s[10:11]
	;; [unrolled: 1-line block ×4, first 2 shown]
	s_mul_hi_u32 s9, s33, s24
	s_mul_i32 s8, s33, s24
	s_delay_alu instid0(SALU_CYCLE_1) | instskip(NEXT) | instid1(SALU_CYCLE_1)
	s_lshl_b64 s[8:9], s[8:9], 3
	s_add_u32 s8, s15, s8
	s_addc_u32 s9, s48, s9
	s_or_b32 s7, s33, 1
	s_delay_alu instid0(SALU_CYCLE_1) | instskip(SKIP_1) | instid1(SALU_CYCLE_1)
	s_mul_hi_u32 s19, s7, s24
	s_mul_i32 s18, s7, s24
	s_lshl_b64 s[18:19], s[18:19], 3
	s_delay_alu instid0(SALU_CYCLE_1) | instskip(SKIP_2) | instid1(SALU_CYCLE_1)
	s_add_u32 s18, s15, s18
	s_addc_u32 s19, s48, s19
	s_or_b32 s7, s33, 2
	s_mul_hi_u32 s21, s7, s24
	s_mul_i32 s20, s7, s24
	s_delay_alu instid0(SALU_CYCLE_1) | instskip(NEXT) | instid1(SALU_CYCLE_1)
	s_lshl_b64 s[20:21], s[20:21], 3
	s_add_u32 s20, s15, s20
	s_addc_u32 s21, s48, s21
	s_or_b32 s7, s33, 3
	s_delay_alu instid0(SALU_CYCLE_1) | instskip(SKIP_1) | instid1(SALU_CYCLE_1)
	s_mul_hi_u32 s23, s7, s24
	s_mul_i32 s22, s7, s24
	s_lshl_b64 s[22:23], s[22:23], 3
	s_delay_alu instid0(SALU_CYCLE_1)
	s_add_u32 s22, s15, s22
	s_addc_u32 s23, s48, s23
	s_clause 0x3
	global_store_b64 v30, v[9:10], s[8:9]
	global_store_b64 v30, v[11:12], s[18:19]
	;; [unrolled: 1-line block ×4, first 2 shown]
	s_branch .LBB264_15
.LBB264_39:
	s_mov_b32 s33, 0
                                        ; implicit-def: $vgpr1_vgpr2_vgpr3_vgpr4_vgpr5_vgpr6_vgpr7_vgpr8
.LBB264_40:
	s_delay_alu instid0(SALU_CYCLE_1)
	s_cmp_ge_i32 s33, s13
	s_cbranch_scc1 .LBB264_64
; %bb.41:
	v_cmp_gt_u32_e32 vcc_lo, 16, v43
	v_mad_i64_i32 v[15:16], null, s34, v38, 0
	s_cmp_gt_i32 s25, 0
	s_mov_b32 s15, 0
	v_cndmask_b32_e64 v9, 0, 1, vcc_lo
	v_cmp_gt_u32_e32 vcc_lo, 24, v43
	s_cselect_b32 s9, -1, 0
	s_lshl_b64 s[6:7], s[14:15], 3
	v_cmp_ge_i32_e64 s0, s12, v44
	v_lshlrev_b32_e32 v9, 4, v9
	v_cndmask_b32_e64 v10, 0, 1, vcc_lo
	v_cmp_gt_u32_e32 vcc_lo, 28, v43
	v_cmp_ge_i32_e64 s1, s12, v45
	s_add_u32 s12, s44, s6
	v_add_lshl_u32 v28, v9, v43, 2
	v_lshlrev_b32_e32 v10, 3, v10
	v_cndmask_b32_e64 v11, 0, 1, vcc_lo
	v_cmp_gt_u32_e32 vcc_lo, 30, v43
	v_lshlrev_b64 v[15:16], 3, v[15:16]
	s_addc_u32 s14, s45, s7
	v_add_lshl_u32 v29, v10, v43, 2
	v_lshlrev_b32_e32 v11, 2, v11
	v_cndmask_b32_e64 v12, 0, 1, vcc_lo
	v_cmp_ne_u32_e32 vcc_lo, 31, v43
	v_mad_i64_i32 v[9:10], null, s34, v21, 0
	s_delay_alu instid0(VALU_DEP_3) | instskip(SKIP_3) | instid1(VALU_DEP_3)
	v_dual_mov_b32 v21, 0 :: v_dual_lshlrev_b32 v12, 1, v12
	v_add_co_ci_u32_e32 v13, vcc_lo, 0, v43, vcc_lo
	v_add_lshl_u32 v30, v11, v43, 2
	s_mul_i32 s6, s27, s33
	v_add_lshl_u32 v31, v12, v43, 2
	v_mad_i64_i32 v[11:12], null, s34, v40, 0
	v_lshlrev_b32_e32 v32, 2, v13
	v_mad_i64_i32 v[13:14], null, s34, v39, 0
	v_lshlrev_b64 v[9:10], 3, v[9:10]
	s_mul_hi_u32 s7, s26, s33
	s_lshl_b64 s[16:17], s[34:35], 3
	s_delay_alu instid0(VALU_DEP_4)
	v_lshlrev_b64 v[11:12], 3, v[11:12]
	s_add_i32 s7, s7, s6
	s_mul_i32 s6, s26, s33
	v_add_co_u32 v9, vcc_lo, s30, v9
	v_lshlrev_b64 v[13:14], 3, v[13:14]
	v_add_co_ci_u32_e32 v10, vcc_lo, s31, v10, vcc_lo
	v_add_co_u32 v11, vcc_lo, s30, v11
	v_add_co_ci_u32_e32 v12, vcc_lo, s31, v12, vcc_lo
	s_delay_alu instid0(VALU_DEP_4)
	v_add_co_u32 v13, vcc_lo, s30, v13
	v_add_co_ci_u32_e32 v14, vcc_lo, s31, v14, vcc_lo
	s_lshl_b64 s[6:7], s[6:7], 3
	v_add_co_u32 v15, vcc_lo, s30, v15
	s_add_u32 s6, s28, s6
	v_add_co_ci_u32_e32 v16, vcc_lo, s31, v16, vcc_lo
	s_addc_u32 s7, s29, s7
	v_add_co_u32 v19, vcc_lo, s6, v19
	v_cmp_gt_u32_e64 s2, 32, v0
	v_lshlrev_b32_e32 v27, 3, v41
	v_cmp_eq_u32_e64 s3, 0, v41
	v_and_b32_e32 v33, 56, v42
	v_cmp_gt_u32_e64 s4, 8, v0
	v_cmp_eq_u32_e64 s5, 0, v0
	v_add_co_ci_u32_e32 v20, vcc_lo, s7, v20, vcc_lo
	s_lshl_b64 s[18:19], s[26:27], 3
	s_branch .LBB264_43
.LBB264_42:                             ;   in Loop: Header=BB264_43 Depth=1
	s_or_b32 exec_lo, exec_lo, s6
	v_add_co_u32 v19, vcc_lo, v19, s18
	v_add_co_ci_u32_e32 v20, vcc_lo, s19, v20, vcc_lo
	s_add_i32 s33, s33, 1
	s_delay_alu instid0(SALU_CYCLE_1)
	s_cmp_ge_i32 s33, s13
	s_cbranch_scc1 .LBB264_64
.LBB264_43:                             ; =>This Loop Header: Depth=1
                                        ;     Child Loop BB264_56 Depth 2
                                        ;     Child Loop BB264_59 Depth 2
	s_waitcnt lgkmcnt(0)
	v_dual_mov_b32 v23, s15 :: v_dual_mov_b32 v24, s15
	s_and_saveexec_b32 s6, s0
	s_delay_alu instid0(SALU_CYCLE_1)
	s_xor_b32 s6, exec_lo, s6
	s_cbranch_execnz .LBB264_52
; %bb.44:                               ;   in Loop: Header=BB264_43 Depth=1
	s_and_not1_saveexec_b32 s22, s6
	s_cbranch_execnz .LBB264_53
.LBB264_45:                             ;   in Loop: Header=BB264_43 Depth=1
	s_or_b32 exec_lo, exec_lo, s22
	s_and_saveexec_b32 s6, s2
	s_cbranch_execz .LBB264_47
.LBB264_46:                             ;   in Loop: Header=BB264_43 Depth=1
	v_mov_b32_e32 v22, v21
	ds_store_b64 v27, v[21:22]
.LBB264_47:                             ;   in Loop: Header=BB264_43 Depth=1
	s_or_b32 exec_lo, exec_lo, s6
	ds_bpermute_b32 v25, v28, v23
	ds_bpermute_b32 v26, v28, v24
	s_waitcnt lgkmcnt(0)
	s_waitcnt_vscnt null, 0x0
	s_barrier
	buffer_gl0_inv
	v_add_f64 v[22:23], v[23:24], v[25:26]
	ds_bpermute_b32 v24, v29, v22
	ds_bpermute_b32 v25, v29, v23
	s_waitcnt lgkmcnt(0)
	v_add_f64 v[22:23], v[22:23], v[24:25]
	ds_bpermute_b32 v24, v30, v22
	ds_bpermute_b32 v25, v30, v23
	s_waitcnt lgkmcnt(0)
	;; [unrolled: 4-line block ×3, first 2 shown]
	v_add_f64 v[22:23], v[22:23], v[24:25]
	ds_bpermute_b32 v24, v32, v22
	ds_bpermute_b32 v25, v32, v23
	s_and_saveexec_b32 s6, s3
	s_cbranch_execz .LBB264_49
; %bb.48:                               ;   in Loop: Header=BB264_43 Depth=1
	s_waitcnt lgkmcnt(0)
	v_add_f64 v[22:23], v[22:23], v[24:25]
	ds_store_b64 v33, v[22:23]
.LBB264_49:                             ;   in Loop: Header=BB264_43 Depth=1
	s_or_b32 exec_lo, exec_lo, s6
	v_mov_b32_e32 v22, 0
	v_mov_b32_e32 v23, 0
	s_waitcnt lgkmcnt(0)
	s_barrier
	buffer_gl0_inv
	s_and_saveexec_b32 s6, s4
	s_cbranch_execnz .LBB264_61
; %bb.50:                               ;   in Loop: Header=BB264_43 Depth=1
	s_or_b32 exec_lo, exec_lo, s6
	s_and_saveexec_b32 s6, s2
	s_cbranch_execnz .LBB264_62
.LBB264_51:                             ;   in Loop: Header=BB264_43 Depth=1
	s_or_b32 exec_lo, exec_lo, s6
	s_and_saveexec_b32 s6, s5
	s_cbranch_execz .LBB264_42
	s_branch .LBB264_63
.LBB264_52:                             ;   in Loop: Header=BB264_43 Depth=1
	s_mul_i32 s7, s33, s27
	s_mul_hi_u32 s8, s33, s26
	s_mul_i32 s20, s33, s26
	s_add_i32 s21, s8, s7
	s_delay_alu instid0(SALU_CYCLE_1) | instskip(NEXT) | instid1(SALU_CYCLE_1)
	s_lshl_b64 s[20:21], s[20:21], 3
	v_add_co_u32 v5, vcc_lo, v17, s20
	v_add_co_ci_u32_e32 v6, vcc_lo, s21, v18, vcc_lo
	flat_load_b128 v[22:25], v[5:6]
	s_clause 0x1
	flat_load_b64 v[1:2], v[9:10]
	flat_load_b64 v[3:4], v[11:12]
	flat_load_b128 v[34:37], v[5:6] offset:16
	s_clause 0x1
	flat_load_b64 v[5:6], v[13:14]
	flat_load_b64 v[7:8], v[15:16]
	s_waitcnt vmcnt(4) lgkmcnt(4)
	v_fma_f64 v[22:23], v[1:2], v[22:23], 0
	s_waitcnt vmcnt(3) lgkmcnt(3)
	s_delay_alu instid0(VALU_DEP_1) | instskip(SKIP_1) | instid1(VALU_DEP_1)
	v_fma_f64 v[22:23], v[3:4], v[24:25], v[22:23]
	s_waitcnt vmcnt(1) lgkmcnt(1)
	v_fma_f64 v[22:23], v[5:6], v[34:35], v[22:23]
	s_waitcnt vmcnt(0) lgkmcnt(0)
	s_delay_alu instid0(VALU_DEP_1)
	v_fma_f64 v[23:24], v[7:8], v[36:37], v[22:23]
	s_and_not1_saveexec_b32 s22, s6
	s_cbranch_execz .LBB264_45
.LBB264_53:                             ;   in Loop: Header=BB264_43 Depth=1
	s_and_saveexec_b32 s23, s1
	s_cbranch_execz .LBB264_60
; %bb.54:                               ;   in Loop: Header=BB264_43 Depth=1
	s_and_not1_b32 vcc_lo, exec_lo, s9
	s_cbranch_vccnz .LBB264_57
; %bb.55:                               ;   in Loop: Header=BB264_43 Depth=1
	v_dual_mov_b32 v26, v10 :: v_dual_mov_b32 v25, v9
	s_mov_b64 s[20:21], 0
	.p2align	6
.LBB264_56:                             ;   Parent Loop BB264_43 Depth=1
                                        ; =>  This Inner Loop Header: Depth=2
	flat_load_b64 v[34:35], v[25:26]
	v_add_co_u32 v25, vcc_lo, v25, s16
	s_cmp_eq_u32 s20, 3
	v_add_co_ci_u32_e32 v26, vcc_lo, s17, v26, vcc_lo
	s_cselect_b32 vcc_lo, -1, 0
	s_cmp_eq_u32 s20, 2
	s_cselect_b32 s6, -1, 0
	s_cmp_eq_u32 s20, 1
	s_cselect_b32 s7, -1, 0
	;; [unrolled: 2-line block ×3, first 2 shown]
	s_add_u32 s20, s20, 1
	s_addc_u32 s21, s21, 0
	s_cmp_eq_u32 s25, s20
	s_waitcnt vmcnt(0) lgkmcnt(0)
	v_dual_cndmask_b32 v8, v8, v35 :: v_dual_cndmask_b32 v7, v7, v34
	v_cndmask_b32_e64 v6, v6, v35, s6
	v_cndmask_b32_e64 v5, v5, v34, s6
	;; [unrolled: 1-line block ×6, first 2 shown]
	s_cbranch_scc0 .LBB264_56
.LBB264_57:                             ;   in Loop: Header=BB264_43 Depth=1
	s_and_not1_b32 vcc_lo, exec_lo, s9
	s_cbranch_vccnz .LBB264_60
; %bb.58:                               ;   in Loop: Header=BB264_43 Depth=1
	v_dual_mov_b32 v26, v20 :: v_dual_mov_b32 v25, v19
	s_mov_b64 s[6:7], 0
	.p2align	6
.LBB264_59:                             ;   Parent Loop BB264_43 Depth=1
                                        ; =>  This Inner Loop Header: Depth=2
	flat_load_b64 v[34:35], v[25:26]
	s_cmp_eq_u32 s6, 1
	s_cselect_b32 vcc_lo, -1, 0
	s_cmp_eq_u32 s6, 2
	v_cndmask_b32_e32 v0, v2, v4, vcc_lo
	v_cndmask_b32_e32 v22, v1, v3, vcc_lo
	s_cselect_b32 vcc_lo, -1, 0
	s_cmp_eq_u32 s6, 3
	s_delay_alu instid0(VALU_DEP_2) | instskip(NEXT) | instid1(VALU_DEP_2)
	v_cndmask_b32_e32 v0, v0, v6, vcc_lo
	v_cndmask_b32_e32 v22, v22, v5, vcc_lo
	s_cselect_b32 vcc_lo, -1, 0
	s_add_u32 s6, s6, 1
	s_addc_u32 s7, s7, 0
	s_delay_alu instid0(VALU_DEP_1)
	v_dual_cndmask_b32 v37, v0, v8 :: v_dual_cndmask_b32 v36, v22, v7
	v_add_co_u32 v25, vcc_lo, v25, 8
	v_add_co_ci_u32_e32 v26, vcc_lo, 0, v26, vcc_lo
	s_cmp_lg_u32 s25, s6
	s_waitcnt vmcnt(0) lgkmcnt(0)
	v_fma_f64 v[23:24], v[36:37], v[34:35], v[23:24]
	s_cbranch_scc1 .LBB264_59
.LBB264_60:                             ;   in Loop: Header=BB264_43 Depth=1
	s_or_b32 exec_lo, exec_lo, s23
	s_delay_alu instid0(SALU_CYCLE_1)
	s_or_b32 exec_lo, exec_lo, s22
	s_and_saveexec_b32 s6, s2
	s_cbranch_execnz .LBB264_46
	s_branch .LBB264_47
.LBB264_61:                             ;   in Loop: Header=BB264_43 Depth=1
	ds_load_b64 v[22:23], v27
	s_or_b32 exec_lo, exec_lo, s6
	s_and_saveexec_b32 s6, s2
	s_cbranch_execz .LBB264_51
.LBB264_62:                             ;   in Loop: Header=BB264_43 Depth=1
	s_waitcnt lgkmcnt(0)
	ds_bpermute_b32 v24, v30, v22
	ds_bpermute_b32 v25, v30, v23
	s_waitcnt lgkmcnt(0)
	v_add_f64 v[22:23], v[22:23], v[24:25]
	ds_bpermute_b32 v24, v31, v22
	ds_bpermute_b32 v25, v31, v23
	s_waitcnt lgkmcnt(0)
	v_add_f64 v[22:23], v[22:23], v[24:25]
	;; [unrolled: 4-line block ×3, first 2 shown]
	s_or_b32 exec_lo, exec_lo, s6
	s_and_saveexec_b32 s6, s5
	s_cbranch_execz .LBB264_42
.LBB264_63:                             ;   in Loop: Header=BB264_43 Depth=1
	s_waitcnt lgkmcnt(0)
	s_delay_alu instid0(VALU_DEP_1) | instskip(SKIP_2) | instid1(SALU_CYCLE_1)
	v_mul_f64 v[22:23], v[22:23], s[10:11]
	s_mul_hi_u32 s21, s33, s24
	s_mul_i32 s20, s33, s24
	s_lshl_b64 s[20:21], s[20:21], 3
	s_delay_alu instid0(SALU_CYCLE_1)
	s_add_u32 s20, s12, s20
	s_addc_u32 s21, s14, s21
	global_store_b64 v21, v[22:23], s[20:21]
	s_branch .LBB264_42
.LBB264_64:
	s_nop 0
	s_sendmsg sendmsg(MSG_DEALLOC_VGPRS)
	s_endpgm
	.section	.rodata,"a",@progbits
	.p2align	6, 0x0
	.amdhsa_kernel _ZL23rocblas_gemvt_sn_kernelILb0ELi256ELi4ElPKdddEviiT4_lPKT3_lilS5_lilPT5_i
		.amdhsa_group_segment_fixed_size 256
		.amdhsa_private_segment_fixed_size 0
		.amdhsa_kernarg_size 360
		.amdhsa_user_sgpr_count 14
		.amdhsa_user_sgpr_dispatch_ptr 0
		.amdhsa_user_sgpr_queue_ptr 0
		.amdhsa_user_sgpr_kernarg_segment_ptr 1
		.amdhsa_user_sgpr_dispatch_id 0
		.amdhsa_user_sgpr_private_segment_size 0
		.amdhsa_wavefront_size32 1
		.amdhsa_uses_dynamic_stack 0
		.amdhsa_enable_private_segment 0
		.amdhsa_system_sgpr_workgroup_id_x 1
		.amdhsa_system_sgpr_workgroup_id_y 0
		.amdhsa_system_sgpr_workgroup_id_z 1
		.amdhsa_system_sgpr_workgroup_info 0
		.amdhsa_system_vgpr_workitem_id 0
		.amdhsa_next_free_vgpr 73
		.amdhsa_next_free_sgpr 53
		.amdhsa_reserve_vcc 1
		.amdhsa_float_round_mode_32 0
		.amdhsa_float_round_mode_16_64 0
		.amdhsa_float_denorm_mode_32 3
		.amdhsa_float_denorm_mode_16_64 3
		.amdhsa_dx10_clamp 1
		.amdhsa_ieee_mode 1
		.amdhsa_fp16_overflow 0
		.amdhsa_workgroup_processor_mode 1
		.amdhsa_memory_ordered 1
		.amdhsa_forward_progress 0
		.amdhsa_shared_vgpr_count 0
		.amdhsa_exception_fp_ieee_invalid_op 0
		.amdhsa_exception_fp_denorm_src 0
		.amdhsa_exception_fp_ieee_div_zero 0
		.amdhsa_exception_fp_ieee_overflow 0
		.amdhsa_exception_fp_ieee_underflow 0
		.amdhsa_exception_fp_ieee_inexact 0
		.amdhsa_exception_int_div_zero 0
	.end_amdhsa_kernel
	.section	.text._ZL23rocblas_gemvt_sn_kernelILb0ELi256ELi4ElPKdddEviiT4_lPKT3_lilS5_lilPT5_i,"axG",@progbits,_ZL23rocblas_gemvt_sn_kernelILb0ELi256ELi4ElPKdddEviiT4_lPKT3_lilS5_lilPT5_i,comdat
.Lfunc_end264:
	.size	_ZL23rocblas_gemvt_sn_kernelILb0ELi256ELi4ElPKdddEviiT4_lPKT3_lilS5_lilPT5_i, .Lfunc_end264-_ZL23rocblas_gemvt_sn_kernelILb0ELi256ELi4ElPKdddEviiT4_lPKT3_lilS5_lilPT5_i
                                        ; -- End function
	.section	.AMDGPU.csdata,"",@progbits
; Kernel info:
; codeLenInByte = 4048
; NumSgprs: 55
; NumVgprs: 73
; ScratchSize: 0
; MemoryBound: 1
; FloatMode: 240
; IeeeMode: 1
; LDSByteSize: 256 bytes/workgroup (compile time only)
; SGPRBlocks: 6
; VGPRBlocks: 9
; NumSGPRsForWavesPerEU: 55
; NumVGPRsForWavesPerEU: 73
; Occupancy: 16
; WaveLimiterHint : 0
; COMPUTE_PGM_RSRC2:SCRATCH_EN: 0
; COMPUTE_PGM_RSRC2:USER_SGPR: 14
; COMPUTE_PGM_RSRC2:TRAP_HANDLER: 0
; COMPUTE_PGM_RSRC2:TGID_X_EN: 1
; COMPUTE_PGM_RSRC2:TGID_Y_EN: 0
; COMPUTE_PGM_RSRC2:TGID_Z_EN: 1
; COMPUTE_PGM_RSRC2:TIDIG_COMP_CNT: 0
	.section	.text._ZL23rocblas_gemvt_sn_reduceILi256ELi8EddKPdEviT2_lPT3_lilPT1_i,"axG",@progbits,_ZL23rocblas_gemvt_sn_reduceILi256ELi8EddKPdEviT2_lPT3_lilPT1_i,comdat
	.globl	_ZL23rocblas_gemvt_sn_reduceILi256ELi8EddKPdEviT2_lPT3_lilPT1_i ; -- Begin function _ZL23rocblas_gemvt_sn_reduceILi256ELi8EddKPdEviT2_lPT3_lilPT1_i
	.p2align	8
	.type	_ZL23rocblas_gemvt_sn_reduceILi256ELi8EddKPdEviT2_lPT3_lilPT1_i,@function
_ZL23rocblas_gemvt_sn_reduceILi256ELi8EddKPdEviT2_lPT3_lilPT1_i: ; @_ZL23rocblas_gemvt_sn_reduceILi256ELi8EddKPdEviT2_lPT3_lilPT1_i
; %bb.0:
	s_mov_b32 s2, s15
	s_clause 0x2
	s_load_b32 s15, s[0:1], 0x0
	s_load_b128 s[4:7], s[0:1], 0x18
	s_load_b32 s10, s[0:1], 0x4c
	s_mov_b32 s3, 0
	v_mov_b32_e32 v1, 0
	s_lshl_b64 s[8:9], s[2:3], 3
	v_dual_mov_b32 v2, 0 :: v_dual_lshlrev_b32 v5, 3, v0
	s_waitcnt lgkmcnt(0)
	s_ashr_i32 s11, s15, 31
	s_add_u32 s4, s4, s8
	s_addc_u32 s5, s5, s9
	s_load_b64 s[8:9], s[0:1], 0x38
	s_load_b64 s[4:5], s[4:5], 0x0
	s_mul_i32 s2, s10, s2
	s_add_u32 s12, s0, 0x48
	s_addc_u32 s13, s1, 0
	s_add_i32 s2, s2, s14
	s_delay_alu instid0(SALU_CYCLE_1) | instskip(SKIP_3) | instid1(SALU_CYCLE_1)
	s_mul_i32 s10, s2, s11
	s_lshr_b32 s11, s11, 29
	s_mul_hi_u32 s17, s2, s15
	s_add_i32 s11, s15, s11
	s_and_b32 s16, s11, -8
	s_add_i32 s11, s17, s10
	s_mul_i32 s10, s2, s15
	s_mov_b32 s17, exec_lo
	v_cmpx_gt_i32_e64 s16, v5
	s_cbranch_execz .LBB265_4
; %bb.1:
	s_load_b32 s2, s[12:13], 0xc
	v_lshlrev_b32_e32 v1, 6, v0
	s_lshl_b64 s[18:19], s[10:11], 3
	s_waitcnt lgkmcnt(0)
	s_and_b32 s2, s2, 0xffff
	s_delay_alu instid0(SALU_CYCLE_1) | instskip(SKIP_3) | instid1(VALU_DEP_1)
	s_lshl_b32 s12, s2, 3
	s_add_u32 s13, s8, s18
	s_addc_u32 s18, s9, s19
	v_add_co_u32 v3, s13, s13, v1
	v_add_co_ci_u32_e64 v4, null, s18, 0, s13
	v_mov_b32_e32 v1, 0
	s_delay_alu instid0(VALU_DEP_3) | instskip(SKIP_1) | instid1(VALU_DEP_4)
	v_add_co_u32 v3, vcc_lo, v3, 56
	v_mov_b32_e32 v2, 0
	v_add_co_ci_u32_e32 v4, vcc_lo, 0, v4, vcc_lo
	s_lshl_b32 s13, s2, 6
	s_set_inst_prefetch_distance 0x1
	.p2align	6
.LBB265_2:                              ; =>This Inner Loop Header: Depth=1
	s_clause 0x3
	global_load_b128 v[6:9], v[3:4], off offset:-56
	global_load_b128 v[10:13], v[3:4], off offset:-40
	;; [unrolled: 1-line block ×4, first 2 shown]
	v_add_nc_u32_e32 v5, s12, v5
	v_add_co_u32 v3, s2, v3, s13
	s_delay_alu instid0(VALU_DEP_1) | instskip(NEXT) | instid1(VALU_DEP_3)
	v_add_co_ci_u32_e64 v4, s2, 0, v4, s2
	v_cmp_le_i32_e32 vcc_lo, s16, v5
	s_or_b32 s3, vcc_lo, s3
	s_waitcnt vmcnt(3)
	v_add_f64 v[1:2], v[1:2], v[6:7]
	s_delay_alu instid0(VALU_DEP_1) | instskip(SKIP_1) | instid1(VALU_DEP_1)
	v_add_f64 v[1:2], v[1:2], v[8:9]
	s_waitcnt vmcnt(2)
	v_add_f64 v[1:2], v[1:2], v[10:11]
	s_delay_alu instid0(VALU_DEP_1) | instskip(SKIP_1) | instid1(VALU_DEP_1)
	v_add_f64 v[1:2], v[1:2], v[12:13]
	;; [unrolled: 4-line block ×3, first 2 shown]
	s_waitcnt vmcnt(0)
	v_add_f64 v[1:2], v[1:2], v[18:19]
	s_delay_alu instid0(VALU_DEP_1)
	v_add_f64 v[1:2], v[1:2], v[20:21]
	s_and_not1_b32 exec_lo, exec_lo, s3
	s_cbranch_execnz .LBB265_2
; %bb.3:
	s_set_inst_prefetch_distance 0x2
	s_or_b32 exec_lo, exec_lo, s3
.LBB265_4:
	s_delay_alu instid0(SALU_CYCLE_1) | instskip(SKIP_1) | instid1(SALU_CYCLE_1)
	s_or_b32 exec_lo, exec_lo, s17
	s_sub_i32 s2, s15, s16
	v_cmp_gt_u32_e32 vcc_lo, s2, v0
	s_and_saveexec_b32 s2, vcc_lo
	s_cbranch_execz .LBB265_6
; %bb.5:
	v_xad_u32 v3, v0, -1, s15
	v_mov_b32_e32 v4, 0
	s_lshl_b64 s[10:11], s[10:11], 3
	s_waitcnt lgkmcnt(0)
	s_add_u32 s3, s8, s10
	s_addc_u32 s8, s9, s11
	v_lshlrev_b64 v[3:4], 3, v[3:4]
	s_delay_alu instid0(VALU_DEP_1) | instskip(NEXT) | instid1(VALU_DEP_2)
	v_add_co_u32 v3, vcc_lo, s3, v3
	v_add_co_ci_u32_e32 v4, vcc_lo, s8, v4, vcc_lo
	global_load_b64 v[3:4], v[3:4], off
	s_waitcnt vmcnt(0)
	v_add_f64 v[1:2], v[1:2], v[3:4]
.LBB265_6:
	s_or_b32 exec_lo, exec_lo, s2
	v_and_b32_e32 v8, 31, v0
	v_cmp_gt_u32_e32 vcc_lo, 32, v0
	s_delay_alu instid0(VALU_DEP_2)
	v_lshlrev_b32_e32 v5, 3, v8
	s_and_saveexec_b32 s2, vcc_lo
	s_cbranch_execz .LBB265_8
; %bb.7:
	v_mov_b32_e32 v3, 0
	s_delay_alu instid0(VALU_DEP_1)
	v_mov_b32_e32 v4, v3
	ds_store_b64 v5, v[3:4]
.LBB265_8:
	s_or_b32 exec_lo, exec_lo, s2
	v_mbcnt_lo_u32_b32 v9, -1, 0
	s_mov_b32 s3, exec_lo
	s_waitcnt lgkmcnt(0)
	s_barrier
	buffer_gl0_inv
	v_cmp_gt_u32_e64 s2, 16, v9
	s_delay_alu instid0(VALU_DEP_1) | instskip(SKIP_1) | instid1(VALU_DEP_2)
	v_cndmask_b32_e64 v3, 0, 1, s2
	v_cmp_gt_u32_e64 s2, 24, v9
	v_lshlrev_b32_e32 v3, 4, v3
	s_delay_alu instid0(VALU_DEP_1)
	v_add_lshl_u32 v4, v3, v9, 2
	ds_bpermute_b32 v3, v4, v1
	ds_bpermute_b32 v4, v4, v2
	s_waitcnt lgkmcnt(0)
	v_add_f64 v[1:2], v[1:2], v[3:4]
	v_cndmask_b32_e64 v3, 0, 1, s2
	v_cmp_gt_u32_e64 s2, 28, v9
	s_delay_alu instid0(VALU_DEP_2) | instskip(NEXT) | instid1(VALU_DEP_1)
	v_lshlrev_b32_e32 v3, 3, v3
	v_add_lshl_u32 v4, v3, v9, 2
	ds_bpermute_b32 v3, v4, v1
	ds_bpermute_b32 v4, v4, v2
	s_waitcnt lgkmcnt(0)
	v_add_f64 v[1:2], v[1:2], v[3:4]
	v_cndmask_b32_e64 v3, 0, 1, s2
	v_cmp_gt_u32_e64 s2, 30, v9
	s_delay_alu instid0(VALU_DEP_2) | instskip(NEXT) | instid1(VALU_DEP_1)
	v_lshlrev_b32_e32 v3, 2, v3
	v_add_lshl_u32 v6, v3, v9, 2
	ds_bpermute_b32 v3, v6, v1
	ds_bpermute_b32 v4, v6, v2
	s_waitcnt lgkmcnt(0)
	v_add_f64 v[1:2], v[1:2], v[3:4]
	v_cndmask_b32_e64 v3, 0, 1, s2
	v_cmp_ne_u32_e64 s2, 31, v9
	s_delay_alu instid0(VALU_DEP_2) | instskip(NEXT) | instid1(VALU_DEP_1)
	v_lshlrev_b32_e32 v3, 1, v3
	v_add_lshl_u32 v7, v3, v9, 2
	ds_bpermute_b32 v3, v7, v1
	ds_bpermute_b32 v4, v7, v2
	s_waitcnt lgkmcnt(0)
	v_add_f64 v[1:2], v[1:2], v[3:4]
	v_add_co_ci_u32_e64 v3, s2, 0, v9, s2
	s_delay_alu instid0(VALU_DEP_1)
	v_lshlrev_b32_e32 v9, 2, v3
	ds_bpermute_b32 v3, v9, v1
	ds_bpermute_b32 v4, v9, v2
	v_cmpx_eq_u32_e32 0, v8
	s_cbranch_execz .LBB265_10
; %bb.9:
	s_waitcnt lgkmcnt(0)
	v_add_f64 v[1:2], v[1:2], v[3:4]
	v_lshrrev_b32_e32 v3, 2, v0
	s_delay_alu instid0(VALU_DEP_1)
	v_and_b32_e32 v3, 56, v3
	ds_store_b64 v3, v[1:2]
.LBB265_10:
	s_or_b32 exec_lo, exec_lo, s3
	v_mov_b32_e32 v1, 0
	v_mov_b32_e32 v2, 0
	s_mov_b32 s3, exec_lo
	s_waitcnt lgkmcnt(0)
	s_barrier
	buffer_gl0_inv
	v_cmpx_gt_u32_e32 8, v0
	s_cbranch_execz .LBB265_12
; %bb.11:
	ds_load_b64 v[1:2], v5
.LBB265_12:
	s_or_b32 exec_lo, exec_lo, s3
	s_and_saveexec_b32 s2, vcc_lo
	s_cbranch_execz .LBB265_14
; %bb.13:
	s_waitcnt lgkmcnt(0)
	ds_bpermute_b32 v3, v6, v1
	ds_bpermute_b32 v4, v6, v2
	s_waitcnt lgkmcnt(0)
	v_add_f64 v[1:2], v[1:2], v[3:4]
	ds_bpermute_b32 v3, v7, v1
	ds_bpermute_b32 v4, v7, v2
	s_waitcnt lgkmcnt(0)
	v_add_f64 v[1:2], v[1:2], v[3:4]
	;; [unrolled: 4-line block ×3, first 2 shown]
.LBB265_14:
	s_or_b32 exec_lo, exec_lo, s2
	s_delay_alu instid0(SALU_CYCLE_1)
	s_mov_b32 s2, exec_lo
	v_cmpx_eq_u32_e32 0, v0
	s_cbranch_execz .LBB265_18
; %bb.15:
	s_clause 0x1
	s_load_b64 s[2:3], s[0:1], 0x8
	s_load_b32 s8, s[0:1], 0x28
	s_lshl_b64 s[0:1], s[6:7], 3
	s_waitcnt lgkmcnt(0)
	v_cmp_eq_f64_e64 s9, s[2:3], 0
	s_ashr_i32 s6, s8, 31
	s_add_u32 s4, s4, s0
	s_mul_hi_u32 s0, s8, s14
	s_mul_i32 s6, s6, s14
	s_addc_u32 s5, s5, s1
	s_add_i32 s1, s0, s6
	s_mul_i32 s0, s8, s14
	s_delay_alu instid0(VALU_DEP_1)
	s_and_b32 vcc_lo, exec_lo, s9
	s_cbranch_vccnz .LBB265_17
; %bb.16:
	s_lshl_b64 s[6:7], s[0:1], 3
	s_delay_alu instid0(SALU_CYCLE_1) | instskip(SKIP_3) | instid1(VALU_DEP_3)
	s_add_u32 s6, s4, s6
	s_addc_u32 s7, s5, s7
	s_load_b64 s[6:7], s[6:7], 0x0
	s_waitcnt lgkmcnt(0)
	v_fma_f64 v[1:2], s[6:7], s[2:3], v[1:2]
.LBB265_17:
	s_lshl_b64 s[0:1], s[0:1], 3
	v_mov_b32_e32 v0, 0
	s_add_u32 s0, s4, s0
	s_addc_u32 s1, s5, s1
	global_store_b64 v0, v[1:2], s[0:1]
.LBB265_18:
	s_nop 0
	s_sendmsg sendmsg(MSG_DEALLOC_VGPRS)
	s_endpgm
	.section	.rodata,"a",@progbits
	.p2align	6, 0x0
	.amdhsa_kernel _ZL23rocblas_gemvt_sn_reduceILi256ELi8EddKPdEviT2_lPT3_lilPT1_i
		.amdhsa_group_segment_fixed_size 256
		.amdhsa_private_segment_fixed_size 0
		.amdhsa_kernarg_size 328
		.amdhsa_user_sgpr_count 13
		.amdhsa_user_sgpr_dispatch_ptr 0
		.amdhsa_user_sgpr_queue_ptr 0
		.amdhsa_user_sgpr_kernarg_segment_ptr 1
		.amdhsa_user_sgpr_dispatch_id 0
		.amdhsa_user_sgpr_private_segment_size 0
		.amdhsa_wavefront_size32 1
		.amdhsa_uses_dynamic_stack 0
		.amdhsa_enable_private_segment 0
		.amdhsa_system_sgpr_workgroup_id_x 1
		.amdhsa_system_sgpr_workgroup_id_y 1
		.amdhsa_system_sgpr_workgroup_id_z 1
		.amdhsa_system_sgpr_workgroup_info 0
		.amdhsa_system_vgpr_workitem_id 0
		.amdhsa_next_free_vgpr 22
		.amdhsa_next_free_sgpr 20
		.amdhsa_reserve_vcc 1
		.amdhsa_float_round_mode_32 0
		.amdhsa_float_round_mode_16_64 0
		.amdhsa_float_denorm_mode_32 3
		.amdhsa_float_denorm_mode_16_64 3
		.amdhsa_dx10_clamp 1
		.amdhsa_ieee_mode 1
		.amdhsa_fp16_overflow 0
		.amdhsa_workgroup_processor_mode 1
		.amdhsa_memory_ordered 1
		.amdhsa_forward_progress 0
		.amdhsa_shared_vgpr_count 0
		.amdhsa_exception_fp_ieee_invalid_op 0
		.amdhsa_exception_fp_denorm_src 0
		.amdhsa_exception_fp_ieee_div_zero 0
		.amdhsa_exception_fp_ieee_overflow 0
		.amdhsa_exception_fp_ieee_underflow 0
		.amdhsa_exception_fp_ieee_inexact 0
		.amdhsa_exception_int_div_zero 0
	.end_amdhsa_kernel
	.section	.text._ZL23rocblas_gemvt_sn_reduceILi256ELi8EddKPdEviT2_lPT3_lilPT1_i,"axG",@progbits,_ZL23rocblas_gemvt_sn_reduceILi256ELi8EddKPdEviT2_lPT3_lilPT1_i,comdat
.Lfunc_end265:
	.size	_ZL23rocblas_gemvt_sn_reduceILi256ELi8EddKPdEviT2_lPT3_lilPT1_i, .Lfunc_end265-_ZL23rocblas_gemvt_sn_reduceILi256ELi8EddKPdEviT2_lPT3_lilPT1_i
                                        ; -- End function
	.section	.AMDGPU.csdata,"",@progbits
; Kernel info:
; codeLenInByte = 1240
; NumSgprs: 22
; NumVgprs: 22
; ScratchSize: 0
; MemoryBound: 1
; FloatMode: 240
; IeeeMode: 1
; LDSByteSize: 256 bytes/workgroup (compile time only)
; SGPRBlocks: 2
; VGPRBlocks: 2
; NumSGPRsForWavesPerEU: 22
; NumVGPRsForWavesPerEU: 22
; Occupancy: 16
; WaveLimiterHint : 1
; COMPUTE_PGM_RSRC2:SCRATCH_EN: 0
; COMPUTE_PGM_RSRC2:USER_SGPR: 13
; COMPUTE_PGM_RSRC2:TRAP_HANDLER: 0
; COMPUTE_PGM_RSRC2:TGID_X_EN: 1
; COMPUTE_PGM_RSRC2:TGID_Y_EN: 1
; COMPUTE_PGM_RSRC2:TGID_Z_EN: 1
; COMPUTE_PGM_RSRC2:TIDIG_COMP_CNT: 0
	.section	.text._ZL36rocblas_gemvt_double_buffered_kernelILb0ELi128ELi4ELi16EPKdS1_KPdEviiT4_lPKT3_lilS7_lilPT5_lili,"axG",@progbits,_ZL36rocblas_gemvt_double_buffered_kernelILb0ELi128ELi4ELi16EPKdS1_KPdEviiT4_lPKT3_lilS7_lilPT5_lili,comdat
	.globl	_ZL36rocblas_gemvt_double_buffered_kernelILb0ELi128ELi4ELi16EPKdS1_KPdEviiT4_lPKT3_lilS7_lilPT5_lili ; -- Begin function _ZL36rocblas_gemvt_double_buffered_kernelILb0ELi128ELi4ELi16EPKdS1_KPdEviiT4_lPKT3_lilS7_lilPT5_lili
	.p2align	8
	.type	_ZL36rocblas_gemvt_double_buffered_kernelILb0ELi128ELi4ELi16EPKdS1_KPdEviiT4_lPKT3_lilS7_lilPT5_lili,@function
_ZL36rocblas_gemvt_double_buffered_kernelILb0ELi128ELi4ELi16EPKdS1_KPdEviiT4_lPKT3_lilS7_lilPT5_lili: ; @_ZL36rocblas_gemvt_double_buffered_kernelILb0ELi128ELi4ELi16EPKdS1_KPdEviiT4_lPKT3_lilS7_lilPT5_lili
; %bb.0:
	s_load_b256 s[4:11], s[0:1], 0x8
	s_waitcnt lgkmcnt(0)
	s_mul_i32 s2, s15, s7
	s_mul_hi_u32 s3, s15, s6
	s_delay_alu instid0(SALU_CYCLE_1) | instskip(SKIP_1) | instid1(SALU_CYCLE_1)
	s_add_i32 s3, s3, s2
	s_mul_i32 s2, s15, s6
	s_lshl_b64 s[2:3], s[2:3], 3
	s_delay_alu instid0(SALU_CYCLE_1) | instskip(SKIP_4) | instid1(VALU_DEP_1)
	s_add_u32 s2, s4, s2
	s_addc_u32 s3, s5, s3
	s_load_b64 s[2:3], s[2:3], 0x0
	s_waitcnt lgkmcnt(0)
	v_cmp_eq_f64_e64 s4, s[2:3], 0
	s_and_b32 vcc_lo, exec_lo, s4
	s_cbranch_vccnz .LBB266_11
; %bb.1:
	s_clause 0x1
	s_load_b32 s4, s[0:1], 0x84
	s_load_b32 s5, s[0:1], 0x0
	s_mov_b32 s16, s15
	s_mov_b32 s17, 0
	s_waitcnt lgkmcnt(0)
	v_cvt_f32_u32_e32 v1, s4
	s_ashr_i32 s7, s5, 31
	s_sub_i32 s12, 0, s4
	s_lshr_b32 s7, s7, 25
	s_delay_alu instid0(SALU_CYCLE_1) | instskip(SKIP_4) | instid1(VALU_DEP_1)
	s_add_i32 s5, s5, s7
	v_rcp_iflag_f32_e32 v1, v1
	s_ashr_i32 s5, s5, 7
	s_waitcnt_depctr 0xfff
	v_mul_f32_e32 v1, 0x4f7ffffe, v1
	v_cvt_u32_f32_e32 v1, v1
	s_delay_alu instid0(VALU_DEP_1) | instskip(NEXT) | instid1(VALU_DEP_1)
	v_readfirstlane_b32 s6, v1
	s_mul_i32 s12, s12, s6
	s_delay_alu instid0(SALU_CYCLE_1) | instskip(NEXT) | instid1(SALU_CYCLE_1)
	s_mul_hi_u32 s7, s6, s12
	s_add_i32 s6, s6, s7
	s_delay_alu instid0(SALU_CYCLE_1) | instskip(NEXT) | instid1(SALU_CYCLE_1)
	s_mul_hi_u32 s6, s5, s6
	s_mul_i32 s7, s6, s4
	s_add_i32 s12, s6, 1
	s_sub_i32 s7, s5, s7
	s_delay_alu instid0(SALU_CYCLE_1)
	s_sub_i32 s15, s7, s4
	s_cmp_ge_u32 s7, s4
	s_cselect_b32 s6, s12, s6
	s_cselect_b32 s7, s15, s7
	s_add_i32 s12, s6, 1
	s_cmp_ge_u32 s7, s4
	s_cselect_b32 s15, s12, s6
	s_delay_alu instid0(SALU_CYCLE_1) | instskip(NEXT) | instid1(SALU_CYCLE_1)
	s_mul_i32 s4, s15, s4
	s_sub_i32 s21, s5, s4
	s_delay_alu instid0(SALU_CYCLE_1) | instskip(SKIP_1) | instid1(SALU_CYCLE_1)
	s_cmp_lt_u32 s14, s21
	s_cselect_b32 s4, -1, 0
	s_cmp_lg_u32 s4, 0
	s_addc_u32 s20, s15, 0
	s_delay_alu instid0(SALU_CYCLE_1)
	s_cmp_eq_u32 s20, 0
	s_cbranch_scc1 .LBB266_11
; %bb.2:
	s_load_b128 s[4:7], s[0:1], 0x58
	s_lshl_b64 s[18:19], s[16:17], 3
	v_and_b32_e32 v139, 0x3ff, v0
	v_bfe_u32 v140, v0, 10, 10
	v_mov_b32_e32 v35, 0
	v_mov_b32_e32 v36, 0
	s_delay_alu instid0(VALU_DEP_2) | instskip(NEXT) | instid1(VALU_DEP_4)
	v_dual_mov_b32 v33, v35 :: v_dual_and_b32 v0, 63, v139
	v_lshl_add_u32 v65, v140, 7, v139
	s_delay_alu instid0(VALU_DEP_3) | instskip(NEXT) | instid1(VALU_DEP_3)
	v_mov_b32_e32 v34, v36
	v_dual_mov_b32 v38, v36 :: v_dual_lshlrev_b32 v143, 3, v0
	s_delay_alu instid0(VALU_DEP_3) | instskip(SKIP_2) | instid1(VALU_DEP_3)
	v_lshrrev_b32_e32 v141, 2, v65
	v_dual_mov_b32 v42, v36 :: v_dual_mov_b32 v41, v35
	v_dual_mov_b32 v37, v35 :: v_dual_mov_b32 v40, v36
	v_dual_mov_b32 v39, v35 :: v_dual_and_b32 v142, 0x7ff0, v141
	s_waitcnt lgkmcnt(0)
	s_add_u32 s16, s4, s18
	s_addc_u32 s17, s5, s19
	s_lshl_b32 s4, s13, 7
	s_load_b64 s[12:13], s[16:17], 0x0
	v_dual_mov_b32 v46, v36 :: v_dual_mov_b32 v45, v35
	v_dual_mov_b32 v44, v36 :: v_dual_mov_b32 v43, v35
	;; [unrolled: 1-line block ×11, first 2 shown]
	s_ashr_i32 s5, s4, 31
	s_cmp_lt_i32 s20, 1
	s_cbranch_scc1 .LBB266_8
; %bb.3:
	v_cvt_f64_i32_e32 v[1:2], s14
	v_cvt_f64_u32_e32 v[3:4], s21
	s_mul_i32 s15, s15, s14
	s_clause 0x1
	s_load_b32 s16, s[0:1], 0x28
	s_load_b128 s[24:27], s[0:1], 0x38
	v_cvt_f64_u32_e32 v[5:6], s15
	s_load_b32 s14, s[0:1], 0x48
	v_mov_b32_e32 v33, 0
	v_dual_mov_b32 v34, 0 :: v_dual_lshlrev_b32 v35, 1, v65
	s_delay_alu instid0(VALU_DEP_1) | instskip(NEXT) | instid1(VALU_DEP_3)
	v_dual_mov_b32 v64, v34 :: v_dual_and_b32 v65, 0x7ff80, v35
	v_dual_mov_b32 v60, v34 :: v_dual_mov_b32 v63, v33
	v_dual_mov_b32 v62, v34 :: v_dual_mov_b32 v59, v33
	v_dual_mov_b32 v56, v34 :: v_dual_mov_b32 v61, v33
	v_dual_mov_b32 v58, v34 :: v_dual_mov_b32 v55, v33
	v_mov_b32_e32 v52, v34
	s_waitcnt lgkmcnt(0)
	s_ashr_i32 s17, s16, 31
	s_add_u32 s8, s8, s18
	s_addc_u32 s9, s9, s19
	s_add_u32 s18, s24, s18
	s_load_b64 s[8:9], s[8:9], 0x0
	s_addc_u32 s19, s25, s19
	s_lshl_b64 s[10:11], s[10:11], 3
	s_load_b64 s[18:19], s[18:19], 0x0
	s_ashr_i32 s15, s14, 31
	v_dual_mov_b32 v57, v33 :: v_dual_mov_b32 v54, v34
	v_dual_mov_b32 v51, v33 :: v_dual_mov_b32 v48, v34
	v_dual_mov_b32 v53, v33 :: v_dual_mov_b32 v50, v34
	v_dual_mov_b32 v47, v33 :: v_dual_mov_b32 v44, v34
	v_min_f64 v[1:2], v[1:2], v[3:4]
	v_dual_mov_b32 v49, v33 :: v_dual_mov_b32 v46, v34
	v_dual_mov_b32 v43, v33 :: v_dual_mov_b32 v40, v34
	;; [unrolled: 1-line block ×3, first 2 shown]
	s_waitcnt lgkmcnt(0)
	s_add_u32 s23, s8, s10
	s_addc_u32 s24, s9, s11
	s_lshl_b64 s[8:9], s[26:27], 3
	s_mul_hi_i32 s11, s16, s4
	s_add_u32 s21, s18, s8
	s_addc_u32 s22, s19, s9
	v_dual_mov_b32 v39, v33 :: v_dual_mov_b32 v38, v34
	v_dual_mov_b32 v41, v33 :: v_dual_mov_b32 v36, v34
	v_add_f64 v[1:2], v[1:2], v[5:6]
	s_delay_alu instid0(VALU_DEP_1) | instskip(SKIP_1) | instid1(VALU_DEP_1)
	v_cvt_i32_f64_e32 v4, v[1:2]
	v_mov_b32_e32 v1, 0
	v_mad_i64_i32 v[2:3], null, s16, v142, v[0:1]
	s_delay_alu instid0(VALU_DEP_1) | instskip(NEXT) | instid1(VALU_DEP_4)
	v_lshlrev_b64 v[1:2], 3, v[2:3]
	v_readfirstlane_b32 s10, v4
	s_delay_alu instid0(VALU_DEP_1) | instskip(SKIP_2) | instid1(SALU_CYCLE_1)
	s_lshl_b32 s8, s10, 7
	s_mul_i32 s10, s16, s4
	s_ashr_i32 s9, s8, 31
	s_lshl_b64 s[18:19], s[8:9], 3
	s_lshl_b64 s[8:9], s[10:11], 3
	s_add_u32 s10, s23, s18
	s_addc_u32 s11, s24, s19
	s_add_u32 s8, s10, s8
	s_addc_u32 s9, s11, s9
	v_add_co_u32 v1, vcc_lo, s8, v1
	v_add_co_ci_u32_e32 v2, vcc_lo, s9, v2, vcc_lo
	s_lshl_b64 s[8:9], s[16:17], 3
	v_or_b32_e32 v67, s18, v143
	s_mul_i32 s23, s19, s14
	s_delay_alu instid0(VALU_DEP_2) | instskip(SKIP_4) | instid1(VALU_DEP_1)
	v_mad_i64_i32 v[31:32], null, 0x78, s16, v[1:2]
	global_load_b64 v[1:2], v[1:2], off
	s_lshl_b64 s[18:19], s[4:5], 3
	v_mul_lo_u32 v71, v67, s15
	v_add_co_u32 v69, s5, v65, s18
	v_add_co_ci_u32_e64 v70, null, 0, s19, s5
	v_sub_co_u32 v3, vcc_lo, v31, s8
	v_subrev_co_ci_u32_e32 v4, vcc_lo, s9, v32, vcc_lo
	v_mad_u64_u32 v[65:66], null, v67, s14, 0
	s_delay_alu instid0(VALU_DEP_3) | instskip(NEXT) | instid1(VALU_DEP_3)
	v_sub_co_u32 v5, vcc_lo, v3, s8
	v_subrev_co_ci_u32_e32 v6, vcc_lo, s9, v4, vcc_lo
	global_load_b64 v[3:4], v[3:4], off
	v_sub_co_u32 v7, vcc_lo, v5, s8
	v_subrev_co_ci_u32_e32 v8, vcc_lo, s9, v6, vcc_lo
	global_load_b64 v[5:6], v[5:6], off
	;; [unrolled: 3-line block ×9, first 2 shown]
	v_sub_co_u32 v23, vcc_lo, v21, s8
	v_subrev_co_ci_u32_e32 v24, vcc_lo, s9, v22, vcc_lo
	v_or_b32_e32 v72, 0x200, v67
	s_delay_alu instid0(VALU_DEP_3) | instskip(NEXT) | instid1(VALU_DEP_3)
	v_sub_co_u32 v25, vcc_lo, v23, s8
	v_subrev_co_ci_u32_e32 v26, vcc_lo, s9, v24, vcc_lo
	v_mad_u64_u32 v[67:68], null, v69, s16, s[10:11]
	s_delay_alu instid0(VALU_DEP_3) | instskip(NEXT) | instid1(VALU_DEP_3)
	v_sub_co_u32 v27, vcc_lo, v25, s8
	v_subrev_co_ci_u32_e32 v28, vcc_lo, s9, v26, vcc_lo
	v_mul_lo_u32 v103, v69, s17
	s_delay_alu instid0(VALU_DEP_3) | instskip(NEXT) | instid1(VALU_DEP_3)
	v_sub_co_u32 v29, vcc_lo, v27, s8
	v_subrev_co_ci_u32_e32 v30, vcc_lo, s9, v28, vcc_lo
	global_load_b64 v[21:22], v[21:22], off
	global_load_b64 v[23:24], v[23:24], off
	;; [unrolled: 1-line block ×6, first 2 shown]
	v_add_co_u32 v73, vcc_lo, v69, 8
	v_add_co_ci_u32_e32 v74, vcc_lo, 0, v70, vcc_lo
	v_add_co_u32 v75, vcc_lo, v69, 16
	v_add_co_ci_u32_e32 v76, vcc_lo, 0, v70, vcc_lo
	;; [unrolled: 2-line block ×15, first 2 shown]
	v_mul_lo_u32 v104, v70, s16
	v_mul_lo_u32 v105, v72, s15
	v_mad_u64_u32 v[69:70], null, v72, s14, 0
	v_add3_u32 v66, v66, v71, s23
	v_mad_u64_u32 v[71:72], null, v73, s16, s[10:11]
	v_mul_lo_u32 v106, v73, s17
	v_mul_lo_u32 v107, v74, s16
	v_mad_u64_u32 v[73:74], null, v75, s16, s[10:11]
	v_mul_lo_u32 v108, v75, s17
	v_mul_lo_u32 v109, v76, s16
	;; [unrolled: 3-line block ×3, first 2 shown]
	v_add3_u32 v72, v107, v72, v106
	v_mad_u64_u32 v[77:78], null, v79, s16, s[10:11]
	v_mul_lo_u32 v112, v79, s17
	v_mul_lo_u32 v113, v80, s16
	v_add3_u32 v74, v109, v74, v108
	v_add_co_u32 v144, vcc_lo, 0x400, v71
	v_mad_u64_u32 v[79:80], null, v81, s16, s[10:11]
	v_mul_lo_u32 v114, v81, s17
	v_mul_lo_u32 v115, v82, s16
	v_add_co_ci_u32_e32 v145, vcc_lo, 0, v72, vcc_lo
	v_add3_u32 v76, v111, v76, v110
	v_add_co_u32 v146, vcc_lo, 0x400, v73
	v_mad_u64_u32 v[81:82], null, v83, s16, s[10:11]
	v_mul_lo_u32 v116, v83, s17
	v_mul_lo_u32 v117, v84, s16
	v_add_co_ci_u32_e32 v147, vcc_lo, 0, v74, vcc_lo
	;; [unrolled: 6-line block ×11, first 2 shown]
	v_add3_u32 v96, v131, v96, v130
	v_add_co_u32 v166, vcc_lo, 0x400, v93
	v_add_co_ci_u32_e32 v167, vcc_lo, 0, v94, vcc_lo
	v_add3_u32 v98, v133, v98, v132
	v_add_co_u32 v168, vcc_lo, 0x400, v95
	v_add_co_ci_u32_e32 v169, vcc_lo, 0, v96, vcc_lo
	;; [unrolled: 3-line block ×3, first 2 shown]
	v_add_co_u32 v172, vcc_lo, 0x400, v99
	v_mov_b32_e32 v37, v33
	v_mov_b32_e32 v35, v33
	v_add_co_ci_u32_e32 v173, vcc_lo, 0, v100, vcc_lo
	v_add3_u32 v68, v104, v68, v103
	v_add3_u32 v70, v70, v105, s23
	s_mov_b32 s5, 0
	s_add_i32 s16, s20, -1
	s_lshl_b64 s[10:11], s[14:15], 10
	s_waitcnt vmcnt(15)
	v_dual_mov_b32 v72, v2 :: v_dual_mov_b32 v71, v1
	s_waitcnt vmcnt(14)
	v_dual_mov_b32 v100, v4 :: v_dual_mov_b32 v99, v3
	;; [unrolled: 2-line block ×10, first 2 shown]
	s_waitcnt vmcnt(5)
	v_mov_b32_e32 v82, v22
	s_waitcnt vmcnt(4)
	v_mov_b32_e32 v80, v24
	s_waitcnt vmcnt(3)
	v_dual_mov_b32 v78, v26 :: v_dual_mov_b32 v81, v21
	s_waitcnt vmcnt(2)
	v_dual_mov_b32 v76, v28 :: v_dual_mov_b32 v79, v23
	;; [unrolled: 2-line block ×4, first 2 shown]
	v_mov_b32_e32 v73, v29
	v_mov_b32_e32 v101, v31
.LBB266_4:                              ; =>This Inner Loop Header: Depth=1
	v_add_co_u32 v137, vcc_lo, v67, v143
	v_add_co_ci_u32_e32 v138, vcc_lo, 0, v68, vcc_lo
	s_cmp_lg_u32 s16, s5
	s_delay_alu instid0(VALU_DEP_2) | instskip(NEXT) | instid1(VALU_DEP_2)
	v_add_co_u32 v103, vcc_lo, 0x200, v137
	v_add_co_ci_u32_e32 v104, vcc_lo, 0, v138, vcc_lo
	s_delay_alu instid0(VALU_DEP_2) | instskip(NEXT) | instid1(VALU_DEP_2)
	v_add_co_u32 v105, vcc_lo, v103, s8
	v_add_co_ci_u32_e32 v106, vcc_lo, s9, v104, vcc_lo
	;; [unrolled: 3-line block ×5, first 2 shown]
	s_clause 0x3
	global_load_b64 v[103:104], v[137:138], off offset:512
	global_load_b64 v[105:106], v[105:106], off
	global_load_b64 v[107:108], v[107:108], off
	;; [unrolled: 1-line block ×3, first 2 shown]
	v_add_co_u32 v113, vcc_lo, v111, s8
	v_add_co_ci_u32_e32 v114, vcc_lo, s9, v112, vcc_lo
	global_load_b64 v[111:112], v[111:112], off
	v_add_co_u32 v115, vcc_lo, v113, s8
	v_add_co_ci_u32_e32 v116, vcc_lo, s9, v114, vcc_lo
	global_load_b64 v[113:114], v[113:114], off
	;; [unrolled: 3-line block ×8, first 2 shown]
	v_add_co_u32 v129, vcc_lo, v127, s8
	v_add_co_ci_u32_e32 v130, vcc_lo, s9, v128, vcc_lo
	s_delay_alu instid0(VALU_DEP_2) | instskip(NEXT) | instid1(VALU_DEP_2)
	v_add_co_u32 v131, vcc_lo, v129, s8
	v_add_co_ci_u32_e32 v132, vcc_lo, s9, v130, vcc_lo
	s_delay_alu instid0(VALU_DEP_2) | instskip(NEXT) | instid1(VALU_DEP_2)
	v_add_co_u32 v133, vcc_lo, v131, s8
	v_add_co_ci_u32_e32 v134, vcc_lo, s9, v132, vcc_lo
	v_add_co_u32 v135, vcc_lo, s21, v65
	v_add_co_ci_u32_e32 v136, vcc_lo, s22, v66, vcc_lo
	global_load_b64 v[127:128], v[127:128], off
	global_load_b64 v[129:130], v[129:130], off
	;; [unrolled: 1-line block ×5, first 2 shown]
	s_cbranch_scc0 .LBB266_6
; %bb.5:                                ;   in Loop: Header=BB266_4 Depth=1
	v_add_co_u32 v73, vcc_lo, v144, v143
	v_add_co_ci_u32_e32 v74, vcc_lo, 0, v145, vcc_lo
	v_add_co_u32 v75, vcc_lo, v146, v143
	v_add_co_ci_u32_e32 v76, vcc_lo, 0, v147, vcc_lo
	v_add_co_u32 v77, vcc_lo, v148, v143
	v_add_co_ci_u32_e32 v78, vcc_lo, 0, v149, vcc_lo
	v_add_co_u32 v79, vcc_lo, v150, v143
	v_add_co_ci_u32_e32 v80, vcc_lo, 0, v151, vcc_lo
	v_add_co_u32 v81, vcc_lo, v152, v143
	v_add_co_ci_u32_e32 v82, vcc_lo, 0, v153, vcc_lo
	v_add_co_u32 v83, vcc_lo, v154, v143
	v_add_co_ci_u32_e32 v84, vcc_lo, 0, v155, vcc_lo
	v_add_co_u32 v85, vcc_lo, v156, v143
	v_add_co_ci_u32_e32 v86, vcc_lo, 0, v157, vcc_lo
	v_add_co_u32 v87, vcc_lo, v158, v143
	v_add_co_ci_u32_e32 v88, vcc_lo, 0, v159, vcc_lo
	v_add_co_u32 v89, vcc_lo, v160, v143
	v_add_co_ci_u32_e32 v90, vcc_lo, 0, v161, vcc_lo
	v_add_co_u32 v91, vcc_lo, v162, v143
	v_add_co_ci_u32_e32 v92, vcc_lo, 0, v163, vcc_lo
	v_add_co_u32 v93, vcc_lo, v164, v143
	v_add_co_ci_u32_e32 v94, vcc_lo, 0, v165, vcc_lo
	v_add_co_u32 v95, vcc_lo, v166, v143
	v_add_co_ci_u32_e32 v96, vcc_lo, 0, v167, vcc_lo
	v_add_co_u32 v97, vcc_lo, v168, v143
	v_add_co_ci_u32_e32 v98, vcc_lo, 0, v169, vcc_lo
	v_add_co_u32 v99, vcc_lo, v170, v143
	v_add_co_ci_u32_e32 v100, vcc_lo, 0, v171, vcc_lo
	v_add_co_u32 v101, vcc_lo, v172, v143
	v_add_co_ci_u32_e32 v102, vcc_lo, 0, v173, vcc_lo
	global_load_b64 v[71:72], v[137:138], off offset:1024
	global_load_b64 v[73:74], v[73:74], off
	global_load_b64 v[75:76], v[75:76], off
	;; [unrolled: 1-line block ×15, first 2 shown]
.LBB266_6:                              ;   in Loop: Header=BB266_4 Depth=1
	v_add_co_u32 v137, vcc_lo, s21, v69
	v_add_co_ci_u32_e32 v138, vcc_lo, s22, v70, vcc_lo
	s_waitcnt vmcnt(0)
	v_fma_f64 v[1:2], v[1:2], v[135:136], v[33:34]
	v_fma_f64 v[29:30], v[29:30], v[135:136], v[63:64]
	;; [unrolled: 1-line block ×3, first 2 shown]
	global_load_b64 v[137:138], v[137:138], off
	v_fma_f64 v[25:26], v[25:26], v[135:136], v[61:62]
	v_fma_f64 v[23:24], v[23:24], v[135:136], v[55:56]
	;; [unrolled: 1-line block ×13, first 2 shown]
	v_add_co_u32 v144, vcc_lo, 0x400, v144
	v_add_co_ci_u32_e32 v145, vcc_lo, 0, v145, vcc_lo
	v_add_co_u32 v146, vcc_lo, 0x400, v146
	v_add_co_ci_u32_e32 v147, vcc_lo, 0, v147, vcc_lo
	v_add_co_u32 v148, vcc_lo, 0x400, v148
	v_add_co_ci_u32_e32 v149, vcc_lo, 0, v149, vcc_lo
	v_add_co_u32 v150, vcc_lo, 0x400, v150
	v_add_co_ci_u32_e32 v151, vcc_lo, 0, v151, vcc_lo
	v_add_co_u32 v152, vcc_lo, 0x400, v152
	v_add_co_ci_u32_e32 v153, vcc_lo, 0, v153, vcc_lo
	v_add_co_u32 v154, vcc_lo, 0x400, v154
	v_add_co_ci_u32_e32 v155, vcc_lo, 0, v155, vcc_lo
	v_add_co_u32 v156, vcc_lo, 0x400, v156
	v_add_co_ci_u32_e32 v157, vcc_lo, 0, v157, vcc_lo
	v_add_co_u32 v158, vcc_lo, 0x400, v158
	v_add_co_ci_u32_e32 v159, vcc_lo, 0, v159, vcc_lo
	v_add_co_u32 v160, vcc_lo, 0x400, v160
	v_add_co_ci_u32_e32 v161, vcc_lo, 0, v161, vcc_lo
	v_add_co_u32 v162, vcc_lo, 0x400, v162
	v_add_co_ci_u32_e32 v163, vcc_lo, 0, v163, vcc_lo
	v_add_co_u32 v164, vcc_lo, 0x400, v164
	v_add_co_ci_u32_e32 v165, vcc_lo, 0, v165, vcc_lo
	v_add_co_u32 v166, vcc_lo, 0x400, v166
	v_add_co_ci_u32_e32 v167, vcc_lo, 0, v167, vcc_lo
	v_add_co_u32 v168, vcc_lo, 0x400, v168
	v_add_co_ci_u32_e32 v169, vcc_lo, 0, v169, vcc_lo
	v_add_co_u32 v170, vcc_lo, 0x400, v170
	v_add_co_ci_u32_e32 v171, vcc_lo, 0, v171, vcc_lo
	v_add_co_u32 v172, vcc_lo, 0x400, v172
	v_add_co_ci_u32_e32 v173, vcc_lo, 0, v173, vcc_lo
	v_add_co_u32 v67, vcc_lo, 0x400, v67
	s_add_i32 s5, s5, 1
	v_add_co_ci_u32_e32 v68, vcc_lo, 0, v68, vcc_lo
	s_add_u32 s21, s21, s10
	s_addc_u32 s22, s22, s11
	s_cmp_ge_i32 s5, s20
	s_waitcnt vmcnt(0)
	v_fma_f64 v[33:34], v[103:104], v[137:138], v[1:2]
	v_fma_f64 v[63:64], v[105:106], v[137:138], v[29:30]
	;; [unrolled: 1-line block ×16, first 2 shown]
	s_cbranch_scc1 .LBB266_8
; %bb.7:                                ;   in Loop: Header=BB266_4 Depth=1
	v_dual_mov_b32 v1, v71 :: v_dual_mov_b32 v2, v72
	v_dual_mov_b32 v29, v73 :: v_dual_mov_b32 v30, v74
	;; [unrolled: 1-line block ×16, first 2 shown]
	s_branch .LBB266_4
.LBB266_8:
	v_lshlrev_b32_e32 v2, 3, v139
	v_lshlrev_b32_e32 v3, 9, v141
	v_lshl_or_b32 v1, v142, 9, v143
	s_mov_b32 s5, 0
	s_mov_b32 s8, exec_lo
	ds_store_2addr_stride64_b64 v1, v[33:34], v[63:64] offset1:1
	ds_store_2addr_stride64_b64 v1, v[59:60], v[61:62] offset0:2 offset1:3
	ds_store_2addr_stride64_b64 v1, v[55:56], v[57:58] offset0:4 offset1:5
	ds_store_2addr_stride64_b64 v1, v[51:52], v[53:54] offset0:6 offset1:7
	v_or3_b32 v2, v3, v2, 0x1e00
	ds_store_2addr_stride64_b64 v1, v[47:48], v[49:50] offset0:8 offset1:9
	ds_store_2addr_stride64_b64 v1, v[43:44], v[45:46] offset0:10 offset1:11
	ds_store_2addr_stride64_b64 v1, v[39:40], v[41:42] offset0:12 offset1:13
	ds_store_b64 v1, v[37:38] offset:7168
	ds_store_b64 v2, v[35:36]
	s_waitcnt lgkmcnt(0)
	s_barrier
	buffer_gl0_inv
	v_cmpx_eq_u32_e32 0, v140
	s_cbranch_execz .LBB266_11
; %bb.9:
	v_lshlrev_b32_e32 v12, 6, v139
	v_add_nc_u32_e32 v2, 1, v139
	v_add_nc_u32_e32 v3, 2, v139
	;; [unrolled: 1-line block ×3, first 2 shown]
	s_load_b32 s8, s[0:1], 0x68
	v_or_b32_e32 v10, v0, v12
	v_and_or_b32 v2, v2, 63, v12
	v_and_or_b32 v3, v3, 63, v12
	v_and_or_b32 v4, v4, 63, v12
	s_lshl_b64 s[0:1], s[6:7], 3
	v_lshlrev_b32_e32 v0, 3, v10
	v_lshlrev_b32_e32 v2, 3, v2
	;; [unrolled: 1-line block ×4, first 2 shown]
	s_add_u32 s6, s12, s0
	ds_load_b64 v[0:1], v0
	ds_load_b64 v[2:3], v2
	ds_load_b64 v[4:5], v5
	ds_load_b64 v[6:7], v6
	s_addc_u32 s7, s13, s1
	s_waitcnt lgkmcnt(0)
	s_mul_hi_i32 s1, s8, s4
	s_mul_i32 s0, s8, s4
	s_delay_alu instid0(SALU_CYCLE_1) | instskip(NEXT) | instid1(SALU_CYCLE_1)
	s_lshl_b64 s[0:1], s[0:1], 3
	s_add_u32 s0, s6, s0
	s_addc_u32 s1, s7, s1
	v_add_f64 v[0:1], v[0:1], 0
	s_delay_alu instid0(VALU_DEP_1) | instskip(SKIP_1) | instid1(VALU_DEP_1)
	v_add_f64 v[0:1], v[0:1], v[2:3]
	v_add_nc_u32_e32 v2, 4, v139
	v_and_or_b32 v2, v2, 63, v12
	s_delay_alu instid0(VALU_DEP_1) | instskip(SKIP_4) | instid1(VALU_DEP_2)
	v_lshlrev_b32_e32 v2, 3, v2
	ds_load_b64 v[2:3], v2
	v_add_f64 v[0:1], v[0:1], v[4:5]
	v_add_nc_u32_e32 v4, 5, v139
	v_add_nc_u32_e32 v5, 6, v139
	v_and_or_b32 v4, v4, 63, v12
	s_delay_alu instid0(VALU_DEP_2) | instskip(NEXT) | instid1(VALU_DEP_2)
	v_and_or_b32 v5, v5, 63, v12
	v_lshlrev_b32_e32 v4, 3, v4
	v_add_f64 v[0:1], v[0:1], v[6:7]
	v_add_nc_u32_e32 v6, 7, v139
	s_delay_alu instid0(VALU_DEP_4) | instskip(NEXT) | instid1(VALU_DEP_2)
	v_lshlrev_b32_e32 v7, 3, v5
	v_and_or_b32 v6, v6, 63, v12
	s_delay_alu instid0(VALU_DEP_1)
	v_lshlrev_b32_e32 v8, 3, v6
	ds_load_b64 v[4:5], v4
	ds_load_b64 v[6:7], v7
	ds_load_b64 v[8:9], v8
	s_waitcnt lgkmcnt(3)
	v_add_f64 v[0:1], v[0:1], v[2:3]
	v_add_nc_u32_e32 v2, 8, v139
	s_delay_alu instid0(VALU_DEP_1) | instskip(NEXT) | instid1(VALU_DEP_1)
	v_and_or_b32 v2, v2, 63, v12
	v_lshlrev_b32_e32 v2, 3, v2
	ds_load_b64 v[2:3], v2
	s_waitcnt lgkmcnt(3)
	v_add_f64 v[0:1], v[0:1], v[4:5]
	v_add_nc_u32_e32 v4, 9, v139
	v_add_nc_u32_e32 v5, 10, v139
	s_delay_alu instid0(VALU_DEP_2) | instskip(NEXT) | instid1(VALU_DEP_2)
	v_and_or_b32 v4, v4, 63, v12
	v_and_or_b32 v5, v5, 63, v12
	s_delay_alu instid0(VALU_DEP_2) | instskip(SKIP_4) | instid1(VALU_DEP_2)
	v_lshlrev_b32_e32 v4, 3, v4
	s_waitcnt lgkmcnt(2)
	v_add_f64 v[0:1], v[0:1], v[6:7]
	v_add_nc_u32_e32 v6, 11, v139
	v_lshlrev_b32_e32 v7, 3, v5
	v_and_or_b32 v6, v6, 63, v12
	s_waitcnt lgkmcnt(1)
	s_delay_alu instid0(VALU_DEP_4) | instskip(NEXT) | instid1(VALU_DEP_2)
	v_add_f64 v[0:1], v[0:1], v[8:9]
	v_lshlrev_b32_e32 v8, 3, v6
	ds_load_b64 v[4:5], v4
	ds_load_b64 v[6:7], v7
	ds_load_b64 v[8:9], v8
	s_waitcnt lgkmcnt(3)
	v_add_f64 v[0:1], v[0:1], v[2:3]
	v_add_nc_u32_e32 v2, 12, v139
	s_delay_alu instid0(VALU_DEP_1) | instskip(NEXT) | instid1(VALU_DEP_1)
	v_and_or_b32 v2, v2, 63, v12
	v_lshlrev_b32_e32 v2, 3, v2
	ds_load_b64 v[2:3], v2
	s_waitcnt lgkmcnt(3)
	v_add_f64 v[0:1], v[0:1], v[4:5]
	v_add_nc_u32_e32 v4, 13, v139
	v_add_nc_u32_e32 v5, 14, v139
	s_delay_alu instid0(VALU_DEP_2) | instskip(NEXT) | instid1(VALU_DEP_2)
	v_and_or_b32 v4, v4, 63, v12
	v_and_or_b32 v5, v5, 63, v12
	s_delay_alu instid0(VALU_DEP_2) | instskip(SKIP_4) | instid1(VALU_DEP_2)
	v_lshlrev_b32_e32 v4, 3, v4
	s_waitcnt lgkmcnt(2)
	v_add_f64 v[0:1], v[0:1], v[6:7]
	v_add_nc_u32_e32 v6, 15, v139
	v_lshlrev_b32_e32 v7, 3, v5
	v_and_or_b32 v6, v6, 63, v12
	s_waitcnt lgkmcnt(1)
	s_delay_alu instid0(VALU_DEP_4) | instskip(NEXT) | instid1(VALU_DEP_2)
	v_add_f64 v[0:1], v[0:1], v[8:9]
	;; [unrolled: 28-line block ×6, first 2 shown]
	v_lshlrev_b32_e32 v8, 3, v6
	ds_load_b64 v[4:5], v4
	ds_load_b64 v[6:7], v7
	;; [unrolled: 1-line block ×3, first 2 shown]
	s_waitcnt lgkmcnt(3)
	v_add_f64 v[0:1], v[0:1], v[2:3]
	v_xor_b32_e32 v2, 32, v10
	s_delay_alu instid0(VALU_DEP_1)
	v_lshlrev_b32_e32 v2, 3, v2
	ds_load_b64 v[2:3], v2
	s_waitcnt lgkmcnt(3)
	v_add_f64 v[0:1], v[0:1], v[4:5]
	v_add_nc_u32_e32 v4, 33, v139
	v_add_nc_u32_e32 v5, 34, v139
	s_delay_alu instid0(VALU_DEP_2) | instskip(NEXT) | instid1(VALU_DEP_2)
	v_and_or_b32 v4, v4, 63, v12
	v_and_or_b32 v5, v5, 63, v12
	s_delay_alu instid0(VALU_DEP_2) | instskip(SKIP_4) | instid1(VALU_DEP_2)
	v_lshlrev_b32_e32 v4, 3, v4
	s_waitcnt lgkmcnt(2)
	v_add_f64 v[0:1], v[0:1], v[6:7]
	v_add_nc_u32_e32 v6, 35, v139
	v_lshlrev_b32_e32 v7, 3, v5
	v_and_or_b32 v6, v6, 63, v12
	s_waitcnt lgkmcnt(1)
	s_delay_alu instid0(VALU_DEP_4) | instskip(NEXT) | instid1(VALU_DEP_2)
	v_add_f64 v[0:1], v[0:1], v[8:9]
	v_lshlrev_b32_e32 v8, 3, v6
	ds_load_b64 v[4:5], v4
	ds_load_b64 v[6:7], v7
	ds_load_b64 v[8:9], v8
	s_waitcnt lgkmcnt(3)
	v_add_f64 v[0:1], v[0:1], v[2:3]
	v_add_nc_u32_e32 v2, 36, v139
	s_delay_alu instid0(VALU_DEP_1) | instskip(NEXT) | instid1(VALU_DEP_1)
	v_and_or_b32 v2, v2, 63, v12
	v_lshlrev_b32_e32 v2, 3, v2
	ds_load_b64 v[2:3], v2
	s_waitcnt lgkmcnt(3)
	v_add_f64 v[0:1], v[0:1], v[4:5]
	v_add_nc_u32_e32 v4, 37, v139
	v_add_nc_u32_e32 v5, 38, v139
	s_delay_alu instid0(VALU_DEP_2) | instskip(NEXT) | instid1(VALU_DEP_2)
	v_and_or_b32 v4, v4, 63, v12
	v_and_or_b32 v5, v5, 63, v12
	s_delay_alu instid0(VALU_DEP_2) | instskip(SKIP_4) | instid1(VALU_DEP_2)
	v_lshlrev_b32_e32 v4, 3, v4
	s_waitcnt lgkmcnt(2)
	v_add_f64 v[0:1], v[0:1], v[6:7]
	v_add_nc_u32_e32 v6, 39, v139
	v_lshlrev_b32_e32 v7, 3, v5
	v_and_or_b32 v6, v6, 63, v12
	s_waitcnt lgkmcnt(1)
	s_delay_alu instid0(VALU_DEP_4) | instskip(NEXT) | instid1(VALU_DEP_2)
	v_add_f64 v[0:1], v[0:1], v[8:9]
	v_lshlrev_b32_e32 v8, 3, v6
	ds_load_b64 v[4:5], v4
	ds_load_b64 v[6:7], v7
	ds_load_b64 v[8:9], v8
	s_waitcnt lgkmcnt(3)
	v_add_f64 v[0:1], v[0:1], v[2:3]
	v_add_nc_u32_e32 v2, 40, v139
	s_delay_alu instid0(VALU_DEP_1) | instskip(NEXT) | instid1(VALU_DEP_1)
	v_and_or_b32 v2, v2, 63, v12
	;; [unrolled: 28-line block ×6, first 2 shown]
	v_lshlrev_b32_e32 v2, 3, v2
	ds_load_b64 v[2:3], v2
	s_waitcnt lgkmcnt(3)
	v_add_f64 v[0:1], v[0:1], v[4:5]
	v_add_nc_u32_e32 v4, 57, v139
	v_add_nc_u32_e32 v5, 58, v139
	s_delay_alu instid0(VALU_DEP_2) | instskip(NEXT) | instid1(VALU_DEP_2)
	v_and_or_b32 v4, v4, 63, v12
	v_and_or_b32 v5, v5, 63, v12
	s_delay_alu instid0(VALU_DEP_2) | instskip(NEXT) | instid1(VALU_DEP_2)
	v_lshlrev_b32_e32 v4, 3, v4
	v_lshlrev_b32_e32 v5, 3, v5
	s_waitcnt lgkmcnt(2)
	v_add_f64 v[0:1], v[0:1], v[6:7]
	v_add_nc_u32_e32 v6, 59, v139
	s_delay_alu instid0(VALU_DEP_1) | instskip(NEXT) | instid1(VALU_DEP_1)
	v_and_or_b32 v6, v6, 63, v12
	v_lshlrev_b32_e32 v10, 3, v6
	s_waitcnt lgkmcnt(1)
	s_delay_alu instid0(VALU_DEP_4)
	v_add_f64 v[0:1], v[0:1], v[8:9]
	ds_load_b64 v[6:7], v4
	ds_load_b64 v[8:9], v5
	;; [unrolled: 1-line block ×3, first 2 shown]
	s_waitcnt lgkmcnt(3)
	v_add_f64 v[0:1], v[0:1], v[2:3]
	v_mad_i64_i32 v[2:3], null, s8, v139, 0
	s_delay_alu instid0(VALU_DEP_1) | instskip(NEXT) | instid1(VALU_DEP_1)
	v_lshlrev_b64 v[2:3], 3, v[2:3]
	v_add_co_u32 v4, vcc_lo, s0, v2
	s_delay_alu instid0(VALU_DEP_2) | instskip(SKIP_4) | instid1(VALU_DEP_1)
	v_add_co_ci_u32_e32 v5, vcc_lo, s1, v3, vcc_lo
	global_load_b64 v[2:3], v[4:5], off
	s_waitcnt lgkmcnt(2)
	v_add_f64 v[0:1], v[0:1], v[6:7]
	v_add_nc_u32_e32 v6, 60, v139
	v_and_or_b32 v6, v6, 63, v12
	s_delay_alu instid0(VALU_DEP_1)
	v_lshlrev_b32_e32 v6, 3, v6
	ds_load_b64 v[6:7], v6
	s_waitcnt lgkmcnt(2)
	v_add_f64 v[0:1], v[0:1], v[8:9]
	v_add_nc_u32_e32 v8, 61, v139
	v_add_nc_u32_e32 v9, 62, v139
	s_delay_alu instid0(VALU_DEP_2) | instskip(NEXT) | instid1(VALU_DEP_2)
	v_and_or_b32 v8, v8, 63, v12
	v_and_or_b32 v9, v9, 63, v12
	s_delay_alu instid0(VALU_DEP_2) | instskip(SKIP_4) | instid1(VALU_DEP_2)
	v_lshlrev_b32_e32 v8, 3, v8
	s_waitcnt lgkmcnt(1)
	v_add_f64 v[0:1], v[0:1], v[10:11]
	v_add_nc_u32_e32 v10, -1, v139
	v_lshlrev_b32_e32 v11, 3, v9
	v_and_or_b32 v10, v10, 63, v12
	s_delay_alu instid0(VALU_DEP_1)
	v_lshlrev_b32_e32 v12, 3, v10
	ds_load_b64 v[8:9], v8
	ds_load_b64 v[10:11], v11
	;; [unrolled: 1-line block ×3, first 2 shown]
	s_waitcnt lgkmcnt(3)
	v_add_f64 v[0:1], v[0:1], v[6:7]
	s_waitcnt lgkmcnt(2)
	s_delay_alu instid0(VALU_DEP_1) | instskip(SKIP_1) | instid1(VALU_DEP_1)
	v_add_f64 v[0:1], v[0:1], v[8:9]
	s_waitcnt lgkmcnt(1)
	v_add_f64 v[0:1], v[0:1], v[10:11]
	s_waitcnt lgkmcnt(0)
	s_delay_alu instid0(VALU_DEP_1) | instskip(NEXT) | instid1(VALU_DEP_1)
	v_add_f64 v[0:1], v[0:1], v[12:13]
	v_mul_f64 v[6:7], s[2:3], v[0:1]
.LBB266_10:                             ; =>This Inner Loop Header: Depth=1
	s_waitcnt vmcnt(0)
	s_delay_alu instid0(VALU_DEP_1)
	v_add_f64 v[0:1], v[2:3], v[6:7]
	global_atomic_cmpswap_b64 v[0:1], v[4:5], v[0:3], off glc
	s_waitcnt vmcnt(0)
	v_cmp_eq_u64_e32 vcc_lo, v[0:1], v[2:3]
	v_dual_mov_b32 v3, v1 :: v_dual_mov_b32 v2, v0
	s_or_b32 s5, vcc_lo, s5
	s_delay_alu instid0(SALU_CYCLE_1)
	s_and_not1_b32 exec_lo, exec_lo, s5
	s_cbranch_execnz .LBB266_10
.LBB266_11:
	s_endpgm
	.section	.rodata,"a",@progbits
	.p2align	6, 0x0
	.amdhsa_kernel _ZL36rocblas_gemvt_double_buffered_kernelILb0ELi128ELi4ELi16EPKdS1_KPdEviiT4_lPKT3_lilS7_lilPT5_lili
		.amdhsa_group_segment_fixed_size 65536
		.amdhsa_private_segment_fixed_size 0
		.amdhsa_kernarg_size 384
		.amdhsa_user_sgpr_count 13
		.amdhsa_user_sgpr_dispatch_ptr 0
		.amdhsa_user_sgpr_queue_ptr 0
		.amdhsa_user_sgpr_kernarg_segment_ptr 1
		.amdhsa_user_sgpr_dispatch_id 0
		.amdhsa_user_sgpr_private_segment_size 0
		.amdhsa_wavefront_size32 1
		.amdhsa_uses_dynamic_stack 0
		.amdhsa_enable_private_segment 0
		.amdhsa_system_sgpr_workgroup_id_x 1
		.amdhsa_system_sgpr_workgroup_id_y 1
		.amdhsa_system_sgpr_workgroup_id_z 1
		.amdhsa_system_sgpr_workgroup_info 0
		.amdhsa_system_vgpr_workitem_id 1
		.amdhsa_next_free_vgpr 174
		.amdhsa_next_free_sgpr 28
		.amdhsa_reserve_vcc 1
		.amdhsa_float_round_mode_32 0
		.amdhsa_float_round_mode_16_64 0
		.amdhsa_float_denorm_mode_32 3
		.amdhsa_float_denorm_mode_16_64 3
		.amdhsa_dx10_clamp 1
		.amdhsa_ieee_mode 1
		.amdhsa_fp16_overflow 0
		.amdhsa_workgroup_processor_mode 1
		.amdhsa_memory_ordered 1
		.amdhsa_forward_progress 0
		.amdhsa_shared_vgpr_count 0
		.amdhsa_exception_fp_ieee_invalid_op 0
		.amdhsa_exception_fp_denorm_src 0
		.amdhsa_exception_fp_ieee_div_zero 0
		.amdhsa_exception_fp_ieee_overflow 0
		.amdhsa_exception_fp_ieee_underflow 0
		.amdhsa_exception_fp_ieee_inexact 0
		.amdhsa_exception_int_div_zero 0
	.end_amdhsa_kernel
	.section	.text._ZL36rocblas_gemvt_double_buffered_kernelILb0ELi128ELi4ELi16EPKdS1_KPdEviiT4_lPKT3_lilS7_lilPT5_lili,"axG",@progbits,_ZL36rocblas_gemvt_double_buffered_kernelILb0ELi128ELi4ELi16EPKdS1_KPdEviiT4_lPKT3_lilS7_lilPT5_lili,comdat
.Lfunc_end266:
	.size	_ZL36rocblas_gemvt_double_buffered_kernelILb0ELi128ELi4ELi16EPKdS1_KPdEviiT4_lPKT3_lilS7_lilPT5_lili, .Lfunc_end266-_ZL36rocblas_gemvt_double_buffered_kernelILb0ELi128ELi4ELi16EPKdS1_KPdEviiT4_lPKT3_lilS7_lilPT5_lili
                                        ; -- End function
	.section	.AMDGPU.csdata,"",@progbits
; Kernel info:
; codeLenInByte = 6676
; NumSgprs: 30
; NumVgprs: 174
; ScratchSize: 0
; MemoryBound: 0
; FloatMode: 240
; IeeeMode: 1
; LDSByteSize: 65536 bytes/workgroup (compile time only)
; SGPRBlocks: 3
; VGPRBlocks: 21
; NumSGPRsForWavesPerEU: 30
; NumVGPRsForWavesPerEU: 174
; Occupancy: 8
; WaveLimiterHint : 1
; COMPUTE_PGM_RSRC2:SCRATCH_EN: 0
; COMPUTE_PGM_RSRC2:USER_SGPR: 13
; COMPUTE_PGM_RSRC2:TRAP_HANDLER: 0
; COMPUTE_PGM_RSRC2:TGID_X_EN: 1
; COMPUTE_PGM_RSRC2:TGID_Y_EN: 1
; COMPUTE_PGM_RSRC2:TGID_Z_EN: 1
; COMPUTE_PGM_RSRC2:TIDIG_COMP_CNT: 1
	.section	.text._ZL36rocblas_gemvt_double_buffered_kernelILb0ELi128ELi4ELi16EPKddKPdEviiT4_lPKT3_lilS7_lilPT5_lili,"axG",@progbits,_ZL36rocblas_gemvt_double_buffered_kernelILb0ELi128ELi4ELi16EPKddKPdEviiT4_lPKT3_lilS7_lilPT5_lili,comdat
	.globl	_ZL36rocblas_gemvt_double_buffered_kernelILb0ELi128ELi4ELi16EPKddKPdEviiT4_lPKT3_lilS7_lilPT5_lili ; -- Begin function _ZL36rocblas_gemvt_double_buffered_kernelILb0ELi128ELi4ELi16EPKddKPdEviiT4_lPKT3_lilS7_lilPT5_lili
	.p2align	8
	.type	_ZL36rocblas_gemvt_double_buffered_kernelILb0ELi128ELi4ELi16EPKddKPdEviiT4_lPKT3_lilS7_lilPT5_lili,@function
_ZL36rocblas_gemvt_double_buffered_kernelILb0ELi128ELi4ELi16EPKddKPdEviiT4_lPKT3_lilS7_lilPT5_lili: ; @_ZL36rocblas_gemvt_double_buffered_kernelILb0ELi128ELi4ELi16EPKddKPdEviiT4_lPKT3_lilS7_lilPT5_lili
; %bb.0:
	s_load_b64 s[2:3], s[0:1], 0x8
	s_waitcnt lgkmcnt(0)
	v_cmp_eq_f64_e64 s4, s[2:3], 0
	s_delay_alu instid0(VALU_DEP_1)
	s_and_b32 vcc_lo, exec_lo, s4
	s_cbranch_vccnz .LBB267_11
; %bb.1:
	s_clause 0x1
	s_load_b32 s4, s[0:1], 0x84
	s_load_b32 s5, s[0:1], 0x0
	s_mov_b32 s8, s15
	s_waitcnt lgkmcnt(0)
	v_cvt_f32_u32_e32 v1, s4
	s_ashr_i32 s7, s5, 31
	s_sub_i32 s9, 0, s4
	s_lshr_b32 s7, s7, 25
	s_delay_alu instid0(SALU_CYCLE_1) | instskip(SKIP_4) | instid1(VALU_DEP_1)
	s_add_i32 s5, s5, s7
	v_rcp_iflag_f32_e32 v1, v1
	s_ashr_i32 s5, s5, 7
	s_waitcnt_depctr 0xfff
	v_mul_f32_e32 v1, 0x4f7ffffe, v1
	v_cvt_u32_f32_e32 v1, v1
	s_delay_alu instid0(VALU_DEP_1) | instskip(NEXT) | instid1(VALU_DEP_1)
	v_readfirstlane_b32 s6, v1
	s_mul_i32 s9, s9, s6
	s_delay_alu instid0(SALU_CYCLE_1) | instskip(NEXT) | instid1(SALU_CYCLE_1)
	s_mul_hi_u32 s7, s6, s9
	s_add_i32 s6, s6, s7
	s_delay_alu instid0(SALU_CYCLE_1) | instskip(NEXT) | instid1(SALU_CYCLE_1)
	s_mul_hi_u32 s6, s5, s6
	s_mul_i32 s7, s6, s4
	s_add_i32 s9, s6, 1
	s_sub_i32 s7, s5, s7
	s_delay_alu instid0(SALU_CYCLE_1)
	s_sub_i32 s10, s7, s4
	s_cmp_ge_u32 s7, s4
	s_cselect_b32 s6, s9, s6
	s_cselect_b32 s7, s10, s7
	s_add_i32 s9, s6, 1
	s_cmp_ge_u32 s7, s4
	s_cselect_b32 s12, s9, s6
	s_mov_b32 s9, 0
	s_mul_i32 s4, s12, s4
	s_delay_alu instid0(SALU_CYCLE_1) | instskip(NEXT) | instid1(SALU_CYCLE_1)
	s_sub_i32 s15, s5, s4
	s_cmp_lt_u32 s14, s15
	s_cselect_b32 s4, -1, 0
	s_delay_alu instid0(SALU_CYCLE_1) | instskip(SKIP_1) | instid1(SALU_CYCLE_1)
	s_cmp_lg_u32 s4, 0
	s_addc_u32 s20, s12, 0
	s_cmp_eq_u32 s20, 0
	s_cbranch_scc1 .LBB267_11
; %bb.2:
	s_load_b128 s[4:7], s[0:1], 0x58
	s_lshl_b64 s[10:11], s[8:9], 3
	v_and_b32_e32 v139, 0x3ff, v0
	v_bfe_u32 v140, v0, 10, 10
	v_mov_b32_e32 v35, 0
	v_mov_b32_e32 v36, 0
	s_delay_alu instid0(VALU_DEP_2) | instskip(NEXT) | instid1(VALU_DEP_4)
	v_dual_mov_b32 v33, v35 :: v_dual_and_b32 v0, 63, v139
	v_lshl_add_u32 v65, v140, 7, v139
	s_delay_alu instid0(VALU_DEP_3) | instskip(NEXT) | instid1(VALU_DEP_3)
	v_mov_b32_e32 v34, v36
	v_dual_mov_b32 v38, v36 :: v_dual_lshlrev_b32 v143, 3, v0
	s_delay_alu instid0(VALU_DEP_3) | instskip(SKIP_2) | instid1(VALU_DEP_3)
	v_lshrrev_b32_e32 v141, 2, v65
	v_dual_mov_b32 v42, v36 :: v_dual_mov_b32 v41, v35
	v_dual_mov_b32 v37, v35 :: v_dual_mov_b32 v40, v36
	v_dual_mov_b32 v39, v35 :: v_dual_and_b32 v142, 0x7ff0, v141
	s_waitcnt lgkmcnt(0)
	s_add_u32 s8, s4, s10
	s_addc_u32 s9, s5, s11
	s_lshl_b32 s4, s13, 7
	s_load_b64 s[8:9], s[8:9], 0x0
	v_dual_mov_b32 v46, v36 :: v_dual_mov_b32 v45, v35
	v_dual_mov_b32 v44, v36 :: v_dual_mov_b32 v43, v35
	;; [unrolled: 1-line block ×11, first 2 shown]
	s_ashr_i32 s5, s4, 31
	s_cmp_lt_i32 s20, 1
	s_cbranch_scc1 .LBB267_8
; %bb.3:
	v_cvt_f64_i32_e32 v[1:2], s14
	v_cvt_f64_u32_e32 v[3:4], s15
	s_mul_i32 s12, s12, s14
	s_clause 0x2
	s_load_b32 s14, s[0:1], 0x28
	s_load_b128 s[16:19], s[0:1], 0x18
	s_load_b128 s[24:27], s[0:1], 0x38
	v_cvt_f64_u32_e32 v[5:6], s12
	v_mov_b32_e32 v33, 0
	v_dual_mov_b32 v34, 0 :: v_dual_lshlrev_b32 v35, 1, v65
	s_delay_alu instid0(VALU_DEP_1) | instskip(NEXT) | instid1(VALU_DEP_3)
	v_dual_mov_b32 v64, v34 :: v_dual_and_b32 v65, 0x7ff80, v35
	v_dual_mov_b32 v60, v34 :: v_dual_mov_b32 v63, v33
	v_dual_mov_b32 v62, v34 :: v_dual_mov_b32 v59, v33
	;; [unrolled: 1-line block ×4, first 2 shown]
	v_mov_b32_e32 v52, v34
	s_waitcnt lgkmcnt(0)
	s_ashr_i32 s15, s14, 31
	s_add_u32 s16, s16, s10
	s_addc_u32 s17, s17, s11
	s_load_b32 s12, s[0:1], 0x48
	s_load_b64 s[16:17], s[16:17], 0x0
	s_add_u32 s10, s24, s10
	s_addc_u32 s11, s25, s11
	s_lshl_b64 s[18:19], s[18:19], 3
	s_load_b64 s[10:11], s[10:11], 0x0
	s_mul_hi_i32 s25, s14, s4
	s_mul_i32 s24, s14, s4
	v_dual_mov_b32 v57, v33 :: v_dual_mov_b32 v54, v34
	v_dual_mov_b32 v51, v33 :: v_dual_mov_b32 v48, v34
	;; [unrolled: 1-line block ×4, first 2 shown]
	v_min_f64 v[1:2], v[1:2], v[3:4]
	v_dual_mov_b32 v49, v33 :: v_dual_mov_b32 v46, v34
	v_dual_mov_b32 v43, v33 :: v_dual_mov_b32 v40, v34
	s_waitcnt lgkmcnt(0)
	s_ashr_i32 s13, s12, 31
	s_add_u32 s23, s16, s18
	s_addc_u32 s28, s17, s19
	s_lshl_b64 s[16:17], s[26:27], 3
	v_dual_mov_b32 v45, v33 :: v_dual_mov_b32 v42, v34
	s_add_u32 s21, s10, s16
	s_addc_u32 s22, s11, s17
	v_dual_mov_b32 v39, v33 :: v_dual_mov_b32 v38, v34
	v_dual_mov_b32 v41, v33 :: v_dual_mov_b32 v36, v34
	v_add_f64 v[1:2], v[1:2], v[5:6]
	s_delay_alu instid0(VALU_DEP_1) | instskip(SKIP_1) | instid1(VALU_DEP_1)
	v_cvt_i32_f64_e32 v4, v[1:2]
	v_mov_b32_e32 v1, 0
	v_mad_i64_i32 v[2:3], null, s14, v142, v[0:1]
	s_delay_alu instid0(VALU_DEP_1) | instskip(NEXT) | instid1(VALU_DEP_4)
	v_lshlrev_b64 v[1:2], 3, v[2:3]
	v_readfirstlane_b32 s18, v4
	s_delay_alu instid0(VALU_DEP_1) | instskip(NEXT) | instid1(SALU_CYCLE_1)
	s_lshl_b32 s10, s18, 7
	s_ashr_i32 s11, s10, 31
	s_delay_alu instid0(SALU_CYCLE_1)
	s_lshl_b64 s[18:19], s[10:11], 3
	s_lshl_b64 s[10:11], s[24:25], 3
	s_add_u32 s16, s23, s18
	s_addc_u32 s17, s28, s19
	s_add_u32 s10, s16, s10
	s_addc_u32 s11, s17, s11
	v_add_co_u32 v1, vcc_lo, s10, v1
	v_add_co_ci_u32_e32 v2, vcc_lo, s11, v2, vcc_lo
	s_lshl_b64 s[10:11], s[14:15], 3
	v_or_b32_e32 v67, s18, v143
	s_mul_i32 s23, s19, s12
	s_delay_alu instid0(VALU_DEP_2) | instskip(SKIP_4) | instid1(VALU_DEP_1)
	v_mad_i64_i32 v[31:32], null, 0x78, s14, v[1:2]
	global_load_b64 v[1:2], v[1:2], off
	s_lshl_b64 s[18:19], s[4:5], 3
	v_mul_lo_u32 v71, v67, s13
	v_add_co_u32 v69, s5, v65, s18
	v_add_co_ci_u32_e64 v70, null, 0, s19, s5
	v_sub_co_u32 v3, vcc_lo, v31, s10
	v_subrev_co_ci_u32_e32 v4, vcc_lo, s11, v32, vcc_lo
	v_mad_u64_u32 v[65:66], null, v67, s12, 0
	s_delay_alu instid0(VALU_DEP_3) | instskip(NEXT) | instid1(VALU_DEP_3)
	v_sub_co_u32 v5, vcc_lo, v3, s10
	v_subrev_co_ci_u32_e32 v6, vcc_lo, s11, v4, vcc_lo
	global_load_b64 v[3:4], v[3:4], off
	v_sub_co_u32 v7, vcc_lo, v5, s10
	v_subrev_co_ci_u32_e32 v8, vcc_lo, s11, v6, vcc_lo
	global_load_b64 v[5:6], v[5:6], off
	;; [unrolled: 3-line block ×9, first 2 shown]
	v_sub_co_u32 v23, vcc_lo, v21, s10
	v_subrev_co_ci_u32_e32 v24, vcc_lo, s11, v22, vcc_lo
	v_or_b32_e32 v72, 0x200, v67
	s_delay_alu instid0(VALU_DEP_3) | instskip(NEXT) | instid1(VALU_DEP_3)
	v_sub_co_u32 v25, vcc_lo, v23, s10
	v_subrev_co_ci_u32_e32 v26, vcc_lo, s11, v24, vcc_lo
	v_mad_u64_u32 v[67:68], null, v69, s14, s[16:17]
	s_delay_alu instid0(VALU_DEP_3) | instskip(NEXT) | instid1(VALU_DEP_3)
	v_sub_co_u32 v27, vcc_lo, v25, s10
	v_subrev_co_ci_u32_e32 v28, vcc_lo, s11, v26, vcc_lo
	v_mul_lo_u32 v103, v69, s15
	s_delay_alu instid0(VALU_DEP_3) | instskip(NEXT) | instid1(VALU_DEP_3)
	v_sub_co_u32 v29, vcc_lo, v27, s10
	v_subrev_co_ci_u32_e32 v30, vcc_lo, s11, v28, vcc_lo
	global_load_b64 v[21:22], v[21:22], off
	global_load_b64 v[23:24], v[23:24], off
	;; [unrolled: 1-line block ×6, first 2 shown]
	v_add_co_u32 v73, vcc_lo, v69, 8
	v_add_co_ci_u32_e32 v74, vcc_lo, 0, v70, vcc_lo
	v_add_co_u32 v75, vcc_lo, v69, 16
	v_add_co_ci_u32_e32 v76, vcc_lo, 0, v70, vcc_lo
	;; [unrolled: 2-line block ×15, first 2 shown]
	v_mul_lo_u32 v104, v70, s14
	v_mul_lo_u32 v105, v72, s13
	v_mad_u64_u32 v[69:70], null, v72, s12, 0
	v_add3_u32 v66, v66, v71, s23
	v_mad_u64_u32 v[71:72], null, v73, s14, s[16:17]
	v_mul_lo_u32 v106, v73, s15
	v_mul_lo_u32 v107, v74, s14
	v_mad_u64_u32 v[73:74], null, v75, s14, s[16:17]
	v_mul_lo_u32 v108, v75, s15
	v_mul_lo_u32 v109, v76, s14
	;; [unrolled: 3-line block ×3, first 2 shown]
	v_add3_u32 v72, v107, v72, v106
	v_mad_u64_u32 v[77:78], null, v79, s14, s[16:17]
	v_mul_lo_u32 v112, v79, s15
	v_mul_lo_u32 v113, v80, s14
	v_add3_u32 v74, v109, v74, v108
	v_add_co_u32 v144, vcc_lo, 0x400, v71
	v_mad_u64_u32 v[79:80], null, v81, s14, s[16:17]
	v_mul_lo_u32 v114, v81, s15
	v_mul_lo_u32 v115, v82, s14
	v_add_co_ci_u32_e32 v145, vcc_lo, 0, v72, vcc_lo
	v_add3_u32 v76, v111, v76, v110
	v_add_co_u32 v146, vcc_lo, 0x400, v73
	v_mad_u64_u32 v[81:82], null, v83, s14, s[16:17]
	v_mul_lo_u32 v116, v83, s15
	v_mul_lo_u32 v117, v84, s14
	v_add_co_ci_u32_e32 v147, vcc_lo, 0, v74, vcc_lo
	;; [unrolled: 6-line block ×11, first 2 shown]
	v_add3_u32 v96, v131, v96, v130
	v_add_co_u32 v166, vcc_lo, 0x400, v93
	v_add_co_ci_u32_e32 v167, vcc_lo, 0, v94, vcc_lo
	v_add3_u32 v98, v133, v98, v132
	v_add_co_u32 v168, vcc_lo, 0x400, v95
	v_add_co_ci_u32_e32 v169, vcc_lo, 0, v96, vcc_lo
	v_add3_u32 v100, v102, v100, v101
	v_add_co_u32 v170, vcc_lo, 0x400, v97
	v_add_co_ci_u32_e32 v171, vcc_lo, 0, v98, vcc_lo
	v_add_co_u32 v172, vcc_lo, 0x400, v99
	v_mov_b32_e32 v37, v33
	v_mov_b32_e32 v35, v33
	v_add_co_ci_u32_e32 v173, vcc_lo, 0, v100, vcc_lo
	v_add3_u32 v68, v104, v68, v103
	v_add3_u32 v70, v70, v105, s23
	s_mov_b32 s5, 0
	s_add_i32 s14, s20, -1
	s_lshl_b64 s[12:13], s[12:13], 10
	s_waitcnt vmcnt(15)
	v_dual_mov_b32 v72, v2 :: v_dual_mov_b32 v71, v1
	s_waitcnt vmcnt(14)
	v_dual_mov_b32 v100, v4 :: v_dual_mov_b32 v99, v3
	;; [unrolled: 2-line block ×10, first 2 shown]
	s_waitcnt vmcnt(5)
	v_mov_b32_e32 v82, v22
	s_waitcnt vmcnt(4)
	v_mov_b32_e32 v80, v24
	s_waitcnt vmcnt(3)
	v_dual_mov_b32 v78, v26 :: v_dual_mov_b32 v81, v21
	s_waitcnt vmcnt(2)
	v_dual_mov_b32 v76, v28 :: v_dual_mov_b32 v79, v23
	;; [unrolled: 2-line block ×4, first 2 shown]
	v_mov_b32_e32 v73, v29
	v_mov_b32_e32 v101, v31
.LBB267_4:                              ; =>This Inner Loop Header: Depth=1
	v_add_co_u32 v137, vcc_lo, v67, v143
	v_add_co_ci_u32_e32 v138, vcc_lo, 0, v68, vcc_lo
	s_cmp_lg_u32 s14, s5
	s_delay_alu instid0(VALU_DEP_2) | instskip(NEXT) | instid1(VALU_DEP_2)
	v_add_co_u32 v103, vcc_lo, 0x200, v137
	v_add_co_ci_u32_e32 v104, vcc_lo, 0, v138, vcc_lo
	s_delay_alu instid0(VALU_DEP_2) | instskip(NEXT) | instid1(VALU_DEP_2)
	v_add_co_u32 v105, vcc_lo, v103, s10
	v_add_co_ci_u32_e32 v106, vcc_lo, s11, v104, vcc_lo
	;; [unrolled: 3-line block ×5, first 2 shown]
	s_clause 0x3
	global_load_b64 v[103:104], v[137:138], off offset:512
	global_load_b64 v[105:106], v[105:106], off
	global_load_b64 v[107:108], v[107:108], off
	global_load_b64 v[109:110], v[109:110], off
	v_add_co_u32 v113, vcc_lo, v111, s10
	v_add_co_ci_u32_e32 v114, vcc_lo, s11, v112, vcc_lo
	global_load_b64 v[111:112], v[111:112], off
	v_add_co_u32 v115, vcc_lo, v113, s10
	v_add_co_ci_u32_e32 v116, vcc_lo, s11, v114, vcc_lo
	global_load_b64 v[113:114], v[113:114], off
	;; [unrolled: 3-line block ×8, first 2 shown]
	v_add_co_u32 v129, vcc_lo, v127, s10
	v_add_co_ci_u32_e32 v130, vcc_lo, s11, v128, vcc_lo
	s_delay_alu instid0(VALU_DEP_2) | instskip(NEXT) | instid1(VALU_DEP_2)
	v_add_co_u32 v131, vcc_lo, v129, s10
	v_add_co_ci_u32_e32 v132, vcc_lo, s11, v130, vcc_lo
	s_delay_alu instid0(VALU_DEP_2) | instskip(NEXT) | instid1(VALU_DEP_2)
	v_add_co_u32 v133, vcc_lo, v131, s10
	v_add_co_ci_u32_e32 v134, vcc_lo, s11, v132, vcc_lo
	v_add_co_u32 v135, vcc_lo, s21, v65
	v_add_co_ci_u32_e32 v136, vcc_lo, s22, v66, vcc_lo
	global_load_b64 v[127:128], v[127:128], off
	global_load_b64 v[129:130], v[129:130], off
	;; [unrolled: 1-line block ×5, first 2 shown]
	s_cbranch_scc0 .LBB267_6
; %bb.5:                                ;   in Loop: Header=BB267_4 Depth=1
	v_add_co_u32 v73, vcc_lo, v144, v143
	v_add_co_ci_u32_e32 v74, vcc_lo, 0, v145, vcc_lo
	v_add_co_u32 v75, vcc_lo, v146, v143
	v_add_co_ci_u32_e32 v76, vcc_lo, 0, v147, vcc_lo
	v_add_co_u32 v77, vcc_lo, v148, v143
	v_add_co_ci_u32_e32 v78, vcc_lo, 0, v149, vcc_lo
	v_add_co_u32 v79, vcc_lo, v150, v143
	v_add_co_ci_u32_e32 v80, vcc_lo, 0, v151, vcc_lo
	v_add_co_u32 v81, vcc_lo, v152, v143
	v_add_co_ci_u32_e32 v82, vcc_lo, 0, v153, vcc_lo
	v_add_co_u32 v83, vcc_lo, v154, v143
	v_add_co_ci_u32_e32 v84, vcc_lo, 0, v155, vcc_lo
	v_add_co_u32 v85, vcc_lo, v156, v143
	v_add_co_ci_u32_e32 v86, vcc_lo, 0, v157, vcc_lo
	v_add_co_u32 v87, vcc_lo, v158, v143
	v_add_co_ci_u32_e32 v88, vcc_lo, 0, v159, vcc_lo
	v_add_co_u32 v89, vcc_lo, v160, v143
	v_add_co_ci_u32_e32 v90, vcc_lo, 0, v161, vcc_lo
	v_add_co_u32 v91, vcc_lo, v162, v143
	v_add_co_ci_u32_e32 v92, vcc_lo, 0, v163, vcc_lo
	v_add_co_u32 v93, vcc_lo, v164, v143
	v_add_co_ci_u32_e32 v94, vcc_lo, 0, v165, vcc_lo
	v_add_co_u32 v95, vcc_lo, v166, v143
	v_add_co_ci_u32_e32 v96, vcc_lo, 0, v167, vcc_lo
	v_add_co_u32 v97, vcc_lo, v168, v143
	v_add_co_ci_u32_e32 v98, vcc_lo, 0, v169, vcc_lo
	v_add_co_u32 v99, vcc_lo, v170, v143
	v_add_co_ci_u32_e32 v100, vcc_lo, 0, v171, vcc_lo
	v_add_co_u32 v101, vcc_lo, v172, v143
	v_add_co_ci_u32_e32 v102, vcc_lo, 0, v173, vcc_lo
	global_load_b64 v[71:72], v[137:138], off offset:1024
	global_load_b64 v[73:74], v[73:74], off
	global_load_b64 v[75:76], v[75:76], off
	;; [unrolled: 1-line block ×15, first 2 shown]
.LBB267_6:                              ;   in Loop: Header=BB267_4 Depth=1
	v_add_co_u32 v137, vcc_lo, s21, v69
	v_add_co_ci_u32_e32 v138, vcc_lo, s22, v70, vcc_lo
	s_waitcnt vmcnt(0)
	v_fma_f64 v[1:2], v[1:2], v[135:136], v[33:34]
	v_fma_f64 v[29:30], v[29:30], v[135:136], v[63:64]
	;; [unrolled: 1-line block ×3, first 2 shown]
	global_load_b64 v[137:138], v[137:138], off
	v_fma_f64 v[25:26], v[25:26], v[135:136], v[61:62]
	v_fma_f64 v[23:24], v[23:24], v[135:136], v[55:56]
	;; [unrolled: 1-line block ×13, first 2 shown]
	v_add_co_u32 v144, vcc_lo, 0x400, v144
	v_add_co_ci_u32_e32 v145, vcc_lo, 0, v145, vcc_lo
	v_add_co_u32 v146, vcc_lo, 0x400, v146
	v_add_co_ci_u32_e32 v147, vcc_lo, 0, v147, vcc_lo
	;; [unrolled: 2-line block ×15, first 2 shown]
	v_add_co_u32 v67, vcc_lo, 0x400, v67
	s_add_i32 s5, s5, 1
	v_add_co_ci_u32_e32 v68, vcc_lo, 0, v68, vcc_lo
	s_add_u32 s21, s21, s12
	s_addc_u32 s22, s22, s13
	s_cmp_ge_i32 s5, s20
	s_waitcnt vmcnt(0)
	v_fma_f64 v[33:34], v[103:104], v[137:138], v[1:2]
	v_fma_f64 v[63:64], v[105:106], v[137:138], v[29:30]
	v_fma_f64 v[59:60], v[107:108], v[137:138], v[27:28]
	v_fma_f64 v[61:62], v[109:110], v[137:138], v[25:26]
	v_fma_f64 v[55:56], v[111:112], v[137:138], v[23:24]
	v_fma_f64 v[57:58], v[113:114], v[137:138], v[21:22]
	v_fma_f64 v[51:52], v[115:116], v[137:138], v[19:20]
	v_fma_f64 v[53:54], v[117:118], v[137:138], v[17:18]
	v_fma_f64 v[47:48], v[119:120], v[137:138], v[15:16]
	v_fma_f64 v[49:50], v[121:122], v[137:138], v[13:14]
	v_fma_f64 v[43:44], v[123:124], v[137:138], v[11:12]
	v_fma_f64 v[45:46], v[125:126], v[137:138], v[9:10]
	v_fma_f64 v[39:40], v[127:128], v[137:138], v[7:8]
	v_fma_f64 v[41:42], v[129:130], v[137:138], v[5:6]
	v_fma_f64 v[37:38], v[131:132], v[137:138], v[3:4]
	v_fma_f64 v[35:36], v[133:134], v[137:138], v[31:32]
	s_cbranch_scc1 .LBB267_8
; %bb.7:                                ;   in Loop: Header=BB267_4 Depth=1
	v_dual_mov_b32 v1, v71 :: v_dual_mov_b32 v2, v72
	v_dual_mov_b32 v29, v73 :: v_dual_mov_b32 v30, v74
	;; [unrolled: 1-line block ×16, first 2 shown]
	s_branch .LBB267_4
.LBB267_8:
	v_lshlrev_b32_e32 v2, 3, v139
	v_lshlrev_b32_e32 v3, 9, v141
	v_lshl_or_b32 v1, v142, 9, v143
	s_mov_b32 s5, 0
	s_mov_b32 s10, exec_lo
	ds_store_2addr_stride64_b64 v1, v[33:34], v[63:64] offset1:1
	ds_store_2addr_stride64_b64 v1, v[59:60], v[61:62] offset0:2 offset1:3
	ds_store_2addr_stride64_b64 v1, v[55:56], v[57:58] offset0:4 offset1:5
	;; [unrolled: 1-line block ×3, first 2 shown]
	v_or3_b32 v2, v3, v2, 0x1e00
	ds_store_2addr_stride64_b64 v1, v[47:48], v[49:50] offset0:8 offset1:9
	ds_store_2addr_stride64_b64 v1, v[43:44], v[45:46] offset0:10 offset1:11
	;; [unrolled: 1-line block ×3, first 2 shown]
	ds_store_b64 v1, v[37:38] offset:7168
	ds_store_b64 v2, v[35:36]
	s_waitcnt lgkmcnt(0)
	s_barrier
	buffer_gl0_inv
	v_cmpx_eq_u32_e32 0, v140
	s_cbranch_execz .LBB267_11
; %bb.9:
	v_lshlrev_b32_e32 v12, 6, v139
	v_add_nc_u32_e32 v2, 1, v139
	v_add_nc_u32_e32 v3, 2, v139
	;; [unrolled: 1-line block ×3, first 2 shown]
	s_load_b32 s10, s[0:1], 0x68
	v_or_b32_e32 v10, v0, v12
	v_and_or_b32 v2, v2, 63, v12
	v_and_or_b32 v3, v3, 63, v12
	;; [unrolled: 1-line block ×3, first 2 shown]
	s_lshl_b64 s[0:1], s[6:7], 3
	v_lshlrev_b32_e32 v0, 3, v10
	v_lshlrev_b32_e32 v2, 3, v2
	;; [unrolled: 1-line block ×4, first 2 shown]
	s_add_u32 s6, s8, s0
	ds_load_b64 v[0:1], v0
	ds_load_b64 v[2:3], v2
	;; [unrolled: 1-line block ×4, first 2 shown]
	s_addc_u32 s7, s9, s1
	s_waitcnt lgkmcnt(0)
	s_mul_hi_i32 s1, s10, s4
	s_mul_i32 s0, s10, s4
	s_delay_alu instid0(SALU_CYCLE_1) | instskip(NEXT) | instid1(SALU_CYCLE_1)
	s_lshl_b64 s[0:1], s[0:1], 3
	s_add_u32 s0, s6, s0
	s_addc_u32 s1, s7, s1
	v_add_f64 v[0:1], v[0:1], 0
	s_delay_alu instid0(VALU_DEP_1) | instskip(SKIP_1) | instid1(VALU_DEP_1)
	v_add_f64 v[0:1], v[0:1], v[2:3]
	v_add_nc_u32_e32 v2, 4, v139
	v_and_or_b32 v2, v2, 63, v12
	s_delay_alu instid0(VALU_DEP_1) | instskip(SKIP_4) | instid1(VALU_DEP_2)
	v_lshlrev_b32_e32 v2, 3, v2
	ds_load_b64 v[2:3], v2
	v_add_f64 v[0:1], v[0:1], v[4:5]
	v_add_nc_u32_e32 v4, 5, v139
	v_add_nc_u32_e32 v5, 6, v139
	v_and_or_b32 v4, v4, 63, v12
	s_delay_alu instid0(VALU_DEP_2) | instskip(NEXT) | instid1(VALU_DEP_2)
	v_and_or_b32 v5, v5, 63, v12
	v_lshlrev_b32_e32 v4, 3, v4
	v_add_f64 v[0:1], v[0:1], v[6:7]
	v_add_nc_u32_e32 v6, 7, v139
	s_delay_alu instid0(VALU_DEP_4) | instskip(NEXT) | instid1(VALU_DEP_2)
	v_lshlrev_b32_e32 v7, 3, v5
	v_and_or_b32 v6, v6, 63, v12
	s_delay_alu instid0(VALU_DEP_1)
	v_lshlrev_b32_e32 v8, 3, v6
	ds_load_b64 v[4:5], v4
	ds_load_b64 v[6:7], v7
	ds_load_b64 v[8:9], v8
	s_waitcnt lgkmcnt(3)
	v_add_f64 v[0:1], v[0:1], v[2:3]
	v_add_nc_u32_e32 v2, 8, v139
	s_delay_alu instid0(VALU_DEP_1) | instskip(NEXT) | instid1(VALU_DEP_1)
	v_and_or_b32 v2, v2, 63, v12
	v_lshlrev_b32_e32 v2, 3, v2
	ds_load_b64 v[2:3], v2
	s_waitcnt lgkmcnt(3)
	v_add_f64 v[0:1], v[0:1], v[4:5]
	v_add_nc_u32_e32 v4, 9, v139
	v_add_nc_u32_e32 v5, 10, v139
	s_delay_alu instid0(VALU_DEP_2) | instskip(NEXT) | instid1(VALU_DEP_2)
	v_and_or_b32 v4, v4, 63, v12
	v_and_or_b32 v5, v5, 63, v12
	s_delay_alu instid0(VALU_DEP_2) | instskip(SKIP_4) | instid1(VALU_DEP_2)
	v_lshlrev_b32_e32 v4, 3, v4
	s_waitcnt lgkmcnt(2)
	v_add_f64 v[0:1], v[0:1], v[6:7]
	v_add_nc_u32_e32 v6, 11, v139
	v_lshlrev_b32_e32 v7, 3, v5
	v_and_or_b32 v6, v6, 63, v12
	s_waitcnt lgkmcnt(1)
	s_delay_alu instid0(VALU_DEP_4) | instskip(NEXT) | instid1(VALU_DEP_2)
	v_add_f64 v[0:1], v[0:1], v[8:9]
	v_lshlrev_b32_e32 v8, 3, v6
	ds_load_b64 v[4:5], v4
	ds_load_b64 v[6:7], v7
	ds_load_b64 v[8:9], v8
	s_waitcnt lgkmcnt(3)
	v_add_f64 v[0:1], v[0:1], v[2:3]
	v_add_nc_u32_e32 v2, 12, v139
	s_delay_alu instid0(VALU_DEP_1) | instskip(NEXT) | instid1(VALU_DEP_1)
	v_and_or_b32 v2, v2, 63, v12
	v_lshlrev_b32_e32 v2, 3, v2
	ds_load_b64 v[2:3], v2
	s_waitcnt lgkmcnt(3)
	v_add_f64 v[0:1], v[0:1], v[4:5]
	v_add_nc_u32_e32 v4, 13, v139
	v_add_nc_u32_e32 v5, 14, v139
	s_delay_alu instid0(VALU_DEP_2) | instskip(NEXT) | instid1(VALU_DEP_2)
	v_and_or_b32 v4, v4, 63, v12
	v_and_or_b32 v5, v5, 63, v12
	s_delay_alu instid0(VALU_DEP_2) | instskip(SKIP_4) | instid1(VALU_DEP_2)
	v_lshlrev_b32_e32 v4, 3, v4
	s_waitcnt lgkmcnt(2)
	v_add_f64 v[0:1], v[0:1], v[6:7]
	v_add_nc_u32_e32 v6, 15, v139
	v_lshlrev_b32_e32 v7, 3, v5
	v_and_or_b32 v6, v6, 63, v12
	s_waitcnt lgkmcnt(1)
	s_delay_alu instid0(VALU_DEP_4) | instskip(NEXT) | instid1(VALU_DEP_2)
	v_add_f64 v[0:1], v[0:1], v[8:9]
	;; [unrolled: 28-line block ×6, first 2 shown]
	v_lshlrev_b32_e32 v8, 3, v6
	ds_load_b64 v[4:5], v4
	ds_load_b64 v[6:7], v7
	;; [unrolled: 1-line block ×3, first 2 shown]
	s_waitcnt lgkmcnt(3)
	v_add_f64 v[0:1], v[0:1], v[2:3]
	v_xor_b32_e32 v2, 32, v10
	s_delay_alu instid0(VALU_DEP_1)
	v_lshlrev_b32_e32 v2, 3, v2
	ds_load_b64 v[2:3], v2
	s_waitcnt lgkmcnt(3)
	v_add_f64 v[0:1], v[0:1], v[4:5]
	v_add_nc_u32_e32 v4, 33, v139
	v_add_nc_u32_e32 v5, 34, v139
	s_delay_alu instid0(VALU_DEP_2) | instskip(NEXT) | instid1(VALU_DEP_2)
	v_and_or_b32 v4, v4, 63, v12
	v_and_or_b32 v5, v5, 63, v12
	s_delay_alu instid0(VALU_DEP_2) | instskip(SKIP_4) | instid1(VALU_DEP_2)
	v_lshlrev_b32_e32 v4, 3, v4
	s_waitcnt lgkmcnt(2)
	v_add_f64 v[0:1], v[0:1], v[6:7]
	v_add_nc_u32_e32 v6, 35, v139
	v_lshlrev_b32_e32 v7, 3, v5
	v_and_or_b32 v6, v6, 63, v12
	s_waitcnt lgkmcnt(1)
	s_delay_alu instid0(VALU_DEP_4) | instskip(NEXT) | instid1(VALU_DEP_2)
	v_add_f64 v[0:1], v[0:1], v[8:9]
	v_lshlrev_b32_e32 v8, 3, v6
	ds_load_b64 v[4:5], v4
	ds_load_b64 v[6:7], v7
	ds_load_b64 v[8:9], v8
	s_waitcnt lgkmcnt(3)
	v_add_f64 v[0:1], v[0:1], v[2:3]
	v_add_nc_u32_e32 v2, 36, v139
	s_delay_alu instid0(VALU_DEP_1) | instskip(NEXT) | instid1(VALU_DEP_1)
	v_and_or_b32 v2, v2, 63, v12
	v_lshlrev_b32_e32 v2, 3, v2
	ds_load_b64 v[2:3], v2
	s_waitcnt lgkmcnt(3)
	v_add_f64 v[0:1], v[0:1], v[4:5]
	v_add_nc_u32_e32 v4, 37, v139
	v_add_nc_u32_e32 v5, 38, v139
	s_delay_alu instid0(VALU_DEP_2) | instskip(NEXT) | instid1(VALU_DEP_2)
	v_and_or_b32 v4, v4, 63, v12
	v_and_or_b32 v5, v5, 63, v12
	s_delay_alu instid0(VALU_DEP_2) | instskip(SKIP_4) | instid1(VALU_DEP_2)
	v_lshlrev_b32_e32 v4, 3, v4
	s_waitcnt lgkmcnt(2)
	v_add_f64 v[0:1], v[0:1], v[6:7]
	v_add_nc_u32_e32 v6, 39, v139
	v_lshlrev_b32_e32 v7, 3, v5
	v_and_or_b32 v6, v6, 63, v12
	s_waitcnt lgkmcnt(1)
	s_delay_alu instid0(VALU_DEP_4) | instskip(NEXT) | instid1(VALU_DEP_2)
	v_add_f64 v[0:1], v[0:1], v[8:9]
	v_lshlrev_b32_e32 v8, 3, v6
	ds_load_b64 v[4:5], v4
	ds_load_b64 v[6:7], v7
	ds_load_b64 v[8:9], v8
	s_waitcnt lgkmcnt(3)
	v_add_f64 v[0:1], v[0:1], v[2:3]
	v_add_nc_u32_e32 v2, 40, v139
	s_delay_alu instid0(VALU_DEP_1) | instskip(NEXT) | instid1(VALU_DEP_1)
	v_and_or_b32 v2, v2, 63, v12
	;; [unrolled: 28-line block ×6, first 2 shown]
	v_lshlrev_b32_e32 v2, 3, v2
	ds_load_b64 v[2:3], v2
	s_waitcnt lgkmcnt(3)
	v_add_f64 v[0:1], v[0:1], v[4:5]
	v_add_nc_u32_e32 v4, 57, v139
	v_add_nc_u32_e32 v5, 58, v139
	s_delay_alu instid0(VALU_DEP_2) | instskip(NEXT) | instid1(VALU_DEP_2)
	v_and_or_b32 v4, v4, 63, v12
	v_and_or_b32 v5, v5, 63, v12
	s_delay_alu instid0(VALU_DEP_2) | instskip(NEXT) | instid1(VALU_DEP_2)
	v_lshlrev_b32_e32 v4, 3, v4
	v_lshlrev_b32_e32 v5, 3, v5
	s_waitcnt lgkmcnt(2)
	v_add_f64 v[0:1], v[0:1], v[6:7]
	v_add_nc_u32_e32 v6, 59, v139
	s_delay_alu instid0(VALU_DEP_1) | instskip(NEXT) | instid1(VALU_DEP_1)
	v_and_or_b32 v6, v6, 63, v12
	v_lshlrev_b32_e32 v10, 3, v6
	s_waitcnt lgkmcnt(1)
	s_delay_alu instid0(VALU_DEP_4)
	v_add_f64 v[0:1], v[0:1], v[8:9]
	ds_load_b64 v[6:7], v4
	ds_load_b64 v[8:9], v5
	ds_load_b64 v[10:11], v10
	s_waitcnt lgkmcnt(3)
	v_add_f64 v[0:1], v[0:1], v[2:3]
	v_mad_i64_i32 v[2:3], null, s10, v139, 0
	s_delay_alu instid0(VALU_DEP_1) | instskip(NEXT) | instid1(VALU_DEP_1)
	v_lshlrev_b64 v[2:3], 3, v[2:3]
	v_add_co_u32 v4, vcc_lo, s0, v2
	s_delay_alu instid0(VALU_DEP_2) | instskip(SKIP_4) | instid1(VALU_DEP_1)
	v_add_co_ci_u32_e32 v5, vcc_lo, s1, v3, vcc_lo
	global_load_b64 v[2:3], v[4:5], off
	s_waitcnt lgkmcnt(2)
	v_add_f64 v[0:1], v[0:1], v[6:7]
	v_add_nc_u32_e32 v6, 60, v139
	v_and_or_b32 v6, v6, 63, v12
	s_delay_alu instid0(VALU_DEP_1)
	v_lshlrev_b32_e32 v6, 3, v6
	ds_load_b64 v[6:7], v6
	s_waitcnt lgkmcnt(2)
	v_add_f64 v[0:1], v[0:1], v[8:9]
	v_add_nc_u32_e32 v8, 61, v139
	v_add_nc_u32_e32 v9, 62, v139
	s_delay_alu instid0(VALU_DEP_2) | instskip(NEXT) | instid1(VALU_DEP_2)
	v_and_or_b32 v8, v8, 63, v12
	v_and_or_b32 v9, v9, 63, v12
	s_delay_alu instid0(VALU_DEP_2) | instskip(SKIP_4) | instid1(VALU_DEP_2)
	v_lshlrev_b32_e32 v8, 3, v8
	s_waitcnt lgkmcnt(1)
	v_add_f64 v[0:1], v[0:1], v[10:11]
	v_add_nc_u32_e32 v10, -1, v139
	v_lshlrev_b32_e32 v11, 3, v9
	v_and_or_b32 v10, v10, 63, v12
	s_delay_alu instid0(VALU_DEP_1)
	v_lshlrev_b32_e32 v12, 3, v10
	ds_load_b64 v[8:9], v8
	ds_load_b64 v[10:11], v11
	;; [unrolled: 1-line block ×3, first 2 shown]
	s_waitcnt lgkmcnt(3)
	v_add_f64 v[0:1], v[0:1], v[6:7]
	s_waitcnt lgkmcnt(2)
	s_delay_alu instid0(VALU_DEP_1) | instskip(SKIP_1) | instid1(VALU_DEP_1)
	v_add_f64 v[0:1], v[0:1], v[8:9]
	s_waitcnt lgkmcnt(1)
	v_add_f64 v[0:1], v[0:1], v[10:11]
	s_waitcnt lgkmcnt(0)
	s_delay_alu instid0(VALU_DEP_1) | instskip(NEXT) | instid1(VALU_DEP_1)
	v_add_f64 v[0:1], v[0:1], v[12:13]
	v_mul_f64 v[6:7], v[0:1], s[2:3]
.LBB267_10:                             ; =>This Inner Loop Header: Depth=1
	s_waitcnt vmcnt(0)
	s_delay_alu instid0(VALU_DEP_1)
	v_add_f64 v[0:1], v[2:3], v[6:7]
	global_atomic_cmpswap_b64 v[0:1], v[4:5], v[0:3], off glc
	s_waitcnt vmcnt(0)
	v_cmp_eq_u64_e32 vcc_lo, v[0:1], v[2:3]
	v_dual_mov_b32 v3, v1 :: v_dual_mov_b32 v2, v0
	s_or_b32 s5, vcc_lo, s5
	s_delay_alu instid0(SALU_CYCLE_1)
	s_and_not1_b32 exec_lo, exec_lo, s5
	s_cbranch_execnz .LBB267_10
.LBB267_11:
	s_endpgm
	.section	.rodata,"a",@progbits
	.p2align	6, 0x0
	.amdhsa_kernel _ZL36rocblas_gemvt_double_buffered_kernelILb0ELi128ELi4ELi16EPKddKPdEviiT4_lPKT3_lilS7_lilPT5_lili
		.amdhsa_group_segment_fixed_size 65536
		.amdhsa_private_segment_fixed_size 0
		.amdhsa_kernarg_size 384
		.amdhsa_user_sgpr_count 13
		.amdhsa_user_sgpr_dispatch_ptr 0
		.amdhsa_user_sgpr_queue_ptr 0
		.amdhsa_user_sgpr_kernarg_segment_ptr 1
		.amdhsa_user_sgpr_dispatch_id 0
		.amdhsa_user_sgpr_private_segment_size 0
		.amdhsa_wavefront_size32 1
		.amdhsa_uses_dynamic_stack 0
		.amdhsa_enable_private_segment 0
		.amdhsa_system_sgpr_workgroup_id_x 1
		.amdhsa_system_sgpr_workgroup_id_y 1
		.amdhsa_system_sgpr_workgroup_id_z 1
		.amdhsa_system_sgpr_workgroup_info 0
		.amdhsa_system_vgpr_workitem_id 1
		.amdhsa_next_free_vgpr 174
		.amdhsa_next_free_sgpr 29
		.amdhsa_reserve_vcc 1
		.amdhsa_float_round_mode_32 0
		.amdhsa_float_round_mode_16_64 0
		.amdhsa_float_denorm_mode_32 3
		.amdhsa_float_denorm_mode_16_64 3
		.amdhsa_dx10_clamp 1
		.amdhsa_ieee_mode 1
		.amdhsa_fp16_overflow 0
		.amdhsa_workgroup_processor_mode 1
		.amdhsa_memory_ordered 1
		.amdhsa_forward_progress 0
		.amdhsa_shared_vgpr_count 0
		.amdhsa_exception_fp_ieee_invalid_op 0
		.amdhsa_exception_fp_denorm_src 0
		.amdhsa_exception_fp_ieee_div_zero 0
		.amdhsa_exception_fp_ieee_overflow 0
		.amdhsa_exception_fp_ieee_underflow 0
		.amdhsa_exception_fp_ieee_inexact 0
		.amdhsa_exception_int_div_zero 0
	.end_amdhsa_kernel
	.section	.text._ZL36rocblas_gemvt_double_buffered_kernelILb0ELi128ELi4ELi16EPKddKPdEviiT4_lPKT3_lilS7_lilPT5_lili,"axG",@progbits,_ZL36rocblas_gemvt_double_buffered_kernelILb0ELi128ELi4ELi16EPKddKPdEviiT4_lPKT3_lilS7_lilPT5_lili,comdat
.Lfunc_end267:
	.size	_ZL36rocblas_gemvt_double_buffered_kernelILb0ELi128ELi4ELi16EPKddKPdEviiT4_lPKT3_lilS7_lilPT5_lili, .Lfunc_end267-_ZL36rocblas_gemvt_double_buffered_kernelILb0ELi128ELi4ELi16EPKddKPdEviiT4_lPKT3_lilS7_lilPT5_lili
                                        ; -- End function
	.section	.AMDGPU.csdata,"",@progbits
; Kernel info:
; codeLenInByte = 6640
; NumSgprs: 31
; NumVgprs: 174
; ScratchSize: 0
; MemoryBound: 0
; FloatMode: 240
; IeeeMode: 1
; LDSByteSize: 65536 bytes/workgroup (compile time only)
; SGPRBlocks: 3
; VGPRBlocks: 21
; NumSGPRsForWavesPerEU: 31
; NumVGPRsForWavesPerEU: 174
; Occupancy: 8
; WaveLimiterHint : 1
; COMPUTE_PGM_RSRC2:SCRATCH_EN: 0
; COMPUTE_PGM_RSRC2:USER_SGPR: 13
; COMPUTE_PGM_RSRC2:TRAP_HANDLER: 0
; COMPUTE_PGM_RSRC2:TGID_X_EN: 1
; COMPUTE_PGM_RSRC2:TGID_Y_EN: 1
; COMPUTE_PGM_RSRC2:TGID_Z_EN: 1
; COMPUTE_PGM_RSRC2:TIDIG_COMP_CNT: 1
	.section	.text._ZL32rocblas_gemvt_warp_reduce_kernelILb0ELi256EiPKdS1_KPdEviiT3_lPKT2_lT1_lS7_lS8_lS4_lPT4_lS8_li,"axG",@progbits,_ZL32rocblas_gemvt_warp_reduce_kernelILb0ELi256EiPKdS1_KPdEviiT3_lPKT2_lT1_lS7_lS8_lS4_lPT4_lS8_li,comdat
	.globl	_ZL32rocblas_gemvt_warp_reduce_kernelILb0ELi256EiPKdS1_KPdEviiT3_lPKT2_lT1_lS7_lS8_lS4_lPT4_lS8_li ; -- Begin function _ZL32rocblas_gemvt_warp_reduce_kernelILb0ELi256EiPKdS1_KPdEviiT3_lPKT2_lT1_lS7_lS8_lS4_lPT4_lS8_li
	.p2align	8
	.type	_ZL32rocblas_gemvt_warp_reduce_kernelILb0ELi256EiPKdS1_KPdEviiT3_lPKT2_lT1_lS7_lS8_lS4_lPT4_lS8_li,@function
_ZL32rocblas_gemvt_warp_reduce_kernelILb0ELi256EiPKdS1_KPdEviiT3_lPKT2_lT1_lS7_lS8_lS4_lPT4_lS8_li: ; @_ZL32rocblas_gemvt_warp_reduce_kernelILb0ELi256EiPKdS1_KPdEviiT3_lPKT2_lT1_lS7_lS8_lS4_lPT4_lS8_li
; %bb.0:
	s_clause 0x1
	s_load_b256 s[16:23], s[0:1], 0x8
	s_load_b256 s[4:11], s[0:1], 0x58
	s_mov_b32 s2, s15
	s_waitcnt lgkmcnt(0)
	s_mul_i32 s3, s15, s19
	s_mul_hi_u32 s13, s15, s18
	s_mul_i32 s12, s15, s18
	s_add_i32 s13, s13, s3
	s_mul_i32 s3, s15, s7
	s_lshl_b64 s[12:13], s[12:13], 3
	s_mul_hi_u32 s7, s15, s6
	s_add_u32 s12, s16, s12
	s_addc_u32 s13, s17, s13
	s_add_i32 s7, s7, s3
	s_mul_i32 s6, s15, s6
	s_mov_b64 s[16:17], 0
	s_lshl_b64 s[6:7], s[6:7], 3
	s_delay_alu instid0(SALU_CYCLE_1)
	s_add_u32 s4, s4, s6
	s_addc_u32 s5, s5, s7
	s_load_b64 s[6:7], s[12:13], 0x0
	s_load_b64 s[4:5], s[4:5], 0x0
	s_waitcnt lgkmcnt(0)
	v_cmp_eq_f64_e64 s15, s[6:7], 0
	v_cmp_eq_f64_e64 s3, s[4:5], 1.0
	s_delay_alu instid0(VALU_DEP_1) | instskip(NEXT) | instid1(SALU_CYCLE_1)
	s_and_b32 s3, s15, s3
	s_and_b32 vcc_lo, exec_lo, s3
	s_cbranch_vccnz .LBB268_34
; %bb.1:
	v_cmp_neq_f64_e64 s12, s[6:7], 0
	s_and_b32 vcc_lo, exec_lo, s15
	s_mov_b32 s3, 0
	s_cbranch_vccnz .LBB268_3
; %bb.2:
	s_lshl_b64 s[16:17], s[2:3], 3
	s_delay_alu instid0(SALU_CYCLE_1)
	s_add_u32 s16, s20, s16
	s_addc_u32 s17, s21, s17
	s_lshl_b64 s[18:19], s[22:23], 3
	s_load_b64 s[16:17], s[16:17], 0x0
	s_waitcnt lgkmcnt(0)
	s_add_u32 s16, s16, s18
	s_addc_u32 s17, s17, s19
.LBB268_3:
	s_delay_alu instid0(VALU_DEP_1)
	s_and_not1_b32 vcc_lo, exec_lo, s12
	s_cbranch_vccnz .LBB268_5
; %bb.4:
	s_load_b128 s[20:23], s[0:1], 0x38
	s_lshl_b64 s[12:13], s[2:3], 3
	s_waitcnt lgkmcnt(0)
	s_add_u32 s12, s20, s12
	s_addc_u32 s13, s21, s13
	s_lshl_b64 s[18:19], s[22:23], 3
	s_load_b64 s[12:13], s[12:13], 0x0
	s_waitcnt lgkmcnt(0)
	s_add_u32 s12, s12, s18
	s_addc_u32 s13, s13, s19
	s_branch .LBB268_6
.LBB268_5:
	s_mov_b64 s[12:13], 0
.LBB268_6:
	s_lshl_b64 s[2:3], s[2:3], 3
	s_delay_alu instid0(SALU_CYCLE_1)
	s_add_u32 s2, s8, s2
	s_addc_u32 s3, s9, s3
	s_lshl_b64 s[10:11], s[10:11], 3
	s_load_b64 s[8:9], s[2:3], 0x0
	s_load_b32 s18, s[0:1], 0x78
	v_cmp_eq_u32_e64 s2, 0, v0
	s_waitcnt lgkmcnt(0)
	s_add_u32 s10, s8, s10
	s_addc_u32 s11, s9, s11
	s_and_not1_b32 vcc_lo, exec_lo, s15
	s_cbranch_vccnz .LBB268_11
; %bb.7:
	s_mov_b32 s3, 0
	s_mov_b32 s15, 0
                                        ; implicit-def: $vgpr1_vgpr2
                                        ; implicit-def: $sgpr8_sgpr9
	s_and_saveexec_b32 s19, s2
	s_cbranch_execz .LBB268_12
; %bb.8:
	v_cmp_eq_f64_e64 s2, s[4:5], 0
	v_mov_b32_e32 v1, 0
	v_mov_b32_e32 v2, 0
	s_mul_i32 s8, s14, s18
	s_delay_alu instid0(SALU_CYCLE_1) | instskip(NEXT) | instid1(VALU_DEP_3)
	s_ashr_i32 s9, s8, 31
	s_and_b32 vcc_lo, exec_lo, s2
	s_cbranch_vccnz .LBB268_10
; %bb.9:
	s_lshl_b64 s[20:21], s[8:9], 3
	s_delay_alu instid0(SALU_CYCLE_1)
	s_add_u32 s20, s10, s20
	s_addc_u32 s21, s11, s21
	s_load_b64 s[20:21], s[20:21], 0x0
	s_waitcnt lgkmcnt(0)
	v_mul_f64 v[1:2], s[4:5], s[20:21]
.LBB268_10:
	s_mov_b32 s15, exec_lo
	s_or_b32 exec_lo, exec_lo, s19
	s_delay_alu instid0(SALU_CYCLE_1)
	s_and_b32 vcc_lo, exec_lo, s3
	s_cbranch_vccnz .LBB268_13
	s_branch .LBB268_32
.LBB268_11:
	s_mov_b32 s15, 0
                                        ; implicit-def: $vgpr1_vgpr2
                                        ; implicit-def: $sgpr8_sgpr9
	s_cbranch_execnz .LBB268_13
	s_branch .LBB268_32
.LBB268_12:
	s_or_b32 exec_lo, exec_lo, s19
	s_delay_alu instid0(SALU_CYCLE_1)
	s_and_b32 vcc_lo, exec_lo, s3
	s_cbranch_vccz .LBB268_32
.LBB268_13:
	s_clause 0x2
	s_load_b32 s2, s[0:1], 0x28
	s_load_b32 s3, s[0:1], 0x0
	;; [unrolled: 1-line block ×3, first 2 shown]
	s_waitcnt lgkmcnt(0)
	s_mul_i32 s8, s14, s2
	v_cmp_gt_i32_e32 vcc_lo, s3, v0
	s_ashr_i32 s9, s8, 31
	s_delay_alu instid0(SALU_CYCLE_1)
	s_lshl_b64 s[8:9], s[8:9], 3
	v_cndmask_b32_e32 v1, 0, v0, vcc_lo
	s_add_u32 s0, s8, s16
	s_addc_u32 s2, s9, s17
	s_ashr_i32 s8, s3, 31
	s_mov_b32 s9, 0
	v_lshlrev_b32_e32 v1, 3, v1
	s_lshr_b32 s8, s8, 24
	s_delay_alu instid0(SALU_CYCLE_1) | instskip(NEXT) | instid1(VALU_DEP_1)
	s_add_i32 s8, s3, s8
	v_add_co_u32 v3, s0, s0, v1
	v_mov_b32_e32 v1, 0
	v_add_co_ci_u32_e64 v4, null, s2, 0, s0
	v_mov_b32_e32 v2, 0
	s_and_b32 s2, s8, 0xffffff00
	s_mov_b32 s8, exec_lo
	v_cmpx_gt_i32_e64 s2, v0
	s_cbranch_execz .LBB268_17
; %bb.14:
	v_mul_lo_u32 v5, v0, s1
	v_dual_mov_b32 v1, 0 :: v_dual_mov_b32 v8, v4
	v_dual_mov_b32 v2, 0 :: v_dual_mov_b32 v7, v3
	v_mov_b32_e32 v9, v0
	s_lshl_b32 s16, s1, 8
	.p2align	6
.LBB268_15:                             ; =>This Inner Loop Header: Depth=1
	s_delay_alu instid0(VALU_DEP_4) | instskip(NEXT) | instid1(VALU_DEP_2)
	v_ashrrev_i32_e32 v6, 31, v5
	v_add_nc_u32_e32 v9, 0x100, v9
	s_delay_alu instid0(VALU_DEP_2) | instskip(NEXT) | instid1(VALU_DEP_2)
	v_lshlrev_b64 v[10:11], 3, v[5:6]
	v_cmp_le_i32_e64 s0, s2, v9
	v_add_nc_u32_e32 v5, s16, v5
	s_delay_alu instid0(VALU_DEP_2) | instskip(NEXT) | instid1(VALU_DEP_3)
	s_or_b32 s9, s0, s9
	v_add_co_u32 v10, vcc_lo, s12, v10
	s_delay_alu instid0(VALU_DEP_4)
	v_add_co_ci_u32_e32 v11, vcc_lo, s13, v11, vcc_lo
	flat_load_b64 v[12:13], v[7:8]
	flat_load_b64 v[10:11], v[10:11]
	v_add_co_u32 v7, vcc_lo, 0x800, v7
	v_add_co_ci_u32_e32 v8, vcc_lo, 0, v8, vcc_lo
	s_waitcnt vmcnt(0) lgkmcnt(0)
	v_fma_f64 v[1:2], v[12:13], v[10:11], v[1:2]
	s_and_not1_b32 exec_lo, exec_lo, s9
	s_cbranch_execnz .LBB268_15
; %bb.16:
	s_or_b32 exec_lo, exec_lo, s9
.LBB268_17:
	s_delay_alu instid0(SALU_CYCLE_1) | instskip(SKIP_2) | instid1(VALU_DEP_1)
	s_or_b32 exec_lo, exec_lo, s8
	v_add_nc_u32_e32 v5, s2, v0
	s_mov_b32 s0, exec_lo
	v_cmpx_gt_i32_e64 s3, v5
	s_cbranch_execz .LBB268_19
; %bb.18:
	v_mul_lo_u32 v5, v5, s1
	s_ashr_i32 s3, s2, 31
	s_delay_alu instid0(SALU_CYCLE_1) | instskip(NEXT) | instid1(SALU_CYCLE_1)
	s_lshl_b64 s[2:3], s[2:3], 3
	v_add_co_u32 v3, vcc_lo, v3, s2
	v_add_co_ci_u32_e32 v4, vcc_lo, s3, v4, vcc_lo
	s_delay_alu instid0(VALU_DEP_3) | instskip(NEXT) | instid1(VALU_DEP_1)
	v_ashrrev_i32_e32 v6, 31, v5
	v_lshlrev_b64 v[5:6], 3, v[5:6]
	s_delay_alu instid0(VALU_DEP_1) | instskip(NEXT) | instid1(VALU_DEP_2)
	v_add_co_u32 v5, vcc_lo, s12, v5
	v_add_co_ci_u32_e32 v6, vcc_lo, s13, v6, vcc_lo
	flat_load_b64 v[3:4], v[3:4]
	flat_load_b64 v[5:6], v[5:6]
	s_waitcnt vmcnt(0) lgkmcnt(0)
	v_fma_f64 v[1:2], v[3:4], v[5:6], v[1:2]
.LBB268_19:
	s_or_b32 exec_lo, exec_lo, s0
	v_and_b32_e32 v8, 31, v0
	v_cmp_gt_u32_e32 vcc_lo, 32, v0
	s_delay_alu instid0(VALU_DEP_2)
	v_lshlrev_b32_e32 v5, 3, v8
	s_and_saveexec_b32 s0, vcc_lo
	s_cbranch_execz .LBB268_21
; %bb.20:
	v_mov_b32_e32 v3, 0
	s_delay_alu instid0(VALU_DEP_1)
	v_mov_b32_e32 v4, v3
	ds_store_b64 v5, v[3:4]
.LBB268_21:
	s_or_b32 exec_lo, exec_lo, s0
	v_mbcnt_lo_u32_b32 v9, -1, 0
	s_mov_b32 s1, exec_lo
	s_waitcnt lgkmcnt(0)
	s_barrier
	buffer_gl0_inv
	v_cmp_gt_u32_e64 s0, 16, v9
	s_delay_alu instid0(VALU_DEP_1) | instskip(SKIP_1) | instid1(VALU_DEP_2)
	v_cndmask_b32_e64 v3, 0, 1, s0
	v_cmp_gt_u32_e64 s0, 24, v9
	v_lshlrev_b32_e32 v3, 4, v3
	s_delay_alu instid0(VALU_DEP_1)
	v_add_lshl_u32 v4, v3, v9, 2
	ds_bpermute_b32 v3, v4, v1
	ds_bpermute_b32 v4, v4, v2
	s_waitcnt lgkmcnt(0)
	v_add_f64 v[1:2], v[1:2], v[3:4]
	v_cndmask_b32_e64 v3, 0, 1, s0
	v_cmp_gt_u32_e64 s0, 28, v9
	s_delay_alu instid0(VALU_DEP_2) | instskip(NEXT) | instid1(VALU_DEP_1)
	v_lshlrev_b32_e32 v3, 3, v3
	v_add_lshl_u32 v4, v3, v9, 2
	ds_bpermute_b32 v3, v4, v1
	ds_bpermute_b32 v4, v4, v2
	s_waitcnt lgkmcnt(0)
	v_add_f64 v[1:2], v[1:2], v[3:4]
	v_cndmask_b32_e64 v3, 0, 1, s0
	v_cmp_gt_u32_e64 s0, 30, v9
	s_delay_alu instid0(VALU_DEP_2) | instskip(NEXT) | instid1(VALU_DEP_1)
	v_lshlrev_b32_e32 v3, 2, v3
	v_add_lshl_u32 v6, v3, v9, 2
	ds_bpermute_b32 v3, v6, v1
	ds_bpermute_b32 v4, v6, v2
	s_waitcnt lgkmcnt(0)
	v_add_f64 v[1:2], v[1:2], v[3:4]
	v_cndmask_b32_e64 v3, 0, 1, s0
	v_cmp_ne_u32_e64 s0, 31, v9
	s_delay_alu instid0(VALU_DEP_2) | instskip(NEXT) | instid1(VALU_DEP_1)
	v_lshlrev_b32_e32 v3, 1, v3
	v_add_lshl_u32 v7, v3, v9, 2
	ds_bpermute_b32 v3, v7, v1
	ds_bpermute_b32 v4, v7, v2
	s_waitcnt lgkmcnt(0)
	v_add_f64 v[1:2], v[1:2], v[3:4]
	v_add_co_ci_u32_e64 v3, s0, 0, v9, s0
	s_delay_alu instid0(VALU_DEP_1)
	v_lshlrev_b32_e32 v9, 2, v3
	ds_bpermute_b32 v3, v9, v1
	ds_bpermute_b32 v4, v9, v2
	v_cmpx_eq_u32_e32 0, v8
	s_cbranch_execz .LBB268_23
; %bb.22:
	s_waitcnt lgkmcnt(0)
	v_add_f64 v[1:2], v[1:2], v[3:4]
	v_lshrrev_b32_e32 v3, 2, v0
	s_delay_alu instid0(VALU_DEP_1)
	v_and_b32_e32 v3, 56, v3
	ds_store_b64 v3, v[1:2]
.LBB268_23:
	s_or_b32 exec_lo, exec_lo, s1
	s_waitcnt lgkmcnt(0)
	v_mov_b32_e32 v3, 0
	v_mov_b32_e32 v4, 0
	s_mov_b32 s1, exec_lo
	s_barrier
	buffer_gl0_inv
	v_cmpx_gt_u32_e32 8, v0
	s_cbranch_execz .LBB268_25
; %bb.24:
	ds_load_b64 v[3:4], v5
.LBB268_25:
	s_or_b32 exec_lo, exec_lo, s1
	s_and_saveexec_b32 s0, vcc_lo
	s_cbranch_execz .LBB268_27
; %bb.26:
	s_waitcnt lgkmcnt(0)
	ds_bpermute_b32 v1, v6, v3
	ds_bpermute_b32 v2, v6, v4
	s_waitcnt lgkmcnt(0)
	v_add_f64 v[1:2], v[3:4], v[1:2]
	ds_bpermute_b32 v3, v7, v1
	ds_bpermute_b32 v4, v7, v2
	s_waitcnt lgkmcnt(0)
	v_add_f64 v[1:2], v[1:2], v[3:4]
	;; [unrolled: 4-line block ×3, first 2 shown]
.LBB268_27:
	s_or_b32 exec_lo, exec_lo, s0
	s_delay_alu instid0(SALU_CYCLE_1)
	s_mov_b32 s0, exec_lo
                                        ; implicit-def: $vgpr1_vgpr2
                                        ; implicit-def: $sgpr8_sgpr9
	v_cmpx_eq_u32_e32 0, v0
	s_cbranch_execz .LBB268_31
; %bb.28:
	v_cmp_eq_f64_e64 s1, s[4:5], 0
	s_waitcnt lgkmcnt(0)
	s_delay_alu instid0(VALU_DEP_3) | instskip(SKIP_1) | instid1(SALU_CYCLE_1)
	v_mul_f64 v[1:2], s[6:7], v[3:4]
	s_mul_i32 s8, s14, s18
	s_ashr_i32 s9, s8, 31
	s_delay_alu instid0(VALU_DEP_2)
	s_and_b32 vcc_lo, exec_lo, s1
	s_cbranch_vccnz .LBB268_30
; %bb.29:
	s_lshl_b64 s[2:3], s[8:9], 3
	s_delay_alu instid0(SALU_CYCLE_1) | instskip(SKIP_3) | instid1(VALU_DEP_1)
	s_add_u32 s2, s10, s2
	s_addc_u32 s3, s11, s3
	s_load_b64 s[2:3], s[2:3], 0x0
	s_waitcnt lgkmcnt(0)
	v_fma_f64 v[1:2], s[4:5], s[2:3], v[1:2]
.LBB268_30:
	s_or_b32 s15, s15, exec_lo
.LBB268_31:
	s_or_b32 exec_lo, exec_lo, s0
.LBB268_32:
	s_and_saveexec_b32 s0, s15
	s_cbranch_execz .LBB268_34
; %bb.33:
	s_lshl_b64 s[0:1], s[8:9], 3
	v_mov_b32_e32 v0, 0
	s_add_u32 s0, s10, s0
	s_addc_u32 s1, s11, s1
	global_store_b64 v0, v[1:2], s[0:1]
.LBB268_34:
	s_nop 0
	s_sendmsg sendmsg(MSG_DEALLOC_VGPRS)
	s_endpgm
	.section	.rodata,"a",@progbits
	.p2align	6, 0x0
	.amdhsa_kernel _ZL32rocblas_gemvt_warp_reduce_kernelILb0ELi256EiPKdS1_KPdEviiT3_lPKT2_lT1_lS7_lS8_lS4_lPT4_lS8_li
		.amdhsa_group_segment_fixed_size 256
		.amdhsa_private_segment_fixed_size 0
		.amdhsa_kernarg_size 140
		.amdhsa_user_sgpr_count 14
		.amdhsa_user_sgpr_dispatch_ptr 0
		.amdhsa_user_sgpr_queue_ptr 0
		.amdhsa_user_sgpr_kernarg_segment_ptr 1
		.amdhsa_user_sgpr_dispatch_id 0
		.amdhsa_user_sgpr_private_segment_size 0
		.amdhsa_wavefront_size32 1
		.amdhsa_uses_dynamic_stack 0
		.amdhsa_enable_private_segment 0
		.amdhsa_system_sgpr_workgroup_id_x 1
		.amdhsa_system_sgpr_workgroup_id_y 0
		.amdhsa_system_sgpr_workgroup_id_z 1
		.amdhsa_system_sgpr_workgroup_info 0
		.amdhsa_system_vgpr_workitem_id 0
		.amdhsa_next_free_vgpr 14
		.amdhsa_next_free_sgpr 24
		.amdhsa_reserve_vcc 1
		.amdhsa_float_round_mode_32 0
		.amdhsa_float_round_mode_16_64 0
		.amdhsa_float_denorm_mode_32 3
		.amdhsa_float_denorm_mode_16_64 3
		.amdhsa_dx10_clamp 1
		.amdhsa_ieee_mode 1
		.amdhsa_fp16_overflow 0
		.amdhsa_workgroup_processor_mode 1
		.amdhsa_memory_ordered 1
		.amdhsa_forward_progress 0
		.amdhsa_shared_vgpr_count 0
		.amdhsa_exception_fp_ieee_invalid_op 0
		.amdhsa_exception_fp_denorm_src 0
		.amdhsa_exception_fp_ieee_div_zero 0
		.amdhsa_exception_fp_ieee_overflow 0
		.amdhsa_exception_fp_ieee_underflow 0
		.amdhsa_exception_fp_ieee_inexact 0
		.amdhsa_exception_int_div_zero 0
	.end_amdhsa_kernel
	.section	.text._ZL32rocblas_gemvt_warp_reduce_kernelILb0ELi256EiPKdS1_KPdEviiT3_lPKT2_lT1_lS7_lS8_lS4_lPT4_lS8_li,"axG",@progbits,_ZL32rocblas_gemvt_warp_reduce_kernelILb0ELi256EiPKdS1_KPdEviiT3_lPKT2_lT1_lS7_lS8_lS4_lPT4_lS8_li,comdat
.Lfunc_end268:
	.size	_ZL32rocblas_gemvt_warp_reduce_kernelILb0ELi256EiPKdS1_KPdEviiT3_lPKT2_lT1_lS7_lS8_lS4_lPT4_lS8_li, .Lfunc_end268-_ZL32rocblas_gemvt_warp_reduce_kernelILb0ELi256EiPKdS1_KPdEviiT3_lPKT2_lT1_lS7_lS8_lS4_lPT4_lS8_li
                                        ; -- End function
	.section	.AMDGPU.csdata,"",@progbits
; Kernel info:
; codeLenInByte = 1588
; NumSgprs: 26
; NumVgprs: 14
; ScratchSize: 0
; MemoryBound: 0
; FloatMode: 240
; IeeeMode: 1
; LDSByteSize: 256 bytes/workgroup (compile time only)
; SGPRBlocks: 3
; VGPRBlocks: 1
; NumSGPRsForWavesPerEU: 26
; NumVGPRsForWavesPerEU: 14
; Occupancy: 16
; WaveLimiterHint : 1
; COMPUTE_PGM_RSRC2:SCRATCH_EN: 0
; COMPUTE_PGM_RSRC2:USER_SGPR: 14
; COMPUTE_PGM_RSRC2:TRAP_HANDLER: 0
; COMPUTE_PGM_RSRC2:TGID_X_EN: 1
; COMPUTE_PGM_RSRC2:TGID_Y_EN: 0
; COMPUTE_PGM_RSRC2:TGID_Z_EN: 1
; COMPUTE_PGM_RSRC2:TIDIG_COMP_CNT: 0
	.section	.text._ZL32rocblas_gemvt_warp_reduce_kernelILb0ELi256ElPKdS1_KPdEviiT3_lPKT2_lT1_lS7_lS8_lS4_lPT4_lS8_li,"axG",@progbits,_ZL32rocblas_gemvt_warp_reduce_kernelILb0ELi256ElPKdS1_KPdEviiT3_lPKT2_lT1_lS7_lS8_lS4_lPT4_lS8_li,comdat
	.globl	_ZL32rocblas_gemvt_warp_reduce_kernelILb0ELi256ElPKdS1_KPdEviiT3_lPKT2_lT1_lS7_lS8_lS4_lPT4_lS8_li ; -- Begin function _ZL32rocblas_gemvt_warp_reduce_kernelILb0ELi256ElPKdS1_KPdEviiT3_lPKT2_lT1_lS7_lS8_lS4_lPT4_lS8_li
	.p2align	8
	.type	_ZL32rocblas_gemvt_warp_reduce_kernelILb0ELi256ElPKdS1_KPdEviiT3_lPKT2_lT1_lS7_lS8_lS4_lPT4_lS8_li,@function
_ZL32rocblas_gemvt_warp_reduce_kernelILb0ELi256ElPKdS1_KPdEviiT3_lPKT2_lT1_lS7_lS8_lS4_lPT4_lS8_li: ; @_ZL32rocblas_gemvt_warp_reduce_kernelILb0ELi256ElPKdS1_KPdEviiT3_lPKT2_lT1_lS7_lS8_lS4_lPT4_lS8_li
; %bb.0:
	s_clause 0x1
	s_load_b256 s[16:23], s[0:1], 0x8
	s_load_b256 s[4:11], s[0:1], 0x58
	s_mov_b32 s2, s15
	s_mov_b64 s[24:25], 0
	s_waitcnt lgkmcnt(0)
	s_mul_i32 s3, s15, s19
	s_mul_hi_u32 s13, s15, s18
	s_mul_i32 s12, s15, s18
	s_add_i32 s13, s13, s3
	s_mul_i32 s3, s15, s7
	s_lshl_b64 s[12:13], s[12:13], 3
	s_mul_hi_u32 s7, s15, s6
	s_add_u32 s12, s16, s12
	s_addc_u32 s13, s17, s13
	s_add_i32 s7, s7, s3
	s_mul_i32 s6, s15, s6
	s_delay_alu instid0(SALU_CYCLE_1) | instskip(NEXT) | instid1(SALU_CYCLE_1)
	s_lshl_b64 s[6:7], s[6:7], 3
	s_add_u32 s4, s4, s6
	s_addc_u32 s5, s5, s7
	s_load_b64 s[16:17], s[12:13], 0x0
	s_load_b64 s[12:13], s[4:5], 0x0
	s_waitcnt lgkmcnt(0)
	v_cmp_eq_f64_e64 s15, s[16:17], 0
	v_cmp_eq_f64_e64 s3, s[12:13], 1.0
	s_delay_alu instid0(VALU_DEP_1) | instskip(NEXT) | instid1(SALU_CYCLE_1)
	s_and_b32 s3, s15, s3
	s_and_b32 vcc_lo, exec_lo, s3
	s_cbranch_vccnz .LBB269_34
; %bb.1:
	v_cmp_neq_f64_e64 s28, s[16:17], 0
	s_clause 0x1
	s_load_b64 s[26:27], s[0:1], 0x28
	s_load_b64 s[18:19], s[0:1], 0x78
	s_and_b32 vcc_lo, exec_lo, s15
	s_mov_b32 s3, 0
	s_cbranch_vccnz .LBB269_3
; %bb.2:
	s_lshl_b64 s[4:5], s[2:3], 3
	s_delay_alu instid0(SALU_CYCLE_1)
	s_add_u32 s4, s20, s4
	s_addc_u32 s5, s21, s5
	s_lshl_b64 s[6:7], s[22:23], 3
	s_load_b64 s[4:5], s[4:5], 0x0
	s_waitcnt lgkmcnt(0)
	s_add_u32 s24, s4, s6
	s_addc_u32 s25, s5, s7
.LBB269_3:
	s_clause 0x1
	s_load_b128 s[4:7], s[0:1], 0x38
	s_load_b64 s[20:21], s[0:1], 0x48
	s_delay_alu instid0(VALU_DEP_1)
	s_and_not1_b32 vcc_lo, exec_lo, s28
	s_cbranch_vccnz .LBB269_5
; %bb.4:
	s_lshl_b64 s[22:23], s[2:3], 3
	s_waitcnt lgkmcnt(0)
	s_add_u32 s4, s4, s22
	s_addc_u32 s5, s5, s23
	s_lshl_b64 s[6:7], s[6:7], 3
	s_load_b64 s[4:5], s[4:5], 0x0
	s_waitcnt lgkmcnt(0)
	s_add_u32 s4, s4, s6
	s_addc_u32 s5, s5, s7
	s_branch .LBB269_6
.LBB269_5:
	s_waitcnt lgkmcnt(0)
	s_mov_b64 s[4:5], 0
.LBB269_6:
	s_lshl_b64 s[2:3], s[2:3], 3
	s_delay_alu instid0(SALU_CYCLE_1)
	s_add_u32 s2, s8, s2
	s_addc_u32 s3, s9, s3
	s_lshl_b64 s[8:9], s[10:11], 3
	s_load_b64 s[6:7], s[2:3], 0x0
	v_cmp_eq_u32_e64 s2, 0, v0
	s_waitcnt lgkmcnt(0)
	s_add_u32 s8, s6, s8
	s_addc_u32 s9, s7, s9
	s_and_not1_b32 vcc_lo, exec_lo, s15
	s_cbranch_vccnz .LBB269_11
; %bb.7:
	s_mov_b32 s3, 0
	s_mov_b32 s10, 0
                                        ; implicit-def: $vgpr1_vgpr2
                                        ; implicit-def: $sgpr6_sgpr7
	s_and_saveexec_b32 s11, s2
	s_cbranch_execz .LBB269_12
; %bb.8:
	v_cmp_eq_f64_e64 s2, s[12:13], 0
	s_mul_i32 s6, s14, s19
	s_mul_hi_u32 s7, s14, s18
	s_ashr_i32 s10, s14, 31
	v_mov_b32_e32 v1, 0
	v_mov_b32_e32 v2, 0
	s_add_i32 s6, s7, s6
	s_mul_i32 s10, s10, s18
	s_delay_alu instid0(SALU_CYCLE_1) | instskip(SKIP_1) | instid1(VALU_DEP_3)
	s_add_i32 s7, s6, s10
	s_mul_i32 s6, s14, s18
	s_and_b32 vcc_lo, exec_lo, s2
	s_cbranch_vccnz .LBB269_10
; %bb.9:
	s_lshl_b64 s[22:23], s[6:7], 3
	s_delay_alu instid0(SALU_CYCLE_1)
	s_add_u32 s22, s8, s22
	s_addc_u32 s23, s9, s23
	s_load_b64 s[22:23], s[22:23], 0x0
	s_waitcnt lgkmcnt(0)
	v_mul_f64 v[1:2], s[12:13], s[22:23]
.LBB269_10:
	s_mov_b32 s10, exec_lo
	s_or_b32 exec_lo, exec_lo, s11
	s_delay_alu instid0(SALU_CYCLE_1)
	s_and_b32 vcc_lo, exec_lo, s3
	s_cbranch_vccnz .LBB269_13
	s_branch .LBB269_32
.LBB269_11:
	s_mov_b32 s10, 0
                                        ; implicit-def: $vgpr1_vgpr2
                                        ; implicit-def: $sgpr6_sgpr7
	s_cbranch_execnz .LBB269_13
	s_branch .LBB269_32
.LBB269_12:
	s_or_b32 exec_lo, exec_lo, s11
	s_delay_alu instid0(SALU_CYCLE_1)
	s_and_b32 vcc_lo, exec_lo, s3
	s_cbranch_vccz .LBB269_32
.LBB269_13:
	s_load_b32 s3, s[0:1], 0x0
	s_mul_i32 s0, s14, s27
	s_mul_hi_u32 s2, s14, s26
	s_ashr_i32 s1, s14, 31
	s_add_i32 s0, s2, s0
	s_mul_i32 s2, s1, s26
	s_mul_i32 s6, s14, s26
	s_add_i32 s7, s0, s2
	s_mov_b32 s15, 0
	s_lshl_b64 s[6:7], s[6:7], 3
	s_mov_b32 s11, exec_lo
	s_add_u32 s0, s6, s24
	s_addc_u32 s6, s7, s25
	s_waitcnt lgkmcnt(0)
	v_cmp_gt_i32_e32 vcc_lo, s3, v0
	s_ashr_i32 s2, s3, 31
	s_delay_alu instid0(SALU_CYCLE_1) | instskip(NEXT) | instid1(SALU_CYCLE_1)
	s_lshr_b32 s2, s2, 24
	s_add_i32 s2, s3, s2
	v_cndmask_b32_e32 v1, 0, v0, vcc_lo
	s_and_b32 s2, s2, 0xffffff00
	s_delay_alu instid0(VALU_DEP_1) | instskip(SKIP_2) | instid1(VALU_DEP_3)
	v_lshlrev_b32_e32 v3, 3, v1
	v_mov_b32_e32 v1, 0
	v_mov_b32_e32 v2, 0
	v_add_co_u32 v3, s0, s0, v3
	s_delay_alu instid0(VALU_DEP_1)
	v_add_co_ci_u32_e64 v4, null, s6, 0, s0
	v_cmpx_gt_i32_e64 s2, v0
	s_cbranch_execz .LBB269_17
; %bb.14:
	v_mad_u64_u32 v[1:2], null, s20, v0, 0
	s_lshl_b64 s[6:7], s[20:21], 11
	v_mov_b32_e32 v9, v0
	s_delay_alu instid0(VALU_DEP_2) | instskip(NEXT) | instid1(VALU_DEP_1)
	v_mad_u64_u32 v[5:6], null, s21, v0, v[2:3]
	v_mov_b32_e32 v2, v5
	v_dual_mov_b32 v6, v4 :: v_dual_mov_b32 v5, v3
	s_delay_alu instid0(VALU_DEP_2) | instskip(SKIP_2) | instid1(VALU_DEP_3)
	v_lshlrev_b64 v[7:8], 3, v[1:2]
	v_mov_b32_e32 v1, 0
	v_mov_b32_e32 v2, 0
	v_add_co_u32 v7, vcc_lo, s4, v7
	s_delay_alu instid0(VALU_DEP_4)
	v_add_co_ci_u32_e32 v8, vcc_lo, s5, v8, vcc_lo
	.p2align	6
.LBB269_15:                             ; =>This Inner Loop Header: Depth=1
	flat_load_b64 v[10:11], v[5:6]
	flat_load_b64 v[12:13], v[7:8]
	v_add_nc_u32_e32 v9, 0x100, v9
	v_add_co_u32 v5, vcc_lo, 0x800, v5
	v_add_co_ci_u32_e32 v6, vcc_lo, 0, v6, vcc_lo
	s_delay_alu instid0(VALU_DEP_3) | instskip(SKIP_1) | instid1(VALU_DEP_1)
	v_cmp_le_i32_e32 vcc_lo, s2, v9
	v_add_co_u32 v7, s0, v7, s6
	v_add_co_ci_u32_e64 v8, s0, s7, v8, s0
	s_or_b32 s15, vcc_lo, s15
	s_waitcnt vmcnt(0) lgkmcnt(0)
	v_fma_f64 v[1:2], v[10:11], v[12:13], v[1:2]
	s_and_not1_b32 exec_lo, exec_lo, s15
	s_cbranch_execnz .LBB269_15
; %bb.16:
	s_or_b32 exec_lo, exec_lo, s15
.LBB269_17:
	s_delay_alu instid0(SALU_CYCLE_1) | instskip(SKIP_2) | instid1(VALU_DEP_1)
	s_or_b32 exec_lo, exec_lo, s11
	v_add_nc_u32_e32 v5, s2, v0
	s_mov_b32 s0, exec_lo
	v_cmpx_gt_i32_e64 s3, v5
	s_cbranch_execz .LBB269_19
; %bb.18:
	v_ashrrev_i32_e32 v8, 31, v5
	v_mul_lo_u32 v9, v5, s21
	v_mad_u64_u32 v[6:7], null, v5, s20, 0
	s_ashr_i32 s3, s2, 31
	s_delay_alu instid0(VALU_DEP_3) | instskip(SKIP_1) | instid1(SALU_CYCLE_1)
	v_mul_lo_u32 v5, v8, s20
	s_lshl_b64 s[2:3], s[2:3], 3
	v_add_co_u32 v3, vcc_lo, v3, s2
	v_add_co_ci_u32_e32 v4, vcc_lo, s3, v4, vcc_lo
	s_delay_alu instid0(VALU_DEP_3) | instskip(NEXT) | instid1(VALU_DEP_1)
	v_add3_u32 v7, v7, v9, v5
	v_lshlrev_b64 v[5:6], 3, v[6:7]
	s_delay_alu instid0(VALU_DEP_1) | instskip(NEXT) | instid1(VALU_DEP_2)
	v_add_co_u32 v5, vcc_lo, s4, v5
	v_add_co_ci_u32_e32 v6, vcc_lo, s5, v6, vcc_lo
	flat_load_b64 v[3:4], v[3:4]
	flat_load_b64 v[5:6], v[5:6]
	s_waitcnt vmcnt(0) lgkmcnt(0)
	v_fma_f64 v[1:2], v[3:4], v[5:6], v[1:2]
.LBB269_19:
	s_or_b32 exec_lo, exec_lo, s0
	v_and_b32_e32 v8, 31, v0
	v_cmp_gt_u32_e32 vcc_lo, 32, v0
	s_delay_alu instid0(VALU_DEP_2)
	v_lshlrev_b32_e32 v5, 3, v8
	s_and_saveexec_b32 s0, vcc_lo
	s_cbranch_execz .LBB269_21
; %bb.20:
	v_mov_b32_e32 v3, 0
	s_delay_alu instid0(VALU_DEP_1)
	v_mov_b32_e32 v4, v3
	ds_store_b64 v5, v[3:4]
.LBB269_21:
	s_or_b32 exec_lo, exec_lo, s0
	v_mbcnt_lo_u32_b32 v9, -1, 0
	s_mov_b32 s2, exec_lo
	s_waitcnt lgkmcnt(0)
	s_barrier
	buffer_gl0_inv
	v_cmp_gt_u32_e64 s0, 16, v9
	s_delay_alu instid0(VALU_DEP_1) | instskip(SKIP_1) | instid1(VALU_DEP_2)
	v_cndmask_b32_e64 v3, 0, 1, s0
	v_cmp_gt_u32_e64 s0, 24, v9
	v_lshlrev_b32_e32 v3, 4, v3
	s_delay_alu instid0(VALU_DEP_1)
	v_add_lshl_u32 v4, v3, v9, 2
	ds_bpermute_b32 v3, v4, v1
	ds_bpermute_b32 v4, v4, v2
	s_waitcnt lgkmcnt(0)
	v_add_f64 v[1:2], v[1:2], v[3:4]
	v_cndmask_b32_e64 v3, 0, 1, s0
	v_cmp_gt_u32_e64 s0, 28, v9
	s_delay_alu instid0(VALU_DEP_2) | instskip(NEXT) | instid1(VALU_DEP_1)
	v_lshlrev_b32_e32 v3, 3, v3
	v_add_lshl_u32 v4, v3, v9, 2
	ds_bpermute_b32 v3, v4, v1
	ds_bpermute_b32 v4, v4, v2
	s_waitcnt lgkmcnt(0)
	v_add_f64 v[1:2], v[1:2], v[3:4]
	v_cndmask_b32_e64 v3, 0, 1, s0
	v_cmp_gt_u32_e64 s0, 30, v9
	s_delay_alu instid0(VALU_DEP_2) | instskip(NEXT) | instid1(VALU_DEP_1)
	v_lshlrev_b32_e32 v3, 2, v3
	v_add_lshl_u32 v6, v3, v9, 2
	ds_bpermute_b32 v3, v6, v1
	ds_bpermute_b32 v4, v6, v2
	s_waitcnt lgkmcnt(0)
	v_add_f64 v[1:2], v[1:2], v[3:4]
	v_cndmask_b32_e64 v3, 0, 1, s0
	v_cmp_ne_u32_e64 s0, 31, v9
	s_delay_alu instid0(VALU_DEP_2) | instskip(NEXT) | instid1(VALU_DEP_1)
	v_lshlrev_b32_e32 v3, 1, v3
	v_add_lshl_u32 v7, v3, v9, 2
	ds_bpermute_b32 v3, v7, v1
	ds_bpermute_b32 v4, v7, v2
	s_waitcnt lgkmcnt(0)
	v_add_f64 v[1:2], v[1:2], v[3:4]
	v_add_co_ci_u32_e64 v3, s0, 0, v9, s0
	s_delay_alu instid0(VALU_DEP_1)
	v_lshlrev_b32_e32 v9, 2, v3
	ds_bpermute_b32 v3, v9, v1
	ds_bpermute_b32 v4, v9, v2
	v_cmpx_eq_u32_e32 0, v8
	s_cbranch_execz .LBB269_23
; %bb.22:
	s_waitcnt lgkmcnt(0)
	v_add_f64 v[1:2], v[1:2], v[3:4]
	v_lshrrev_b32_e32 v3, 2, v0
	s_delay_alu instid0(VALU_DEP_1)
	v_and_b32_e32 v3, 56, v3
	ds_store_b64 v3, v[1:2]
.LBB269_23:
	s_or_b32 exec_lo, exec_lo, s2
	s_waitcnt lgkmcnt(0)
	v_mov_b32_e32 v3, 0
	v_mov_b32_e32 v4, 0
	s_mov_b32 s2, exec_lo
	s_barrier
	buffer_gl0_inv
	v_cmpx_gt_u32_e32 8, v0
	s_cbranch_execz .LBB269_25
; %bb.24:
	ds_load_b64 v[3:4], v5
.LBB269_25:
	s_or_b32 exec_lo, exec_lo, s2
	s_and_saveexec_b32 s0, vcc_lo
	s_cbranch_execz .LBB269_27
; %bb.26:
	s_waitcnt lgkmcnt(0)
	ds_bpermute_b32 v1, v6, v3
	ds_bpermute_b32 v2, v6, v4
	s_waitcnt lgkmcnt(0)
	v_add_f64 v[1:2], v[3:4], v[1:2]
	ds_bpermute_b32 v3, v7, v1
	ds_bpermute_b32 v4, v7, v2
	s_waitcnt lgkmcnt(0)
	v_add_f64 v[1:2], v[1:2], v[3:4]
	;; [unrolled: 4-line block ×3, first 2 shown]
.LBB269_27:
	s_or_b32 exec_lo, exec_lo, s0
	s_delay_alu instid0(SALU_CYCLE_1)
	s_mov_b32 s0, exec_lo
                                        ; implicit-def: $vgpr1_vgpr2
                                        ; implicit-def: $sgpr6_sgpr7
	v_cmpx_eq_u32_e32 0, v0
	s_cbranch_execz .LBB269_31
; %bb.28:
	v_cmp_eq_f64_e64 s2, s[12:13], 0
	s_waitcnt lgkmcnt(0)
	s_delay_alu instid0(VALU_DEP_3)
	v_mul_f64 v[1:2], s[16:17], v[3:4]
	s_mul_i32 s3, s14, s19
	s_mul_hi_u32 s4, s14, s18
	s_mul_i32 s1, s1, s18
	s_add_i32 s3, s4, s3
	s_mul_i32 s6, s14, s18
	s_add_i32 s7, s3, s1
	s_delay_alu instid0(VALU_DEP_2)
	s_and_b32 vcc_lo, exec_lo, s2
	s_cbranch_vccnz .LBB269_30
; %bb.29:
	s_lshl_b64 s[2:3], s[6:7], 3
	s_delay_alu instid0(SALU_CYCLE_1) | instskip(SKIP_3) | instid1(VALU_DEP_1)
	s_add_u32 s2, s8, s2
	s_addc_u32 s3, s9, s3
	s_load_b64 s[2:3], s[2:3], 0x0
	s_waitcnt lgkmcnt(0)
	v_fma_f64 v[1:2], s[12:13], s[2:3], v[1:2]
.LBB269_30:
	s_or_b32 s10, s10, exec_lo
.LBB269_31:
	s_or_b32 exec_lo, exec_lo, s0
.LBB269_32:
	s_and_saveexec_b32 s0, s10
	s_cbranch_execz .LBB269_34
; %bb.33:
	s_lshl_b64 s[0:1], s[6:7], 3
	v_mov_b32_e32 v0, 0
	s_add_u32 s0, s8, s0
	s_addc_u32 s1, s9, s1
	global_store_b64 v0, v[1:2], s[0:1]
.LBB269_34:
	s_nop 0
	s_sendmsg sendmsg(MSG_DEALLOC_VGPRS)
	s_endpgm
	.section	.rodata,"a",@progbits
	.p2align	6, 0x0
	.amdhsa_kernel _ZL32rocblas_gemvt_warp_reduce_kernelILb0ELi256ElPKdS1_KPdEviiT3_lPKT2_lT1_lS7_lS8_lS4_lPT4_lS8_li
		.amdhsa_group_segment_fixed_size 256
		.amdhsa_private_segment_fixed_size 0
		.amdhsa_kernarg_size 140
		.amdhsa_user_sgpr_count 14
		.amdhsa_user_sgpr_dispatch_ptr 0
		.amdhsa_user_sgpr_queue_ptr 0
		.amdhsa_user_sgpr_kernarg_segment_ptr 1
		.amdhsa_user_sgpr_dispatch_id 0
		.amdhsa_user_sgpr_private_segment_size 0
		.amdhsa_wavefront_size32 1
		.amdhsa_uses_dynamic_stack 0
		.amdhsa_enable_private_segment 0
		.amdhsa_system_sgpr_workgroup_id_x 1
		.amdhsa_system_sgpr_workgroup_id_y 0
		.amdhsa_system_sgpr_workgroup_id_z 1
		.amdhsa_system_sgpr_workgroup_info 0
		.amdhsa_system_vgpr_workitem_id 0
		.amdhsa_next_free_vgpr 14
		.amdhsa_next_free_sgpr 29
		.amdhsa_reserve_vcc 1
		.amdhsa_float_round_mode_32 0
		.amdhsa_float_round_mode_16_64 0
		.amdhsa_float_denorm_mode_32 3
		.amdhsa_float_denorm_mode_16_64 3
		.amdhsa_dx10_clamp 1
		.amdhsa_ieee_mode 1
		.amdhsa_fp16_overflow 0
		.amdhsa_workgroup_processor_mode 1
		.amdhsa_memory_ordered 1
		.amdhsa_forward_progress 0
		.amdhsa_shared_vgpr_count 0
		.amdhsa_exception_fp_ieee_invalid_op 0
		.amdhsa_exception_fp_denorm_src 0
		.amdhsa_exception_fp_ieee_div_zero 0
		.amdhsa_exception_fp_ieee_overflow 0
		.amdhsa_exception_fp_ieee_underflow 0
		.amdhsa_exception_fp_ieee_inexact 0
		.amdhsa_exception_int_div_zero 0
	.end_amdhsa_kernel
	.section	.text._ZL32rocblas_gemvt_warp_reduce_kernelILb0ELi256ElPKdS1_KPdEviiT3_lPKT2_lT1_lS7_lS8_lS4_lPT4_lS8_li,"axG",@progbits,_ZL32rocblas_gemvt_warp_reduce_kernelILb0ELi256ElPKdS1_KPdEviiT3_lPKT2_lT1_lS7_lS8_lS4_lPT4_lS8_li,comdat
.Lfunc_end269:
	.size	_ZL32rocblas_gemvt_warp_reduce_kernelILb0ELi256ElPKdS1_KPdEviiT3_lPKT2_lT1_lS7_lS8_lS4_lPT4_lS8_li, .Lfunc_end269-_ZL32rocblas_gemvt_warp_reduce_kernelILb0ELi256ElPKdS1_KPdEviiT3_lPKT2_lT1_lS7_lS8_lS4_lPT4_lS8_li
                                        ; -- End function
	.section	.AMDGPU.csdata,"",@progbits
; Kernel info:
; codeLenInByte = 1696
; NumSgprs: 31
; NumVgprs: 14
; ScratchSize: 0
; MemoryBound: 0
; FloatMode: 240
; IeeeMode: 1
; LDSByteSize: 256 bytes/workgroup (compile time only)
; SGPRBlocks: 3
; VGPRBlocks: 1
; NumSGPRsForWavesPerEU: 31
; NumVGPRsForWavesPerEU: 14
; Occupancy: 16
; WaveLimiterHint : 1
; COMPUTE_PGM_RSRC2:SCRATCH_EN: 0
; COMPUTE_PGM_RSRC2:USER_SGPR: 14
; COMPUTE_PGM_RSRC2:TRAP_HANDLER: 0
; COMPUTE_PGM_RSRC2:TGID_X_EN: 1
; COMPUTE_PGM_RSRC2:TGID_Y_EN: 0
; COMPUTE_PGM_RSRC2:TGID_Z_EN: 1
; COMPUTE_PGM_RSRC2:TIDIG_COMP_CNT: 0
	.section	.text._ZL32rocblas_gemvt_warp_reduce_kernelILb0ELi256EiPKddKPdEviiT3_lPKT2_lT1_lS7_lS8_lS4_lPT4_lS8_li,"axG",@progbits,_ZL32rocblas_gemvt_warp_reduce_kernelILb0ELi256EiPKddKPdEviiT3_lPKT2_lT1_lS7_lS8_lS4_lPT4_lS8_li,comdat
	.globl	_ZL32rocblas_gemvt_warp_reduce_kernelILb0ELi256EiPKddKPdEviiT3_lPKT2_lT1_lS7_lS8_lS4_lPT4_lS8_li ; -- Begin function _ZL32rocblas_gemvt_warp_reduce_kernelILb0ELi256EiPKddKPdEviiT3_lPKT2_lT1_lS7_lS8_lS4_lPT4_lS8_li
	.p2align	8
	.type	_ZL32rocblas_gemvt_warp_reduce_kernelILb0ELi256EiPKddKPdEviiT3_lPKT2_lT1_lS7_lS8_lS4_lPT4_lS8_li,@function
_ZL32rocblas_gemvt_warp_reduce_kernelILb0ELi256EiPKddKPdEviiT3_lPKT2_lT1_lS7_lS8_lS4_lPT4_lS8_li: ; @_ZL32rocblas_gemvt_warp_reduce_kernelILb0ELi256EiPKddKPdEviiT3_lPKT2_lT1_lS7_lS8_lS4_lPT4_lS8_li
; %bb.0:
	s_clause 0x1
	s_load_b64 s[6:7], s[0:1], 0x8
	s_load_b64 s[4:5], s[0:1], 0x58
	s_waitcnt lgkmcnt(0)
	v_cmp_eq_f64_e64 s12, s[6:7], 0
	v_cmp_eq_f64_e64 s3, s[4:5], 1.0
	s_delay_alu instid0(VALU_DEP_1) | instskip(NEXT) | instid1(SALU_CYCLE_1)
	s_and_b32 s3, s12, s3
	s_and_b32 vcc_lo, exec_lo, s3
	s_cbranch_vccnz .LBB270_36
; %bb.1:
	v_cmp_neq_f64_e64 s8, s[6:7], 0
	s_mov_b32 s2, s15
	s_delay_alu instid0(VALU_DEP_1)
	s_and_b32 vcc_lo, exec_lo, s8
	s_cbranch_vccnz .LBB270_3
; %bb.2:
	s_mov_b32 s3, 0
	s_mov_b64 s[10:11], 0
	s_cbranch_execz .LBB270_4
	s_branch .LBB270_5
.LBB270_3:
	s_mov_b32 s3, -1
                                        ; implicit-def: $sgpr10_sgpr11
.LBB270_4:
	s_load_b128 s[16:19], s[0:1], 0x18
	s_mov_b32 s3, 0
	s_delay_alu instid0(SALU_CYCLE_1)
	s_lshl_b64 s[10:11], s[2:3], 3
	s_waitcnt lgkmcnt(0)
	s_add_u32 s10, s16, s10
	s_addc_u32 s11, s17, s11
	s_lshl_b64 s[16:17], s[18:19], 3
	s_load_b64 s[10:11], s[10:11], 0x0
	s_waitcnt lgkmcnt(0)
	s_add_u32 s10, s10, s16
	s_addc_u32 s11, s11, s17
.LBB270_5:
	s_and_not1_b32 vcc_lo, exec_lo, s8
	s_cbranch_vccnz .LBB270_7
; %bb.6:
	s_load_b128 s[16:19], s[0:1], 0x38
	s_lshl_b64 s[8:9], s[2:3], 3
	s_waitcnt lgkmcnt(0)
	s_add_u32 s8, s16, s8
	s_addc_u32 s9, s17, s9
	s_lshl_b64 s[16:17], s[18:19], 3
	s_load_b64 s[8:9], s[8:9], 0x0
	s_waitcnt lgkmcnt(0)
	s_add_u32 s8, s8, s16
	s_addc_u32 s9, s9, s17
	s_branch .LBB270_8
.LBB270_7:
	s_mov_b64 s[8:9], 0
.LBB270_8:
	s_clause 0x1
	s_load_b128 s[20:23], s[0:1], 0x68
	s_load_b32 s17, s[0:1], 0x78
	s_lshl_b64 s[2:3], s[2:3], 3
	s_waitcnt lgkmcnt(0)
	s_add_u32 s2, s20, s2
	s_addc_u32 s3, s21, s3
	s_lshl_b64 s[20:21], s[22:23], 3
	s_load_b64 s[18:19], s[2:3], 0x0
	v_cmp_eq_u32_e64 s2, 0, v0
	s_waitcnt lgkmcnt(0)
	s_add_u32 s15, s18, s20
	s_addc_u32 s16, s19, s21
	s_and_not1_b32 vcc_lo, exec_lo, s12
	s_cbranch_vccnz .LBB270_13
; %bb.9:
	s_mov_b32 s3, 0
	s_mov_b32 s18, 0
                                        ; implicit-def: $vgpr1_vgpr2
                                        ; implicit-def: $sgpr12_sgpr13
	s_and_saveexec_b32 s19, s2
	s_cbranch_execz .LBB270_14
; %bb.10:
	v_cmp_eq_f64_e64 s2, s[4:5], 0
	v_mov_b32_e32 v1, 0
	v_mov_b32_e32 v2, 0
	s_mul_i32 s12, s14, s17
	s_delay_alu instid0(SALU_CYCLE_1) | instskip(NEXT) | instid1(VALU_DEP_3)
	s_ashr_i32 s13, s12, 31
	s_and_b32 vcc_lo, exec_lo, s2
	s_cbranch_vccnz .LBB270_12
; %bb.11:
	s_lshl_b64 s[20:21], s[12:13], 3
	s_delay_alu instid0(SALU_CYCLE_1)
	s_add_u32 s20, s15, s20
	s_addc_u32 s21, s16, s21
	s_load_b64 s[20:21], s[20:21], 0x0
	s_waitcnt lgkmcnt(0)
	v_mul_f64 v[1:2], s[20:21], s[4:5]
.LBB270_12:
	s_mov_b32 s18, exec_lo
	s_or_b32 exec_lo, exec_lo, s19
	s_delay_alu instid0(SALU_CYCLE_1)
	s_and_b32 vcc_lo, exec_lo, s3
	s_cbranch_vccnz .LBB270_15
	s_branch .LBB270_34
.LBB270_13:
	s_mov_b32 s18, 0
                                        ; implicit-def: $vgpr1_vgpr2
                                        ; implicit-def: $sgpr12_sgpr13
	s_cbranch_execnz .LBB270_15
	s_branch .LBB270_34
.LBB270_14:
	s_or_b32 exec_lo, exec_lo, s19
	s_delay_alu instid0(SALU_CYCLE_1)
	s_and_b32 vcc_lo, exec_lo, s3
	s_cbranch_vccz .LBB270_34
.LBB270_15:
	s_clause 0x2
	s_load_b32 s2, s[0:1], 0x28
	s_load_b32 s3, s[0:1], 0x0
	;; [unrolled: 1-line block ×3, first 2 shown]
	s_waitcnt lgkmcnt(0)
	s_mul_i32 s12, s14, s2
	v_cmp_gt_i32_e32 vcc_lo, s3, v0
	s_ashr_i32 s13, s12, 31
	s_delay_alu instid0(SALU_CYCLE_1)
	s_lshl_b64 s[12:13], s[12:13], 3
	v_cndmask_b32_e32 v1, 0, v0, vcc_lo
	s_add_u32 s0, s12, s10
	s_addc_u32 s2, s13, s11
	s_ashr_i32 s10, s3, 31
	s_mov_b32 s11, 0
	v_lshlrev_b32_e32 v1, 3, v1
	s_lshr_b32 s10, s10, 24
	s_delay_alu instid0(SALU_CYCLE_1) | instskip(NEXT) | instid1(VALU_DEP_1)
	s_add_i32 s10, s3, s10
	v_add_co_u32 v3, s0, s0, v1
	v_mov_b32_e32 v1, 0
	v_add_co_ci_u32_e64 v4, null, s2, 0, s0
	v_mov_b32_e32 v2, 0
	s_and_b32 s2, s10, 0xffffff00
	s_mov_b32 s10, exec_lo
	v_cmpx_gt_i32_e64 s2, v0
	s_cbranch_execz .LBB270_19
; %bb.16:
	v_mul_lo_u32 v5, v0, s1
	v_dual_mov_b32 v1, 0 :: v_dual_mov_b32 v8, v4
	v_dual_mov_b32 v2, 0 :: v_dual_mov_b32 v7, v3
	v_mov_b32_e32 v9, v0
	s_lshl_b32 s12, s1, 8
	.p2align	6
.LBB270_17:                             ; =>This Inner Loop Header: Depth=1
	s_delay_alu instid0(VALU_DEP_4) | instskip(NEXT) | instid1(VALU_DEP_2)
	v_ashrrev_i32_e32 v6, 31, v5
	v_add_nc_u32_e32 v9, 0x100, v9
	s_delay_alu instid0(VALU_DEP_2) | instskip(NEXT) | instid1(VALU_DEP_2)
	v_lshlrev_b64 v[10:11], 3, v[5:6]
	v_cmp_le_i32_e64 s0, s2, v9
	v_add_nc_u32_e32 v5, s12, v5
	s_delay_alu instid0(VALU_DEP_2) | instskip(NEXT) | instid1(VALU_DEP_3)
	s_or_b32 s11, s0, s11
	v_add_co_u32 v10, vcc_lo, s8, v10
	s_delay_alu instid0(VALU_DEP_4)
	v_add_co_ci_u32_e32 v11, vcc_lo, s9, v11, vcc_lo
	flat_load_b64 v[12:13], v[7:8]
	flat_load_b64 v[10:11], v[10:11]
	v_add_co_u32 v7, vcc_lo, 0x800, v7
	v_add_co_ci_u32_e32 v8, vcc_lo, 0, v8, vcc_lo
	s_waitcnt vmcnt(0) lgkmcnt(0)
	v_fma_f64 v[1:2], v[12:13], v[10:11], v[1:2]
	s_and_not1_b32 exec_lo, exec_lo, s11
	s_cbranch_execnz .LBB270_17
; %bb.18:
	s_or_b32 exec_lo, exec_lo, s11
.LBB270_19:
	s_delay_alu instid0(SALU_CYCLE_1) | instskip(SKIP_2) | instid1(VALU_DEP_1)
	s_or_b32 exec_lo, exec_lo, s10
	v_add_nc_u32_e32 v5, s2, v0
	s_mov_b32 s0, exec_lo
	v_cmpx_gt_i32_e64 s3, v5
	s_cbranch_execz .LBB270_21
; %bb.20:
	v_mul_lo_u32 v5, v5, s1
	s_ashr_i32 s3, s2, 31
	s_delay_alu instid0(SALU_CYCLE_1) | instskip(NEXT) | instid1(SALU_CYCLE_1)
	s_lshl_b64 s[2:3], s[2:3], 3
	v_add_co_u32 v3, vcc_lo, v3, s2
	v_add_co_ci_u32_e32 v4, vcc_lo, s3, v4, vcc_lo
	s_delay_alu instid0(VALU_DEP_3) | instskip(NEXT) | instid1(VALU_DEP_1)
	v_ashrrev_i32_e32 v6, 31, v5
	v_lshlrev_b64 v[5:6], 3, v[5:6]
	s_delay_alu instid0(VALU_DEP_1) | instskip(NEXT) | instid1(VALU_DEP_2)
	v_add_co_u32 v5, vcc_lo, s8, v5
	v_add_co_ci_u32_e32 v6, vcc_lo, s9, v6, vcc_lo
	flat_load_b64 v[3:4], v[3:4]
	flat_load_b64 v[5:6], v[5:6]
	s_waitcnt vmcnt(0) lgkmcnt(0)
	v_fma_f64 v[1:2], v[3:4], v[5:6], v[1:2]
.LBB270_21:
	s_or_b32 exec_lo, exec_lo, s0
	v_and_b32_e32 v8, 31, v0
	v_cmp_gt_u32_e32 vcc_lo, 32, v0
	s_delay_alu instid0(VALU_DEP_2)
	v_lshlrev_b32_e32 v5, 3, v8
	s_and_saveexec_b32 s0, vcc_lo
	s_cbranch_execz .LBB270_23
; %bb.22:
	v_mov_b32_e32 v3, 0
	s_delay_alu instid0(VALU_DEP_1)
	v_mov_b32_e32 v4, v3
	ds_store_b64 v5, v[3:4]
.LBB270_23:
	s_or_b32 exec_lo, exec_lo, s0
	v_mbcnt_lo_u32_b32 v9, -1, 0
	s_mov_b32 s1, exec_lo
	s_waitcnt lgkmcnt(0)
	s_barrier
	buffer_gl0_inv
	v_cmp_gt_u32_e64 s0, 16, v9
	s_delay_alu instid0(VALU_DEP_1) | instskip(SKIP_1) | instid1(VALU_DEP_2)
	v_cndmask_b32_e64 v3, 0, 1, s0
	v_cmp_gt_u32_e64 s0, 24, v9
	v_lshlrev_b32_e32 v3, 4, v3
	s_delay_alu instid0(VALU_DEP_1)
	v_add_lshl_u32 v4, v3, v9, 2
	ds_bpermute_b32 v3, v4, v1
	ds_bpermute_b32 v4, v4, v2
	s_waitcnt lgkmcnt(0)
	v_add_f64 v[1:2], v[1:2], v[3:4]
	v_cndmask_b32_e64 v3, 0, 1, s0
	v_cmp_gt_u32_e64 s0, 28, v9
	s_delay_alu instid0(VALU_DEP_2) | instskip(NEXT) | instid1(VALU_DEP_1)
	v_lshlrev_b32_e32 v3, 3, v3
	v_add_lshl_u32 v4, v3, v9, 2
	ds_bpermute_b32 v3, v4, v1
	ds_bpermute_b32 v4, v4, v2
	s_waitcnt lgkmcnt(0)
	v_add_f64 v[1:2], v[1:2], v[3:4]
	v_cndmask_b32_e64 v3, 0, 1, s0
	v_cmp_gt_u32_e64 s0, 30, v9
	s_delay_alu instid0(VALU_DEP_2) | instskip(NEXT) | instid1(VALU_DEP_1)
	v_lshlrev_b32_e32 v3, 2, v3
	v_add_lshl_u32 v6, v3, v9, 2
	ds_bpermute_b32 v3, v6, v1
	ds_bpermute_b32 v4, v6, v2
	s_waitcnt lgkmcnt(0)
	v_add_f64 v[1:2], v[1:2], v[3:4]
	v_cndmask_b32_e64 v3, 0, 1, s0
	v_cmp_ne_u32_e64 s0, 31, v9
	s_delay_alu instid0(VALU_DEP_2) | instskip(NEXT) | instid1(VALU_DEP_1)
	v_lshlrev_b32_e32 v3, 1, v3
	v_add_lshl_u32 v7, v3, v9, 2
	ds_bpermute_b32 v3, v7, v1
	ds_bpermute_b32 v4, v7, v2
	s_waitcnt lgkmcnt(0)
	v_add_f64 v[1:2], v[1:2], v[3:4]
	v_add_co_ci_u32_e64 v3, s0, 0, v9, s0
	s_delay_alu instid0(VALU_DEP_1)
	v_lshlrev_b32_e32 v9, 2, v3
	ds_bpermute_b32 v3, v9, v1
	ds_bpermute_b32 v4, v9, v2
	v_cmpx_eq_u32_e32 0, v8
	s_cbranch_execz .LBB270_25
; %bb.24:
	s_waitcnt lgkmcnt(0)
	v_add_f64 v[1:2], v[1:2], v[3:4]
	v_lshrrev_b32_e32 v3, 2, v0
	s_delay_alu instid0(VALU_DEP_1)
	v_and_b32_e32 v3, 56, v3
	ds_store_b64 v3, v[1:2]
.LBB270_25:
	s_or_b32 exec_lo, exec_lo, s1
	s_waitcnt lgkmcnt(0)
	v_mov_b32_e32 v3, 0
	v_mov_b32_e32 v4, 0
	s_mov_b32 s1, exec_lo
	s_barrier
	buffer_gl0_inv
	v_cmpx_gt_u32_e32 8, v0
	s_cbranch_execz .LBB270_27
; %bb.26:
	ds_load_b64 v[3:4], v5
.LBB270_27:
	s_or_b32 exec_lo, exec_lo, s1
	s_and_saveexec_b32 s0, vcc_lo
	s_cbranch_execz .LBB270_29
; %bb.28:
	s_waitcnt lgkmcnt(0)
	ds_bpermute_b32 v1, v6, v3
	ds_bpermute_b32 v2, v6, v4
	s_waitcnt lgkmcnt(0)
	v_add_f64 v[1:2], v[3:4], v[1:2]
	ds_bpermute_b32 v3, v7, v1
	ds_bpermute_b32 v4, v7, v2
	s_waitcnt lgkmcnt(0)
	v_add_f64 v[1:2], v[1:2], v[3:4]
	;; [unrolled: 4-line block ×3, first 2 shown]
.LBB270_29:
	s_or_b32 exec_lo, exec_lo, s0
	s_delay_alu instid0(SALU_CYCLE_1)
	s_mov_b32 s0, exec_lo
                                        ; implicit-def: $vgpr1_vgpr2
                                        ; implicit-def: $sgpr12_sgpr13
	v_cmpx_eq_u32_e32 0, v0
	s_cbranch_execz .LBB270_33
; %bb.30:
	v_cmp_eq_f64_e64 s1, s[4:5], 0
	s_waitcnt lgkmcnt(0)
	s_delay_alu instid0(VALU_DEP_3) | instskip(SKIP_1) | instid1(SALU_CYCLE_1)
	v_mul_f64 v[1:2], v[3:4], s[6:7]
	s_mul_i32 s12, s14, s17
	s_ashr_i32 s13, s12, 31
	s_delay_alu instid0(VALU_DEP_2)
	s_and_b32 vcc_lo, exec_lo, s1
	s_cbranch_vccnz .LBB270_32
; %bb.31:
	s_lshl_b64 s[2:3], s[12:13], 3
	s_delay_alu instid0(SALU_CYCLE_1) | instskip(SKIP_3) | instid1(VALU_DEP_1)
	s_add_u32 s2, s15, s2
	s_addc_u32 s3, s16, s3
	s_load_b64 s[2:3], s[2:3], 0x0
	s_waitcnt lgkmcnt(0)
	v_fma_f64 v[1:2], s[2:3], s[4:5], v[1:2]
.LBB270_32:
	s_or_b32 s18, s18, exec_lo
.LBB270_33:
	s_or_b32 exec_lo, exec_lo, s0
.LBB270_34:
	s_and_saveexec_b32 s0, s18
	s_cbranch_execz .LBB270_36
; %bb.35:
	s_lshl_b64 s[0:1], s[12:13], 3
	v_mov_b32_e32 v0, 0
	s_add_u32 s0, s15, s0
	s_addc_u32 s1, s16, s1
	global_store_b64 v0, v[1:2], s[0:1]
.LBB270_36:
	s_nop 0
	s_sendmsg sendmsg(MSG_DEALLOC_VGPRS)
	s_endpgm
	.section	.rodata,"a",@progbits
	.p2align	6, 0x0
	.amdhsa_kernel _ZL32rocblas_gemvt_warp_reduce_kernelILb0ELi256EiPKddKPdEviiT3_lPKT2_lT1_lS7_lS8_lS4_lPT4_lS8_li
		.amdhsa_group_segment_fixed_size 256
		.amdhsa_private_segment_fixed_size 0
		.amdhsa_kernarg_size 140
		.amdhsa_user_sgpr_count 14
		.amdhsa_user_sgpr_dispatch_ptr 0
		.amdhsa_user_sgpr_queue_ptr 0
		.amdhsa_user_sgpr_kernarg_segment_ptr 1
		.amdhsa_user_sgpr_dispatch_id 0
		.amdhsa_user_sgpr_private_segment_size 0
		.amdhsa_wavefront_size32 1
		.amdhsa_uses_dynamic_stack 0
		.amdhsa_enable_private_segment 0
		.amdhsa_system_sgpr_workgroup_id_x 1
		.amdhsa_system_sgpr_workgroup_id_y 0
		.amdhsa_system_sgpr_workgroup_id_z 1
		.amdhsa_system_sgpr_workgroup_info 0
		.amdhsa_system_vgpr_workitem_id 0
		.amdhsa_next_free_vgpr 14
		.amdhsa_next_free_sgpr 24
		.amdhsa_reserve_vcc 1
		.amdhsa_float_round_mode_32 0
		.amdhsa_float_round_mode_16_64 0
		.amdhsa_float_denorm_mode_32 3
		.amdhsa_float_denorm_mode_16_64 3
		.amdhsa_dx10_clamp 1
		.amdhsa_ieee_mode 1
		.amdhsa_fp16_overflow 0
		.amdhsa_workgroup_processor_mode 1
		.amdhsa_memory_ordered 1
		.amdhsa_forward_progress 0
		.amdhsa_shared_vgpr_count 0
		.amdhsa_exception_fp_ieee_invalid_op 0
		.amdhsa_exception_fp_denorm_src 0
		.amdhsa_exception_fp_ieee_div_zero 0
		.amdhsa_exception_fp_ieee_overflow 0
		.amdhsa_exception_fp_ieee_underflow 0
		.amdhsa_exception_fp_ieee_inexact 0
		.amdhsa_exception_int_div_zero 0
	.end_amdhsa_kernel
	.section	.text._ZL32rocblas_gemvt_warp_reduce_kernelILb0ELi256EiPKddKPdEviiT3_lPKT2_lT1_lS7_lS8_lS4_lPT4_lS8_li,"axG",@progbits,_ZL32rocblas_gemvt_warp_reduce_kernelILb0ELi256EiPKddKPdEviiT3_lPKT2_lT1_lS7_lS8_lS4_lPT4_lS8_li,comdat
.Lfunc_end270:
	.size	_ZL32rocblas_gemvt_warp_reduce_kernelILb0ELi256EiPKddKPdEviiT3_lPKT2_lT1_lS7_lS8_lS4_lPT4_lS8_li, .Lfunc_end270-_ZL32rocblas_gemvt_warp_reduce_kernelILb0ELi256EiPKddKPdEviiT3_lPKT2_lT1_lS7_lS8_lS4_lPT4_lS8_li
                                        ; -- End function
	.section	.AMDGPU.csdata,"",@progbits
; Kernel info:
; codeLenInByte = 1548
; NumSgprs: 26
; NumVgprs: 14
; ScratchSize: 0
; MemoryBound: 0
; FloatMode: 240
; IeeeMode: 1
; LDSByteSize: 256 bytes/workgroup (compile time only)
; SGPRBlocks: 3
; VGPRBlocks: 1
; NumSGPRsForWavesPerEU: 26
; NumVGPRsForWavesPerEU: 14
; Occupancy: 16
; WaveLimiterHint : 1
; COMPUTE_PGM_RSRC2:SCRATCH_EN: 0
; COMPUTE_PGM_RSRC2:USER_SGPR: 14
; COMPUTE_PGM_RSRC2:TRAP_HANDLER: 0
; COMPUTE_PGM_RSRC2:TGID_X_EN: 1
; COMPUTE_PGM_RSRC2:TGID_Y_EN: 0
; COMPUTE_PGM_RSRC2:TGID_Z_EN: 1
; COMPUTE_PGM_RSRC2:TIDIG_COMP_CNT: 0
	.section	.text._ZL32rocblas_gemvt_warp_reduce_kernelILb0ELi256ElPKddKPdEviiT3_lPKT2_lT1_lS7_lS8_lS4_lPT4_lS8_li,"axG",@progbits,_ZL32rocblas_gemvt_warp_reduce_kernelILb0ELi256ElPKddKPdEviiT3_lPKT2_lT1_lS7_lS8_lS4_lPT4_lS8_li,comdat
	.globl	_ZL32rocblas_gemvt_warp_reduce_kernelILb0ELi256ElPKddKPdEviiT3_lPKT2_lT1_lS7_lS8_lS4_lPT4_lS8_li ; -- Begin function _ZL32rocblas_gemvt_warp_reduce_kernelILb0ELi256ElPKddKPdEviiT3_lPKT2_lT1_lS7_lS8_lS4_lPT4_lS8_li
	.p2align	8
	.type	_ZL32rocblas_gemvt_warp_reduce_kernelILb0ELi256ElPKddKPdEviiT3_lPKT2_lT1_lS7_lS8_lS4_lPT4_lS8_li,@function
_ZL32rocblas_gemvt_warp_reduce_kernelILb0ELi256ElPKddKPdEviiT3_lPKT2_lT1_lS7_lS8_lS4_lPT4_lS8_li: ; @_ZL32rocblas_gemvt_warp_reduce_kernelILb0ELi256ElPKddKPdEviiT3_lPKT2_lT1_lS7_lS8_lS4_lPT4_lS8_li
; %bb.0:
	s_clause 0x1
	s_load_b64 s[10:11], s[0:1], 0x8
	s_load_b64 s[8:9], s[0:1], 0x58
	s_waitcnt lgkmcnt(0)
	v_cmp_eq_f64_e64 s20, s[10:11], 0
	v_cmp_eq_f64_e64 s3, s[8:9], 1.0
	s_delay_alu instid0(VALU_DEP_1) | instskip(NEXT) | instid1(SALU_CYCLE_1)
	s_and_b32 s3, s20, s3
	s_and_b32 vcc_lo, exec_lo, s3
	s_cbranch_vccnz .LBB271_36
; %bb.1:
	s_mov_b32 s2, s15
	v_cmp_neq_f64_e64 s15, s[10:11], 0
	s_clause 0x1
	s_load_b128 s[4:7], s[0:1], 0x18
	s_load_b64 s[16:17], s[0:1], 0x28
	s_delay_alu instid0(VALU_DEP_1)
	s_and_b32 vcc_lo, exec_lo, s15
	s_cbranch_vccnz .LBB271_3
; %bb.2:
	s_mov_b32 s3, 0
	s_mov_b64 s[18:19], 0
	s_cbranch_execz .LBB271_4
	s_branch .LBB271_5
.LBB271_3:
	s_mov_b32 s3, -1
                                        ; implicit-def: $sgpr18_sgpr19
.LBB271_4:
	s_mov_b32 s3, 0
	s_delay_alu instid0(SALU_CYCLE_1)
	s_lshl_b64 s[12:13], s[2:3], 3
	s_waitcnt lgkmcnt(0)
	s_add_u32 s4, s4, s12
	s_addc_u32 s5, s5, s13
	s_lshl_b64 s[6:7], s[6:7], 3
	s_load_b64 s[4:5], s[4:5], 0x0
	s_waitcnt lgkmcnt(0)
	s_add_u32 s18, s4, s6
	s_addc_u32 s19, s5, s7
.LBB271_5:
	s_waitcnt lgkmcnt(0)
	s_clause 0x1
	s_load_b128 s[4:7], s[0:1], 0x38
	s_load_b64 s[12:13], s[0:1], 0x48
	s_and_not1_b32 vcc_lo, exec_lo, s15
	s_cbranch_vccnz .LBB271_7
; %bb.6:
	s_lshl_b64 s[22:23], s[2:3], 3
	s_waitcnt lgkmcnt(0)
	s_add_u32 s4, s4, s22
	s_addc_u32 s5, s5, s23
	s_lshl_b64 s[6:7], s[6:7], 3
	s_load_b64 s[4:5], s[4:5], 0x0
	s_waitcnt lgkmcnt(0)
	s_add_u32 s6, s4, s6
	s_addc_u32 s7, s5, s7
	s_branch .LBB271_8
.LBB271_7:
	s_waitcnt lgkmcnt(0)
	s_mov_b64 s[6:7], 0
.LBB271_8:
	s_clause 0x1
	s_load_b128 s[24:27], s[0:1], 0x68
	s_load_b64 s[4:5], s[0:1], 0x78
	s_lshl_b64 s[2:3], s[2:3], 3
	s_waitcnt lgkmcnt(0)
	s_add_u32 s2, s24, s2
	s_addc_u32 s3, s25, s3
	s_lshl_b64 s[24:25], s[26:27], 3
	s_load_b64 s[22:23], s[2:3], 0x0
	v_cmp_eq_u32_e64 s2, 0, v0
	s_waitcnt lgkmcnt(0)
	s_add_u32 s15, s22, s24
	s_addc_u32 s22, s23, s25
	s_and_not1_b32 vcc_lo, exec_lo, s20
	s_cbranch_vccnz .LBB271_13
; %bb.9:
	s_mov_b32 s3, 0
	s_mov_b32 s23, 0
                                        ; implicit-def: $vgpr1_vgpr2
                                        ; implicit-def: $sgpr20_sgpr21
	s_and_saveexec_b32 s24, s2
	s_cbranch_execz .LBB271_14
; %bb.10:
	v_cmp_eq_f64_e64 s2, s[8:9], 0
	s_mul_i32 s20, s14, s5
	s_mul_hi_u32 s21, s14, s4
	s_ashr_i32 s23, s14, 31
	v_mov_b32_e32 v1, 0
	v_mov_b32_e32 v2, 0
	s_add_i32 s20, s21, s20
	s_mul_i32 s23, s23, s4
	s_delay_alu instid0(SALU_CYCLE_1) | instskip(SKIP_1) | instid1(VALU_DEP_3)
	s_add_i32 s21, s20, s23
	s_mul_i32 s20, s14, s4
	s_and_b32 vcc_lo, exec_lo, s2
	s_cbranch_vccnz .LBB271_12
; %bb.11:
	s_lshl_b64 s[26:27], s[20:21], 3
	s_delay_alu instid0(SALU_CYCLE_1)
	s_add_u32 s26, s15, s26
	s_addc_u32 s27, s22, s27
	s_load_b64 s[26:27], s[26:27], 0x0
	s_waitcnt lgkmcnt(0)
	v_mul_f64 v[1:2], s[26:27], s[8:9]
.LBB271_12:
	s_mov_b32 s23, exec_lo
	s_or_b32 exec_lo, exec_lo, s24
	s_delay_alu instid0(SALU_CYCLE_1)
	s_and_b32 vcc_lo, exec_lo, s3
	s_cbranch_vccnz .LBB271_15
	s_branch .LBB271_34
.LBB271_13:
	s_mov_b32 s23, 0
                                        ; implicit-def: $vgpr1_vgpr2
                                        ; implicit-def: $sgpr20_sgpr21
	s_cbranch_execnz .LBB271_15
	s_branch .LBB271_34
.LBB271_14:
	s_or_b32 exec_lo, exec_lo, s24
	s_delay_alu instid0(SALU_CYCLE_1)
	s_and_b32 vcc_lo, exec_lo, s3
	s_cbranch_vccz .LBB271_34
.LBB271_15:
	s_load_b32 s3, s[0:1], 0x0
	s_mul_i32 s0, s14, s17
	s_mul_hi_u32 s2, s14, s16
	s_ashr_i32 s1, s14, 31
	s_add_i32 s0, s2, s0
	s_mul_i32 s2, s1, s16
	s_mul_i32 s16, s14, s16
	s_add_i32 s17, s0, s2
	s_delay_alu instid0(SALU_CYCLE_1) | instskip(NEXT) | instid1(SALU_CYCLE_1)
	s_lshl_b64 s[16:17], s[16:17], 3
	s_add_u32 s0, s16, s18
	s_addc_u32 s16, s17, s19
	s_mov_b32 s19, 0
	s_mov_b32 s18, exec_lo
	s_waitcnt lgkmcnt(0)
	v_cmp_gt_i32_e32 vcc_lo, s3, v0
	s_ashr_i32 s2, s3, 31
	s_delay_alu instid0(SALU_CYCLE_1) | instskip(NEXT) | instid1(SALU_CYCLE_1)
	s_lshr_b32 s2, s2, 24
	s_add_i32 s2, s3, s2
	v_cndmask_b32_e32 v1, 0, v0, vcc_lo
	s_and_b32 s2, s2, 0xffffff00
	s_delay_alu instid0(VALU_DEP_1) | instskip(SKIP_2) | instid1(VALU_DEP_3)
	v_lshlrev_b32_e32 v3, 3, v1
	v_mov_b32_e32 v1, 0
	v_mov_b32_e32 v2, 0
	v_add_co_u32 v3, s0, s0, v3
	s_delay_alu instid0(VALU_DEP_1)
	v_add_co_ci_u32_e64 v4, null, s16, 0, s0
	v_cmpx_gt_i32_e64 s2, v0
	s_cbranch_execz .LBB271_19
; %bb.16:
	v_mad_u64_u32 v[1:2], null, s12, v0, 0
	s_lshl_b64 s[16:17], s[12:13], 11
	v_mov_b32_e32 v9, v0
	s_delay_alu instid0(VALU_DEP_2) | instskip(NEXT) | instid1(VALU_DEP_1)
	v_mad_u64_u32 v[5:6], null, s13, v0, v[2:3]
	v_mov_b32_e32 v2, v5
	v_dual_mov_b32 v6, v4 :: v_dual_mov_b32 v5, v3
	s_delay_alu instid0(VALU_DEP_2) | instskip(SKIP_2) | instid1(VALU_DEP_3)
	v_lshlrev_b64 v[7:8], 3, v[1:2]
	v_mov_b32_e32 v1, 0
	v_mov_b32_e32 v2, 0
	v_add_co_u32 v7, vcc_lo, s6, v7
	s_delay_alu instid0(VALU_DEP_4)
	v_add_co_ci_u32_e32 v8, vcc_lo, s7, v8, vcc_lo
	.p2align	6
.LBB271_17:                             ; =>This Inner Loop Header: Depth=1
	flat_load_b64 v[10:11], v[5:6]
	flat_load_b64 v[12:13], v[7:8]
	v_add_nc_u32_e32 v9, 0x100, v9
	v_add_co_u32 v5, vcc_lo, 0x800, v5
	v_add_co_ci_u32_e32 v6, vcc_lo, 0, v6, vcc_lo
	s_delay_alu instid0(VALU_DEP_3) | instskip(SKIP_1) | instid1(VALU_DEP_1)
	v_cmp_le_i32_e32 vcc_lo, s2, v9
	v_add_co_u32 v7, s0, v7, s16
	v_add_co_ci_u32_e64 v8, s0, s17, v8, s0
	s_or_b32 s19, vcc_lo, s19
	s_waitcnt vmcnt(0) lgkmcnt(0)
	v_fma_f64 v[1:2], v[10:11], v[12:13], v[1:2]
	s_and_not1_b32 exec_lo, exec_lo, s19
	s_cbranch_execnz .LBB271_17
; %bb.18:
	s_or_b32 exec_lo, exec_lo, s19
.LBB271_19:
	s_delay_alu instid0(SALU_CYCLE_1) | instskip(SKIP_2) | instid1(VALU_DEP_1)
	s_or_b32 exec_lo, exec_lo, s18
	v_add_nc_u32_e32 v5, s2, v0
	s_mov_b32 s0, exec_lo
	v_cmpx_gt_i32_e64 s3, v5
	s_cbranch_execz .LBB271_21
; %bb.20:
	v_ashrrev_i32_e32 v8, 31, v5
	v_mul_lo_u32 v9, v5, s13
	v_mad_u64_u32 v[6:7], null, v5, s12, 0
	s_ashr_i32 s3, s2, 31
	s_delay_alu instid0(VALU_DEP_3) | instskip(SKIP_1) | instid1(SALU_CYCLE_1)
	v_mul_lo_u32 v5, v8, s12
	s_lshl_b64 s[2:3], s[2:3], 3
	v_add_co_u32 v3, vcc_lo, v3, s2
	v_add_co_ci_u32_e32 v4, vcc_lo, s3, v4, vcc_lo
	s_delay_alu instid0(VALU_DEP_3) | instskip(NEXT) | instid1(VALU_DEP_1)
	v_add3_u32 v7, v7, v9, v5
	v_lshlrev_b64 v[5:6], 3, v[6:7]
	s_delay_alu instid0(VALU_DEP_1) | instskip(NEXT) | instid1(VALU_DEP_2)
	v_add_co_u32 v5, vcc_lo, s6, v5
	v_add_co_ci_u32_e32 v6, vcc_lo, s7, v6, vcc_lo
	flat_load_b64 v[3:4], v[3:4]
	flat_load_b64 v[5:6], v[5:6]
	s_waitcnt vmcnt(0) lgkmcnt(0)
	v_fma_f64 v[1:2], v[3:4], v[5:6], v[1:2]
.LBB271_21:
	s_or_b32 exec_lo, exec_lo, s0
	v_and_b32_e32 v8, 31, v0
	v_cmp_gt_u32_e32 vcc_lo, 32, v0
	s_delay_alu instid0(VALU_DEP_2)
	v_lshlrev_b32_e32 v5, 3, v8
	s_and_saveexec_b32 s0, vcc_lo
	s_cbranch_execz .LBB271_23
; %bb.22:
	v_mov_b32_e32 v3, 0
	s_delay_alu instid0(VALU_DEP_1)
	v_mov_b32_e32 v4, v3
	ds_store_b64 v5, v[3:4]
.LBB271_23:
	s_or_b32 exec_lo, exec_lo, s0
	v_mbcnt_lo_u32_b32 v9, -1, 0
	s_mov_b32 s2, exec_lo
	s_waitcnt lgkmcnt(0)
	s_barrier
	buffer_gl0_inv
	v_cmp_gt_u32_e64 s0, 16, v9
	s_delay_alu instid0(VALU_DEP_1) | instskip(SKIP_1) | instid1(VALU_DEP_2)
	v_cndmask_b32_e64 v3, 0, 1, s0
	v_cmp_gt_u32_e64 s0, 24, v9
	v_lshlrev_b32_e32 v3, 4, v3
	s_delay_alu instid0(VALU_DEP_1)
	v_add_lshl_u32 v4, v3, v9, 2
	ds_bpermute_b32 v3, v4, v1
	ds_bpermute_b32 v4, v4, v2
	s_waitcnt lgkmcnt(0)
	v_add_f64 v[1:2], v[1:2], v[3:4]
	v_cndmask_b32_e64 v3, 0, 1, s0
	v_cmp_gt_u32_e64 s0, 28, v9
	s_delay_alu instid0(VALU_DEP_2) | instskip(NEXT) | instid1(VALU_DEP_1)
	v_lshlrev_b32_e32 v3, 3, v3
	v_add_lshl_u32 v4, v3, v9, 2
	ds_bpermute_b32 v3, v4, v1
	ds_bpermute_b32 v4, v4, v2
	s_waitcnt lgkmcnt(0)
	v_add_f64 v[1:2], v[1:2], v[3:4]
	v_cndmask_b32_e64 v3, 0, 1, s0
	v_cmp_gt_u32_e64 s0, 30, v9
	s_delay_alu instid0(VALU_DEP_2) | instskip(NEXT) | instid1(VALU_DEP_1)
	v_lshlrev_b32_e32 v3, 2, v3
	v_add_lshl_u32 v6, v3, v9, 2
	ds_bpermute_b32 v3, v6, v1
	ds_bpermute_b32 v4, v6, v2
	s_waitcnt lgkmcnt(0)
	v_add_f64 v[1:2], v[1:2], v[3:4]
	v_cndmask_b32_e64 v3, 0, 1, s0
	v_cmp_ne_u32_e64 s0, 31, v9
	s_delay_alu instid0(VALU_DEP_2) | instskip(NEXT) | instid1(VALU_DEP_1)
	v_lshlrev_b32_e32 v3, 1, v3
	v_add_lshl_u32 v7, v3, v9, 2
	ds_bpermute_b32 v3, v7, v1
	ds_bpermute_b32 v4, v7, v2
	s_waitcnt lgkmcnt(0)
	v_add_f64 v[1:2], v[1:2], v[3:4]
	v_add_co_ci_u32_e64 v3, s0, 0, v9, s0
	s_delay_alu instid0(VALU_DEP_1)
	v_lshlrev_b32_e32 v9, 2, v3
	ds_bpermute_b32 v3, v9, v1
	ds_bpermute_b32 v4, v9, v2
	v_cmpx_eq_u32_e32 0, v8
	s_cbranch_execz .LBB271_25
; %bb.24:
	s_waitcnt lgkmcnt(0)
	v_add_f64 v[1:2], v[1:2], v[3:4]
	v_lshrrev_b32_e32 v3, 2, v0
	s_delay_alu instid0(VALU_DEP_1)
	v_and_b32_e32 v3, 56, v3
	ds_store_b64 v3, v[1:2]
.LBB271_25:
	s_or_b32 exec_lo, exec_lo, s2
	s_waitcnt lgkmcnt(0)
	v_mov_b32_e32 v3, 0
	v_mov_b32_e32 v4, 0
	s_mov_b32 s2, exec_lo
	s_barrier
	buffer_gl0_inv
	v_cmpx_gt_u32_e32 8, v0
	s_cbranch_execz .LBB271_27
; %bb.26:
	ds_load_b64 v[3:4], v5
.LBB271_27:
	s_or_b32 exec_lo, exec_lo, s2
	s_and_saveexec_b32 s0, vcc_lo
	s_cbranch_execz .LBB271_29
; %bb.28:
	s_waitcnt lgkmcnt(0)
	ds_bpermute_b32 v1, v6, v3
	ds_bpermute_b32 v2, v6, v4
	s_waitcnt lgkmcnt(0)
	v_add_f64 v[1:2], v[3:4], v[1:2]
	ds_bpermute_b32 v3, v7, v1
	ds_bpermute_b32 v4, v7, v2
	s_waitcnt lgkmcnt(0)
	v_add_f64 v[1:2], v[1:2], v[3:4]
	;; [unrolled: 4-line block ×3, first 2 shown]
.LBB271_29:
	s_or_b32 exec_lo, exec_lo, s0
	s_delay_alu instid0(SALU_CYCLE_1)
	s_mov_b32 s0, exec_lo
                                        ; implicit-def: $vgpr1_vgpr2
                                        ; implicit-def: $sgpr20_sgpr21
	v_cmpx_eq_u32_e32 0, v0
	s_cbranch_execz .LBB271_33
; %bb.30:
	v_cmp_eq_f64_e64 s2, s[8:9], 0
	s_waitcnt lgkmcnt(0)
	s_delay_alu instid0(VALU_DEP_3)
	v_mul_f64 v[1:2], v[3:4], s[10:11]
	s_mul_i32 s3, s14, s5
	s_mul_hi_u32 s5, s14, s4
	s_mul_i32 s1, s1, s4
	s_add_i32 s3, s5, s3
	s_mul_i32 s20, s14, s4
	s_add_i32 s21, s3, s1
	s_delay_alu instid0(VALU_DEP_2)
	s_and_b32 vcc_lo, exec_lo, s2
	s_cbranch_vccnz .LBB271_32
; %bb.31:
	s_lshl_b64 s[2:3], s[20:21], 3
	s_delay_alu instid0(SALU_CYCLE_1) | instskip(SKIP_3) | instid1(VALU_DEP_1)
	s_add_u32 s2, s15, s2
	s_addc_u32 s3, s22, s3
	s_load_b64 s[2:3], s[2:3], 0x0
	s_waitcnt lgkmcnt(0)
	v_fma_f64 v[1:2], s[2:3], s[8:9], v[1:2]
.LBB271_32:
	s_or_b32 s23, s23, exec_lo
.LBB271_33:
	s_or_b32 exec_lo, exec_lo, s0
.LBB271_34:
	s_and_saveexec_b32 s0, s23
	s_cbranch_execz .LBB271_36
; %bb.35:
	s_lshl_b64 s[0:1], s[20:21], 3
	v_mov_b32_e32 v0, 0
	s_add_u32 s0, s15, s0
	s_addc_u32 s1, s22, s1
	global_store_b64 v0, v[1:2], s[0:1]
.LBB271_36:
	s_nop 0
	s_sendmsg sendmsg(MSG_DEALLOC_VGPRS)
	s_endpgm
	.section	.rodata,"a",@progbits
	.p2align	6, 0x0
	.amdhsa_kernel _ZL32rocblas_gemvt_warp_reduce_kernelILb0ELi256ElPKddKPdEviiT3_lPKT2_lT1_lS7_lS8_lS4_lPT4_lS8_li
		.amdhsa_group_segment_fixed_size 256
		.amdhsa_private_segment_fixed_size 0
		.amdhsa_kernarg_size 140
		.amdhsa_user_sgpr_count 14
		.amdhsa_user_sgpr_dispatch_ptr 0
		.amdhsa_user_sgpr_queue_ptr 0
		.amdhsa_user_sgpr_kernarg_segment_ptr 1
		.amdhsa_user_sgpr_dispatch_id 0
		.amdhsa_user_sgpr_private_segment_size 0
		.amdhsa_wavefront_size32 1
		.amdhsa_uses_dynamic_stack 0
		.amdhsa_enable_private_segment 0
		.amdhsa_system_sgpr_workgroup_id_x 1
		.amdhsa_system_sgpr_workgroup_id_y 0
		.amdhsa_system_sgpr_workgroup_id_z 1
		.amdhsa_system_sgpr_workgroup_info 0
		.amdhsa_system_vgpr_workitem_id 0
		.amdhsa_next_free_vgpr 14
		.amdhsa_next_free_sgpr 28
		.amdhsa_reserve_vcc 1
		.amdhsa_float_round_mode_32 0
		.amdhsa_float_round_mode_16_64 0
		.amdhsa_float_denorm_mode_32 3
		.amdhsa_float_denorm_mode_16_64 3
		.amdhsa_dx10_clamp 1
		.amdhsa_ieee_mode 1
		.amdhsa_fp16_overflow 0
		.amdhsa_workgroup_processor_mode 1
		.amdhsa_memory_ordered 1
		.amdhsa_forward_progress 0
		.amdhsa_shared_vgpr_count 0
		.amdhsa_exception_fp_ieee_invalid_op 0
		.amdhsa_exception_fp_denorm_src 0
		.amdhsa_exception_fp_ieee_div_zero 0
		.amdhsa_exception_fp_ieee_overflow 0
		.amdhsa_exception_fp_ieee_underflow 0
		.amdhsa_exception_fp_ieee_inexact 0
		.amdhsa_exception_int_div_zero 0
	.end_amdhsa_kernel
	.section	.text._ZL32rocblas_gemvt_warp_reduce_kernelILb0ELi256ElPKddKPdEviiT3_lPKT2_lT1_lS7_lS8_lS4_lPT4_lS8_li,"axG",@progbits,_ZL32rocblas_gemvt_warp_reduce_kernelILb0ELi256ElPKddKPdEviiT3_lPKT2_lT1_lS7_lS8_lS4_lPT4_lS8_li,comdat
.Lfunc_end271:
	.size	_ZL32rocblas_gemvt_warp_reduce_kernelILb0ELi256ElPKddKPdEviiT3_lPKT2_lT1_lS7_lS8_lS4_lPT4_lS8_li, .Lfunc_end271-_ZL32rocblas_gemvt_warp_reduce_kernelILb0ELi256ElPKddKPdEviiT3_lPKT2_lT1_lS7_lS8_lS4_lPT4_lS8_li
                                        ; -- End function
	.section	.AMDGPU.csdata,"",@progbits
; Kernel info:
; codeLenInByte = 1664
; NumSgprs: 30
; NumVgprs: 14
; ScratchSize: 0
; MemoryBound: 0
; FloatMode: 240
; IeeeMode: 1
; LDSByteSize: 256 bytes/workgroup (compile time only)
; SGPRBlocks: 3
; VGPRBlocks: 1
; NumSGPRsForWavesPerEU: 30
; NumVGPRsForWavesPerEU: 14
; Occupancy: 16
; WaveLimiterHint : 1
; COMPUTE_PGM_RSRC2:SCRATCH_EN: 0
; COMPUTE_PGM_RSRC2:USER_SGPR: 14
; COMPUTE_PGM_RSRC2:TRAP_HANDLER: 0
; COMPUTE_PGM_RSRC2:TGID_X_EN: 1
; COMPUTE_PGM_RSRC2:TGID_Y_EN: 0
; COMPUTE_PGM_RSRC2:TGID_Z_EN: 1
; COMPUTE_PGM_RSRC2:TIDIG_COMP_CNT: 0
	.section	.text._ZL20rocblas_gemvt_kernelILb0ELi256EPKdS1_KPdEviiT2_lPKT1_lilS7_lilS4_lPT3_lili,"axG",@progbits,_ZL20rocblas_gemvt_kernelILb0ELi256EPKdS1_KPdEviiT2_lPKT1_lilS7_lilS4_lPT3_lili,comdat
	.globl	_ZL20rocblas_gemvt_kernelILb0ELi256EPKdS1_KPdEviiT2_lPKT1_lilS7_lilS4_lPT3_lili ; -- Begin function _ZL20rocblas_gemvt_kernelILb0ELi256EPKdS1_KPdEviiT2_lPKT1_lilS7_lilS4_lPT3_lili
	.p2align	8
	.type	_ZL20rocblas_gemvt_kernelILb0ELi256EPKdS1_KPdEviiT2_lPKT1_lilS7_lilS4_lPT3_lili,@function
_ZL20rocblas_gemvt_kernelILb0ELi256EPKdS1_KPdEviiT2_lPKT1_lilS7_lilS4_lPT3_lili: ; @_ZL20rocblas_gemvt_kernelILb0ELi256EPKdS1_KPdEviiT2_lPKT1_lilS7_lilS4_lPT3_lili
; %bb.0:
	s_clause 0x1
	s_load_b256 s[16:23], s[0:1], 0x8
	s_load_b256 s[4:11], s[0:1], 0x58
	s_waitcnt lgkmcnt(0)
	s_mul_i32 s3, s15, s19
	s_mul_hi_u32 s13, s15, s18
	s_mul_i32 s12, s15, s18
	s_add_i32 s13, s13, s3
	s_mul_i32 s3, s15, s7
	s_lshl_b64 s[12:13], s[12:13], 3
	s_mul_hi_u32 s7, s15, s6
	s_add_u32 s12, s16, s12
	s_addc_u32 s13, s17, s13
	s_add_i32 s7, s7, s3
	s_mul_i32 s6, s15, s6
	s_mov_b64 s[16:17], 0
	s_lshl_b64 s[6:7], s[6:7], 3
	s_delay_alu instid0(SALU_CYCLE_1)
	s_add_u32 s4, s4, s6
	s_addc_u32 s5, s5, s7
	s_load_b64 s[6:7], s[12:13], 0x0
	s_load_b64 s[4:5], s[4:5], 0x0
	s_waitcnt lgkmcnt(0)
	v_cmp_eq_f64_e64 s18, s[6:7], 0
	v_cmp_eq_f64_e64 s3, s[4:5], 1.0
	s_delay_alu instid0(VALU_DEP_1) | instskip(NEXT) | instid1(SALU_CYCLE_1)
	s_and_b32 s3, s18, s3
	s_and_b32 vcc_lo, exec_lo, s3
	s_cbranch_vccnz .LBB272_41
; %bb.1:
	v_cmp_neq_f64_e64 s12, s[6:7], 0
	s_mov_b32 s2, s15
	s_and_b32 vcc_lo, exec_lo, s18
	s_mov_b32 s3, 0
	s_cbranch_vccnz .LBB272_3
; %bb.2:
	s_lshl_b64 s[16:17], s[2:3], 3
	s_delay_alu instid0(SALU_CYCLE_1)
	s_add_u32 s16, s20, s16
	s_addc_u32 s17, s21, s17
	s_lshl_b64 s[20:21], s[22:23], 3
	s_load_b64 s[16:17], s[16:17], 0x0
	s_waitcnt lgkmcnt(0)
	s_add_u32 s16, s16, s20
	s_addc_u32 s17, s17, s21
.LBB272_3:
	s_delay_alu instid0(VALU_DEP_1)
	s_and_not1_b32 vcc_lo, exec_lo, s12
	s_cbranch_vccnz .LBB272_5
; %bb.4:
	s_load_b128 s[20:23], s[0:1], 0x38
	s_lshl_b64 s[12:13], s[2:3], 3
	s_waitcnt lgkmcnt(0)
	s_add_u32 s12, s20, s12
	s_addc_u32 s13, s21, s13
	s_lshl_b64 s[20:21], s[22:23], 3
	s_load_b64 s[12:13], s[12:13], 0x0
	s_waitcnt lgkmcnt(0)
	s_add_u32 s12, s12, s20
	s_addc_u32 s13, s13, s21
	s_branch .LBB272_6
.LBB272_5:
	s_mov_b64 s[12:13], 0
.LBB272_6:
	s_lshl_b64 s[2:3], s[2:3], 3
	s_delay_alu instid0(SALU_CYCLE_1)
	s_add_u32 s2, s8, s2
	s_addc_u32 s3, s9, s3
	s_lshl_b64 s[10:11], s[10:11], 3
	s_load_b64 s[8:9], s[2:3], 0x0
	s_load_b32 s15, s[0:1], 0x78
	v_cmp_eq_u32_e64 s2, 0, v0
	s_waitcnt lgkmcnt(0)
	s_add_u32 s10, s8, s10
	s_addc_u32 s11, s9, s11
	s_and_not1_b32 vcc_lo, exec_lo, s18
	s_cbranch_vccnz .LBB272_11
; %bb.7:
	s_mov_b32 s3, 0
	s_mov_b32 s18, 0
                                        ; implicit-def: $vgpr1_vgpr2
                                        ; implicit-def: $sgpr8_sgpr9
	s_and_saveexec_b32 s19, s2
	s_cbranch_execz .LBB272_12
; %bb.8:
	v_cmp_eq_f64_e64 s2, s[4:5], 0
	v_mov_b32_e32 v1, 0
	v_mov_b32_e32 v2, 0
	s_mul_hi_i32 s9, s15, s14
	s_mul_i32 s8, s15, s14
	s_delay_alu instid0(VALU_DEP_3)
	s_and_b32 vcc_lo, exec_lo, s2
	s_cbranch_vccnz .LBB272_10
; %bb.9:
	s_lshl_b64 s[20:21], s[8:9], 3
	s_delay_alu instid0(SALU_CYCLE_1)
	s_add_u32 s20, s10, s20
	s_addc_u32 s21, s11, s21
	s_load_b64 s[20:21], s[20:21], 0x0
	s_waitcnt lgkmcnt(0)
	v_mul_f64 v[1:2], s[4:5], s[20:21]
.LBB272_10:
	s_mov_b32 s18, exec_lo
	s_or_b32 exec_lo, exec_lo, s19
	s_delay_alu instid0(SALU_CYCLE_1)
	s_and_b32 vcc_lo, exec_lo, s3
	s_cbranch_vccnz .LBB272_13
	s_branch .LBB272_39
.LBB272_11:
	s_mov_b32 s18, 0
                                        ; implicit-def: $vgpr1_vgpr2
                                        ; implicit-def: $sgpr8_sgpr9
	s_cbranch_execnz .LBB272_13
	s_branch .LBB272_39
.LBB272_12:
	s_or_b32 exec_lo, exec_lo, s19
	s_delay_alu instid0(SALU_CYCLE_1)
	s_and_b32 vcc_lo, exec_lo, s3
	s_cbranch_vccz .LBB272_39
.LBB272_13:
	s_clause 0x2
	s_load_b32 s2, s[0:1], 0x28
	s_load_b32 s3, s[0:1], 0x0
	;; [unrolled: 1-line block ×3, first 2 shown]
	s_waitcnt lgkmcnt(0)
	s_mul_hi_i32 s9, s2, s14
	v_cmp_gt_i32_e32 vcc_lo, s3, v0
	s_mul_i32 s8, s2, s14
	s_delay_alu instid0(SALU_CYCLE_1) | instskip(NEXT) | instid1(SALU_CYCLE_1)
	s_lshl_b64 s[8:9], s[8:9], 3
	s_add_u32 s1, s8, s16
	v_cndmask_b32_e32 v1, 0, v0, vcc_lo
	s_addc_u32 s2, s9, s17
	s_ashr_i32 s8, s3, 31
	s_mov_b32 s16, 0
	s_lshr_b32 s8, s8, 24
	v_lshlrev_b32_e32 v3, 3, v1
	v_mov_b32_e32 v1, 0
	v_mov_b32_e32 v2, 0
	s_add_i32 s8, s3, s8
	s_delay_alu instid0(VALU_DEP_3) | instskip(NEXT) | instid1(VALU_DEP_1)
	v_add_co_u32 v3, s1, s1, v3
	v_add_co_ci_u32_e64 v4, null, s2, 0, s1
	s_and_b32 s2, s8, 0xffffff00
	s_cmpk_lt_i32 s3, 0x100
	s_cbranch_scc1 .LBB272_16
; %bb.14:
	v_mad_i64_i32 v[1:2], null, s0, v0, 0
	s_ashr_i32 s1, s0, 31
	v_mov_b32_e32 v8, v4
	s_lshl_b64 s[8:9], s[0:1], 11
	v_mov_b32_e32 v7, v3
	s_delay_alu instid0(VALU_DEP_3) | instskip(SKIP_2) | instid1(VALU_DEP_3)
	v_lshlrev_b64 v[5:6], 3, v[1:2]
	v_mov_b32_e32 v1, 0
	v_mov_b32_e32 v2, 0
	v_add_co_u32 v5, vcc_lo, s12, v5
	s_delay_alu instid0(VALU_DEP_4)
	v_add_co_ci_u32_e32 v6, vcc_lo, s13, v6, vcc_lo
.LBB272_15:                             ; =>This Inner Loop Header: Depth=1
	flat_load_b64 v[9:10], v[7:8]
	flat_load_b64 v[11:12], v[5:6]
	v_add_co_u32 v5, vcc_lo, v5, s8
	v_add_co_ci_u32_e32 v6, vcc_lo, s9, v6, vcc_lo
	v_add_co_u32 v7, vcc_lo, 0x800, v7
	v_add_co_ci_u32_e32 v8, vcc_lo, 0, v8, vcc_lo
	s_addk_i32 s16, 0x100
	s_delay_alu instid0(SALU_CYCLE_1)
	s_cmp_ge_i32 s16, s2
	s_waitcnt vmcnt(0) lgkmcnt(0)
	v_fma_f64 v[1:2], v[9:10], v[11:12], v[1:2]
	s_cbranch_scc0 .LBB272_15
.LBB272_16:
	v_add_nc_u32_e32 v5, s2, v0
	s_mov_b32 s1, exec_lo
	s_delay_alu instid0(VALU_DEP_1)
	v_cmpx_gt_i32_e64 s3, v5
	s_cbranch_execz .LBB272_18
; %bb.17:
	v_mad_i64_i32 v[6:7], null, s0, v5, 0
	s_ashr_i32 s3, s2, 31
	s_delay_alu instid0(SALU_CYCLE_1) | instskip(NEXT) | instid1(SALU_CYCLE_1)
	s_lshl_b64 s[2:3], s[2:3], 3
	v_add_co_u32 v3, vcc_lo, v3, s2
	s_delay_alu instid0(VALU_DEP_2) | instskip(SKIP_1) | instid1(VALU_DEP_2)
	v_lshlrev_b64 v[5:6], 3, v[6:7]
	v_add_co_ci_u32_e32 v4, vcc_lo, s3, v4, vcc_lo
	v_add_co_u32 v5, vcc_lo, s12, v5
	s_delay_alu instid0(VALU_DEP_3)
	v_add_co_ci_u32_e32 v6, vcc_lo, s13, v6, vcc_lo
	flat_load_b64 v[3:4], v[3:4]
	flat_load_b64 v[5:6], v[5:6]
	s_waitcnt vmcnt(0) lgkmcnt(0)
	v_fma_f64 v[1:2], v[3:4], v[5:6], v[1:2]
.LBB272_18:
	s_or_b32 exec_lo, exec_lo, s1
	v_lshlrev_b32_e32 v3, 3, v0
	s_mov_b32 s0, exec_lo
	ds_store_b64 v3, v[1:2]
	s_waitcnt lgkmcnt(0)
	s_barrier
	buffer_gl0_inv
	v_cmpx_gt_u32_e32 0x80, v0
	s_cbranch_execz .LBB272_20
; %bb.19:
	ds_load_2addr_stride64_b64 v[4:7], v3 offset1:2
	s_waitcnt lgkmcnt(0)
	v_add_f64 v[1:2], v[6:7], v[4:5]
	ds_store_b64 v3, v[1:2]
.LBB272_20:
	s_or_b32 exec_lo, exec_lo, s0
	s_delay_alu instid0(SALU_CYCLE_1)
	s_mov_b32 s0, exec_lo
	s_waitcnt lgkmcnt(0)
	s_barrier
	buffer_gl0_inv
	v_cmpx_gt_u32_e32 64, v0
	s_cbranch_execz .LBB272_22
; %bb.21:
	ds_load_2addr_stride64_b64 v[4:7], v3 offset1:1
	s_waitcnt lgkmcnt(0)
	v_add_f64 v[1:2], v[6:7], v[4:5]
	ds_store_b64 v3, v[1:2]
.LBB272_22:
	s_or_b32 exec_lo, exec_lo, s0
	s_delay_alu instid0(SALU_CYCLE_1)
	s_mov_b32 s0, exec_lo
	s_waitcnt lgkmcnt(0)
	s_barrier
	buffer_gl0_inv
	v_cmpx_gt_u32_e32 32, v0
	s_cbranch_execz .LBB272_24
; %bb.23:
	ds_load_2addr_b64 v[4:7], v3 offset1:32
	s_waitcnt lgkmcnt(0)
	v_add_f64 v[1:2], v[6:7], v[4:5]
	ds_store_b64 v3, v[1:2]
.LBB272_24:
	s_or_b32 exec_lo, exec_lo, s0
	s_delay_alu instid0(SALU_CYCLE_1)
	s_mov_b32 s0, exec_lo
	s_waitcnt lgkmcnt(0)
	s_barrier
	buffer_gl0_inv
	v_cmpx_gt_u32_e32 16, v0
	s_cbranch_execz .LBB272_26
; %bb.25:
	ds_load_2addr_b64 v[4:7], v3 offset1:16
	s_waitcnt lgkmcnt(0)
	v_add_f64 v[1:2], v[6:7], v[4:5]
	ds_store_b64 v3, v[1:2]
.LBB272_26:
	;; [unrolled: 14-line block ×5, first 2 shown]
	s_or_b32 exec_lo, exec_lo, s0
	v_cmp_eq_u32_e32 vcc_lo, 0, v0
	s_waitcnt lgkmcnt(0)
	s_barrier
	buffer_gl0_inv
	s_and_saveexec_b32 s0, vcc_lo
	s_cbranch_execz .LBB272_34
; %bb.33:
	v_mov_b32_e32 v4, 0
	ds_load_b128 v[0:3], v4
	s_waitcnt lgkmcnt(0)
	v_add_f64 v[0:1], v[2:3], v[0:1]
	ds_store_b64 v4, v[0:1]
.LBB272_34:
	s_or_b32 exec_lo, exec_lo, s0
	s_waitcnt lgkmcnt(0)
	s_barrier
	buffer_gl0_inv
                                        ; implicit-def: $vgpr1_vgpr2
                                        ; implicit-def: $sgpr8_sgpr9
	s_and_saveexec_b32 s0, vcc_lo
	s_cbranch_execz .LBB272_38
; %bb.35:
	v_mov_b32_e32 v0, 0
	v_cmp_eq_f64_e64 s1, s[4:5], 0
	s_mul_hi_i32 s9, s15, s14
	s_mul_i32 s8, s15, s14
	ds_load_b64 v[0:1], v0
	s_waitcnt lgkmcnt(0)
	v_mul_f64 v[1:2], s[6:7], v[0:1]
	s_and_b32 vcc_lo, exec_lo, s1
	s_cbranch_vccnz .LBB272_37
; %bb.36:
	s_lshl_b64 s[2:3], s[8:9], 3
	s_delay_alu instid0(SALU_CYCLE_1) | instskip(SKIP_3) | instid1(VALU_DEP_1)
	s_add_u32 s2, s10, s2
	s_addc_u32 s3, s11, s3
	s_load_b64 s[2:3], s[2:3], 0x0
	s_waitcnt lgkmcnt(0)
	v_fma_f64 v[1:2], s[4:5], s[2:3], v[1:2]
.LBB272_37:
	s_or_b32 s18, s18, exec_lo
.LBB272_38:
	s_or_b32 exec_lo, exec_lo, s0
.LBB272_39:
	s_and_saveexec_b32 s0, s18
	s_cbranch_execz .LBB272_41
; %bb.40:
	s_lshl_b64 s[0:1], s[8:9], 3
	v_mov_b32_e32 v0, 0
	s_add_u32 s0, s10, s0
	s_addc_u32 s1, s11, s1
	global_store_b64 v0, v[1:2], s[0:1]
.LBB272_41:
	s_nop 0
	s_sendmsg sendmsg(MSG_DEALLOC_VGPRS)
	s_endpgm
	.section	.rodata,"a",@progbits
	.p2align	6, 0x0
	.amdhsa_kernel _ZL20rocblas_gemvt_kernelILb0ELi256EPKdS1_KPdEviiT2_lPKT1_lilS7_lilS4_lPT3_lili
		.amdhsa_group_segment_fixed_size 2048
		.amdhsa_private_segment_fixed_size 0
		.amdhsa_kernarg_size 140
		.amdhsa_user_sgpr_count 14
		.amdhsa_user_sgpr_dispatch_ptr 0
		.amdhsa_user_sgpr_queue_ptr 0
		.amdhsa_user_sgpr_kernarg_segment_ptr 1
		.amdhsa_user_sgpr_dispatch_id 0
		.amdhsa_user_sgpr_private_segment_size 0
		.amdhsa_wavefront_size32 1
		.amdhsa_uses_dynamic_stack 0
		.amdhsa_enable_private_segment 0
		.amdhsa_system_sgpr_workgroup_id_x 1
		.amdhsa_system_sgpr_workgroup_id_y 0
		.amdhsa_system_sgpr_workgroup_id_z 1
		.amdhsa_system_sgpr_workgroup_info 0
		.amdhsa_system_vgpr_workitem_id 0
		.amdhsa_next_free_vgpr 13
		.amdhsa_next_free_sgpr 24
		.amdhsa_reserve_vcc 1
		.amdhsa_float_round_mode_32 0
		.amdhsa_float_round_mode_16_64 0
		.amdhsa_float_denorm_mode_32 3
		.amdhsa_float_denorm_mode_16_64 3
		.amdhsa_dx10_clamp 1
		.amdhsa_ieee_mode 1
		.amdhsa_fp16_overflow 0
		.amdhsa_workgroup_processor_mode 1
		.amdhsa_memory_ordered 1
		.amdhsa_forward_progress 0
		.amdhsa_shared_vgpr_count 0
		.amdhsa_exception_fp_ieee_invalid_op 0
		.amdhsa_exception_fp_denorm_src 0
		.amdhsa_exception_fp_ieee_div_zero 0
		.amdhsa_exception_fp_ieee_overflow 0
		.amdhsa_exception_fp_ieee_underflow 0
		.amdhsa_exception_fp_ieee_inexact 0
		.amdhsa_exception_int_div_zero 0
	.end_amdhsa_kernel
	.section	.text._ZL20rocblas_gemvt_kernelILb0ELi256EPKdS1_KPdEviiT2_lPKT1_lilS7_lilS4_lPT3_lili,"axG",@progbits,_ZL20rocblas_gemvt_kernelILb0ELi256EPKdS1_KPdEviiT2_lPKT1_lilS7_lilS4_lPT3_lili,comdat
.Lfunc_end272:
	.size	_ZL20rocblas_gemvt_kernelILb0ELi256EPKdS1_KPdEviiT2_lPKT1_lilS7_lilS4_lPT3_lili, .Lfunc_end272-_ZL20rocblas_gemvt_kernelILb0ELi256EPKdS1_KPdEviiT2_lPKT1_lilS7_lilS4_lPT3_lili
                                        ; -- End function
	.section	.AMDGPU.csdata,"",@progbits
; Kernel info:
; codeLenInByte = 1536
; NumSgprs: 26
; NumVgprs: 13
; ScratchSize: 0
; MemoryBound: 0
; FloatMode: 240
; IeeeMode: 1
; LDSByteSize: 2048 bytes/workgroup (compile time only)
; SGPRBlocks: 3
; VGPRBlocks: 1
; NumSGPRsForWavesPerEU: 26
; NumVGPRsForWavesPerEU: 13
; Occupancy: 16
; WaveLimiterHint : 1
; COMPUTE_PGM_RSRC2:SCRATCH_EN: 0
; COMPUTE_PGM_RSRC2:USER_SGPR: 14
; COMPUTE_PGM_RSRC2:TRAP_HANDLER: 0
; COMPUTE_PGM_RSRC2:TGID_X_EN: 1
; COMPUTE_PGM_RSRC2:TGID_Y_EN: 0
; COMPUTE_PGM_RSRC2:TGID_Z_EN: 1
; COMPUTE_PGM_RSRC2:TIDIG_COMP_CNT: 0
	.section	.text._ZL20rocblas_gemvt_kernelILb0ELi256EPKddKPdEviiT2_lPKT1_lilS7_lilS4_lPT3_lili,"axG",@progbits,_ZL20rocblas_gemvt_kernelILb0ELi256EPKddKPdEviiT2_lPKT1_lilS7_lilS4_lPT3_lili,comdat
	.globl	_ZL20rocblas_gemvt_kernelILb0ELi256EPKddKPdEviiT2_lPKT1_lilS7_lilS4_lPT3_lili ; -- Begin function _ZL20rocblas_gemvt_kernelILb0ELi256EPKddKPdEviiT2_lPKT1_lilS7_lilS4_lPT3_lili
	.p2align	8
	.type	_ZL20rocblas_gemvt_kernelILb0ELi256EPKddKPdEviiT2_lPKT1_lilS7_lilS4_lPT3_lili,@function
_ZL20rocblas_gemvt_kernelILb0ELi256EPKddKPdEviiT2_lPKT1_lilS7_lilS4_lPT3_lili: ; @_ZL20rocblas_gemvt_kernelILb0ELi256EPKddKPdEviiT2_lPKT1_lilS7_lilS4_lPT3_lili
; %bb.0:
	s_clause 0x1
	s_load_b64 s[6:7], s[0:1], 0x8
	s_load_b64 s[4:5], s[0:1], 0x58
	s_waitcnt lgkmcnt(0)
	v_cmp_eq_f64_e64 s12, s[6:7], 0
	v_cmp_eq_f64_e64 s3, s[4:5], 1.0
	s_delay_alu instid0(VALU_DEP_1) | instskip(NEXT) | instid1(SALU_CYCLE_1)
	s_and_b32 s3, s12, s3
	s_and_b32 vcc_lo, exec_lo, s3
	s_cbranch_vccnz .LBB273_43
; %bb.1:
	v_cmp_neq_f64_e64 s8, s[6:7], 0
	s_mov_b32 s2, s15
	s_delay_alu instid0(VALU_DEP_1)
	s_and_b32 vcc_lo, exec_lo, s8
	s_cbranch_vccnz .LBB273_3
; %bb.2:
	s_mov_b32 s3, 0
	s_mov_b64 s[10:11], 0
	s_cbranch_execz .LBB273_4
	s_branch .LBB273_5
.LBB273_3:
	s_mov_b32 s3, -1
                                        ; implicit-def: $sgpr10_sgpr11
.LBB273_4:
	s_load_b128 s[16:19], s[0:1], 0x18
	s_mov_b32 s3, 0
	s_delay_alu instid0(SALU_CYCLE_1)
	s_lshl_b64 s[10:11], s[2:3], 3
	s_waitcnt lgkmcnt(0)
	s_add_u32 s10, s16, s10
	s_addc_u32 s11, s17, s11
	s_lshl_b64 s[16:17], s[18:19], 3
	s_load_b64 s[10:11], s[10:11], 0x0
	s_waitcnt lgkmcnt(0)
	s_add_u32 s10, s10, s16
	s_addc_u32 s11, s11, s17
.LBB273_5:
	s_and_not1_b32 vcc_lo, exec_lo, s8
	s_cbranch_vccnz .LBB273_7
; %bb.6:
	s_load_b128 s[16:19], s[0:1], 0x38
	s_lshl_b64 s[8:9], s[2:3], 3
	s_waitcnt lgkmcnt(0)
	s_add_u32 s8, s16, s8
	s_addc_u32 s9, s17, s9
	s_lshl_b64 s[16:17], s[18:19], 3
	s_load_b64 s[8:9], s[8:9], 0x0
	s_waitcnt lgkmcnt(0)
	s_add_u32 s8, s8, s16
	s_addc_u32 s9, s9, s17
	s_branch .LBB273_8
.LBB273_7:
	s_mov_b64 s[8:9], 0
.LBB273_8:
	s_clause 0x1
	s_load_b128 s[20:23], s[0:1], 0x68
	s_load_b32 s17, s[0:1], 0x78
	s_lshl_b64 s[2:3], s[2:3], 3
	s_waitcnt lgkmcnt(0)
	s_add_u32 s2, s20, s2
	s_addc_u32 s3, s21, s3
	s_lshl_b64 s[20:21], s[22:23], 3
	s_load_b64 s[18:19], s[2:3], 0x0
	v_cmp_eq_u32_e64 s2, 0, v0
	s_waitcnt lgkmcnt(0)
	s_add_u32 s15, s18, s20
	s_addc_u32 s16, s19, s21
	s_and_not1_b32 vcc_lo, exec_lo, s12
	s_cbranch_vccnz .LBB273_13
; %bb.9:
	s_mov_b32 s3, 0
	s_mov_b32 s18, 0
                                        ; implicit-def: $vgpr1_vgpr2
                                        ; implicit-def: $sgpr12_sgpr13
	s_and_saveexec_b32 s19, s2
	s_cbranch_execz .LBB273_14
; %bb.10:
	v_cmp_eq_f64_e64 s2, s[4:5], 0
	v_mov_b32_e32 v1, 0
	v_mov_b32_e32 v2, 0
	s_mul_hi_i32 s13, s17, s14
	s_mul_i32 s12, s17, s14
	s_delay_alu instid0(VALU_DEP_3)
	s_and_b32 vcc_lo, exec_lo, s2
	s_cbranch_vccnz .LBB273_12
; %bb.11:
	s_lshl_b64 s[20:21], s[12:13], 3
	s_delay_alu instid0(SALU_CYCLE_1)
	s_add_u32 s20, s15, s20
	s_addc_u32 s21, s16, s21
	s_load_b64 s[20:21], s[20:21], 0x0
	s_waitcnt lgkmcnt(0)
	v_mul_f64 v[1:2], s[20:21], s[4:5]
.LBB273_12:
	s_mov_b32 s18, exec_lo
	s_or_b32 exec_lo, exec_lo, s19
	s_delay_alu instid0(SALU_CYCLE_1)
	s_and_b32 vcc_lo, exec_lo, s3
	s_cbranch_vccnz .LBB273_15
	s_branch .LBB273_41
.LBB273_13:
	s_mov_b32 s18, 0
                                        ; implicit-def: $vgpr1_vgpr2
                                        ; implicit-def: $sgpr12_sgpr13
	s_cbranch_execnz .LBB273_15
	s_branch .LBB273_41
.LBB273_14:
	s_or_b32 exec_lo, exec_lo, s19
	s_delay_alu instid0(SALU_CYCLE_1)
	s_and_b32 vcc_lo, exec_lo, s3
	s_cbranch_vccz .LBB273_41
.LBB273_15:
	s_clause 0x2
	s_load_b32 s2, s[0:1], 0x28
	s_load_b32 s3, s[0:1], 0x0
	;; [unrolled: 1-line block ×3, first 2 shown]
	s_waitcnt lgkmcnt(0)
	s_mul_hi_i32 s13, s2, s14
	v_cmp_gt_i32_e32 vcc_lo, s3, v0
	s_mul_i32 s12, s2, s14
	s_delay_alu instid0(SALU_CYCLE_1) | instskip(NEXT) | instid1(SALU_CYCLE_1)
	s_lshl_b64 s[12:13], s[12:13], 3
	s_add_u32 s1, s12, s10
	v_cndmask_b32_e32 v1, 0, v0, vcc_lo
	s_addc_u32 s2, s13, s11
	s_ashr_i32 s10, s3, 31
	s_mov_b32 s12, 0
	s_lshr_b32 s10, s10, 24
	v_lshlrev_b32_e32 v3, 3, v1
	v_mov_b32_e32 v1, 0
	v_mov_b32_e32 v2, 0
	s_add_i32 s10, s3, s10
	s_delay_alu instid0(VALU_DEP_3) | instskip(NEXT) | instid1(VALU_DEP_1)
	v_add_co_u32 v3, s1, s1, v3
	v_add_co_ci_u32_e64 v4, null, s2, 0, s1
	s_and_b32 s2, s10, 0xffffff00
	s_cmpk_lt_i32 s3, 0x100
	s_cbranch_scc1 .LBB273_18
; %bb.16:
	v_mad_i64_i32 v[1:2], null, s0, v0, 0
	s_ashr_i32 s1, s0, 31
	v_mov_b32_e32 v8, v4
	s_lshl_b64 s[10:11], s[0:1], 11
	v_mov_b32_e32 v7, v3
	s_delay_alu instid0(VALU_DEP_3) | instskip(SKIP_2) | instid1(VALU_DEP_3)
	v_lshlrev_b64 v[5:6], 3, v[1:2]
	v_mov_b32_e32 v1, 0
	v_mov_b32_e32 v2, 0
	v_add_co_u32 v5, vcc_lo, s8, v5
	s_delay_alu instid0(VALU_DEP_4)
	v_add_co_ci_u32_e32 v6, vcc_lo, s9, v6, vcc_lo
.LBB273_17:                             ; =>This Inner Loop Header: Depth=1
	flat_load_b64 v[9:10], v[7:8]
	flat_load_b64 v[11:12], v[5:6]
	v_add_co_u32 v5, vcc_lo, v5, s10
	v_add_co_ci_u32_e32 v6, vcc_lo, s11, v6, vcc_lo
	v_add_co_u32 v7, vcc_lo, 0x800, v7
	v_add_co_ci_u32_e32 v8, vcc_lo, 0, v8, vcc_lo
	s_addk_i32 s12, 0x100
	s_delay_alu instid0(SALU_CYCLE_1)
	s_cmp_ge_i32 s12, s2
	s_waitcnt vmcnt(0) lgkmcnt(0)
	v_fma_f64 v[1:2], v[9:10], v[11:12], v[1:2]
	s_cbranch_scc0 .LBB273_17
.LBB273_18:
	v_add_nc_u32_e32 v5, s2, v0
	s_mov_b32 s1, exec_lo
	s_delay_alu instid0(VALU_DEP_1)
	v_cmpx_gt_i32_e64 s3, v5
	s_cbranch_execz .LBB273_20
; %bb.19:
	v_mad_i64_i32 v[6:7], null, s0, v5, 0
	s_ashr_i32 s3, s2, 31
	s_delay_alu instid0(SALU_CYCLE_1) | instskip(NEXT) | instid1(SALU_CYCLE_1)
	s_lshl_b64 s[2:3], s[2:3], 3
	v_add_co_u32 v3, vcc_lo, v3, s2
	s_delay_alu instid0(VALU_DEP_2) | instskip(SKIP_1) | instid1(VALU_DEP_2)
	v_lshlrev_b64 v[5:6], 3, v[6:7]
	v_add_co_ci_u32_e32 v4, vcc_lo, s3, v4, vcc_lo
	v_add_co_u32 v5, vcc_lo, s8, v5
	s_delay_alu instid0(VALU_DEP_3)
	v_add_co_ci_u32_e32 v6, vcc_lo, s9, v6, vcc_lo
	flat_load_b64 v[3:4], v[3:4]
	flat_load_b64 v[5:6], v[5:6]
	s_waitcnt vmcnt(0) lgkmcnt(0)
	v_fma_f64 v[1:2], v[3:4], v[5:6], v[1:2]
.LBB273_20:
	s_or_b32 exec_lo, exec_lo, s1
	v_lshlrev_b32_e32 v3, 3, v0
	s_mov_b32 s0, exec_lo
	ds_store_b64 v3, v[1:2]
	s_waitcnt lgkmcnt(0)
	s_barrier
	buffer_gl0_inv
	v_cmpx_gt_u32_e32 0x80, v0
	s_cbranch_execz .LBB273_22
; %bb.21:
	ds_load_2addr_stride64_b64 v[4:7], v3 offset1:2
	s_waitcnt lgkmcnt(0)
	v_add_f64 v[1:2], v[6:7], v[4:5]
	ds_store_b64 v3, v[1:2]
.LBB273_22:
	s_or_b32 exec_lo, exec_lo, s0
	s_delay_alu instid0(SALU_CYCLE_1)
	s_mov_b32 s0, exec_lo
	s_waitcnt lgkmcnt(0)
	s_barrier
	buffer_gl0_inv
	v_cmpx_gt_u32_e32 64, v0
	s_cbranch_execz .LBB273_24
; %bb.23:
	ds_load_2addr_stride64_b64 v[4:7], v3 offset1:1
	s_waitcnt lgkmcnt(0)
	v_add_f64 v[1:2], v[6:7], v[4:5]
	ds_store_b64 v3, v[1:2]
.LBB273_24:
	s_or_b32 exec_lo, exec_lo, s0
	s_delay_alu instid0(SALU_CYCLE_1)
	s_mov_b32 s0, exec_lo
	s_waitcnt lgkmcnt(0)
	s_barrier
	buffer_gl0_inv
	v_cmpx_gt_u32_e32 32, v0
	s_cbranch_execz .LBB273_26
; %bb.25:
	ds_load_2addr_b64 v[4:7], v3 offset1:32
	s_waitcnt lgkmcnt(0)
	v_add_f64 v[1:2], v[6:7], v[4:5]
	ds_store_b64 v3, v[1:2]
.LBB273_26:
	s_or_b32 exec_lo, exec_lo, s0
	s_delay_alu instid0(SALU_CYCLE_1)
	s_mov_b32 s0, exec_lo
	s_waitcnt lgkmcnt(0)
	s_barrier
	buffer_gl0_inv
	v_cmpx_gt_u32_e32 16, v0
	s_cbranch_execz .LBB273_28
; %bb.27:
	ds_load_2addr_b64 v[4:7], v3 offset1:16
	s_waitcnt lgkmcnt(0)
	v_add_f64 v[1:2], v[6:7], v[4:5]
	ds_store_b64 v3, v[1:2]
.LBB273_28:
	;; [unrolled: 14-line block ×5, first 2 shown]
	s_or_b32 exec_lo, exec_lo, s0
	v_cmp_eq_u32_e32 vcc_lo, 0, v0
	s_waitcnt lgkmcnt(0)
	s_barrier
	buffer_gl0_inv
	s_and_saveexec_b32 s0, vcc_lo
	s_cbranch_execz .LBB273_36
; %bb.35:
	v_mov_b32_e32 v4, 0
	ds_load_b128 v[0:3], v4
	s_waitcnt lgkmcnt(0)
	v_add_f64 v[0:1], v[2:3], v[0:1]
	ds_store_b64 v4, v[0:1]
.LBB273_36:
	s_or_b32 exec_lo, exec_lo, s0
	s_waitcnt lgkmcnt(0)
	s_barrier
	buffer_gl0_inv
                                        ; implicit-def: $vgpr1_vgpr2
                                        ; implicit-def: $sgpr12_sgpr13
	s_and_saveexec_b32 s0, vcc_lo
	s_cbranch_execz .LBB273_40
; %bb.37:
	v_mov_b32_e32 v0, 0
	v_cmp_eq_f64_e64 s1, s[4:5], 0
	s_mul_hi_i32 s13, s17, s14
	s_mul_i32 s12, s17, s14
	ds_load_b64 v[0:1], v0
	s_waitcnt lgkmcnt(0)
	v_mul_f64 v[1:2], v[0:1], s[6:7]
	s_and_b32 vcc_lo, exec_lo, s1
	s_cbranch_vccnz .LBB273_39
; %bb.38:
	s_lshl_b64 s[2:3], s[12:13], 3
	s_delay_alu instid0(SALU_CYCLE_1) | instskip(SKIP_3) | instid1(VALU_DEP_1)
	s_add_u32 s2, s15, s2
	s_addc_u32 s3, s16, s3
	s_load_b64 s[2:3], s[2:3], 0x0
	s_waitcnt lgkmcnt(0)
	v_fma_f64 v[1:2], s[2:3], s[4:5], v[1:2]
.LBB273_39:
	s_or_b32 s18, s18, exec_lo
.LBB273_40:
	s_or_b32 exec_lo, exec_lo, s0
.LBB273_41:
	s_and_saveexec_b32 s0, s18
	s_cbranch_execz .LBB273_43
; %bb.42:
	s_lshl_b64 s[0:1], s[12:13], 3
	v_mov_b32_e32 v0, 0
	s_add_u32 s0, s15, s0
	s_addc_u32 s1, s16, s1
	global_store_b64 v0, v[1:2], s[0:1]
.LBB273_43:
	s_nop 0
	s_sendmsg sendmsg(MSG_DEALLOC_VGPRS)
	s_endpgm
	.section	.rodata,"a",@progbits
	.p2align	6, 0x0
	.amdhsa_kernel _ZL20rocblas_gemvt_kernelILb0ELi256EPKddKPdEviiT2_lPKT1_lilS7_lilS4_lPT3_lili
		.amdhsa_group_segment_fixed_size 2048
		.amdhsa_private_segment_fixed_size 0
		.amdhsa_kernarg_size 140
		.amdhsa_user_sgpr_count 14
		.amdhsa_user_sgpr_dispatch_ptr 0
		.amdhsa_user_sgpr_queue_ptr 0
		.amdhsa_user_sgpr_kernarg_segment_ptr 1
		.amdhsa_user_sgpr_dispatch_id 0
		.amdhsa_user_sgpr_private_segment_size 0
		.amdhsa_wavefront_size32 1
		.amdhsa_uses_dynamic_stack 0
		.amdhsa_enable_private_segment 0
		.amdhsa_system_sgpr_workgroup_id_x 1
		.amdhsa_system_sgpr_workgroup_id_y 0
		.amdhsa_system_sgpr_workgroup_id_z 1
		.amdhsa_system_sgpr_workgroup_info 0
		.amdhsa_system_vgpr_workitem_id 0
		.amdhsa_next_free_vgpr 13
		.amdhsa_next_free_sgpr 24
		.amdhsa_reserve_vcc 1
		.amdhsa_float_round_mode_32 0
		.amdhsa_float_round_mode_16_64 0
		.amdhsa_float_denorm_mode_32 3
		.amdhsa_float_denorm_mode_16_64 3
		.amdhsa_dx10_clamp 1
		.amdhsa_ieee_mode 1
		.amdhsa_fp16_overflow 0
		.amdhsa_workgroup_processor_mode 1
		.amdhsa_memory_ordered 1
		.amdhsa_forward_progress 0
		.amdhsa_shared_vgpr_count 0
		.amdhsa_exception_fp_ieee_invalid_op 0
		.amdhsa_exception_fp_denorm_src 0
		.amdhsa_exception_fp_ieee_div_zero 0
		.amdhsa_exception_fp_ieee_overflow 0
		.amdhsa_exception_fp_ieee_underflow 0
		.amdhsa_exception_fp_ieee_inexact 0
		.amdhsa_exception_int_div_zero 0
	.end_amdhsa_kernel
	.section	.text._ZL20rocblas_gemvt_kernelILb0ELi256EPKddKPdEviiT2_lPKT1_lilS7_lilS4_lPT3_lili,"axG",@progbits,_ZL20rocblas_gemvt_kernelILb0ELi256EPKddKPdEviiT2_lPKT1_lilS7_lilS4_lPT3_lili,comdat
.Lfunc_end273:
	.size	_ZL20rocblas_gemvt_kernelILb0ELi256EPKddKPdEviiT2_lPKT1_lilS7_lilS4_lPT3_lili, .Lfunc_end273-_ZL20rocblas_gemvt_kernelILb0ELi256EPKddKPdEviiT2_lPKT1_lilS7_lilS4_lPT3_lili
                                        ; -- End function
	.section	.AMDGPU.csdata,"",@progbits
; Kernel info:
; codeLenInByte = 1496
; NumSgprs: 26
; NumVgprs: 13
; ScratchSize: 0
; MemoryBound: 0
; FloatMode: 240
; IeeeMode: 1
; LDSByteSize: 2048 bytes/workgroup (compile time only)
; SGPRBlocks: 3
; VGPRBlocks: 1
; NumSGPRsForWavesPerEU: 26
; NumVGPRsForWavesPerEU: 13
; Occupancy: 16
; WaveLimiterHint : 1
; COMPUTE_PGM_RSRC2:SCRATCH_EN: 0
; COMPUTE_PGM_RSRC2:USER_SGPR: 14
; COMPUTE_PGM_RSRC2:TRAP_HANDLER: 0
; COMPUTE_PGM_RSRC2:TGID_X_EN: 1
; COMPUTE_PGM_RSRC2:TGID_Y_EN: 0
; COMPUTE_PGM_RSRC2:TGID_Z_EN: 1
; COMPUTE_PGM_RSRC2:TIDIG_COMP_CNT: 0
	.section	.text._ZL32rocblas_gemvt_warp_reduce_kernelILb0ELi1024EiPKdS1_KPdEviiT3_lPKT2_lT1_lS7_lS8_lS4_lPT4_lS8_li,"axG",@progbits,_ZL32rocblas_gemvt_warp_reduce_kernelILb0ELi1024EiPKdS1_KPdEviiT3_lPKT2_lT1_lS7_lS8_lS4_lPT4_lS8_li,comdat
	.globl	_ZL32rocblas_gemvt_warp_reduce_kernelILb0ELi1024EiPKdS1_KPdEviiT3_lPKT2_lT1_lS7_lS8_lS4_lPT4_lS8_li ; -- Begin function _ZL32rocblas_gemvt_warp_reduce_kernelILb0ELi1024EiPKdS1_KPdEviiT3_lPKT2_lT1_lS7_lS8_lS4_lPT4_lS8_li
	.p2align	8
	.type	_ZL32rocblas_gemvt_warp_reduce_kernelILb0ELi1024EiPKdS1_KPdEviiT3_lPKT2_lT1_lS7_lS8_lS4_lPT4_lS8_li,@function
_ZL32rocblas_gemvt_warp_reduce_kernelILb0ELi1024EiPKdS1_KPdEviiT3_lPKT2_lT1_lS7_lS8_lS4_lPT4_lS8_li: ; @_ZL32rocblas_gemvt_warp_reduce_kernelILb0ELi1024EiPKdS1_KPdEviiT3_lPKT2_lT1_lS7_lS8_lS4_lPT4_lS8_li
; %bb.0:
	s_clause 0x1
	s_load_b256 s[16:23], s[0:1], 0x8
	s_load_b256 s[4:11], s[0:1], 0x58
	s_mov_b32 s2, s15
	s_waitcnt lgkmcnt(0)
	s_mul_i32 s3, s15, s19
	s_mul_hi_u32 s13, s15, s18
	s_mul_i32 s12, s15, s18
	s_add_i32 s13, s13, s3
	s_mul_i32 s3, s15, s7
	s_lshl_b64 s[12:13], s[12:13], 3
	s_mul_hi_u32 s7, s15, s6
	s_add_u32 s12, s16, s12
	s_addc_u32 s13, s17, s13
	s_add_i32 s7, s7, s3
	s_mul_i32 s6, s15, s6
	s_mov_b64 s[16:17], 0
	s_lshl_b64 s[6:7], s[6:7], 3
	s_delay_alu instid0(SALU_CYCLE_1)
	s_add_u32 s4, s4, s6
	s_addc_u32 s5, s5, s7
	s_load_b64 s[6:7], s[12:13], 0x0
	s_load_b64 s[4:5], s[4:5], 0x0
	s_waitcnt lgkmcnt(0)
	v_cmp_eq_f64_e64 s15, s[6:7], 0
	v_cmp_eq_f64_e64 s3, s[4:5], 1.0
	s_delay_alu instid0(VALU_DEP_1) | instskip(NEXT) | instid1(SALU_CYCLE_1)
	s_and_b32 s3, s15, s3
	s_and_b32 vcc_lo, exec_lo, s3
	s_cbranch_vccnz .LBB274_34
; %bb.1:
	v_cmp_neq_f64_e64 s12, s[6:7], 0
	s_and_b32 vcc_lo, exec_lo, s15
	s_mov_b32 s3, 0
	s_cbranch_vccnz .LBB274_3
; %bb.2:
	s_lshl_b64 s[16:17], s[2:3], 3
	s_delay_alu instid0(SALU_CYCLE_1)
	s_add_u32 s16, s20, s16
	s_addc_u32 s17, s21, s17
	s_lshl_b64 s[18:19], s[22:23], 3
	s_load_b64 s[16:17], s[16:17], 0x0
	s_waitcnt lgkmcnt(0)
	s_add_u32 s16, s16, s18
	s_addc_u32 s17, s17, s19
.LBB274_3:
	s_delay_alu instid0(VALU_DEP_1)
	s_and_not1_b32 vcc_lo, exec_lo, s12
	s_cbranch_vccnz .LBB274_5
; %bb.4:
	s_load_b128 s[20:23], s[0:1], 0x38
	s_lshl_b64 s[12:13], s[2:3], 3
	s_waitcnt lgkmcnt(0)
	s_add_u32 s12, s20, s12
	s_addc_u32 s13, s21, s13
	s_lshl_b64 s[18:19], s[22:23], 3
	s_load_b64 s[12:13], s[12:13], 0x0
	s_waitcnt lgkmcnt(0)
	s_add_u32 s12, s12, s18
	s_addc_u32 s13, s13, s19
	s_branch .LBB274_6
.LBB274_5:
	s_mov_b64 s[12:13], 0
.LBB274_6:
	s_lshl_b64 s[2:3], s[2:3], 3
	s_delay_alu instid0(SALU_CYCLE_1)
	s_add_u32 s2, s8, s2
	s_addc_u32 s3, s9, s3
	s_lshl_b64 s[10:11], s[10:11], 3
	s_load_b64 s[8:9], s[2:3], 0x0
	s_load_b32 s18, s[0:1], 0x78
	v_cmp_eq_u32_e64 s2, 0, v0
	s_waitcnt lgkmcnt(0)
	s_add_u32 s10, s8, s10
	s_addc_u32 s11, s9, s11
	s_and_not1_b32 vcc_lo, exec_lo, s15
	s_cbranch_vccnz .LBB274_11
; %bb.7:
	s_mov_b32 s3, 0
	s_mov_b32 s15, 0
                                        ; implicit-def: $vgpr1_vgpr2
                                        ; implicit-def: $sgpr8_sgpr9
	s_and_saveexec_b32 s19, s2
	s_cbranch_execz .LBB274_12
; %bb.8:
	v_cmp_eq_f64_e64 s2, s[4:5], 0
	v_mov_b32_e32 v1, 0
	v_mov_b32_e32 v2, 0
	s_mul_i32 s8, s14, s18
	s_delay_alu instid0(SALU_CYCLE_1) | instskip(NEXT) | instid1(VALU_DEP_3)
	s_ashr_i32 s9, s8, 31
	s_and_b32 vcc_lo, exec_lo, s2
	s_cbranch_vccnz .LBB274_10
; %bb.9:
	s_lshl_b64 s[20:21], s[8:9], 3
	s_delay_alu instid0(SALU_CYCLE_1)
	s_add_u32 s20, s10, s20
	s_addc_u32 s21, s11, s21
	s_load_b64 s[20:21], s[20:21], 0x0
	s_waitcnt lgkmcnt(0)
	v_mul_f64 v[1:2], s[4:5], s[20:21]
.LBB274_10:
	s_mov_b32 s15, exec_lo
	s_or_b32 exec_lo, exec_lo, s19
	s_delay_alu instid0(SALU_CYCLE_1)
	s_and_b32 vcc_lo, exec_lo, s3
	s_cbranch_vccnz .LBB274_13
	s_branch .LBB274_32
.LBB274_11:
	s_mov_b32 s15, 0
                                        ; implicit-def: $vgpr1_vgpr2
                                        ; implicit-def: $sgpr8_sgpr9
	s_cbranch_execnz .LBB274_13
	s_branch .LBB274_32
.LBB274_12:
	s_or_b32 exec_lo, exec_lo, s19
	s_delay_alu instid0(SALU_CYCLE_1)
	s_and_b32 vcc_lo, exec_lo, s3
	s_cbranch_vccz .LBB274_32
.LBB274_13:
	s_clause 0x2
	s_load_b32 s2, s[0:1], 0x28
	s_load_b32 s3, s[0:1], 0x0
	s_load_b32 s1, s[0:1], 0x48
	s_waitcnt lgkmcnt(0)
	s_mul_i32 s8, s14, s2
	v_cmp_gt_i32_e32 vcc_lo, s3, v0
	s_ashr_i32 s9, s8, 31
	s_delay_alu instid0(SALU_CYCLE_1)
	s_lshl_b64 s[8:9], s[8:9], 3
	v_cndmask_b32_e32 v1, 0, v0, vcc_lo
	s_add_u32 s0, s8, s16
	s_addc_u32 s2, s9, s17
	s_ashr_i32 s8, s3, 31
	s_mov_b32 s9, 0
	v_lshlrev_b32_e32 v1, 3, v1
	s_lshr_b32 s8, s8, 22
	s_delay_alu instid0(SALU_CYCLE_1) | instskip(NEXT) | instid1(VALU_DEP_1)
	s_add_i32 s8, s3, s8
	v_add_co_u32 v3, s0, s0, v1
	v_mov_b32_e32 v1, 0
	v_add_co_ci_u32_e64 v4, null, s2, 0, s0
	v_mov_b32_e32 v2, 0
	s_and_b32 s2, s8, 0xfffffc00
	s_mov_b32 s8, exec_lo
	v_cmpx_gt_i32_e64 s2, v0
	s_cbranch_execz .LBB274_17
; %bb.14:
	v_mul_lo_u32 v5, v0, s1
	v_dual_mov_b32 v1, 0 :: v_dual_mov_b32 v8, v4
	v_dual_mov_b32 v2, 0 :: v_dual_mov_b32 v7, v3
	v_mov_b32_e32 v9, v0
	s_lshl_b32 s16, s1, 10
	.p2align	6
.LBB274_15:                             ; =>This Inner Loop Header: Depth=1
	s_delay_alu instid0(VALU_DEP_4) | instskip(NEXT) | instid1(VALU_DEP_2)
	v_ashrrev_i32_e32 v6, 31, v5
	v_add_nc_u32_e32 v9, 0x400, v9
	s_delay_alu instid0(VALU_DEP_2) | instskip(NEXT) | instid1(VALU_DEP_2)
	v_lshlrev_b64 v[10:11], 3, v[5:6]
	v_cmp_le_i32_e64 s0, s2, v9
	v_add_nc_u32_e32 v5, s16, v5
	s_delay_alu instid0(VALU_DEP_2) | instskip(NEXT) | instid1(VALU_DEP_3)
	s_or_b32 s9, s0, s9
	v_add_co_u32 v10, vcc_lo, s12, v10
	s_delay_alu instid0(VALU_DEP_4)
	v_add_co_ci_u32_e32 v11, vcc_lo, s13, v11, vcc_lo
	flat_load_b64 v[12:13], v[7:8]
	flat_load_b64 v[10:11], v[10:11]
	v_add_co_u32 v7, vcc_lo, 0x2000, v7
	v_add_co_ci_u32_e32 v8, vcc_lo, 0, v8, vcc_lo
	s_waitcnt vmcnt(0) lgkmcnt(0)
	v_fma_f64 v[1:2], v[12:13], v[10:11], v[1:2]
	s_and_not1_b32 exec_lo, exec_lo, s9
	s_cbranch_execnz .LBB274_15
; %bb.16:
	s_or_b32 exec_lo, exec_lo, s9
.LBB274_17:
	s_delay_alu instid0(SALU_CYCLE_1) | instskip(SKIP_2) | instid1(VALU_DEP_1)
	s_or_b32 exec_lo, exec_lo, s8
	v_or_b32_e32 v5, s2, v0
	s_mov_b32 s0, exec_lo
	v_cmpx_gt_i32_e64 s3, v5
	s_cbranch_execz .LBB274_19
; %bb.18:
	v_mul_lo_u32 v5, v5, s1
	s_ashr_i32 s3, s2, 31
	s_delay_alu instid0(SALU_CYCLE_1) | instskip(NEXT) | instid1(SALU_CYCLE_1)
	s_lshl_b64 s[2:3], s[2:3], 3
	v_add_co_u32 v3, vcc_lo, v3, s2
	v_add_co_ci_u32_e32 v4, vcc_lo, s3, v4, vcc_lo
	s_delay_alu instid0(VALU_DEP_3) | instskip(NEXT) | instid1(VALU_DEP_1)
	v_ashrrev_i32_e32 v6, 31, v5
	v_lshlrev_b64 v[5:6], 3, v[5:6]
	s_delay_alu instid0(VALU_DEP_1) | instskip(NEXT) | instid1(VALU_DEP_2)
	v_add_co_u32 v5, vcc_lo, s12, v5
	v_add_co_ci_u32_e32 v6, vcc_lo, s13, v6, vcc_lo
	flat_load_b64 v[3:4], v[3:4]
	flat_load_b64 v[5:6], v[5:6]
	s_waitcnt vmcnt(0) lgkmcnt(0)
	v_fma_f64 v[1:2], v[3:4], v[5:6], v[1:2]
.LBB274_19:
	s_or_b32 exec_lo, exec_lo, s0
	v_and_b32_e32 v11, 31, v0
	v_cmp_gt_u32_e32 vcc_lo, 32, v0
	s_delay_alu instid0(VALU_DEP_2)
	v_lshlrev_b32_e32 v5, 3, v11
	s_and_saveexec_b32 s0, vcc_lo
	s_cbranch_execz .LBB274_21
; %bb.20:
	v_mov_b32_e32 v3, 0
	s_delay_alu instid0(VALU_DEP_1)
	v_mov_b32_e32 v4, v3
	ds_store_b64 v5, v[3:4]
.LBB274_21:
	s_or_b32 exec_lo, exec_lo, s0
	v_mbcnt_lo_u32_b32 v10, -1, 0
	s_mov_b32 s1, exec_lo
	s_waitcnt lgkmcnt(0)
	s_barrier
	buffer_gl0_inv
	v_cmp_gt_u32_e64 s0, 16, v10
	s_delay_alu instid0(VALU_DEP_1) | instskip(SKIP_1) | instid1(VALU_DEP_2)
	v_cndmask_b32_e64 v3, 0, 1, s0
	v_cmp_gt_u32_e64 s0, 24, v10
	v_lshlrev_b32_e32 v3, 4, v3
	s_delay_alu instid0(VALU_DEP_1)
	v_add_lshl_u32 v6, v3, v10, 2
	ds_bpermute_b32 v3, v6, v1
	ds_bpermute_b32 v4, v6, v2
	s_waitcnt lgkmcnt(0)
	v_add_f64 v[1:2], v[1:2], v[3:4]
	v_cndmask_b32_e64 v3, 0, 1, s0
	v_cmp_gt_u32_e64 s0, 28, v10
	s_delay_alu instid0(VALU_DEP_2) | instskip(NEXT) | instid1(VALU_DEP_1)
	v_lshlrev_b32_e32 v3, 3, v3
	v_add_lshl_u32 v7, v3, v10, 2
	ds_bpermute_b32 v3, v7, v1
	ds_bpermute_b32 v4, v7, v2
	s_waitcnt lgkmcnt(0)
	v_add_f64 v[1:2], v[1:2], v[3:4]
	v_cndmask_b32_e64 v3, 0, 1, s0
	v_cmp_gt_u32_e64 s0, 30, v10
	s_delay_alu instid0(VALU_DEP_2) | instskip(NEXT) | instid1(VALU_DEP_1)
	v_lshlrev_b32_e32 v3, 2, v3
	v_add_lshl_u32 v8, v3, v10, 2
	ds_bpermute_b32 v3, v8, v1
	ds_bpermute_b32 v4, v8, v2
	s_waitcnt lgkmcnt(0)
	v_add_f64 v[1:2], v[1:2], v[3:4]
	v_cndmask_b32_e64 v3, 0, 1, s0
	v_cmp_ne_u32_e64 s0, 31, v10
	s_delay_alu instid0(VALU_DEP_2) | instskip(NEXT) | instid1(VALU_DEP_1)
	v_lshlrev_b32_e32 v3, 1, v3
	v_add_lshl_u32 v9, v3, v10, 2
	ds_bpermute_b32 v3, v9, v1
	ds_bpermute_b32 v4, v9, v2
	s_waitcnt lgkmcnt(0)
	v_add_f64 v[1:2], v[1:2], v[3:4]
	v_add_co_ci_u32_e64 v3, s0, 0, v10, s0
	s_delay_alu instid0(VALU_DEP_1)
	v_lshlrev_b32_e32 v10, 2, v3
	ds_bpermute_b32 v3, v10, v1
	ds_bpermute_b32 v4, v10, v2
	v_cmpx_eq_u32_e32 0, v11
	s_cbranch_execz .LBB274_23
; %bb.22:
	s_waitcnt lgkmcnt(0)
	v_add_f64 v[1:2], v[1:2], v[3:4]
	v_lshrrev_b32_e32 v3, 2, v0
	s_delay_alu instid0(VALU_DEP_1)
	v_and_b32_e32 v3, 0xf8, v3
	ds_store_b64 v3, v[1:2]
.LBB274_23:
	s_or_b32 exec_lo, exec_lo, s1
	s_waitcnt lgkmcnt(0)
	v_mov_b32_e32 v3, 0
	v_mov_b32_e32 v4, 0
	s_barrier
	buffer_gl0_inv
	s_and_saveexec_b32 s0, vcc_lo
	s_cbranch_execz .LBB274_25
; %bb.24:
	ds_load_b64 v[3:4], v5
.LBB274_25:
	s_or_b32 exec_lo, exec_lo, s0
	s_and_saveexec_b32 s0, vcc_lo
	s_cbranch_execz .LBB274_27
; %bb.26:
	s_waitcnt lgkmcnt(0)
	ds_bpermute_b32 v1, v6, v3
	ds_bpermute_b32 v2, v6, v4
	s_waitcnt lgkmcnt(0)
	v_add_f64 v[1:2], v[3:4], v[1:2]
	ds_bpermute_b32 v3, v7, v1
	ds_bpermute_b32 v4, v7, v2
	s_waitcnt lgkmcnt(0)
	v_add_f64 v[1:2], v[1:2], v[3:4]
	;; [unrolled: 4-line block ×5, first 2 shown]
.LBB274_27:
	s_or_b32 exec_lo, exec_lo, s0
	s_delay_alu instid0(SALU_CYCLE_1)
	s_mov_b32 s0, exec_lo
                                        ; implicit-def: $vgpr1_vgpr2
                                        ; implicit-def: $sgpr8_sgpr9
	v_cmpx_eq_u32_e32 0, v0
	s_cbranch_execz .LBB274_31
; %bb.28:
	v_cmp_eq_f64_e64 s1, s[4:5], 0
	s_waitcnt lgkmcnt(0)
	s_delay_alu instid0(VALU_DEP_3) | instskip(SKIP_1) | instid1(SALU_CYCLE_1)
	v_mul_f64 v[1:2], s[6:7], v[3:4]
	s_mul_i32 s8, s14, s18
	s_ashr_i32 s9, s8, 31
	s_delay_alu instid0(VALU_DEP_2)
	s_and_b32 vcc_lo, exec_lo, s1
	s_cbranch_vccnz .LBB274_30
; %bb.29:
	s_lshl_b64 s[2:3], s[8:9], 3
	s_delay_alu instid0(SALU_CYCLE_1) | instskip(SKIP_3) | instid1(VALU_DEP_1)
	s_add_u32 s2, s10, s2
	s_addc_u32 s3, s11, s3
	s_load_b64 s[2:3], s[2:3], 0x0
	s_waitcnt lgkmcnt(0)
	v_fma_f64 v[1:2], s[4:5], s[2:3], v[1:2]
.LBB274_30:
	s_or_b32 s15, s15, exec_lo
.LBB274_31:
	s_or_b32 exec_lo, exec_lo, s0
.LBB274_32:
	s_and_saveexec_b32 s0, s15
	s_cbranch_execz .LBB274_34
; %bb.33:
	s_lshl_b64 s[0:1], s[8:9], 3
	v_mov_b32_e32 v0, 0
	s_add_u32 s0, s10, s0
	s_addc_u32 s1, s11, s1
	global_store_b64 v0, v[1:2], s[0:1]
.LBB274_34:
	s_nop 0
	s_sendmsg sendmsg(MSG_DEALLOC_VGPRS)
	s_endpgm
	.section	.rodata,"a",@progbits
	.p2align	6, 0x0
	.amdhsa_kernel _ZL32rocblas_gemvt_warp_reduce_kernelILb0ELi1024EiPKdS1_KPdEviiT3_lPKT2_lT1_lS7_lS8_lS4_lPT4_lS8_li
		.amdhsa_group_segment_fixed_size 256
		.amdhsa_private_segment_fixed_size 0
		.amdhsa_kernarg_size 140
		.amdhsa_user_sgpr_count 14
		.amdhsa_user_sgpr_dispatch_ptr 0
		.amdhsa_user_sgpr_queue_ptr 0
		.amdhsa_user_sgpr_kernarg_segment_ptr 1
		.amdhsa_user_sgpr_dispatch_id 0
		.amdhsa_user_sgpr_private_segment_size 0
		.amdhsa_wavefront_size32 1
		.amdhsa_uses_dynamic_stack 0
		.amdhsa_enable_private_segment 0
		.amdhsa_system_sgpr_workgroup_id_x 1
		.amdhsa_system_sgpr_workgroup_id_y 0
		.amdhsa_system_sgpr_workgroup_id_z 1
		.amdhsa_system_sgpr_workgroup_info 0
		.amdhsa_system_vgpr_workitem_id 0
		.amdhsa_next_free_vgpr 14
		.amdhsa_next_free_sgpr 24
		.amdhsa_reserve_vcc 1
		.amdhsa_float_round_mode_32 0
		.amdhsa_float_round_mode_16_64 0
		.amdhsa_float_denorm_mode_32 3
		.amdhsa_float_denorm_mode_16_64 3
		.amdhsa_dx10_clamp 1
		.amdhsa_ieee_mode 1
		.amdhsa_fp16_overflow 0
		.amdhsa_workgroup_processor_mode 1
		.amdhsa_memory_ordered 1
		.amdhsa_forward_progress 0
		.amdhsa_shared_vgpr_count 0
		.amdhsa_exception_fp_ieee_invalid_op 0
		.amdhsa_exception_fp_denorm_src 0
		.amdhsa_exception_fp_ieee_div_zero 0
		.amdhsa_exception_fp_ieee_overflow 0
		.amdhsa_exception_fp_ieee_underflow 0
		.amdhsa_exception_fp_ieee_inexact 0
		.amdhsa_exception_int_div_zero 0
	.end_amdhsa_kernel
	.section	.text._ZL32rocblas_gemvt_warp_reduce_kernelILb0ELi1024EiPKdS1_KPdEviiT3_lPKT2_lT1_lS7_lS8_lS4_lPT4_lS8_li,"axG",@progbits,_ZL32rocblas_gemvt_warp_reduce_kernelILb0ELi1024EiPKdS1_KPdEviiT3_lPKT2_lT1_lS7_lS8_lS4_lPT4_lS8_li,comdat
.Lfunc_end274:
	.size	_ZL32rocblas_gemvt_warp_reduce_kernelILb0ELi1024EiPKdS1_KPdEviiT3_lPKT2_lT1_lS7_lS8_lS4_lPT4_lS8_li, .Lfunc_end274-_ZL32rocblas_gemvt_warp_reduce_kernelILb0ELi1024EiPKdS1_KPdEviiT3_lPKT2_lT1_lS7_lS8_lS4_lPT4_lS8_li
                                        ; -- End function
	.section	.AMDGPU.csdata,"",@progbits
; Kernel info:
; codeLenInByte = 1644
; NumSgprs: 26
; NumVgprs: 14
; ScratchSize: 0
; MemoryBound: 0
; FloatMode: 240
; IeeeMode: 1
; LDSByteSize: 256 bytes/workgroup (compile time only)
; SGPRBlocks: 3
; VGPRBlocks: 1
; NumSGPRsForWavesPerEU: 26
; NumVGPRsForWavesPerEU: 14
; Occupancy: 16
; WaveLimiterHint : 1
; COMPUTE_PGM_RSRC2:SCRATCH_EN: 0
; COMPUTE_PGM_RSRC2:USER_SGPR: 14
; COMPUTE_PGM_RSRC2:TRAP_HANDLER: 0
; COMPUTE_PGM_RSRC2:TGID_X_EN: 1
; COMPUTE_PGM_RSRC2:TGID_Y_EN: 0
; COMPUTE_PGM_RSRC2:TGID_Z_EN: 1
; COMPUTE_PGM_RSRC2:TIDIG_COMP_CNT: 0
	.section	.text._ZL32rocblas_gemvt_warp_reduce_kernelILb0ELi1024ElPKdS1_KPdEviiT3_lPKT2_lT1_lS7_lS8_lS4_lPT4_lS8_li,"axG",@progbits,_ZL32rocblas_gemvt_warp_reduce_kernelILb0ELi1024ElPKdS1_KPdEviiT3_lPKT2_lT1_lS7_lS8_lS4_lPT4_lS8_li,comdat
	.globl	_ZL32rocblas_gemvt_warp_reduce_kernelILb0ELi1024ElPKdS1_KPdEviiT3_lPKT2_lT1_lS7_lS8_lS4_lPT4_lS8_li ; -- Begin function _ZL32rocblas_gemvt_warp_reduce_kernelILb0ELi1024ElPKdS1_KPdEviiT3_lPKT2_lT1_lS7_lS8_lS4_lPT4_lS8_li
	.p2align	8
	.type	_ZL32rocblas_gemvt_warp_reduce_kernelILb0ELi1024ElPKdS1_KPdEviiT3_lPKT2_lT1_lS7_lS8_lS4_lPT4_lS8_li,@function
_ZL32rocblas_gemvt_warp_reduce_kernelILb0ELi1024ElPKdS1_KPdEviiT3_lPKT2_lT1_lS7_lS8_lS4_lPT4_lS8_li: ; @_ZL32rocblas_gemvt_warp_reduce_kernelILb0ELi1024ElPKdS1_KPdEviiT3_lPKT2_lT1_lS7_lS8_lS4_lPT4_lS8_li
; %bb.0:
	s_clause 0x1
	s_load_b256 s[16:23], s[0:1], 0x8
	s_load_b256 s[4:11], s[0:1], 0x58
	s_mov_b32 s2, s15
	s_mov_b64 s[24:25], 0
	s_waitcnt lgkmcnt(0)
	s_mul_i32 s3, s15, s19
	s_mul_hi_u32 s13, s15, s18
	s_mul_i32 s12, s15, s18
	s_add_i32 s13, s13, s3
	s_mul_i32 s3, s15, s7
	s_lshl_b64 s[12:13], s[12:13], 3
	s_mul_hi_u32 s7, s15, s6
	s_add_u32 s12, s16, s12
	s_addc_u32 s13, s17, s13
	s_add_i32 s7, s7, s3
	s_mul_i32 s6, s15, s6
	s_delay_alu instid0(SALU_CYCLE_1) | instskip(NEXT) | instid1(SALU_CYCLE_1)
	s_lshl_b64 s[6:7], s[6:7], 3
	s_add_u32 s4, s4, s6
	s_addc_u32 s5, s5, s7
	s_load_b64 s[16:17], s[12:13], 0x0
	s_load_b64 s[12:13], s[4:5], 0x0
	s_waitcnt lgkmcnt(0)
	v_cmp_eq_f64_e64 s15, s[16:17], 0
	v_cmp_eq_f64_e64 s3, s[12:13], 1.0
	s_delay_alu instid0(VALU_DEP_1) | instskip(NEXT) | instid1(SALU_CYCLE_1)
	s_and_b32 s3, s15, s3
	s_and_b32 vcc_lo, exec_lo, s3
	s_cbranch_vccnz .LBB275_34
; %bb.1:
	v_cmp_neq_f64_e64 s28, s[16:17], 0
	s_clause 0x1
	s_load_b64 s[26:27], s[0:1], 0x28
	s_load_b64 s[18:19], s[0:1], 0x78
	s_and_b32 vcc_lo, exec_lo, s15
	s_mov_b32 s3, 0
	s_cbranch_vccnz .LBB275_3
; %bb.2:
	s_lshl_b64 s[4:5], s[2:3], 3
	s_delay_alu instid0(SALU_CYCLE_1)
	s_add_u32 s4, s20, s4
	s_addc_u32 s5, s21, s5
	s_lshl_b64 s[6:7], s[22:23], 3
	s_load_b64 s[4:5], s[4:5], 0x0
	s_waitcnt lgkmcnt(0)
	s_add_u32 s24, s4, s6
	s_addc_u32 s25, s5, s7
.LBB275_3:
	s_clause 0x1
	s_load_b128 s[4:7], s[0:1], 0x38
	s_load_b64 s[20:21], s[0:1], 0x48
	s_delay_alu instid0(VALU_DEP_1)
	s_and_not1_b32 vcc_lo, exec_lo, s28
	s_cbranch_vccnz .LBB275_5
; %bb.4:
	s_lshl_b64 s[22:23], s[2:3], 3
	s_waitcnt lgkmcnt(0)
	s_add_u32 s4, s4, s22
	s_addc_u32 s5, s5, s23
	s_lshl_b64 s[6:7], s[6:7], 3
	s_load_b64 s[4:5], s[4:5], 0x0
	s_waitcnt lgkmcnt(0)
	s_add_u32 s4, s4, s6
	s_addc_u32 s5, s5, s7
	s_branch .LBB275_6
.LBB275_5:
	s_waitcnt lgkmcnt(0)
	s_mov_b64 s[4:5], 0
.LBB275_6:
	s_lshl_b64 s[2:3], s[2:3], 3
	s_delay_alu instid0(SALU_CYCLE_1)
	s_add_u32 s2, s8, s2
	s_addc_u32 s3, s9, s3
	s_lshl_b64 s[8:9], s[10:11], 3
	s_load_b64 s[6:7], s[2:3], 0x0
	v_cmp_eq_u32_e64 s2, 0, v0
	s_waitcnt lgkmcnt(0)
	s_add_u32 s8, s6, s8
	s_addc_u32 s9, s7, s9
	s_and_not1_b32 vcc_lo, exec_lo, s15
	s_cbranch_vccnz .LBB275_11
; %bb.7:
	s_mov_b32 s3, 0
	s_mov_b32 s10, 0
                                        ; implicit-def: $vgpr1_vgpr2
                                        ; implicit-def: $sgpr6_sgpr7
	s_and_saveexec_b32 s11, s2
	s_cbranch_execz .LBB275_12
; %bb.8:
	v_cmp_eq_f64_e64 s2, s[12:13], 0
	s_mul_i32 s6, s14, s19
	s_mul_hi_u32 s7, s14, s18
	s_ashr_i32 s10, s14, 31
	v_mov_b32_e32 v1, 0
	v_mov_b32_e32 v2, 0
	s_add_i32 s6, s7, s6
	s_mul_i32 s10, s10, s18
	s_delay_alu instid0(SALU_CYCLE_1) | instskip(SKIP_1) | instid1(VALU_DEP_3)
	s_add_i32 s7, s6, s10
	s_mul_i32 s6, s14, s18
	s_and_b32 vcc_lo, exec_lo, s2
	s_cbranch_vccnz .LBB275_10
; %bb.9:
	s_lshl_b64 s[22:23], s[6:7], 3
	s_delay_alu instid0(SALU_CYCLE_1)
	s_add_u32 s22, s8, s22
	s_addc_u32 s23, s9, s23
	s_load_b64 s[22:23], s[22:23], 0x0
	s_waitcnt lgkmcnt(0)
	v_mul_f64 v[1:2], s[12:13], s[22:23]
.LBB275_10:
	s_mov_b32 s10, exec_lo
	s_or_b32 exec_lo, exec_lo, s11
	s_delay_alu instid0(SALU_CYCLE_1)
	s_and_b32 vcc_lo, exec_lo, s3
	s_cbranch_vccnz .LBB275_13
	s_branch .LBB275_32
.LBB275_11:
	s_mov_b32 s10, 0
                                        ; implicit-def: $vgpr1_vgpr2
                                        ; implicit-def: $sgpr6_sgpr7
	s_cbranch_execnz .LBB275_13
	s_branch .LBB275_32
.LBB275_12:
	s_or_b32 exec_lo, exec_lo, s11
	s_delay_alu instid0(SALU_CYCLE_1)
	s_and_b32 vcc_lo, exec_lo, s3
	s_cbranch_vccz .LBB275_32
.LBB275_13:
	s_load_b32 s3, s[0:1], 0x0
	s_mul_i32 s0, s14, s27
	s_mul_hi_u32 s2, s14, s26
	s_ashr_i32 s1, s14, 31
	s_add_i32 s0, s2, s0
	s_mul_i32 s2, s1, s26
	s_mul_i32 s6, s14, s26
	s_add_i32 s7, s0, s2
	s_mov_b32 s15, 0
	s_lshl_b64 s[6:7], s[6:7], 3
	s_mov_b32 s11, exec_lo
	s_add_u32 s0, s6, s24
	s_addc_u32 s6, s7, s25
	s_waitcnt lgkmcnt(0)
	v_cmp_gt_i32_e32 vcc_lo, s3, v0
	s_ashr_i32 s2, s3, 31
	s_delay_alu instid0(SALU_CYCLE_1) | instskip(NEXT) | instid1(SALU_CYCLE_1)
	s_lshr_b32 s2, s2, 22
	s_add_i32 s2, s3, s2
	v_cndmask_b32_e32 v1, 0, v0, vcc_lo
	s_and_b32 s2, s2, 0xfffffc00
	s_delay_alu instid0(VALU_DEP_1) | instskip(SKIP_2) | instid1(VALU_DEP_3)
	v_lshlrev_b32_e32 v3, 3, v1
	v_mov_b32_e32 v1, 0
	v_mov_b32_e32 v2, 0
	v_add_co_u32 v3, s0, s0, v3
	s_delay_alu instid0(VALU_DEP_1)
	v_add_co_ci_u32_e64 v4, null, s6, 0, s0
	v_cmpx_gt_i32_e64 s2, v0
	s_cbranch_execz .LBB275_17
; %bb.14:
	v_mad_u64_u32 v[1:2], null, s20, v0, 0
	s_lshl_b64 s[6:7], s[20:21], 13
	v_mov_b32_e32 v9, v0
	s_delay_alu instid0(VALU_DEP_2) | instskip(NEXT) | instid1(VALU_DEP_1)
	v_mad_u64_u32 v[5:6], null, s21, v0, v[2:3]
	v_mov_b32_e32 v2, v5
	v_dual_mov_b32 v6, v4 :: v_dual_mov_b32 v5, v3
	s_delay_alu instid0(VALU_DEP_2) | instskip(SKIP_2) | instid1(VALU_DEP_3)
	v_lshlrev_b64 v[7:8], 3, v[1:2]
	v_mov_b32_e32 v1, 0
	v_mov_b32_e32 v2, 0
	v_add_co_u32 v7, vcc_lo, s4, v7
	s_delay_alu instid0(VALU_DEP_4)
	v_add_co_ci_u32_e32 v8, vcc_lo, s5, v8, vcc_lo
	.p2align	6
.LBB275_15:                             ; =>This Inner Loop Header: Depth=1
	flat_load_b64 v[10:11], v[5:6]
	flat_load_b64 v[12:13], v[7:8]
	v_add_nc_u32_e32 v9, 0x400, v9
	v_add_co_u32 v5, vcc_lo, 0x2000, v5
	v_add_co_ci_u32_e32 v6, vcc_lo, 0, v6, vcc_lo
	s_delay_alu instid0(VALU_DEP_3) | instskip(SKIP_1) | instid1(VALU_DEP_1)
	v_cmp_le_i32_e32 vcc_lo, s2, v9
	v_add_co_u32 v7, s0, v7, s6
	v_add_co_ci_u32_e64 v8, s0, s7, v8, s0
	s_or_b32 s15, vcc_lo, s15
	s_waitcnt vmcnt(0) lgkmcnt(0)
	v_fma_f64 v[1:2], v[10:11], v[12:13], v[1:2]
	s_and_not1_b32 exec_lo, exec_lo, s15
	s_cbranch_execnz .LBB275_15
; %bb.16:
	s_or_b32 exec_lo, exec_lo, s15
.LBB275_17:
	s_delay_alu instid0(SALU_CYCLE_1) | instskip(SKIP_2) | instid1(VALU_DEP_1)
	s_or_b32 exec_lo, exec_lo, s11
	v_or_b32_e32 v5, s2, v0
	s_mov_b32 s0, exec_lo
	v_cmpx_gt_i32_e64 s3, v5
	s_cbranch_execz .LBB275_19
; %bb.18:
	v_ashrrev_i32_e32 v8, 31, v5
	v_mul_lo_u32 v9, v5, s21
	v_mad_u64_u32 v[6:7], null, v5, s20, 0
	s_ashr_i32 s3, s2, 31
	s_delay_alu instid0(VALU_DEP_3) | instskip(SKIP_1) | instid1(SALU_CYCLE_1)
	v_mul_lo_u32 v5, v8, s20
	s_lshl_b64 s[2:3], s[2:3], 3
	v_add_co_u32 v3, vcc_lo, v3, s2
	v_add_co_ci_u32_e32 v4, vcc_lo, s3, v4, vcc_lo
	s_delay_alu instid0(VALU_DEP_3) | instskip(NEXT) | instid1(VALU_DEP_1)
	v_add3_u32 v7, v7, v9, v5
	v_lshlrev_b64 v[5:6], 3, v[6:7]
	s_delay_alu instid0(VALU_DEP_1) | instskip(NEXT) | instid1(VALU_DEP_2)
	v_add_co_u32 v5, vcc_lo, s4, v5
	v_add_co_ci_u32_e32 v6, vcc_lo, s5, v6, vcc_lo
	flat_load_b64 v[3:4], v[3:4]
	flat_load_b64 v[5:6], v[5:6]
	s_waitcnt vmcnt(0) lgkmcnt(0)
	v_fma_f64 v[1:2], v[3:4], v[5:6], v[1:2]
.LBB275_19:
	s_or_b32 exec_lo, exec_lo, s0
	v_and_b32_e32 v11, 31, v0
	v_cmp_gt_u32_e32 vcc_lo, 32, v0
	s_delay_alu instid0(VALU_DEP_2)
	v_lshlrev_b32_e32 v5, 3, v11
	s_and_saveexec_b32 s0, vcc_lo
	s_cbranch_execz .LBB275_21
; %bb.20:
	v_mov_b32_e32 v3, 0
	s_delay_alu instid0(VALU_DEP_1)
	v_mov_b32_e32 v4, v3
	ds_store_b64 v5, v[3:4]
.LBB275_21:
	s_or_b32 exec_lo, exec_lo, s0
	v_mbcnt_lo_u32_b32 v10, -1, 0
	s_mov_b32 s2, exec_lo
	s_waitcnt lgkmcnt(0)
	s_barrier
	buffer_gl0_inv
	v_cmp_gt_u32_e64 s0, 16, v10
	s_delay_alu instid0(VALU_DEP_1) | instskip(SKIP_1) | instid1(VALU_DEP_2)
	v_cndmask_b32_e64 v3, 0, 1, s0
	v_cmp_gt_u32_e64 s0, 24, v10
	v_lshlrev_b32_e32 v3, 4, v3
	s_delay_alu instid0(VALU_DEP_1)
	v_add_lshl_u32 v6, v3, v10, 2
	ds_bpermute_b32 v3, v6, v1
	ds_bpermute_b32 v4, v6, v2
	s_waitcnt lgkmcnt(0)
	v_add_f64 v[1:2], v[1:2], v[3:4]
	v_cndmask_b32_e64 v3, 0, 1, s0
	v_cmp_gt_u32_e64 s0, 28, v10
	s_delay_alu instid0(VALU_DEP_2) | instskip(NEXT) | instid1(VALU_DEP_1)
	v_lshlrev_b32_e32 v3, 3, v3
	v_add_lshl_u32 v7, v3, v10, 2
	ds_bpermute_b32 v3, v7, v1
	ds_bpermute_b32 v4, v7, v2
	s_waitcnt lgkmcnt(0)
	v_add_f64 v[1:2], v[1:2], v[3:4]
	v_cndmask_b32_e64 v3, 0, 1, s0
	v_cmp_gt_u32_e64 s0, 30, v10
	s_delay_alu instid0(VALU_DEP_2) | instskip(NEXT) | instid1(VALU_DEP_1)
	v_lshlrev_b32_e32 v3, 2, v3
	v_add_lshl_u32 v8, v3, v10, 2
	ds_bpermute_b32 v3, v8, v1
	ds_bpermute_b32 v4, v8, v2
	s_waitcnt lgkmcnt(0)
	v_add_f64 v[1:2], v[1:2], v[3:4]
	v_cndmask_b32_e64 v3, 0, 1, s0
	v_cmp_ne_u32_e64 s0, 31, v10
	s_delay_alu instid0(VALU_DEP_2) | instskip(NEXT) | instid1(VALU_DEP_1)
	v_lshlrev_b32_e32 v3, 1, v3
	v_add_lshl_u32 v9, v3, v10, 2
	ds_bpermute_b32 v3, v9, v1
	ds_bpermute_b32 v4, v9, v2
	s_waitcnt lgkmcnt(0)
	v_add_f64 v[1:2], v[1:2], v[3:4]
	v_add_co_ci_u32_e64 v3, s0, 0, v10, s0
	s_delay_alu instid0(VALU_DEP_1)
	v_lshlrev_b32_e32 v10, 2, v3
	ds_bpermute_b32 v3, v10, v1
	ds_bpermute_b32 v4, v10, v2
	v_cmpx_eq_u32_e32 0, v11
	s_cbranch_execz .LBB275_23
; %bb.22:
	s_waitcnt lgkmcnt(0)
	v_add_f64 v[1:2], v[1:2], v[3:4]
	v_lshrrev_b32_e32 v3, 2, v0
	s_delay_alu instid0(VALU_DEP_1)
	v_and_b32_e32 v3, 0xf8, v3
	ds_store_b64 v3, v[1:2]
.LBB275_23:
	s_or_b32 exec_lo, exec_lo, s2
	s_waitcnt lgkmcnt(0)
	v_mov_b32_e32 v3, 0
	v_mov_b32_e32 v4, 0
	s_barrier
	buffer_gl0_inv
	s_and_saveexec_b32 s0, vcc_lo
	s_cbranch_execz .LBB275_25
; %bb.24:
	ds_load_b64 v[3:4], v5
.LBB275_25:
	s_or_b32 exec_lo, exec_lo, s0
	s_and_saveexec_b32 s0, vcc_lo
	s_cbranch_execz .LBB275_27
; %bb.26:
	s_waitcnt lgkmcnt(0)
	ds_bpermute_b32 v1, v6, v3
	ds_bpermute_b32 v2, v6, v4
	s_waitcnt lgkmcnt(0)
	v_add_f64 v[1:2], v[3:4], v[1:2]
	ds_bpermute_b32 v3, v7, v1
	ds_bpermute_b32 v4, v7, v2
	s_waitcnt lgkmcnt(0)
	v_add_f64 v[1:2], v[1:2], v[3:4]
	;; [unrolled: 4-line block ×5, first 2 shown]
.LBB275_27:
	s_or_b32 exec_lo, exec_lo, s0
	s_delay_alu instid0(SALU_CYCLE_1)
	s_mov_b32 s0, exec_lo
                                        ; implicit-def: $vgpr1_vgpr2
                                        ; implicit-def: $sgpr6_sgpr7
	v_cmpx_eq_u32_e32 0, v0
	s_cbranch_execz .LBB275_31
; %bb.28:
	v_cmp_eq_f64_e64 s2, s[12:13], 0
	s_waitcnt lgkmcnt(0)
	s_delay_alu instid0(VALU_DEP_3)
	v_mul_f64 v[1:2], s[16:17], v[3:4]
	s_mul_i32 s3, s14, s19
	s_mul_hi_u32 s4, s14, s18
	s_mul_i32 s1, s1, s18
	s_add_i32 s3, s4, s3
	s_mul_i32 s6, s14, s18
	s_add_i32 s7, s3, s1
	s_delay_alu instid0(VALU_DEP_2)
	s_and_b32 vcc_lo, exec_lo, s2
	s_cbranch_vccnz .LBB275_30
; %bb.29:
	s_lshl_b64 s[2:3], s[6:7], 3
	s_delay_alu instid0(SALU_CYCLE_1) | instskip(SKIP_3) | instid1(VALU_DEP_1)
	s_add_u32 s2, s8, s2
	s_addc_u32 s3, s9, s3
	s_load_b64 s[2:3], s[2:3], 0x0
	s_waitcnt lgkmcnt(0)
	v_fma_f64 v[1:2], s[12:13], s[2:3], v[1:2]
.LBB275_30:
	s_or_b32 s10, s10, exec_lo
.LBB275_31:
	s_or_b32 exec_lo, exec_lo, s0
.LBB275_32:
	s_and_saveexec_b32 s0, s10
	s_cbranch_execz .LBB275_34
; %bb.33:
	s_lshl_b64 s[0:1], s[6:7], 3
	v_mov_b32_e32 v0, 0
	s_add_u32 s0, s8, s0
	s_addc_u32 s1, s9, s1
	global_store_b64 v0, v[1:2], s[0:1]
.LBB275_34:
	s_nop 0
	s_sendmsg sendmsg(MSG_DEALLOC_VGPRS)
	s_endpgm
	.section	.rodata,"a",@progbits
	.p2align	6, 0x0
	.amdhsa_kernel _ZL32rocblas_gemvt_warp_reduce_kernelILb0ELi1024ElPKdS1_KPdEviiT3_lPKT2_lT1_lS7_lS8_lS4_lPT4_lS8_li
		.amdhsa_group_segment_fixed_size 256
		.amdhsa_private_segment_fixed_size 0
		.amdhsa_kernarg_size 140
		.amdhsa_user_sgpr_count 14
		.amdhsa_user_sgpr_dispatch_ptr 0
		.amdhsa_user_sgpr_queue_ptr 0
		.amdhsa_user_sgpr_kernarg_segment_ptr 1
		.amdhsa_user_sgpr_dispatch_id 0
		.amdhsa_user_sgpr_private_segment_size 0
		.amdhsa_wavefront_size32 1
		.amdhsa_uses_dynamic_stack 0
		.amdhsa_enable_private_segment 0
		.amdhsa_system_sgpr_workgroup_id_x 1
		.amdhsa_system_sgpr_workgroup_id_y 0
		.amdhsa_system_sgpr_workgroup_id_z 1
		.amdhsa_system_sgpr_workgroup_info 0
		.amdhsa_system_vgpr_workitem_id 0
		.amdhsa_next_free_vgpr 14
		.amdhsa_next_free_sgpr 29
		.amdhsa_reserve_vcc 1
		.amdhsa_float_round_mode_32 0
		.amdhsa_float_round_mode_16_64 0
		.amdhsa_float_denorm_mode_32 3
		.amdhsa_float_denorm_mode_16_64 3
		.amdhsa_dx10_clamp 1
		.amdhsa_ieee_mode 1
		.amdhsa_fp16_overflow 0
		.amdhsa_workgroup_processor_mode 1
		.amdhsa_memory_ordered 1
		.amdhsa_forward_progress 0
		.amdhsa_shared_vgpr_count 0
		.amdhsa_exception_fp_ieee_invalid_op 0
		.amdhsa_exception_fp_denorm_src 0
		.amdhsa_exception_fp_ieee_div_zero 0
		.amdhsa_exception_fp_ieee_overflow 0
		.amdhsa_exception_fp_ieee_underflow 0
		.amdhsa_exception_fp_ieee_inexact 0
		.amdhsa_exception_int_div_zero 0
	.end_amdhsa_kernel
	.section	.text._ZL32rocblas_gemvt_warp_reduce_kernelILb0ELi1024ElPKdS1_KPdEviiT3_lPKT2_lT1_lS7_lS8_lS4_lPT4_lS8_li,"axG",@progbits,_ZL32rocblas_gemvt_warp_reduce_kernelILb0ELi1024ElPKdS1_KPdEviiT3_lPKT2_lT1_lS7_lS8_lS4_lPT4_lS8_li,comdat
.Lfunc_end275:
	.size	_ZL32rocblas_gemvt_warp_reduce_kernelILb0ELi1024ElPKdS1_KPdEviiT3_lPKT2_lT1_lS7_lS8_lS4_lPT4_lS8_li, .Lfunc_end275-_ZL32rocblas_gemvt_warp_reduce_kernelILb0ELi1024ElPKdS1_KPdEviiT3_lPKT2_lT1_lS7_lS8_lS4_lPT4_lS8_li
                                        ; -- End function
	.section	.AMDGPU.csdata,"",@progbits
; Kernel info:
; codeLenInByte = 1752
; NumSgprs: 31
; NumVgprs: 14
; ScratchSize: 0
; MemoryBound: 0
; FloatMode: 240
; IeeeMode: 1
; LDSByteSize: 256 bytes/workgroup (compile time only)
; SGPRBlocks: 3
; VGPRBlocks: 1
; NumSGPRsForWavesPerEU: 31
; NumVGPRsForWavesPerEU: 14
; Occupancy: 16
; WaveLimiterHint : 1
; COMPUTE_PGM_RSRC2:SCRATCH_EN: 0
; COMPUTE_PGM_RSRC2:USER_SGPR: 14
; COMPUTE_PGM_RSRC2:TRAP_HANDLER: 0
; COMPUTE_PGM_RSRC2:TGID_X_EN: 1
; COMPUTE_PGM_RSRC2:TGID_Y_EN: 0
; COMPUTE_PGM_RSRC2:TGID_Z_EN: 1
; COMPUTE_PGM_RSRC2:TIDIG_COMP_CNT: 0
	.section	.text._ZL32rocblas_gemvt_warp_reduce_kernelILb0ELi1024EiPKddKPdEviiT3_lPKT2_lT1_lS7_lS8_lS4_lPT4_lS8_li,"axG",@progbits,_ZL32rocblas_gemvt_warp_reduce_kernelILb0ELi1024EiPKddKPdEviiT3_lPKT2_lT1_lS7_lS8_lS4_lPT4_lS8_li,comdat
	.globl	_ZL32rocblas_gemvt_warp_reduce_kernelILb0ELi1024EiPKddKPdEviiT3_lPKT2_lT1_lS7_lS8_lS4_lPT4_lS8_li ; -- Begin function _ZL32rocblas_gemvt_warp_reduce_kernelILb0ELi1024EiPKddKPdEviiT3_lPKT2_lT1_lS7_lS8_lS4_lPT4_lS8_li
	.p2align	8
	.type	_ZL32rocblas_gemvt_warp_reduce_kernelILb0ELi1024EiPKddKPdEviiT3_lPKT2_lT1_lS7_lS8_lS4_lPT4_lS8_li,@function
_ZL32rocblas_gemvt_warp_reduce_kernelILb0ELi1024EiPKddKPdEviiT3_lPKT2_lT1_lS7_lS8_lS4_lPT4_lS8_li: ; @_ZL32rocblas_gemvt_warp_reduce_kernelILb0ELi1024EiPKddKPdEviiT3_lPKT2_lT1_lS7_lS8_lS4_lPT4_lS8_li
; %bb.0:
	s_clause 0x1
	s_load_b64 s[6:7], s[0:1], 0x8
	s_load_b64 s[4:5], s[0:1], 0x58
	s_waitcnt lgkmcnt(0)
	v_cmp_eq_f64_e64 s12, s[6:7], 0
	v_cmp_eq_f64_e64 s3, s[4:5], 1.0
	s_delay_alu instid0(VALU_DEP_1) | instskip(NEXT) | instid1(SALU_CYCLE_1)
	s_and_b32 s3, s12, s3
	s_and_b32 vcc_lo, exec_lo, s3
	s_cbranch_vccnz .LBB276_36
; %bb.1:
	v_cmp_neq_f64_e64 s8, s[6:7], 0
	s_mov_b32 s2, s15
	s_delay_alu instid0(VALU_DEP_1)
	s_and_b32 vcc_lo, exec_lo, s8
	s_cbranch_vccnz .LBB276_3
; %bb.2:
	s_mov_b32 s3, 0
	s_mov_b64 s[10:11], 0
	s_cbranch_execz .LBB276_4
	s_branch .LBB276_5
.LBB276_3:
	s_mov_b32 s3, -1
                                        ; implicit-def: $sgpr10_sgpr11
.LBB276_4:
	s_load_b128 s[16:19], s[0:1], 0x18
	s_mov_b32 s3, 0
	s_delay_alu instid0(SALU_CYCLE_1)
	s_lshl_b64 s[10:11], s[2:3], 3
	s_waitcnt lgkmcnt(0)
	s_add_u32 s10, s16, s10
	s_addc_u32 s11, s17, s11
	s_lshl_b64 s[16:17], s[18:19], 3
	s_load_b64 s[10:11], s[10:11], 0x0
	s_waitcnt lgkmcnt(0)
	s_add_u32 s10, s10, s16
	s_addc_u32 s11, s11, s17
.LBB276_5:
	s_and_not1_b32 vcc_lo, exec_lo, s8
	s_cbranch_vccnz .LBB276_7
; %bb.6:
	s_load_b128 s[16:19], s[0:1], 0x38
	s_lshl_b64 s[8:9], s[2:3], 3
	s_waitcnt lgkmcnt(0)
	s_add_u32 s8, s16, s8
	s_addc_u32 s9, s17, s9
	s_lshl_b64 s[16:17], s[18:19], 3
	s_load_b64 s[8:9], s[8:9], 0x0
	s_waitcnt lgkmcnt(0)
	s_add_u32 s8, s8, s16
	s_addc_u32 s9, s9, s17
	s_branch .LBB276_8
.LBB276_7:
	s_mov_b64 s[8:9], 0
.LBB276_8:
	s_clause 0x1
	s_load_b128 s[20:23], s[0:1], 0x68
	s_load_b32 s17, s[0:1], 0x78
	s_lshl_b64 s[2:3], s[2:3], 3
	s_waitcnt lgkmcnt(0)
	s_add_u32 s2, s20, s2
	s_addc_u32 s3, s21, s3
	s_lshl_b64 s[20:21], s[22:23], 3
	s_load_b64 s[18:19], s[2:3], 0x0
	v_cmp_eq_u32_e64 s2, 0, v0
	s_waitcnt lgkmcnt(0)
	s_add_u32 s15, s18, s20
	s_addc_u32 s16, s19, s21
	s_and_not1_b32 vcc_lo, exec_lo, s12
	s_cbranch_vccnz .LBB276_13
; %bb.9:
	s_mov_b32 s3, 0
	s_mov_b32 s18, 0
                                        ; implicit-def: $vgpr1_vgpr2
                                        ; implicit-def: $sgpr12_sgpr13
	s_and_saveexec_b32 s19, s2
	s_cbranch_execz .LBB276_14
; %bb.10:
	v_cmp_eq_f64_e64 s2, s[4:5], 0
	v_mov_b32_e32 v1, 0
	v_mov_b32_e32 v2, 0
	s_mul_i32 s12, s14, s17
	s_delay_alu instid0(SALU_CYCLE_1) | instskip(NEXT) | instid1(VALU_DEP_3)
	s_ashr_i32 s13, s12, 31
	s_and_b32 vcc_lo, exec_lo, s2
	s_cbranch_vccnz .LBB276_12
; %bb.11:
	s_lshl_b64 s[20:21], s[12:13], 3
	s_delay_alu instid0(SALU_CYCLE_1)
	s_add_u32 s20, s15, s20
	s_addc_u32 s21, s16, s21
	s_load_b64 s[20:21], s[20:21], 0x0
	s_waitcnt lgkmcnt(0)
	v_mul_f64 v[1:2], s[20:21], s[4:5]
.LBB276_12:
	s_mov_b32 s18, exec_lo
	s_or_b32 exec_lo, exec_lo, s19
	s_delay_alu instid0(SALU_CYCLE_1)
	s_and_b32 vcc_lo, exec_lo, s3
	s_cbranch_vccnz .LBB276_15
	s_branch .LBB276_34
.LBB276_13:
	s_mov_b32 s18, 0
                                        ; implicit-def: $vgpr1_vgpr2
                                        ; implicit-def: $sgpr12_sgpr13
	s_cbranch_execnz .LBB276_15
	s_branch .LBB276_34
.LBB276_14:
	s_or_b32 exec_lo, exec_lo, s19
	s_delay_alu instid0(SALU_CYCLE_1)
	s_and_b32 vcc_lo, exec_lo, s3
	s_cbranch_vccz .LBB276_34
.LBB276_15:
	s_clause 0x2
	s_load_b32 s2, s[0:1], 0x28
	s_load_b32 s3, s[0:1], 0x0
	;; [unrolled: 1-line block ×3, first 2 shown]
	s_waitcnt lgkmcnt(0)
	s_mul_i32 s12, s14, s2
	v_cmp_gt_i32_e32 vcc_lo, s3, v0
	s_ashr_i32 s13, s12, 31
	s_delay_alu instid0(SALU_CYCLE_1)
	s_lshl_b64 s[12:13], s[12:13], 3
	v_cndmask_b32_e32 v1, 0, v0, vcc_lo
	s_add_u32 s0, s12, s10
	s_addc_u32 s2, s13, s11
	s_ashr_i32 s10, s3, 31
	s_mov_b32 s11, 0
	v_lshlrev_b32_e32 v1, 3, v1
	s_lshr_b32 s10, s10, 22
	s_delay_alu instid0(SALU_CYCLE_1) | instskip(NEXT) | instid1(VALU_DEP_1)
	s_add_i32 s10, s3, s10
	v_add_co_u32 v3, s0, s0, v1
	v_mov_b32_e32 v1, 0
	v_add_co_ci_u32_e64 v4, null, s2, 0, s0
	v_mov_b32_e32 v2, 0
	s_and_b32 s2, s10, 0xfffffc00
	s_mov_b32 s10, exec_lo
	v_cmpx_gt_i32_e64 s2, v0
	s_cbranch_execz .LBB276_19
; %bb.16:
	v_mul_lo_u32 v5, v0, s1
	v_dual_mov_b32 v1, 0 :: v_dual_mov_b32 v8, v4
	v_dual_mov_b32 v2, 0 :: v_dual_mov_b32 v7, v3
	v_mov_b32_e32 v9, v0
	s_lshl_b32 s12, s1, 10
	.p2align	6
.LBB276_17:                             ; =>This Inner Loop Header: Depth=1
	s_delay_alu instid0(VALU_DEP_4) | instskip(NEXT) | instid1(VALU_DEP_2)
	v_ashrrev_i32_e32 v6, 31, v5
	v_add_nc_u32_e32 v9, 0x400, v9
	s_delay_alu instid0(VALU_DEP_2) | instskip(NEXT) | instid1(VALU_DEP_2)
	v_lshlrev_b64 v[10:11], 3, v[5:6]
	v_cmp_le_i32_e64 s0, s2, v9
	v_add_nc_u32_e32 v5, s12, v5
	s_delay_alu instid0(VALU_DEP_2) | instskip(NEXT) | instid1(VALU_DEP_3)
	s_or_b32 s11, s0, s11
	v_add_co_u32 v10, vcc_lo, s8, v10
	s_delay_alu instid0(VALU_DEP_4)
	v_add_co_ci_u32_e32 v11, vcc_lo, s9, v11, vcc_lo
	flat_load_b64 v[12:13], v[7:8]
	flat_load_b64 v[10:11], v[10:11]
	v_add_co_u32 v7, vcc_lo, 0x2000, v7
	v_add_co_ci_u32_e32 v8, vcc_lo, 0, v8, vcc_lo
	s_waitcnt vmcnt(0) lgkmcnt(0)
	v_fma_f64 v[1:2], v[12:13], v[10:11], v[1:2]
	s_and_not1_b32 exec_lo, exec_lo, s11
	s_cbranch_execnz .LBB276_17
; %bb.18:
	s_or_b32 exec_lo, exec_lo, s11
.LBB276_19:
	s_delay_alu instid0(SALU_CYCLE_1) | instskip(SKIP_2) | instid1(VALU_DEP_1)
	s_or_b32 exec_lo, exec_lo, s10
	v_or_b32_e32 v5, s2, v0
	s_mov_b32 s0, exec_lo
	v_cmpx_gt_i32_e64 s3, v5
	s_cbranch_execz .LBB276_21
; %bb.20:
	v_mul_lo_u32 v5, v5, s1
	s_ashr_i32 s3, s2, 31
	s_delay_alu instid0(SALU_CYCLE_1) | instskip(NEXT) | instid1(SALU_CYCLE_1)
	s_lshl_b64 s[2:3], s[2:3], 3
	v_add_co_u32 v3, vcc_lo, v3, s2
	v_add_co_ci_u32_e32 v4, vcc_lo, s3, v4, vcc_lo
	s_delay_alu instid0(VALU_DEP_3) | instskip(NEXT) | instid1(VALU_DEP_1)
	v_ashrrev_i32_e32 v6, 31, v5
	v_lshlrev_b64 v[5:6], 3, v[5:6]
	s_delay_alu instid0(VALU_DEP_1) | instskip(NEXT) | instid1(VALU_DEP_2)
	v_add_co_u32 v5, vcc_lo, s8, v5
	v_add_co_ci_u32_e32 v6, vcc_lo, s9, v6, vcc_lo
	flat_load_b64 v[3:4], v[3:4]
	flat_load_b64 v[5:6], v[5:6]
	s_waitcnt vmcnt(0) lgkmcnt(0)
	v_fma_f64 v[1:2], v[3:4], v[5:6], v[1:2]
.LBB276_21:
	s_or_b32 exec_lo, exec_lo, s0
	v_and_b32_e32 v11, 31, v0
	v_cmp_gt_u32_e32 vcc_lo, 32, v0
	s_delay_alu instid0(VALU_DEP_2)
	v_lshlrev_b32_e32 v5, 3, v11
	s_and_saveexec_b32 s0, vcc_lo
	s_cbranch_execz .LBB276_23
; %bb.22:
	v_mov_b32_e32 v3, 0
	s_delay_alu instid0(VALU_DEP_1)
	v_mov_b32_e32 v4, v3
	ds_store_b64 v5, v[3:4]
.LBB276_23:
	s_or_b32 exec_lo, exec_lo, s0
	v_mbcnt_lo_u32_b32 v10, -1, 0
	s_mov_b32 s1, exec_lo
	s_waitcnt lgkmcnt(0)
	s_barrier
	buffer_gl0_inv
	v_cmp_gt_u32_e64 s0, 16, v10
	s_delay_alu instid0(VALU_DEP_1) | instskip(SKIP_1) | instid1(VALU_DEP_2)
	v_cndmask_b32_e64 v3, 0, 1, s0
	v_cmp_gt_u32_e64 s0, 24, v10
	v_lshlrev_b32_e32 v3, 4, v3
	s_delay_alu instid0(VALU_DEP_1)
	v_add_lshl_u32 v6, v3, v10, 2
	ds_bpermute_b32 v3, v6, v1
	ds_bpermute_b32 v4, v6, v2
	s_waitcnt lgkmcnt(0)
	v_add_f64 v[1:2], v[1:2], v[3:4]
	v_cndmask_b32_e64 v3, 0, 1, s0
	v_cmp_gt_u32_e64 s0, 28, v10
	s_delay_alu instid0(VALU_DEP_2) | instskip(NEXT) | instid1(VALU_DEP_1)
	v_lshlrev_b32_e32 v3, 3, v3
	v_add_lshl_u32 v7, v3, v10, 2
	ds_bpermute_b32 v3, v7, v1
	ds_bpermute_b32 v4, v7, v2
	s_waitcnt lgkmcnt(0)
	v_add_f64 v[1:2], v[1:2], v[3:4]
	v_cndmask_b32_e64 v3, 0, 1, s0
	v_cmp_gt_u32_e64 s0, 30, v10
	s_delay_alu instid0(VALU_DEP_2) | instskip(NEXT) | instid1(VALU_DEP_1)
	v_lshlrev_b32_e32 v3, 2, v3
	v_add_lshl_u32 v8, v3, v10, 2
	ds_bpermute_b32 v3, v8, v1
	ds_bpermute_b32 v4, v8, v2
	s_waitcnt lgkmcnt(0)
	v_add_f64 v[1:2], v[1:2], v[3:4]
	v_cndmask_b32_e64 v3, 0, 1, s0
	v_cmp_ne_u32_e64 s0, 31, v10
	s_delay_alu instid0(VALU_DEP_2) | instskip(NEXT) | instid1(VALU_DEP_1)
	v_lshlrev_b32_e32 v3, 1, v3
	v_add_lshl_u32 v9, v3, v10, 2
	ds_bpermute_b32 v3, v9, v1
	ds_bpermute_b32 v4, v9, v2
	s_waitcnt lgkmcnt(0)
	v_add_f64 v[1:2], v[1:2], v[3:4]
	v_add_co_ci_u32_e64 v3, s0, 0, v10, s0
	s_delay_alu instid0(VALU_DEP_1)
	v_lshlrev_b32_e32 v10, 2, v3
	ds_bpermute_b32 v3, v10, v1
	ds_bpermute_b32 v4, v10, v2
	v_cmpx_eq_u32_e32 0, v11
	s_cbranch_execz .LBB276_25
; %bb.24:
	s_waitcnt lgkmcnt(0)
	v_add_f64 v[1:2], v[1:2], v[3:4]
	v_lshrrev_b32_e32 v3, 2, v0
	s_delay_alu instid0(VALU_DEP_1)
	v_and_b32_e32 v3, 0xf8, v3
	ds_store_b64 v3, v[1:2]
.LBB276_25:
	s_or_b32 exec_lo, exec_lo, s1
	s_waitcnt lgkmcnt(0)
	v_mov_b32_e32 v3, 0
	v_mov_b32_e32 v4, 0
	s_barrier
	buffer_gl0_inv
	s_and_saveexec_b32 s0, vcc_lo
	s_cbranch_execz .LBB276_27
; %bb.26:
	ds_load_b64 v[3:4], v5
.LBB276_27:
	s_or_b32 exec_lo, exec_lo, s0
	s_and_saveexec_b32 s0, vcc_lo
	s_cbranch_execz .LBB276_29
; %bb.28:
	s_waitcnt lgkmcnt(0)
	ds_bpermute_b32 v1, v6, v3
	ds_bpermute_b32 v2, v6, v4
	s_waitcnt lgkmcnt(0)
	v_add_f64 v[1:2], v[3:4], v[1:2]
	ds_bpermute_b32 v3, v7, v1
	ds_bpermute_b32 v4, v7, v2
	s_waitcnt lgkmcnt(0)
	v_add_f64 v[1:2], v[1:2], v[3:4]
	;; [unrolled: 4-line block ×5, first 2 shown]
.LBB276_29:
	s_or_b32 exec_lo, exec_lo, s0
	s_delay_alu instid0(SALU_CYCLE_1)
	s_mov_b32 s0, exec_lo
                                        ; implicit-def: $vgpr1_vgpr2
                                        ; implicit-def: $sgpr12_sgpr13
	v_cmpx_eq_u32_e32 0, v0
	s_cbranch_execz .LBB276_33
; %bb.30:
	v_cmp_eq_f64_e64 s1, s[4:5], 0
	s_waitcnt lgkmcnt(0)
	s_delay_alu instid0(VALU_DEP_3) | instskip(SKIP_1) | instid1(SALU_CYCLE_1)
	v_mul_f64 v[1:2], v[3:4], s[6:7]
	s_mul_i32 s12, s14, s17
	s_ashr_i32 s13, s12, 31
	s_delay_alu instid0(VALU_DEP_2)
	s_and_b32 vcc_lo, exec_lo, s1
	s_cbranch_vccnz .LBB276_32
; %bb.31:
	s_lshl_b64 s[2:3], s[12:13], 3
	s_delay_alu instid0(SALU_CYCLE_1) | instskip(SKIP_3) | instid1(VALU_DEP_1)
	s_add_u32 s2, s15, s2
	s_addc_u32 s3, s16, s3
	s_load_b64 s[2:3], s[2:3], 0x0
	s_waitcnt lgkmcnt(0)
	v_fma_f64 v[1:2], s[2:3], s[4:5], v[1:2]
.LBB276_32:
	s_or_b32 s18, s18, exec_lo
.LBB276_33:
	s_or_b32 exec_lo, exec_lo, s0
.LBB276_34:
	s_and_saveexec_b32 s0, s18
	s_cbranch_execz .LBB276_36
; %bb.35:
	s_lshl_b64 s[0:1], s[12:13], 3
	v_mov_b32_e32 v0, 0
	s_add_u32 s0, s15, s0
	s_addc_u32 s1, s16, s1
	global_store_b64 v0, v[1:2], s[0:1]
.LBB276_36:
	s_nop 0
	s_sendmsg sendmsg(MSG_DEALLOC_VGPRS)
	s_endpgm
	.section	.rodata,"a",@progbits
	.p2align	6, 0x0
	.amdhsa_kernel _ZL32rocblas_gemvt_warp_reduce_kernelILb0ELi1024EiPKddKPdEviiT3_lPKT2_lT1_lS7_lS8_lS4_lPT4_lS8_li
		.amdhsa_group_segment_fixed_size 256
		.amdhsa_private_segment_fixed_size 0
		.amdhsa_kernarg_size 140
		.amdhsa_user_sgpr_count 14
		.amdhsa_user_sgpr_dispatch_ptr 0
		.amdhsa_user_sgpr_queue_ptr 0
		.amdhsa_user_sgpr_kernarg_segment_ptr 1
		.amdhsa_user_sgpr_dispatch_id 0
		.amdhsa_user_sgpr_private_segment_size 0
		.amdhsa_wavefront_size32 1
		.amdhsa_uses_dynamic_stack 0
		.amdhsa_enable_private_segment 0
		.amdhsa_system_sgpr_workgroup_id_x 1
		.amdhsa_system_sgpr_workgroup_id_y 0
		.amdhsa_system_sgpr_workgroup_id_z 1
		.amdhsa_system_sgpr_workgroup_info 0
		.amdhsa_system_vgpr_workitem_id 0
		.amdhsa_next_free_vgpr 14
		.amdhsa_next_free_sgpr 24
		.amdhsa_reserve_vcc 1
		.amdhsa_float_round_mode_32 0
		.amdhsa_float_round_mode_16_64 0
		.amdhsa_float_denorm_mode_32 3
		.amdhsa_float_denorm_mode_16_64 3
		.amdhsa_dx10_clamp 1
		.amdhsa_ieee_mode 1
		.amdhsa_fp16_overflow 0
		.amdhsa_workgroup_processor_mode 1
		.amdhsa_memory_ordered 1
		.amdhsa_forward_progress 0
		.amdhsa_shared_vgpr_count 0
		.amdhsa_exception_fp_ieee_invalid_op 0
		.amdhsa_exception_fp_denorm_src 0
		.amdhsa_exception_fp_ieee_div_zero 0
		.amdhsa_exception_fp_ieee_overflow 0
		.amdhsa_exception_fp_ieee_underflow 0
		.amdhsa_exception_fp_ieee_inexact 0
		.amdhsa_exception_int_div_zero 0
	.end_amdhsa_kernel
	.section	.text._ZL32rocblas_gemvt_warp_reduce_kernelILb0ELi1024EiPKddKPdEviiT3_lPKT2_lT1_lS7_lS8_lS4_lPT4_lS8_li,"axG",@progbits,_ZL32rocblas_gemvt_warp_reduce_kernelILb0ELi1024EiPKddKPdEviiT3_lPKT2_lT1_lS7_lS8_lS4_lPT4_lS8_li,comdat
.Lfunc_end276:
	.size	_ZL32rocblas_gemvt_warp_reduce_kernelILb0ELi1024EiPKddKPdEviiT3_lPKT2_lT1_lS7_lS8_lS4_lPT4_lS8_li, .Lfunc_end276-_ZL32rocblas_gemvt_warp_reduce_kernelILb0ELi1024EiPKddKPdEviiT3_lPKT2_lT1_lS7_lS8_lS4_lPT4_lS8_li
                                        ; -- End function
	.section	.AMDGPU.csdata,"",@progbits
; Kernel info:
; codeLenInByte = 1604
; NumSgprs: 26
; NumVgprs: 14
; ScratchSize: 0
; MemoryBound: 0
; FloatMode: 240
; IeeeMode: 1
; LDSByteSize: 256 bytes/workgroup (compile time only)
; SGPRBlocks: 3
; VGPRBlocks: 1
; NumSGPRsForWavesPerEU: 26
; NumVGPRsForWavesPerEU: 14
; Occupancy: 16
; WaveLimiterHint : 1
; COMPUTE_PGM_RSRC2:SCRATCH_EN: 0
; COMPUTE_PGM_RSRC2:USER_SGPR: 14
; COMPUTE_PGM_RSRC2:TRAP_HANDLER: 0
; COMPUTE_PGM_RSRC2:TGID_X_EN: 1
; COMPUTE_PGM_RSRC2:TGID_Y_EN: 0
; COMPUTE_PGM_RSRC2:TGID_Z_EN: 1
; COMPUTE_PGM_RSRC2:TIDIG_COMP_CNT: 0
	.section	.text._ZL32rocblas_gemvt_warp_reduce_kernelILb0ELi1024ElPKddKPdEviiT3_lPKT2_lT1_lS7_lS8_lS4_lPT4_lS8_li,"axG",@progbits,_ZL32rocblas_gemvt_warp_reduce_kernelILb0ELi1024ElPKddKPdEviiT3_lPKT2_lT1_lS7_lS8_lS4_lPT4_lS8_li,comdat
	.globl	_ZL32rocblas_gemvt_warp_reduce_kernelILb0ELi1024ElPKddKPdEviiT3_lPKT2_lT1_lS7_lS8_lS4_lPT4_lS8_li ; -- Begin function _ZL32rocblas_gemvt_warp_reduce_kernelILb0ELi1024ElPKddKPdEviiT3_lPKT2_lT1_lS7_lS8_lS4_lPT4_lS8_li
	.p2align	8
	.type	_ZL32rocblas_gemvt_warp_reduce_kernelILb0ELi1024ElPKddKPdEviiT3_lPKT2_lT1_lS7_lS8_lS4_lPT4_lS8_li,@function
_ZL32rocblas_gemvt_warp_reduce_kernelILb0ELi1024ElPKddKPdEviiT3_lPKT2_lT1_lS7_lS8_lS4_lPT4_lS8_li: ; @_ZL32rocblas_gemvt_warp_reduce_kernelILb0ELi1024ElPKddKPdEviiT3_lPKT2_lT1_lS7_lS8_lS4_lPT4_lS8_li
; %bb.0:
	s_clause 0x1
	s_load_b64 s[10:11], s[0:1], 0x8
	s_load_b64 s[8:9], s[0:1], 0x58
	s_waitcnt lgkmcnt(0)
	v_cmp_eq_f64_e64 s20, s[10:11], 0
	v_cmp_eq_f64_e64 s3, s[8:9], 1.0
	s_delay_alu instid0(VALU_DEP_1) | instskip(NEXT) | instid1(SALU_CYCLE_1)
	s_and_b32 s3, s20, s3
	s_and_b32 vcc_lo, exec_lo, s3
	s_cbranch_vccnz .LBB277_36
; %bb.1:
	s_mov_b32 s2, s15
	v_cmp_neq_f64_e64 s15, s[10:11], 0
	s_clause 0x1
	s_load_b128 s[4:7], s[0:1], 0x18
	s_load_b64 s[16:17], s[0:1], 0x28
	s_delay_alu instid0(VALU_DEP_1)
	s_and_b32 vcc_lo, exec_lo, s15
	s_cbranch_vccnz .LBB277_3
; %bb.2:
	s_mov_b32 s3, 0
	s_mov_b64 s[18:19], 0
	s_cbranch_execz .LBB277_4
	s_branch .LBB277_5
.LBB277_3:
	s_mov_b32 s3, -1
                                        ; implicit-def: $sgpr18_sgpr19
.LBB277_4:
	s_mov_b32 s3, 0
	s_delay_alu instid0(SALU_CYCLE_1)
	s_lshl_b64 s[12:13], s[2:3], 3
	s_waitcnt lgkmcnt(0)
	s_add_u32 s4, s4, s12
	s_addc_u32 s5, s5, s13
	s_lshl_b64 s[6:7], s[6:7], 3
	s_load_b64 s[4:5], s[4:5], 0x0
	s_waitcnt lgkmcnt(0)
	s_add_u32 s18, s4, s6
	s_addc_u32 s19, s5, s7
.LBB277_5:
	s_waitcnt lgkmcnt(0)
	s_clause 0x1
	s_load_b128 s[4:7], s[0:1], 0x38
	s_load_b64 s[12:13], s[0:1], 0x48
	s_and_not1_b32 vcc_lo, exec_lo, s15
	s_cbranch_vccnz .LBB277_7
; %bb.6:
	s_lshl_b64 s[22:23], s[2:3], 3
	s_waitcnt lgkmcnt(0)
	s_add_u32 s4, s4, s22
	s_addc_u32 s5, s5, s23
	s_lshl_b64 s[6:7], s[6:7], 3
	s_load_b64 s[4:5], s[4:5], 0x0
	s_waitcnt lgkmcnt(0)
	s_add_u32 s6, s4, s6
	s_addc_u32 s7, s5, s7
	s_branch .LBB277_8
.LBB277_7:
	s_waitcnt lgkmcnt(0)
	s_mov_b64 s[6:7], 0
.LBB277_8:
	s_clause 0x1
	s_load_b128 s[24:27], s[0:1], 0x68
	s_load_b64 s[4:5], s[0:1], 0x78
	s_lshl_b64 s[2:3], s[2:3], 3
	s_waitcnt lgkmcnt(0)
	s_add_u32 s2, s24, s2
	s_addc_u32 s3, s25, s3
	s_lshl_b64 s[24:25], s[26:27], 3
	s_load_b64 s[22:23], s[2:3], 0x0
	v_cmp_eq_u32_e64 s2, 0, v0
	s_waitcnt lgkmcnt(0)
	s_add_u32 s15, s22, s24
	s_addc_u32 s22, s23, s25
	s_and_not1_b32 vcc_lo, exec_lo, s20
	s_cbranch_vccnz .LBB277_13
; %bb.9:
	s_mov_b32 s3, 0
	s_mov_b32 s23, 0
                                        ; implicit-def: $vgpr1_vgpr2
                                        ; implicit-def: $sgpr20_sgpr21
	s_and_saveexec_b32 s24, s2
	s_cbranch_execz .LBB277_14
; %bb.10:
	v_cmp_eq_f64_e64 s2, s[8:9], 0
	s_mul_i32 s20, s14, s5
	s_mul_hi_u32 s21, s14, s4
	s_ashr_i32 s23, s14, 31
	v_mov_b32_e32 v1, 0
	v_mov_b32_e32 v2, 0
	s_add_i32 s20, s21, s20
	s_mul_i32 s23, s23, s4
	s_delay_alu instid0(SALU_CYCLE_1) | instskip(SKIP_1) | instid1(VALU_DEP_3)
	s_add_i32 s21, s20, s23
	s_mul_i32 s20, s14, s4
	s_and_b32 vcc_lo, exec_lo, s2
	s_cbranch_vccnz .LBB277_12
; %bb.11:
	s_lshl_b64 s[26:27], s[20:21], 3
	s_delay_alu instid0(SALU_CYCLE_1)
	s_add_u32 s26, s15, s26
	s_addc_u32 s27, s22, s27
	s_load_b64 s[26:27], s[26:27], 0x0
	s_waitcnt lgkmcnt(0)
	v_mul_f64 v[1:2], s[26:27], s[8:9]
.LBB277_12:
	s_mov_b32 s23, exec_lo
	s_or_b32 exec_lo, exec_lo, s24
	s_delay_alu instid0(SALU_CYCLE_1)
	s_and_b32 vcc_lo, exec_lo, s3
	s_cbranch_vccnz .LBB277_15
	s_branch .LBB277_34
.LBB277_13:
	s_mov_b32 s23, 0
                                        ; implicit-def: $vgpr1_vgpr2
                                        ; implicit-def: $sgpr20_sgpr21
	s_cbranch_execnz .LBB277_15
	s_branch .LBB277_34
.LBB277_14:
	s_or_b32 exec_lo, exec_lo, s24
	s_delay_alu instid0(SALU_CYCLE_1)
	s_and_b32 vcc_lo, exec_lo, s3
	s_cbranch_vccz .LBB277_34
.LBB277_15:
	s_load_b32 s3, s[0:1], 0x0
	s_mul_i32 s0, s14, s17
	s_mul_hi_u32 s2, s14, s16
	s_ashr_i32 s1, s14, 31
	s_add_i32 s0, s2, s0
	s_mul_i32 s2, s1, s16
	s_mul_i32 s16, s14, s16
	s_add_i32 s17, s0, s2
	s_delay_alu instid0(SALU_CYCLE_1) | instskip(NEXT) | instid1(SALU_CYCLE_1)
	s_lshl_b64 s[16:17], s[16:17], 3
	s_add_u32 s0, s16, s18
	s_addc_u32 s16, s17, s19
	s_mov_b32 s19, 0
	s_mov_b32 s18, exec_lo
	s_waitcnt lgkmcnt(0)
	v_cmp_gt_i32_e32 vcc_lo, s3, v0
	s_ashr_i32 s2, s3, 31
	s_delay_alu instid0(SALU_CYCLE_1) | instskip(NEXT) | instid1(SALU_CYCLE_1)
	s_lshr_b32 s2, s2, 22
	s_add_i32 s2, s3, s2
	v_cndmask_b32_e32 v1, 0, v0, vcc_lo
	s_and_b32 s2, s2, 0xfffffc00
	s_delay_alu instid0(VALU_DEP_1) | instskip(SKIP_2) | instid1(VALU_DEP_3)
	v_lshlrev_b32_e32 v3, 3, v1
	v_mov_b32_e32 v1, 0
	v_mov_b32_e32 v2, 0
	v_add_co_u32 v3, s0, s0, v3
	s_delay_alu instid0(VALU_DEP_1)
	v_add_co_ci_u32_e64 v4, null, s16, 0, s0
	v_cmpx_gt_i32_e64 s2, v0
	s_cbranch_execz .LBB277_19
; %bb.16:
	v_mad_u64_u32 v[1:2], null, s12, v0, 0
	s_lshl_b64 s[16:17], s[12:13], 13
	v_mov_b32_e32 v9, v0
	s_delay_alu instid0(VALU_DEP_2) | instskip(NEXT) | instid1(VALU_DEP_1)
	v_mad_u64_u32 v[5:6], null, s13, v0, v[2:3]
	v_mov_b32_e32 v2, v5
	v_dual_mov_b32 v6, v4 :: v_dual_mov_b32 v5, v3
	s_delay_alu instid0(VALU_DEP_2) | instskip(SKIP_2) | instid1(VALU_DEP_3)
	v_lshlrev_b64 v[7:8], 3, v[1:2]
	v_mov_b32_e32 v1, 0
	v_mov_b32_e32 v2, 0
	v_add_co_u32 v7, vcc_lo, s6, v7
	s_delay_alu instid0(VALU_DEP_4)
	v_add_co_ci_u32_e32 v8, vcc_lo, s7, v8, vcc_lo
	.p2align	6
.LBB277_17:                             ; =>This Inner Loop Header: Depth=1
	flat_load_b64 v[10:11], v[5:6]
	flat_load_b64 v[12:13], v[7:8]
	v_add_nc_u32_e32 v9, 0x400, v9
	v_add_co_u32 v5, vcc_lo, 0x2000, v5
	v_add_co_ci_u32_e32 v6, vcc_lo, 0, v6, vcc_lo
	s_delay_alu instid0(VALU_DEP_3) | instskip(SKIP_1) | instid1(VALU_DEP_1)
	v_cmp_le_i32_e32 vcc_lo, s2, v9
	v_add_co_u32 v7, s0, v7, s16
	v_add_co_ci_u32_e64 v8, s0, s17, v8, s0
	s_or_b32 s19, vcc_lo, s19
	s_waitcnt vmcnt(0) lgkmcnt(0)
	v_fma_f64 v[1:2], v[10:11], v[12:13], v[1:2]
	s_and_not1_b32 exec_lo, exec_lo, s19
	s_cbranch_execnz .LBB277_17
; %bb.18:
	s_or_b32 exec_lo, exec_lo, s19
.LBB277_19:
	s_delay_alu instid0(SALU_CYCLE_1) | instskip(SKIP_2) | instid1(VALU_DEP_1)
	s_or_b32 exec_lo, exec_lo, s18
	v_or_b32_e32 v5, s2, v0
	s_mov_b32 s0, exec_lo
	v_cmpx_gt_i32_e64 s3, v5
	s_cbranch_execz .LBB277_21
; %bb.20:
	v_ashrrev_i32_e32 v8, 31, v5
	v_mul_lo_u32 v9, v5, s13
	v_mad_u64_u32 v[6:7], null, v5, s12, 0
	s_ashr_i32 s3, s2, 31
	s_delay_alu instid0(VALU_DEP_3) | instskip(SKIP_1) | instid1(SALU_CYCLE_1)
	v_mul_lo_u32 v5, v8, s12
	s_lshl_b64 s[2:3], s[2:3], 3
	v_add_co_u32 v3, vcc_lo, v3, s2
	v_add_co_ci_u32_e32 v4, vcc_lo, s3, v4, vcc_lo
	s_delay_alu instid0(VALU_DEP_3) | instskip(NEXT) | instid1(VALU_DEP_1)
	v_add3_u32 v7, v7, v9, v5
	v_lshlrev_b64 v[5:6], 3, v[6:7]
	s_delay_alu instid0(VALU_DEP_1) | instskip(NEXT) | instid1(VALU_DEP_2)
	v_add_co_u32 v5, vcc_lo, s6, v5
	v_add_co_ci_u32_e32 v6, vcc_lo, s7, v6, vcc_lo
	flat_load_b64 v[3:4], v[3:4]
	flat_load_b64 v[5:6], v[5:6]
	s_waitcnt vmcnt(0) lgkmcnt(0)
	v_fma_f64 v[1:2], v[3:4], v[5:6], v[1:2]
.LBB277_21:
	s_or_b32 exec_lo, exec_lo, s0
	v_and_b32_e32 v11, 31, v0
	v_cmp_gt_u32_e32 vcc_lo, 32, v0
	s_delay_alu instid0(VALU_DEP_2)
	v_lshlrev_b32_e32 v5, 3, v11
	s_and_saveexec_b32 s0, vcc_lo
	s_cbranch_execz .LBB277_23
; %bb.22:
	v_mov_b32_e32 v3, 0
	s_delay_alu instid0(VALU_DEP_1)
	v_mov_b32_e32 v4, v3
	ds_store_b64 v5, v[3:4]
.LBB277_23:
	s_or_b32 exec_lo, exec_lo, s0
	v_mbcnt_lo_u32_b32 v10, -1, 0
	s_mov_b32 s2, exec_lo
	s_waitcnt lgkmcnt(0)
	s_barrier
	buffer_gl0_inv
	v_cmp_gt_u32_e64 s0, 16, v10
	s_delay_alu instid0(VALU_DEP_1) | instskip(SKIP_1) | instid1(VALU_DEP_2)
	v_cndmask_b32_e64 v3, 0, 1, s0
	v_cmp_gt_u32_e64 s0, 24, v10
	v_lshlrev_b32_e32 v3, 4, v3
	s_delay_alu instid0(VALU_DEP_1)
	v_add_lshl_u32 v6, v3, v10, 2
	ds_bpermute_b32 v3, v6, v1
	ds_bpermute_b32 v4, v6, v2
	s_waitcnt lgkmcnt(0)
	v_add_f64 v[1:2], v[1:2], v[3:4]
	v_cndmask_b32_e64 v3, 0, 1, s0
	v_cmp_gt_u32_e64 s0, 28, v10
	s_delay_alu instid0(VALU_DEP_2) | instskip(NEXT) | instid1(VALU_DEP_1)
	v_lshlrev_b32_e32 v3, 3, v3
	v_add_lshl_u32 v7, v3, v10, 2
	ds_bpermute_b32 v3, v7, v1
	ds_bpermute_b32 v4, v7, v2
	s_waitcnt lgkmcnt(0)
	v_add_f64 v[1:2], v[1:2], v[3:4]
	v_cndmask_b32_e64 v3, 0, 1, s0
	v_cmp_gt_u32_e64 s0, 30, v10
	s_delay_alu instid0(VALU_DEP_2) | instskip(NEXT) | instid1(VALU_DEP_1)
	v_lshlrev_b32_e32 v3, 2, v3
	v_add_lshl_u32 v8, v3, v10, 2
	ds_bpermute_b32 v3, v8, v1
	ds_bpermute_b32 v4, v8, v2
	s_waitcnt lgkmcnt(0)
	v_add_f64 v[1:2], v[1:2], v[3:4]
	v_cndmask_b32_e64 v3, 0, 1, s0
	v_cmp_ne_u32_e64 s0, 31, v10
	s_delay_alu instid0(VALU_DEP_2) | instskip(NEXT) | instid1(VALU_DEP_1)
	v_lshlrev_b32_e32 v3, 1, v3
	v_add_lshl_u32 v9, v3, v10, 2
	ds_bpermute_b32 v3, v9, v1
	ds_bpermute_b32 v4, v9, v2
	s_waitcnt lgkmcnt(0)
	v_add_f64 v[1:2], v[1:2], v[3:4]
	v_add_co_ci_u32_e64 v3, s0, 0, v10, s0
	s_delay_alu instid0(VALU_DEP_1)
	v_lshlrev_b32_e32 v10, 2, v3
	ds_bpermute_b32 v3, v10, v1
	ds_bpermute_b32 v4, v10, v2
	v_cmpx_eq_u32_e32 0, v11
	s_cbranch_execz .LBB277_25
; %bb.24:
	s_waitcnt lgkmcnt(0)
	v_add_f64 v[1:2], v[1:2], v[3:4]
	v_lshrrev_b32_e32 v3, 2, v0
	s_delay_alu instid0(VALU_DEP_1)
	v_and_b32_e32 v3, 0xf8, v3
	ds_store_b64 v3, v[1:2]
.LBB277_25:
	s_or_b32 exec_lo, exec_lo, s2
	s_waitcnt lgkmcnt(0)
	v_mov_b32_e32 v3, 0
	v_mov_b32_e32 v4, 0
	s_barrier
	buffer_gl0_inv
	s_and_saveexec_b32 s0, vcc_lo
	s_cbranch_execz .LBB277_27
; %bb.26:
	ds_load_b64 v[3:4], v5
.LBB277_27:
	s_or_b32 exec_lo, exec_lo, s0
	s_and_saveexec_b32 s0, vcc_lo
	s_cbranch_execz .LBB277_29
; %bb.28:
	s_waitcnt lgkmcnt(0)
	ds_bpermute_b32 v1, v6, v3
	ds_bpermute_b32 v2, v6, v4
	s_waitcnt lgkmcnt(0)
	v_add_f64 v[1:2], v[3:4], v[1:2]
	ds_bpermute_b32 v3, v7, v1
	ds_bpermute_b32 v4, v7, v2
	s_waitcnt lgkmcnt(0)
	v_add_f64 v[1:2], v[1:2], v[3:4]
	;; [unrolled: 4-line block ×5, first 2 shown]
.LBB277_29:
	s_or_b32 exec_lo, exec_lo, s0
	s_delay_alu instid0(SALU_CYCLE_1)
	s_mov_b32 s0, exec_lo
                                        ; implicit-def: $vgpr1_vgpr2
                                        ; implicit-def: $sgpr20_sgpr21
	v_cmpx_eq_u32_e32 0, v0
	s_cbranch_execz .LBB277_33
; %bb.30:
	v_cmp_eq_f64_e64 s2, s[8:9], 0
	s_waitcnt lgkmcnt(0)
	s_delay_alu instid0(VALU_DEP_3)
	v_mul_f64 v[1:2], v[3:4], s[10:11]
	s_mul_i32 s3, s14, s5
	s_mul_hi_u32 s5, s14, s4
	s_mul_i32 s1, s1, s4
	s_add_i32 s3, s5, s3
	s_mul_i32 s20, s14, s4
	s_add_i32 s21, s3, s1
	s_delay_alu instid0(VALU_DEP_2)
	s_and_b32 vcc_lo, exec_lo, s2
	s_cbranch_vccnz .LBB277_32
; %bb.31:
	s_lshl_b64 s[2:3], s[20:21], 3
	s_delay_alu instid0(SALU_CYCLE_1) | instskip(SKIP_3) | instid1(VALU_DEP_1)
	s_add_u32 s2, s15, s2
	s_addc_u32 s3, s22, s3
	s_load_b64 s[2:3], s[2:3], 0x0
	s_waitcnt lgkmcnt(0)
	v_fma_f64 v[1:2], s[2:3], s[8:9], v[1:2]
.LBB277_32:
	s_or_b32 s23, s23, exec_lo
.LBB277_33:
	s_or_b32 exec_lo, exec_lo, s0
.LBB277_34:
	s_and_saveexec_b32 s0, s23
	s_cbranch_execz .LBB277_36
; %bb.35:
	s_lshl_b64 s[0:1], s[20:21], 3
	v_mov_b32_e32 v0, 0
	s_add_u32 s0, s15, s0
	s_addc_u32 s1, s22, s1
	global_store_b64 v0, v[1:2], s[0:1]
.LBB277_36:
	s_nop 0
	s_sendmsg sendmsg(MSG_DEALLOC_VGPRS)
	s_endpgm
	.section	.rodata,"a",@progbits
	.p2align	6, 0x0
	.amdhsa_kernel _ZL32rocblas_gemvt_warp_reduce_kernelILb0ELi1024ElPKddKPdEviiT3_lPKT2_lT1_lS7_lS8_lS4_lPT4_lS8_li
		.amdhsa_group_segment_fixed_size 256
		.amdhsa_private_segment_fixed_size 0
		.amdhsa_kernarg_size 140
		.amdhsa_user_sgpr_count 14
		.amdhsa_user_sgpr_dispatch_ptr 0
		.amdhsa_user_sgpr_queue_ptr 0
		.amdhsa_user_sgpr_kernarg_segment_ptr 1
		.amdhsa_user_sgpr_dispatch_id 0
		.amdhsa_user_sgpr_private_segment_size 0
		.amdhsa_wavefront_size32 1
		.amdhsa_uses_dynamic_stack 0
		.amdhsa_enable_private_segment 0
		.amdhsa_system_sgpr_workgroup_id_x 1
		.amdhsa_system_sgpr_workgroup_id_y 0
		.amdhsa_system_sgpr_workgroup_id_z 1
		.amdhsa_system_sgpr_workgroup_info 0
		.amdhsa_system_vgpr_workitem_id 0
		.amdhsa_next_free_vgpr 14
		.amdhsa_next_free_sgpr 28
		.amdhsa_reserve_vcc 1
		.amdhsa_float_round_mode_32 0
		.amdhsa_float_round_mode_16_64 0
		.amdhsa_float_denorm_mode_32 3
		.amdhsa_float_denorm_mode_16_64 3
		.amdhsa_dx10_clamp 1
		.amdhsa_ieee_mode 1
		.amdhsa_fp16_overflow 0
		.amdhsa_workgroup_processor_mode 1
		.amdhsa_memory_ordered 1
		.amdhsa_forward_progress 0
		.amdhsa_shared_vgpr_count 0
		.amdhsa_exception_fp_ieee_invalid_op 0
		.amdhsa_exception_fp_denorm_src 0
		.amdhsa_exception_fp_ieee_div_zero 0
		.amdhsa_exception_fp_ieee_overflow 0
		.amdhsa_exception_fp_ieee_underflow 0
		.amdhsa_exception_fp_ieee_inexact 0
		.amdhsa_exception_int_div_zero 0
	.end_amdhsa_kernel
	.section	.text._ZL32rocblas_gemvt_warp_reduce_kernelILb0ELi1024ElPKddKPdEviiT3_lPKT2_lT1_lS7_lS8_lS4_lPT4_lS8_li,"axG",@progbits,_ZL32rocblas_gemvt_warp_reduce_kernelILb0ELi1024ElPKddKPdEviiT3_lPKT2_lT1_lS7_lS8_lS4_lPT4_lS8_li,comdat
.Lfunc_end277:
	.size	_ZL32rocblas_gemvt_warp_reduce_kernelILb0ELi1024ElPKddKPdEviiT3_lPKT2_lT1_lS7_lS8_lS4_lPT4_lS8_li, .Lfunc_end277-_ZL32rocblas_gemvt_warp_reduce_kernelILb0ELi1024ElPKddKPdEviiT3_lPKT2_lT1_lS7_lS8_lS4_lPT4_lS8_li
                                        ; -- End function
	.section	.AMDGPU.csdata,"",@progbits
; Kernel info:
; codeLenInByte = 1720
; NumSgprs: 30
; NumVgprs: 14
; ScratchSize: 0
; MemoryBound: 0
; FloatMode: 240
; IeeeMode: 1
; LDSByteSize: 256 bytes/workgroup (compile time only)
; SGPRBlocks: 3
; VGPRBlocks: 1
; NumSGPRsForWavesPerEU: 30
; NumVGPRsForWavesPerEU: 14
; Occupancy: 16
; WaveLimiterHint : 1
; COMPUTE_PGM_RSRC2:SCRATCH_EN: 0
; COMPUTE_PGM_RSRC2:USER_SGPR: 14
; COMPUTE_PGM_RSRC2:TRAP_HANDLER: 0
; COMPUTE_PGM_RSRC2:TGID_X_EN: 1
; COMPUTE_PGM_RSRC2:TGID_Y_EN: 0
; COMPUTE_PGM_RSRC2:TGID_Z_EN: 1
; COMPUTE_PGM_RSRC2:TIDIG_COMP_CNT: 0
	.section	.text._ZL22rocblas_gemvtsm_kernelILb1ELi256EPKdS1_KPdEviiT2_lPKT1_lilS7_lilS4_lPT3_lil,"axG",@progbits,_ZL22rocblas_gemvtsm_kernelILb1ELi256EPKdS1_KPdEviiT2_lPKT1_lilS7_lilS4_lPT3_lil,comdat
	.globl	_ZL22rocblas_gemvtsm_kernelILb1ELi256EPKdS1_KPdEviiT2_lPKT1_lilS7_lilS4_lPT3_lil ; -- Begin function _ZL22rocblas_gemvtsm_kernelILb1ELi256EPKdS1_KPdEviiT2_lPKT1_lilS7_lilS4_lPT3_lil
	.p2align	8
	.type	_ZL22rocblas_gemvtsm_kernelILb1ELi256EPKdS1_KPdEviiT2_lPKT1_lilS7_lilS4_lPT3_lil,@function
_ZL22rocblas_gemvtsm_kernelILb1ELi256EPKdS1_KPdEviiT2_lPKT1_lilS7_lilS4_lPT3_lil: ; @_ZL22rocblas_gemvtsm_kernelILb1ELi256EPKdS1_KPdEviiT2_lPKT1_lilS7_lilS4_lPT3_lil
; %bb.0:
	s_mov_b32 s2, s15
	s_clause 0x1
	s_load_b256 s[12:19], s[0:1], 0x8
	s_load_b256 s[4:11], s[0:1], 0x58
	s_waitcnt lgkmcnt(0)
	s_mul_i32 s3, s2, s15
	s_mul_hi_u32 s15, s2, s14
	s_mul_i32 s14, s2, s14
	s_add_i32 s15, s15, s3
	s_mul_i32 s3, s2, s7
	s_lshl_b64 s[14:15], s[14:15], 3
	s_mul_hi_u32 s7, s2, s6
	s_add_u32 s12, s12, s14
	s_addc_u32 s13, s13, s15
	s_add_i32 s7, s7, s3
	s_mul_i32 s6, s2, s6
	s_delay_alu instid0(SALU_CYCLE_1) | instskip(NEXT) | instid1(SALU_CYCLE_1)
	s_lshl_b64 s[6:7], s[6:7], 3
	s_add_u32 s4, s4, s6
	s_addc_u32 s5, s5, s7
	s_load_b64 s[14:15], s[12:13], 0x0
	s_load_b64 s[4:5], s[4:5], 0x0
	s_mov_b64 s[12:13], 0
	s_waitcnt lgkmcnt(0)
	v_cmp_eq_f64_e64 s20, s[14:15], 0
	v_cmp_eq_f64_e64 s3, s[4:5], 1.0
	s_delay_alu instid0(VALU_DEP_1) | instskip(NEXT) | instid1(SALU_CYCLE_1)
	s_and_b32 s3, s20, s3
	s_and_b32 vcc_lo, exec_lo, s3
	s_cbranch_vccnz .LBB278_39
; %bb.1:
	v_cmp_neq_f64_e64 s6, s[14:15], 0
	s_and_b32 vcc_lo, exec_lo, s20
	s_mov_b32 s3, 0
	s_cbranch_vccnz .LBB278_3
; %bb.2:
	s_lshl_b64 s[12:13], s[2:3], 3
	s_delay_alu instid0(SALU_CYCLE_1)
	s_add_u32 s12, s16, s12
	s_addc_u32 s13, s17, s13
	s_lshl_b64 s[16:17], s[18:19], 3
	s_load_b64 s[12:13], s[12:13], 0x0
	s_waitcnt lgkmcnt(0)
	s_add_u32 s12, s12, s16
	s_addc_u32 s13, s13, s17
.LBB278_3:
	s_delay_alu instid0(VALU_DEP_1)
	s_and_not1_b32 vcc_lo, exec_lo, s6
	s_cbranch_vccnz .LBB278_5
; %bb.4:
	s_load_b128 s[16:19], s[0:1], 0x38
	s_lshl_b64 s[6:7], s[2:3], 3
	s_waitcnt lgkmcnt(0)
	s_add_u32 s6, s16, s6
	s_addc_u32 s7, s17, s7
	s_lshl_b64 s[16:17], s[18:19], 3
	s_load_b64 s[6:7], s[6:7], 0x0
	s_waitcnt lgkmcnt(0)
	s_add_u32 s18, s6, s16
	s_addc_u32 s19, s7, s17
	s_branch .LBB278_6
.LBB278_5:
	s_mov_b64 s[18:19], 0
.LBB278_6:
	s_lshl_b64 s[2:3], s[2:3], 3
	s_delay_alu instid0(SALU_CYCLE_1)
	s_add_u32 s2, s8, s2
	s_addc_u32 s3, s9, s3
	s_clause 0x1
	s_load_b64 s[6:7], s[0:1], 0x0
	s_load_b32 s8, s[0:1], 0x78
	s_load_b64 s[16:17], s[2:3], 0x0
	s_and_not1_b32 vcc_lo, exec_lo, s20
	s_mov_b32 s2, -1
	s_cbranch_vccnz .LBB278_21
; %bb.7:
	v_cmp_neq_f64_e64 s2, s[4:5], 0
	s_waitcnt lgkmcnt(0)
	s_cmp_gt_i32 s7, 0
	s_cselect_b32 s20, -1, 0
	s_delay_alu instid0(SALU_CYCLE_1) | instskip(NEXT) | instid1(VALU_DEP_2)
	v_cndmask_b32_e64 v1, 0, 1, s20
	s_and_b32 vcc_lo, exec_lo, s2
	s_delay_alu instid0(VALU_DEP_1)
	v_cmp_ne_u32_e64 s2, 1, v1
	s_cbranch_vccnz .LBB278_14
; %bb.8:
	s_delay_alu instid0(VALU_DEP_1)
	s_and_b32 vcc_lo, exec_lo, s2
	s_cbranch_vccnz .LBB278_13
; %bb.9:
	v_mad_i64_i32 v[1:2], null, s8, v0, 0
	s_lshl_b64 s[2:3], s[10:11], 3
	s_ashr_i32 s9, s8, 31
	s_add_u32 s2, s16, s2
	s_addc_u32 s3, s17, s3
	v_mov_b32_e32 v3, 0
	s_delay_alu instid0(VALU_DEP_2) | instskip(NEXT) | instid1(VALU_DEP_1)
	v_lshlrev_b64 v[1:2], 3, v[1:2]
	v_add_co_u32 v1, vcc_lo, s2, v1
	s_delay_alu instid0(VALU_DEP_2)
	v_add_co_ci_u32_e32 v2, vcc_lo, s3, v2, vcc_lo
	s_lshl_b64 s[2:3], s[8:9], 11
	s_mov_b32 s9, 0
	s_branch .LBB278_11
.LBB278_10:                             ;   in Loop: Header=BB278_11 Depth=1
	s_or_b32 exec_lo, exec_lo, s21
	v_add_co_u32 v1, vcc_lo, v1, s2
	v_add_co_ci_u32_e32 v2, vcc_lo, s3, v2, vcc_lo
	s_addk_i32 s9, 0x100
	s_delay_alu instid0(SALU_CYCLE_1)
	s_cmp_ge_i32 s9, s7
	s_cbranch_scc1 .LBB278_13
.LBB278_11:                             ; =>This Inner Loop Header: Depth=1
	v_add_nc_u32_e32 v4, s9, v0
	s_mov_b32 s21, exec_lo
	s_delay_alu instid0(VALU_DEP_1)
	v_cmpx_gt_i32_e64 s7, v4
	s_cbranch_execz .LBB278_10
; %bb.12:                               ;   in Loop: Header=BB278_11 Depth=1
	v_mov_b32_e32 v4, v3
	global_store_b64 v[1:2], v[3:4], off
	s_branch .LBB278_10
.LBB278_13:
	s_cbranch_execz .LBB278_15
	s_branch .LBB278_20
.LBB278_14:
.LBB278_15:
	s_and_not1_b32 vcc_lo, exec_lo, s20
	s_cbranch_vccnz .LBB278_20
; %bb.16:
	v_mad_i64_i32 v[1:2], null, s8, v0, 0
	s_lshl_b64 s[2:3], s[10:11], 3
	s_ashr_i32 s9, s8, 31
	s_add_u32 s2, s16, s2
	s_addc_u32 s3, s17, s3
	s_delay_alu instid0(VALU_DEP_1) | instskip(NEXT) | instid1(VALU_DEP_1)
	v_lshlrev_b64 v[1:2], 3, v[1:2]
	v_add_co_u32 v1, vcc_lo, s2, v1
	s_delay_alu instid0(VALU_DEP_2)
	v_add_co_ci_u32_e32 v2, vcc_lo, s3, v2, vcc_lo
	s_lshl_b64 s[2:3], s[8:9], 11
	s_mov_b32 s9, 0
	s_branch .LBB278_18
	.p2align	6
.LBB278_17:                             ;   in Loop: Header=BB278_18 Depth=1
	s_or_b32 exec_lo, exec_lo, s20
	v_add_co_u32 v1, vcc_lo, v1, s2
	v_add_co_ci_u32_e32 v2, vcc_lo, s3, v2, vcc_lo
	s_addk_i32 s9, 0x100
	s_delay_alu instid0(SALU_CYCLE_1)
	s_cmp_ge_i32 s9, s7
	s_cbranch_scc1 .LBB278_20
.LBB278_18:                             ; =>This Inner Loop Header: Depth=1
	v_add_nc_u32_e32 v3, s9, v0
	s_mov_b32 s20, exec_lo
	s_delay_alu instid0(VALU_DEP_1)
	v_cmpx_gt_i32_e64 s7, v3
	s_cbranch_execz .LBB278_17
; %bb.19:                               ;   in Loop: Header=BB278_18 Depth=1
	global_load_b64 v[3:4], v[1:2], off
	s_waitcnt vmcnt(0)
	v_mul_f64 v[3:4], s[4:5], v[3:4]
	global_store_b64 v[1:2], v[3:4], off
	s_branch .LBB278_17
.LBB278_20:
	s_mov_b32 s2, 0
.LBB278_21:
	s_delay_alu instid0(SALU_CYCLE_1)
	s_and_not1_b32 vcc_lo, exec_lo, s2
	s_cbranch_vccnz .LBB278_39
; %bb.22:
	s_mov_b32 s2, exec_lo
	s_waitcnt lgkmcnt(0)
	v_cmpx_gt_i32_e64 s6, v0
	s_cbranch_execz .LBB278_24
; %bb.23:
	s_load_b32 s3, s[0:1], 0x48
	v_lshlrev_b32_e32 v3, 3, v0
	s_waitcnt lgkmcnt(0)
	v_mad_i64_i32 v[1:2], null, s3, v0, 0
	s_delay_alu instid0(VALU_DEP_1) | instskip(NEXT) | instid1(VALU_DEP_1)
	v_lshlrev_b64 v[1:2], 3, v[1:2]
	v_add_co_u32 v1, vcc_lo, s18, v1
	s_delay_alu instid0(VALU_DEP_2)
	v_add_co_ci_u32_e32 v2, vcc_lo, s19, v2, vcc_lo
	flat_load_b64 v[1:2], v[1:2]
	s_waitcnt vmcnt(0) lgkmcnt(0)
	v_mul_f64 v[1:2], s[14:15], v[1:2]
	ds_store_b64 v3, v[1:2]
.LBB278_24:
	s_or_b32 exec_lo, exec_lo, s2
	s_cmp_lt_i32 s7, 1
	s_waitcnt lgkmcnt(0)
	s_waitcnt_vscnt null, 0x0
	s_barrier
	buffer_gl0_inv
	s_cbranch_scc1 .LBB278_39
; %bb.25:
	s_load_b32 s2, s[0:1], 0x28
	v_cmp_neq_f64_e64 s14, s[4:5], 0
	s_lshl_b64 s[0:1], s[10:11], 3
	s_delay_alu instid0(SALU_CYCLE_1)
	s_add_u32 s9, s16, s0
	s_addc_u32 s10, s17, s1
	s_ashr_i32 s11, s8, 31
	s_mov_b32 s1, 0
	s_waitcnt lgkmcnt(0)
	v_mad_i64_i32 v[1:2], null, s2, v0, 0
	s_ashr_i32 s3, s2, 31
	s_cmp_gt_i32 s6, 0
	s_cselect_b32 s15, -1, 0
	s_and_b32 s16, s6, 7
	s_cmp_gt_u32 s6, 7
	s_delay_alu instid0(VALU_DEP_1) | instskip(SKIP_3) | instid1(VALU_DEP_1)
	v_lshlrev_b64 v[1:2], 3, v[1:2]
	s_cselect_b32 s17, -1, 0
	s_and_b32 s6, s6, 0x7ffffff8
	s_cmp_lg_u32 s16, 0
	v_add_co_u32 v1, vcc_lo, s12, v1
	s_delay_alu instid0(VALU_DEP_2)
	v_add_co_ci_u32_e32 v2, vcc_lo, s13, v2, vcc_lo
	s_cselect_b32 s12, -1, 0
	s_lshl_b64 s[2:3], s[2:3], 11
	s_mov_b32 s13, 0
	s_branch .LBB278_28
.LBB278_26:                             ;   in Loop: Header=BB278_28 Depth=1
	v_add_co_u32 v3, vcc_lo, s9, v3
	v_add_co_ci_u32_e32 v4, vcc_lo, s10, v4, vcc_lo
	global_store_b64 v[3:4], v[5:6], off
.LBB278_27:                             ;   in Loop: Header=BB278_28 Depth=1
	s_or_b32 exec_lo, exec_lo, s18
	v_add_co_u32 v1, vcc_lo, v1, s2
	v_add_co_ci_u32_e32 v2, vcc_lo, s3, v2, vcc_lo
	s_addk_i32 s13, 0x100
	s_delay_alu instid0(SALU_CYCLE_1)
	s_cmp_ge_i32 s13, s7
	s_cbranch_scc1 .LBB278_39
.LBB278_28:                             ; =>This Loop Header: Depth=1
                                        ;     Child Loop BB278_34 Depth 2
                                        ;     Child Loop BB278_38 Depth 2
	v_add_nc_u32_e32 v3, s13, v0
	s_mov_b32 s18, exec_lo
	s_delay_alu instid0(VALU_DEP_1)
	v_cmpx_gt_i32_e64 s7, v3
	s_cbranch_execz .LBB278_27
; %bb.29:                               ;   in Loop: Header=BB278_28 Depth=1
	v_mad_u64_u32 v[4:5], null, v3, s8, 0
	s_and_not1_b32 vcc_lo, exec_lo, s14
	s_delay_alu instid0(VALU_DEP_1) | instskip(NEXT) | instid1(VALU_DEP_1)
	v_mad_u64_u32 v[6:7], null, v3, s11, v[5:6]
	v_mov_b32_e32 v5, v6
	s_delay_alu instid0(VALU_DEP_1)
	v_lshlrev_b64 v[3:4], 3, v[4:5]
	s_cbranch_vccnz .LBB278_31
; %bb.30:                               ;   in Loop: Header=BB278_28 Depth=1
	s_delay_alu instid0(VALU_DEP_1) | instskip(NEXT) | instid1(VALU_DEP_2)
	v_add_co_u32 v5, vcc_lo, s9, v3
	v_add_co_ci_u32_e32 v6, vcc_lo, s10, v4, vcc_lo
	global_load_b64 v[5:6], v[5:6], off
	s_waitcnt vmcnt(0)
	v_mul_f64 v[5:6], s[4:5], v[5:6]
	s_and_not1_b32 vcc_lo, exec_lo, s15
	s_cbranch_vccz .LBB278_32
	s_branch .LBB278_26
.LBB278_31:                             ;   in Loop: Header=BB278_28 Depth=1
	v_mov_b32_e32 v5, 0
	v_mov_b32_e32 v6, 0
	s_and_not1_b32 vcc_lo, exec_lo, s15
	s_cbranch_vccnz .LBB278_26
.LBB278_32:                             ;   in Loop: Header=BB278_28 Depth=1
	s_and_not1_b32 vcc_lo, exec_lo, s17
	s_cbranch_vccnz .LBB278_36
; %bb.33:                               ;   in Loop: Header=BB278_28 Depth=1
	v_dual_mov_b32 v8, v2 :: v_dual_mov_b32 v7, v1
	s_mov_b32 s0, 0
	s_mov_b32 s19, 0
	s_set_inst_prefetch_distance 0x1
	.p2align	6
.LBB278_34:                             ;   Parent Loop BB278_28 Depth=1
                                        ; =>  This Inner Loop Header: Depth=2
	s_clause 0x3
	flat_load_b128 v[9:12], v[7:8]
	flat_load_b128 v[13:16], v[7:8] offset:16
	flat_load_b128 v[17:20], v[7:8] offset:32
	;; [unrolled: 1-line block ×3, first 2 shown]
	v_mov_b32_e32 v33, s0
	v_add_co_u32 v7, vcc_lo, v7, 64
	v_add_co_ci_u32_e32 v8, vcc_lo, 0, v8, vcc_lo
	ds_load_b128 v[25:28], v33
	ds_load_b128 v[29:32], v33 offset:16
	s_add_i32 s19, s19, 8
	s_add_i32 s0, s0, 64
	s_cmp_eq_u32 s6, s19
	s_waitcnt vmcnt(3) lgkmcnt(1)
	v_fma_f64 v[5:6], v[25:26], v[9:10], v[5:6]
	s_delay_alu instid0(VALU_DEP_1) | instskip(SKIP_1) | instid1(VALU_DEP_1)
	v_fma_f64 v[5:6], v[27:28], v[11:12], v[5:6]
	s_waitcnt vmcnt(2) lgkmcnt(0)
	v_fma_f64 v[5:6], v[29:30], v[13:14], v[5:6]
	s_delay_alu instid0(VALU_DEP_1) | instskip(SKIP_4) | instid1(VALU_DEP_1)
	v_fma_f64 v[5:6], v[31:32], v[15:16], v[5:6]
	ds_load_b128 v[9:12], v33 offset:32
	ds_load_b128 v[13:16], v33 offset:48
	s_waitcnt vmcnt(1) lgkmcnt(1)
	v_fma_f64 v[5:6], v[9:10], v[17:18], v[5:6]
	v_fma_f64 v[5:6], v[11:12], v[19:20], v[5:6]
	s_waitcnt vmcnt(0) lgkmcnt(0)
	s_delay_alu instid0(VALU_DEP_1) | instskip(NEXT) | instid1(VALU_DEP_1)
	v_fma_f64 v[5:6], v[13:14], v[21:22], v[5:6]
	v_fma_f64 v[5:6], v[15:16], v[23:24], v[5:6]
	s_cbranch_scc0 .LBB278_34
; %bb.35:                               ;   in Loop: Header=BB278_28 Depth=1
	s_set_inst_prefetch_distance 0x2
	s_mov_b32 s0, s6
	s_and_not1_b32 vcc_lo, exec_lo, s12
	s_cbranch_vccz .LBB278_37
	s_branch .LBB278_26
.LBB278_36:                             ;   in Loop: Header=BB278_28 Depth=1
	s_mov_b32 s0, 0
	s_and_not1_b32 vcc_lo, exec_lo, s12
	s_cbranch_vccnz .LBB278_26
.LBB278_37:                             ;   in Loop: Header=BB278_28 Depth=1
	s_lshl_b64 s[20:21], s[0:1], 3
	s_lshl_b32 s0, s0, 3
	v_add_co_u32 v7, vcc_lo, v1, s20
	v_add_co_ci_u32_e32 v8, vcc_lo, s21, v2, vcc_lo
	s_mov_b32 s19, s16
.LBB278_38:                             ;   Parent Loop BB278_28 Depth=1
                                        ; =>  This Inner Loop Header: Depth=2
	flat_load_b64 v[9:10], v[7:8]
	v_mov_b32_e32 v11, s0
	v_add_co_u32 v7, vcc_lo, v7, 8
	v_add_co_ci_u32_e32 v8, vcc_lo, 0, v8, vcc_lo
	ds_load_b64 v[11:12], v11
	s_add_i32 s19, s19, -1
	s_add_i32 s0, s0, 8
	s_cmp_lg_u32 s19, 0
	s_waitcnt vmcnt(0) lgkmcnt(0)
	v_fma_f64 v[5:6], v[11:12], v[9:10], v[5:6]
	s_cbranch_scc1 .LBB278_38
	s_branch .LBB278_26
.LBB278_39:
	s_nop 0
	s_sendmsg sendmsg(MSG_DEALLOC_VGPRS)
	s_endpgm
	.section	.rodata,"a",@progbits
	.p2align	6, 0x0
	.amdhsa_kernel _ZL22rocblas_gemvtsm_kernelILb1ELi256EPKdS1_KPdEviiT2_lPKT1_lilS7_lilS4_lPT3_lil
		.amdhsa_group_segment_fixed_size 512
		.amdhsa_private_segment_fixed_size 0
		.amdhsa_kernarg_size 136
		.amdhsa_user_sgpr_count 15
		.amdhsa_user_sgpr_dispatch_ptr 0
		.amdhsa_user_sgpr_queue_ptr 0
		.amdhsa_user_sgpr_kernarg_segment_ptr 1
		.amdhsa_user_sgpr_dispatch_id 0
		.amdhsa_user_sgpr_private_segment_size 0
		.amdhsa_wavefront_size32 1
		.amdhsa_uses_dynamic_stack 0
		.amdhsa_enable_private_segment 0
		.amdhsa_system_sgpr_workgroup_id_x 1
		.amdhsa_system_sgpr_workgroup_id_y 0
		.amdhsa_system_sgpr_workgroup_id_z 0
		.amdhsa_system_sgpr_workgroup_info 0
		.amdhsa_system_vgpr_workitem_id 0
		.amdhsa_next_free_vgpr 34
		.amdhsa_next_free_sgpr 22
		.amdhsa_reserve_vcc 1
		.amdhsa_float_round_mode_32 0
		.amdhsa_float_round_mode_16_64 0
		.amdhsa_float_denorm_mode_32 3
		.amdhsa_float_denorm_mode_16_64 3
		.amdhsa_dx10_clamp 1
		.amdhsa_ieee_mode 1
		.amdhsa_fp16_overflow 0
		.amdhsa_workgroup_processor_mode 1
		.amdhsa_memory_ordered 1
		.amdhsa_forward_progress 0
		.amdhsa_shared_vgpr_count 0
		.amdhsa_exception_fp_ieee_invalid_op 0
		.amdhsa_exception_fp_denorm_src 0
		.amdhsa_exception_fp_ieee_div_zero 0
		.amdhsa_exception_fp_ieee_overflow 0
		.amdhsa_exception_fp_ieee_underflow 0
		.amdhsa_exception_fp_ieee_inexact 0
		.amdhsa_exception_int_div_zero 0
	.end_amdhsa_kernel
	.section	.text._ZL22rocblas_gemvtsm_kernelILb1ELi256EPKdS1_KPdEviiT2_lPKT1_lilS7_lilS4_lPT3_lil,"axG",@progbits,_ZL22rocblas_gemvtsm_kernelILb1ELi256EPKdS1_KPdEviiT2_lPKT1_lilS7_lilS4_lPT3_lil,comdat
.Lfunc_end278:
	.size	_ZL22rocblas_gemvtsm_kernelILb1ELi256EPKdS1_KPdEviiT2_lPKT1_lilS7_lilS4_lPT3_lil, .Lfunc_end278-_ZL22rocblas_gemvtsm_kernelILb1ELi256EPKdS1_KPdEviiT2_lPKT1_lilS7_lilS4_lPT3_lil
                                        ; -- End function
	.section	.AMDGPU.csdata,"",@progbits
; Kernel info:
; codeLenInByte = 1516
; NumSgprs: 24
; NumVgprs: 34
; ScratchSize: 0
; MemoryBound: 0
; FloatMode: 240
; IeeeMode: 1
; LDSByteSize: 512 bytes/workgroup (compile time only)
; SGPRBlocks: 2
; VGPRBlocks: 4
; NumSGPRsForWavesPerEU: 24
; NumVGPRsForWavesPerEU: 34
; Occupancy: 16
; WaveLimiterHint : 1
; COMPUTE_PGM_RSRC2:SCRATCH_EN: 0
; COMPUTE_PGM_RSRC2:USER_SGPR: 15
; COMPUTE_PGM_RSRC2:TRAP_HANDLER: 0
; COMPUTE_PGM_RSRC2:TGID_X_EN: 1
; COMPUTE_PGM_RSRC2:TGID_Y_EN: 0
; COMPUTE_PGM_RSRC2:TGID_Z_EN: 0
; COMPUTE_PGM_RSRC2:TIDIG_COMP_CNT: 0
	.section	.text._ZL22rocblas_gemvtsm_kernelILb1ELi256EPKddKPdEviiT2_lPKT1_lilS7_lilS4_lPT3_lil,"axG",@progbits,_ZL22rocblas_gemvtsm_kernelILb1ELi256EPKddKPdEviiT2_lPKT1_lilS7_lilS4_lPT3_lil,comdat
	.globl	_ZL22rocblas_gemvtsm_kernelILb1ELi256EPKddKPdEviiT2_lPKT1_lilS7_lilS4_lPT3_lil ; -- Begin function _ZL22rocblas_gemvtsm_kernelILb1ELi256EPKddKPdEviiT2_lPKT1_lilS7_lilS4_lPT3_lil
	.p2align	8
	.type	_ZL22rocblas_gemvtsm_kernelILb1ELi256EPKddKPdEviiT2_lPKT1_lilS7_lilS4_lPT3_lil,@function
_ZL22rocblas_gemvtsm_kernelILb1ELi256EPKddKPdEviiT2_lPKT1_lilS7_lilS4_lPT3_lil: ; @_ZL22rocblas_gemvtsm_kernelILb1ELi256EPKddKPdEviiT2_lPKT1_lilS7_lilS4_lPT3_lil
; %bb.0:
	s_mov_b32 s2, s15
	s_clause 0x1
	s_load_b64 s[14:15], s[0:1], 0x8
	s_load_b64 s[8:9], s[0:1], 0x58
	s_waitcnt lgkmcnt(0)
	v_cmp_eq_f64_e64 s20, s[14:15], 0
	v_cmp_eq_f64_e64 s3, s[8:9], 1.0
	s_delay_alu instid0(VALU_DEP_1) | instskip(NEXT) | instid1(SALU_CYCLE_1)
	s_and_b32 s3, s20, s3
	s_and_b32 vcc_lo, exec_lo, s3
	s_cbranch_vccnz .LBB279_41
; %bb.1:
	v_cmp_neq_f64_e64 s4, s[14:15], 0
	s_delay_alu instid0(VALU_DEP_1)
	s_and_b32 vcc_lo, exec_lo, s4
	s_cbranch_vccnz .LBB279_3
; %bb.2:
	s_mov_b32 s3, 0
	s_mov_b64 s[12:13], 0
	s_cbranch_execz .LBB279_4
	s_branch .LBB279_5
.LBB279_3:
	s_mov_b32 s3, -1
                                        ; implicit-def: $sgpr12_sgpr13
.LBB279_4:
	s_load_b128 s[16:19], s[0:1], 0x18
	s_mov_b32 s3, 0
	s_delay_alu instid0(SALU_CYCLE_1)
	s_lshl_b64 s[6:7], s[2:3], 3
	s_waitcnt lgkmcnt(0)
	s_add_u32 s6, s16, s6
	s_addc_u32 s7, s17, s7
	s_lshl_b64 s[10:11], s[18:19], 3
	s_load_b64 s[6:7], s[6:7], 0x0
	s_waitcnt lgkmcnt(0)
	s_add_u32 s12, s6, s10
	s_addc_u32 s13, s7, s11
.LBB279_5:
	s_and_not1_b32 vcc_lo, exec_lo, s4
	s_cbranch_vccnz .LBB279_7
; %bb.6:
	s_load_b128 s[4:7], s[0:1], 0x38
	s_lshl_b64 s[10:11], s[2:3], 3
	s_waitcnt lgkmcnt(0)
	s_add_u32 s4, s4, s10
	s_addc_u32 s5, s5, s11
	s_lshl_b64 s[6:7], s[6:7], 3
	s_load_b64 s[4:5], s[4:5], 0x0
	s_waitcnt lgkmcnt(0)
	s_add_u32 s18, s4, s6
	s_addc_u32 s19, s5, s7
	s_branch .LBB279_8
.LBB279_7:
	s_mov_b64 s[18:19], 0
.LBB279_8:
	s_clause 0x1
	s_load_b128 s[4:7], s[0:1], 0x68
	s_load_b64 s[10:11], s[0:1], 0x0
	s_lshl_b64 s[2:3], s[2:3], 3
	s_waitcnt lgkmcnt(0)
	s_add_u32 s2, s4, s2
	s_addc_u32 s3, s5, s3
	s_load_b32 s4, s[0:1], 0x78
	s_load_b64 s[16:17], s[2:3], 0x0
	s_and_not1_b32 vcc_lo, exec_lo, s20
	s_mov_b32 s2, -1
	s_cbranch_vccnz .LBB279_23
; %bb.9:
	v_cmp_neq_f64_e64 s2, s[8:9], 0
	s_cmp_gt_i32 s11, 0
	s_cselect_b32 s20, -1, 0
	s_delay_alu instid0(SALU_CYCLE_1) | instskip(NEXT) | instid1(VALU_DEP_2)
	v_cndmask_b32_e64 v1, 0, 1, s20
	s_and_b32 vcc_lo, exec_lo, s2
	s_delay_alu instid0(VALU_DEP_1)
	v_cmp_ne_u32_e64 s2, 1, v1
	s_cbranch_vccnz .LBB279_16
; %bb.10:
	s_delay_alu instid0(VALU_DEP_1)
	s_and_b32 vcc_lo, exec_lo, s2
	s_cbranch_vccnz .LBB279_15
; %bb.11:
	s_waitcnt lgkmcnt(0)
	v_mad_i64_i32 v[1:2], null, s4, v0, 0
	s_lshl_b64 s[2:3], s[6:7], 3
	s_ashr_i32 s5, s4, 31
	s_add_u32 s2, s16, s2
	s_addc_u32 s3, s17, s3
	v_mov_b32_e32 v3, 0
	s_delay_alu instid0(VALU_DEP_2) | instskip(NEXT) | instid1(VALU_DEP_1)
	v_lshlrev_b64 v[1:2], 3, v[1:2]
	v_add_co_u32 v1, vcc_lo, s2, v1
	s_delay_alu instid0(VALU_DEP_2)
	v_add_co_ci_u32_e32 v2, vcc_lo, s3, v2, vcc_lo
	s_lshl_b64 s[2:3], s[4:5], 11
	s_mov_b32 s5, 0
	s_branch .LBB279_13
.LBB279_12:                             ;   in Loop: Header=BB279_13 Depth=1
	s_or_b32 exec_lo, exec_lo, s21
	v_add_co_u32 v1, vcc_lo, v1, s2
	v_add_co_ci_u32_e32 v2, vcc_lo, s3, v2, vcc_lo
	s_addk_i32 s5, 0x100
	s_delay_alu instid0(SALU_CYCLE_1)
	s_cmp_ge_i32 s5, s11
	s_cbranch_scc1 .LBB279_15
.LBB279_13:                             ; =>This Inner Loop Header: Depth=1
	v_add_nc_u32_e32 v4, s5, v0
	s_mov_b32 s21, exec_lo
	s_delay_alu instid0(VALU_DEP_1)
	v_cmpx_gt_i32_e64 s11, v4
	s_cbranch_execz .LBB279_12
; %bb.14:                               ;   in Loop: Header=BB279_13 Depth=1
	v_mov_b32_e32 v4, v3
	global_store_b64 v[1:2], v[3:4], off
	s_branch .LBB279_12
.LBB279_15:
	s_cbranch_execz .LBB279_17
	s_branch .LBB279_22
.LBB279_16:
.LBB279_17:
	s_and_not1_b32 vcc_lo, exec_lo, s20
	s_cbranch_vccnz .LBB279_22
; %bb.18:
	s_waitcnt lgkmcnt(0)
	v_mad_i64_i32 v[1:2], null, s4, v0, 0
	s_lshl_b64 s[2:3], s[6:7], 3
	s_ashr_i32 s5, s4, 31
	s_add_u32 s2, s16, s2
	s_addc_u32 s3, s17, s3
	s_delay_alu instid0(VALU_DEP_1) | instskip(NEXT) | instid1(VALU_DEP_1)
	v_lshlrev_b64 v[1:2], 3, v[1:2]
	v_add_co_u32 v1, vcc_lo, s2, v1
	s_delay_alu instid0(VALU_DEP_2)
	v_add_co_ci_u32_e32 v2, vcc_lo, s3, v2, vcc_lo
	s_lshl_b64 s[2:3], s[4:5], 11
	s_mov_b32 s5, 0
	s_branch .LBB279_20
	.p2align	6
.LBB279_19:                             ;   in Loop: Header=BB279_20 Depth=1
	s_or_b32 exec_lo, exec_lo, s20
	v_add_co_u32 v1, vcc_lo, v1, s2
	v_add_co_ci_u32_e32 v2, vcc_lo, s3, v2, vcc_lo
	s_addk_i32 s5, 0x100
	s_delay_alu instid0(SALU_CYCLE_1)
	s_cmp_ge_i32 s5, s11
	s_cbranch_scc1 .LBB279_22
.LBB279_20:                             ; =>This Inner Loop Header: Depth=1
	v_add_nc_u32_e32 v3, s5, v0
	s_mov_b32 s20, exec_lo
	s_delay_alu instid0(VALU_DEP_1)
	v_cmpx_gt_i32_e64 s11, v3
	s_cbranch_execz .LBB279_19
; %bb.21:                               ;   in Loop: Header=BB279_20 Depth=1
	global_load_b64 v[3:4], v[1:2], off
	s_waitcnt vmcnt(0)
	v_mul_f64 v[3:4], v[3:4], s[8:9]
	global_store_b64 v[1:2], v[3:4], off
	s_branch .LBB279_19
.LBB279_22:
	s_mov_b32 s2, 0
.LBB279_23:
	s_delay_alu instid0(SALU_CYCLE_1)
	s_and_not1_b32 vcc_lo, exec_lo, s2
	s_cbranch_vccnz .LBB279_41
; %bb.24:
	s_mov_b32 s2, exec_lo
	v_cmpx_gt_i32_e64 s10, v0
	s_cbranch_execz .LBB279_26
; %bb.25:
	s_load_b32 s3, s[0:1], 0x48
	v_lshlrev_b32_e32 v3, 3, v0
	s_waitcnt lgkmcnt(0)
	v_mad_i64_i32 v[1:2], null, s3, v0, 0
	s_delay_alu instid0(VALU_DEP_1) | instskip(NEXT) | instid1(VALU_DEP_1)
	v_lshlrev_b64 v[1:2], 3, v[1:2]
	v_add_co_u32 v1, vcc_lo, s18, v1
	s_delay_alu instid0(VALU_DEP_2)
	v_add_co_ci_u32_e32 v2, vcc_lo, s19, v2, vcc_lo
	flat_load_b64 v[1:2], v[1:2]
	s_waitcnt vmcnt(0) lgkmcnt(0)
	v_mul_f64 v[1:2], v[1:2], s[14:15]
	ds_store_b64 v3, v[1:2]
.LBB279_26:
	s_or_b32 exec_lo, exec_lo, s2
	s_cmp_lt_i32 s11, 1
	s_waitcnt lgkmcnt(0)
	s_waitcnt_vscnt null, 0x0
	s_barrier
	buffer_gl0_inv
	s_cbranch_scc1 .LBB279_41
; %bb.27:
	s_load_b32 s2, s[0:1], 0x28
	v_cmp_neq_f64_e64 s14, s[8:9], 0
	s_lshl_b64 s[0:1], s[6:7], 3
	s_delay_alu instid0(SALU_CYCLE_1)
	s_add_u32 s5, s16, s0
	s_addc_u32 s6, s17, s1
	s_ashr_i32 s7, s4, 31
	s_mov_b32 s1, 0
	s_waitcnt lgkmcnt(0)
	v_mad_i64_i32 v[1:2], null, s2, v0, 0
	s_ashr_i32 s3, s2, 31
	s_cmp_gt_i32 s10, 0
	s_cselect_b32 s15, -1, 0
	s_and_b32 s16, s10, 7
	s_cmp_gt_u32 s10, 7
	s_delay_alu instid0(VALU_DEP_1) | instskip(SKIP_3) | instid1(VALU_DEP_1)
	v_lshlrev_b64 v[1:2], 3, v[1:2]
	s_cselect_b32 s17, -1, 0
	s_and_b32 s10, s10, 0x7ffffff8
	s_cmp_lg_u32 s16, 0
	v_add_co_u32 v1, vcc_lo, s12, v1
	s_delay_alu instid0(VALU_DEP_2)
	v_add_co_ci_u32_e32 v2, vcc_lo, s13, v2, vcc_lo
	s_cselect_b32 s12, -1, 0
	s_lshl_b64 s[2:3], s[2:3], 11
	s_mov_b32 s13, 0
	s_branch .LBB279_30
.LBB279_28:                             ;   in Loop: Header=BB279_30 Depth=1
	v_add_co_u32 v3, vcc_lo, s5, v3
	v_add_co_ci_u32_e32 v4, vcc_lo, s6, v4, vcc_lo
	global_store_b64 v[3:4], v[5:6], off
.LBB279_29:                             ;   in Loop: Header=BB279_30 Depth=1
	s_or_b32 exec_lo, exec_lo, s18
	v_add_co_u32 v1, vcc_lo, v1, s2
	v_add_co_ci_u32_e32 v2, vcc_lo, s3, v2, vcc_lo
	s_addk_i32 s13, 0x100
	s_delay_alu instid0(SALU_CYCLE_1)
	s_cmp_ge_i32 s13, s11
	s_cbranch_scc1 .LBB279_41
.LBB279_30:                             ; =>This Loop Header: Depth=1
                                        ;     Child Loop BB279_36 Depth 2
                                        ;     Child Loop BB279_40 Depth 2
	v_add_nc_u32_e32 v3, s13, v0
	s_mov_b32 s18, exec_lo
	s_delay_alu instid0(VALU_DEP_1)
	v_cmpx_gt_i32_e64 s11, v3
	s_cbranch_execz .LBB279_29
; %bb.31:                               ;   in Loop: Header=BB279_30 Depth=1
	v_mad_u64_u32 v[4:5], null, v3, s4, 0
	s_and_not1_b32 vcc_lo, exec_lo, s14
	s_delay_alu instid0(VALU_DEP_1) | instskip(NEXT) | instid1(VALU_DEP_1)
	v_mad_u64_u32 v[6:7], null, v3, s7, v[5:6]
	v_mov_b32_e32 v5, v6
	s_delay_alu instid0(VALU_DEP_1)
	v_lshlrev_b64 v[3:4], 3, v[4:5]
	s_cbranch_vccnz .LBB279_33
; %bb.32:                               ;   in Loop: Header=BB279_30 Depth=1
	s_delay_alu instid0(VALU_DEP_1) | instskip(NEXT) | instid1(VALU_DEP_2)
	v_add_co_u32 v5, vcc_lo, s5, v3
	v_add_co_ci_u32_e32 v6, vcc_lo, s6, v4, vcc_lo
	global_load_b64 v[5:6], v[5:6], off
	s_waitcnt vmcnt(0)
	v_mul_f64 v[5:6], v[5:6], s[8:9]
	s_and_not1_b32 vcc_lo, exec_lo, s15
	s_cbranch_vccz .LBB279_34
	s_branch .LBB279_28
.LBB279_33:                             ;   in Loop: Header=BB279_30 Depth=1
	v_mov_b32_e32 v5, 0
	v_mov_b32_e32 v6, 0
	s_and_not1_b32 vcc_lo, exec_lo, s15
	s_cbranch_vccnz .LBB279_28
.LBB279_34:                             ;   in Loop: Header=BB279_30 Depth=1
	s_and_not1_b32 vcc_lo, exec_lo, s17
	s_cbranch_vccnz .LBB279_38
; %bb.35:                               ;   in Loop: Header=BB279_30 Depth=1
	v_dual_mov_b32 v8, v2 :: v_dual_mov_b32 v7, v1
	s_mov_b32 s0, 0
	s_mov_b32 s19, 0
	s_set_inst_prefetch_distance 0x1
	.p2align	6
.LBB279_36:                             ;   Parent Loop BB279_30 Depth=1
                                        ; =>  This Inner Loop Header: Depth=2
	s_clause 0x3
	flat_load_b128 v[9:12], v[7:8]
	flat_load_b128 v[13:16], v[7:8] offset:16
	flat_load_b128 v[17:20], v[7:8] offset:32
	;; [unrolled: 1-line block ×3, first 2 shown]
	v_mov_b32_e32 v33, s0
	v_add_co_u32 v7, vcc_lo, v7, 64
	v_add_co_ci_u32_e32 v8, vcc_lo, 0, v8, vcc_lo
	ds_load_b128 v[25:28], v33
	ds_load_b128 v[29:32], v33 offset:16
	s_add_i32 s19, s19, 8
	s_add_i32 s0, s0, 64
	s_cmp_eq_u32 s10, s19
	s_waitcnt vmcnt(3) lgkmcnt(1)
	v_fma_f64 v[5:6], v[25:26], v[9:10], v[5:6]
	s_delay_alu instid0(VALU_DEP_1) | instskip(SKIP_1) | instid1(VALU_DEP_1)
	v_fma_f64 v[5:6], v[27:28], v[11:12], v[5:6]
	s_waitcnt vmcnt(2) lgkmcnt(0)
	v_fma_f64 v[5:6], v[29:30], v[13:14], v[5:6]
	s_delay_alu instid0(VALU_DEP_1) | instskip(SKIP_4) | instid1(VALU_DEP_1)
	v_fma_f64 v[5:6], v[31:32], v[15:16], v[5:6]
	ds_load_b128 v[9:12], v33 offset:32
	ds_load_b128 v[13:16], v33 offset:48
	s_waitcnt vmcnt(1) lgkmcnt(1)
	v_fma_f64 v[5:6], v[9:10], v[17:18], v[5:6]
	v_fma_f64 v[5:6], v[11:12], v[19:20], v[5:6]
	s_waitcnt vmcnt(0) lgkmcnt(0)
	s_delay_alu instid0(VALU_DEP_1) | instskip(NEXT) | instid1(VALU_DEP_1)
	v_fma_f64 v[5:6], v[13:14], v[21:22], v[5:6]
	v_fma_f64 v[5:6], v[15:16], v[23:24], v[5:6]
	s_cbranch_scc0 .LBB279_36
; %bb.37:                               ;   in Loop: Header=BB279_30 Depth=1
	s_set_inst_prefetch_distance 0x2
	s_mov_b32 s0, s10
	s_and_not1_b32 vcc_lo, exec_lo, s12
	s_cbranch_vccz .LBB279_39
	s_branch .LBB279_28
.LBB279_38:                             ;   in Loop: Header=BB279_30 Depth=1
	s_mov_b32 s0, 0
	s_and_not1_b32 vcc_lo, exec_lo, s12
	s_cbranch_vccnz .LBB279_28
.LBB279_39:                             ;   in Loop: Header=BB279_30 Depth=1
	s_lshl_b64 s[20:21], s[0:1], 3
	s_lshl_b32 s0, s0, 3
	v_add_co_u32 v7, vcc_lo, v1, s20
	v_add_co_ci_u32_e32 v8, vcc_lo, s21, v2, vcc_lo
	s_mov_b32 s19, s16
.LBB279_40:                             ;   Parent Loop BB279_30 Depth=1
                                        ; =>  This Inner Loop Header: Depth=2
	flat_load_b64 v[9:10], v[7:8]
	v_mov_b32_e32 v11, s0
	v_add_co_u32 v7, vcc_lo, v7, 8
	v_add_co_ci_u32_e32 v8, vcc_lo, 0, v8, vcc_lo
	ds_load_b64 v[11:12], v11
	s_add_i32 s19, s19, -1
	s_add_i32 s0, s0, 8
	s_cmp_lg_u32 s19, 0
	s_waitcnt vmcnt(0) lgkmcnt(0)
	v_fma_f64 v[5:6], v[11:12], v[9:10], v[5:6]
	s_cbranch_scc1 .LBB279_40
	s_branch .LBB279_28
.LBB279_41:
	s_nop 0
	s_sendmsg sendmsg(MSG_DEALLOC_VGPRS)
	s_endpgm
	.section	.rodata,"a",@progbits
	.p2align	6, 0x0
	.amdhsa_kernel _ZL22rocblas_gemvtsm_kernelILb1ELi256EPKddKPdEviiT2_lPKT1_lilS7_lilS4_lPT3_lil
		.amdhsa_group_segment_fixed_size 512
		.amdhsa_private_segment_fixed_size 0
		.amdhsa_kernarg_size 136
		.amdhsa_user_sgpr_count 15
		.amdhsa_user_sgpr_dispatch_ptr 0
		.amdhsa_user_sgpr_queue_ptr 0
		.amdhsa_user_sgpr_kernarg_segment_ptr 1
		.amdhsa_user_sgpr_dispatch_id 0
		.amdhsa_user_sgpr_private_segment_size 0
		.amdhsa_wavefront_size32 1
		.amdhsa_uses_dynamic_stack 0
		.amdhsa_enable_private_segment 0
		.amdhsa_system_sgpr_workgroup_id_x 1
		.amdhsa_system_sgpr_workgroup_id_y 0
		.amdhsa_system_sgpr_workgroup_id_z 0
		.amdhsa_system_sgpr_workgroup_info 0
		.amdhsa_system_vgpr_workitem_id 0
		.amdhsa_next_free_vgpr 34
		.amdhsa_next_free_sgpr 22
		.amdhsa_reserve_vcc 1
		.amdhsa_float_round_mode_32 0
		.amdhsa_float_round_mode_16_64 0
		.amdhsa_float_denorm_mode_32 3
		.amdhsa_float_denorm_mode_16_64 3
		.amdhsa_dx10_clamp 1
		.amdhsa_ieee_mode 1
		.amdhsa_fp16_overflow 0
		.amdhsa_workgroup_processor_mode 1
		.amdhsa_memory_ordered 1
		.amdhsa_forward_progress 0
		.amdhsa_shared_vgpr_count 0
		.amdhsa_exception_fp_ieee_invalid_op 0
		.amdhsa_exception_fp_denorm_src 0
		.amdhsa_exception_fp_ieee_div_zero 0
		.amdhsa_exception_fp_ieee_overflow 0
		.amdhsa_exception_fp_ieee_underflow 0
		.amdhsa_exception_fp_ieee_inexact 0
		.amdhsa_exception_int_div_zero 0
	.end_amdhsa_kernel
	.section	.text._ZL22rocblas_gemvtsm_kernelILb1ELi256EPKddKPdEviiT2_lPKT1_lilS7_lilS4_lPT3_lil,"axG",@progbits,_ZL22rocblas_gemvtsm_kernelILb1ELi256EPKddKPdEviiT2_lPKT1_lilS7_lilS4_lPT3_lil,comdat
.Lfunc_end279:
	.size	_ZL22rocblas_gemvtsm_kernelILb1ELi256EPKddKPdEviiT2_lPKT1_lilS7_lilS4_lPT3_lil, .Lfunc_end279-_ZL22rocblas_gemvtsm_kernelILb1ELi256EPKddKPdEviiT2_lPKT1_lilS7_lilS4_lPT3_lil
                                        ; -- End function
	.section	.AMDGPU.csdata,"",@progbits
; Kernel info:
; codeLenInByte = 1472
; NumSgprs: 24
; NumVgprs: 34
; ScratchSize: 0
; MemoryBound: 0
; FloatMode: 240
; IeeeMode: 1
; LDSByteSize: 512 bytes/workgroup (compile time only)
; SGPRBlocks: 2
; VGPRBlocks: 4
; NumSGPRsForWavesPerEU: 24
; NumVGPRsForWavesPerEU: 34
; Occupancy: 16
; WaveLimiterHint : 1
; COMPUTE_PGM_RSRC2:SCRATCH_EN: 0
; COMPUTE_PGM_RSRC2:USER_SGPR: 15
; COMPUTE_PGM_RSRC2:TRAP_HANDLER: 0
; COMPUTE_PGM_RSRC2:TGID_X_EN: 1
; COMPUTE_PGM_RSRC2:TGID_Y_EN: 0
; COMPUTE_PGM_RSRC2:TGID_Z_EN: 0
; COMPUTE_PGM_RSRC2:TIDIG_COMP_CNT: 0
	.section	.text._ZL23rocblas_gemvt_sn_kernelILb1ELi256ELi4EiPKdS1_dEviiT4_lPKT3_lilS5_lilPT5_i,"axG",@progbits,_ZL23rocblas_gemvt_sn_kernelILb1ELi256ELi4EiPKdS1_dEviiT4_lPKT3_lilS5_lilPT5_i,comdat
	.globl	_ZL23rocblas_gemvt_sn_kernelILb1ELi256ELi4EiPKdS1_dEviiT4_lPKT3_lilS5_lilPT5_i ; -- Begin function _ZL23rocblas_gemvt_sn_kernelILb1ELi256ELi4EiPKdS1_dEviiT4_lPKT3_lilS5_lilPT5_i
	.p2align	8
	.type	_ZL23rocblas_gemvt_sn_kernelILb1ELi256ELi4EiPKdS1_dEviiT4_lPKT3_lilS5_lilPT5_i,@function
_ZL23rocblas_gemvt_sn_kernelILb1ELi256ELi4EiPKdS1_dEviiT4_lPKT3_lilS5_lilPT5_i: ; @_ZL23rocblas_gemvt_sn_kernelILb1ELi256ELi4EiPKdS1_dEviiT4_lPKT3_lilS5_lilPT5_i
; %bb.0:
	s_load_b256 s[4:11], s[0:1], 0x8
	s_mov_b32 s16, s15
	s_mov_b32 s17, 0
	s_mov_b64 s[24:25], 0
	s_waitcnt lgkmcnt(0)
	s_mul_i32 s2, s15, s7
	s_mul_hi_u32 s3, s15, s6
	s_delay_alu instid0(SALU_CYCLE_1) | instskip(SKIP_1) | instid1(SALU_CYCLE_1)
	s_add_i32 s3, s3, s2
	s_mul_i32 s2, s15, s6
	s_lshl_b64 s[2:3], s[2:3], 3
	s_delay_alu instid0(SALU_CYCLE_1)
	s_add_u32 s2, s4, s2
	s_addc_u32 s3, s5, s3
	s_load_b64 s[12:13], s[2:3], 0x0
	s_mov_b64 s[2:3], 0
	s_waitcnt lgkmcnt(0)
	v_cmp_eq_f64_e64 s4, s[12:13], 0
	v_cmp_neq_f64_e64 s5, s[12:13], 0
	s_delay_alu instid0(VALU_DEP_2)
	s_and_b32 vcc_lo, exec_lo, s4
	s_cbranch_vccnz .LBB280_2
; %bb.1:
	s_lshl_b64 s[2:3], s[16:17], 3
	s_delay_alu instid0(SALU_CYCLE_1)
	s_add_u32 s2, s8, s2
	s_addc_u32 s3, s9, s3
	s_lshl_b64 s[6:7], s[10:11], 3
	s_load_b64 s[2:3], s[2:3], 0x0
	s_waitcnt lgkmcnt(0)
	s_add_u32 s2, s2, s6
	s_addc_u32 s3, s3, s7
.LBB280_2:
	s_delay_alu instid0(VALU_DEP_1)
	s_and_not1_b32 vcc_lo, exec_lo, s5
	s_cbranch_vccnz .LBB280_4
; %bb.3:
	s_load_b128 s[8:11], s[0:1], 0x38
	s_lshl_b64 s[6:7], s[16:17], 3
	s_waitcnt lgkmcnt(0)
	s_add_u32 s6, s8, s6
	s_addc_u32 s7, s9, s7
	s_lshl_b64 s[8:9], s[10:11], 3
	s_load_b64 s[6:7], s[6:7], 0x0
	s_waitcnt lgkmcnt(0)
	s_add_u32 s24, s6, s8
	s_addc_u32 s25, s7, s9
.LBB280_4:
	s_clause 0x2
	s_load_b64 s[10:11], s[0:1], 0x0
	s_load_b32 s26, s[0:1], 0x68
	s_load_b64 s[6:7], s[0:1], 0x58
	s_mov_b32 s27, 0
	s_waitcnt lgkmcnt(0)
	s_ashr_i32 s8, s11, 31
	s_mul_hi_u32 s5, s11, s16
	s_mul_i32 s9, s8, s16
	s_mul_i32 s15, s11, s16
	s_add_i32 s5, s5, s9
	s_mul_hi_u32 s9, s15, s26
	s_mul_i32 s5, s5, s26
	s_mul_i32 s16, s15, s26
	s_add_i32 s17, s9, s5
	s_delay_alu instid0(SALU_CYCLE_1) | instskip(NEXT) | instid1(SALU_CYCLE_1)
	s_lshl_b64 s[16:17], s[16:17], 3
	s_add_u32 s33, s6, s16
	s_addc_u32 s36, s7, s17
	s_and_not1_b32 vcc_lo, exec_lo, s4
	s_mov_b32 s4, -1
	s_cbranch_vccnz .LBB280_9
; %bb.5:
	v_cmp_eq_u32_e32 vcc_lo, 0, v0
	s_cmp_gt_i32 s11, 0
	s_cselect_b32 s4, -1, 0
	s_delay_alu instid0(SALU_CYCLE_1) | instskip(NEXT) | instid1(SALU_CYCLE_1)
	s_and_b32 s4, vcc_lo, s4
	s_and_saveexec_b32 s9, s4
	s_cbranch_execz .LBB280_8
; %bb.6:
	v_mov_b32_e32 v1, 0
	s_mov_b32 s15, 0
	s_delay_alu instid0(SALU_CYCLE_1) | instskip(SKIP_1) | instid1(VALU_DEP_1)
	s_lshl_b64 s[4:5], s[14:15], 3
	s_mov_b32 s15, s11
	v_mov_b32_e32 v2, v1
	s_add_u32 s4, s33, s4
	s_addc_u32 s5, s36, s5
	s_lshl_b64 s[6:7], s[26:27], 3
.LBB280_7:                              ; =>This Inner Loop Header: Depth=1
	s_add_i32 s15, s15, -1
	global_store_b64 v1, v[1:2], s[4:5]
	s_add_u32 s4, s4, s6
	s_addc_u32 s5, s5, s7
	s_cmp_eq_u32 s15, 0
	s_cbranch_scc0 .LBB280_7
.LBB280_8:
	s_or_b32 exec_lo, exec_lo, s9
	s_mov_b32 s4, 0
.LBB280_9:
	s_delay_alu instid0(SALU_CYCLE_1)
	s_and_not1_b32 vcc_lo, exec_lo, s4
	s_cbranch_vccnz .LBB280_61
; %bb.10:
	s_clause 0x1
	s_load_b32 s28, s[0:1], 0x28
	s_load_b32 s9, s[0:1], 0x48
	s_lshl_b32 s4, s14, 10
	s_ashr_i32 s0, s10, 31
	v_lshl_or_b32 v1, v0, 2, s4
	s_lshr_b32 s0, s0, 30
	s_lshr_b32 s1, s8, 30
	s_add_i32 s0, s10, s0
	s_add_i32 s1, s11, s1
	v_ashrrev_i32_e32 v2, 31, v1
	s_and_b32 s0, s0, -4
	s_and_b32 s15, s1, -4
	s_sub_i32 s27, s10, s0
	v_add_nc_u32_e32 v37, 4, v1
	v_lshlrev_b64 v[2:3], 3, v[1:2]
	v_add_nc_u32_e32 v38, s27, v1
	v_and_b32_e32 v34, 31, v0
	v_cmp_gt_u32_e64 s0, 32, v0
	v_mbcnt_lo_u32_b32 v36, -1, 0
	v_cmp_gt_u32_e64 s1, 8, v0
	v_add_co_u32 v32, vcc_lo, s2, v2
	s_waitcnt lgkmcnt(0)
	v_mul_lo_u32 v17, v1, s9
	v_add_co_ci_u32_e32 v33, vcc_lo, s3, v3, vcc_lo
	v_lshrrev_b32_e32 v35, 2, v0
	v_cmp_eq_u32_e64 s2, 0, v0
	s_cmp_lt_i32 s15, 1
	s_cbranch_scc1 .LBB280_36
; %bb.11:
	v_cmp_gt_u32_e32 vcc_lo, 16, v36
	v_mul_lo_u32 v18, v1, s9
	s_mov_b32 s16, 0
	v_cmp_ge_i32_e64 s3, s10, v37
	v_cmp_ge_i32_e64 s4, s10, v38
	v_cndmask_b32_e64 v2, 0, 1, vcc_lo
	v_cmp_gt_u32_e32 vcc_lo, 24, v36
	v_cmp_eq_u32_e64 s5, 0, v34
	v_lshlrev_b32_e32 v44, 3, v34
	v_ashrrev_i32_e32 v19, 31, v18
	v_dual_mov_b32 v27, 0 :: v_dual_lshlrev_b32 v2, 4, v2
	v_cndmask_b32_e64 v3, 0, 1, vcc_lo
	v_cmp_gt_u32_e32 vcc_lo, 28, v36
	v_and_b32_e32 v45, 56, v35
	s_delay_alu instid0(VALU_DEP_4)
	v_add_lshl_u32 v39, v2, v36, 2
	s_cmp_gt_i32 s27, 0
	v_lshlrev_b32_e32 v2, 3, v3
	v_cndmask_b32_e64 v4, 0, 1, vcc_lo
	v_cmp_gt_u32_e32 vcc_lo, 30, v36
	s_mov_b32 s29, s16
	s_cselect_b32 s37, -1, 0
	v_add_lshl_u32 v40, v2, v36, 2
	v_lshlrev_b32_e32 v1, 2, v4
	v_cndmask_b32_e64 v5, 0, 1, vcc_lo
	v_cmp_ne_u32_e32 vcc_lo, 31, v36
	s_lshl_b32 s38, s28, 2
	s_lshl_b32 s39, s28, 1
	v_add_lshl_u32 v41, v1, v36, 2
	v_lshlrev_b32_e32 v3, 1, v5
	v_add_nc_u32_e32 v1, s9, v18
	v_add_co_ci_u32_e32 v4, vcc_lo, 0, v36, vcc_lo
	v_lshlrev_b64 v[5:6], 3, v[18:19]
	s_delay_alu instid0(VALU_DEP_4) | instskip(NEXT) | instid1(VALU_DEP_4)
	v_add_lshl_u32 v42, v3, v36, 2
	v_add_nc_u32_e32 v3, s9, v1
	v_ashrrev_i32_e32 v2, 31, v1
	v_lshlrev_b32_e32 v43, 2, v4
	s_mov_b32 s40, s16
	v_add_co_u32 v19, vcc_lo, s24, v5
	v_add_nc_u32_e32 v7, s9, v3
	v_lshlrev_b64 v[1:2], 3, v[1:2]
	v_ashrrev_i32_e32 v4, 31, v3
	v_add_co_ci_u32_e32 v20, vcc_lo, s25, v6, vcc_lo
	s_delay_alu instid0(VALU_DEP_4) | instskip(SKIP_1) | instid1(VALU_DEP_3)
	v_ashrrev_i32_e32 v8, 31, v7
	s_mul_i32 s41, s28, 3
	v_lshlrev_b64 v[3:4], 3, v[3:4]
	v_add_co_u32 v21, vcc_lo, s24, v1
	v_add_co_ci_u32_e32 v22, vcc_lo, s25, v2, vcc_lo
	v_lshlrev_b64 v[1:2], 3, v[7:8]
	s_delay_alu instid0(VALU_DEP_4) | instskip(SKIP_2) | instid1(VALU_DEP_3)
	v_add_co_u32 v23, vcc_lo, s24, v3
	v_add_co_ci_u32_e32 v24, vcc_lo, s25, v4, vcc_lo
	s_mov_b32 s42, s16
	v_add_co_u32 v25, vcc_lo, s24, v1
	s_delay_alu instid0(VALU_DEP_4)
	v_add_co_ci_u32_e32 v26, vcc_lo, s25, v2, vcc_lo
	s_mov_b32 s30, 0
	s_mov_b64 s[34:35], s[28:29]
	s_mov_b32 s29, 0
                                        ; implicit-def: $vgpr1_vgpr2_vgpr3_vgpr4_vgpr5_vgpr6_vgpr7_vgpr8
	s_branch .LBB280_13
.LBB280_12:                             ;   in Loop: Header=BB280_13 Depth=1
	s_or_b32 exec_lo, exec_lo, s6
	s_add_i32 s29, s29, 4
	s_add_u32 s34, s34, s38
	s_addc_u32 s35, s35, 0
	s_add_u32 s39, s39, s38
	s_addc_u32 s40, s40, 0
	;; [unrolled: 2-line block ×3, first 2 shown]
	s_add_i32 s30, s30, s38
	s_cmp_ge_i32 s29, s15
	s_cbranch_scc1 .LBB280_37
.LBB280_13:                             ; =>This Loop Header: Depth=1
                                        ;     Child Loop BB280_19 Depth 2
                                        ;     Child Loop BB280_22 Depth 2
                                        ;     Child Loop BB280_26 Depth 2
                                        ; implicit-def: $vgpr9_vgpr10_vgpr11_vgpr12_vgpr13_vgpr14_vgpr15_vgpr16
	s_and_saveexec_b32 s6, s3
	s_delay_alu instid0(SALU_CYCLE_1)
	s_xor_b32 s6, exec_lo, s6
	s_cbranch_execz .LBB280_15
; %bb.14:                               ;   in Loop: Header=BB280_13 Depth=1
	s_mul_i32 s18, s29, s28
	s_delay_alu instid0(SALU_CYCLE_1)
	s_ashr_i32 s19, s18, 31
	s_add_i32 s20, s18, s28
	s_lshl_b64 s[18:19], s[18:19], 3
	s_ashr_i32 s21, s20, 31
	v_add_co_u32 v7, vcc_lo, v32, s18
	v_add_co_ci_u32_e32 v8, vcc_lo, s19, v33, vcc_lo
	s_lshl_b64 s[18:19], s[20:21], 3
	s_add_i32 s20, s20, s28
	v_add_co_u32 v54, vcc_lo, v32, s18
	s_ashr_i32 s21, s20, 31
	s_add_i32 s18, s20, s28
	s_lshl_b64 s[20:21], s[20:21], 3
	v_add_co_ci_u32_e32 v55, vcc_lo, s19, v33, vcc_lo
	s_ashr_i32 s19, s18, 31
	v_add_co_u32 v58, vcc_lo, v32, s20
	s_lshl_b64 s[18:19], s[18:19], 3
	v_add_co_ci_u32_e32 v59, vcc_lo, s21, v33, vcc_lo
	v_add_co_u32 v62, vcc_lo, v32, s18
	v_add_co_ci_u32_e32 v63, vcc_lo, s19, v33, vcc_lo
	flat_load_b128 v[9:12], v[7:8]
	flat_load_b64 v[1:2], v[19:20]
	s_clause 0x2
	flat_load_b128 v[13:16], v[54:55]
	flat_load_b128 v[28:31], v[58:59]
	;; [unrolled: 1-line block ×3, first 2 shown]
	s_clause 0x1
	flat_load_b64 v[3:4], v[21:22]
	flat_load_b64 v[5:6], v[23:24]
	s_clause 0x3
	flat_load_b128 v[50:53], v[7:8] offset:16
	flat_load_b128 v[54:57], v[54:55] offset:16
	;; [unrolled: 1-line block ×4, first 2 shown]
	flat_load_b64 v[7:8], v[25:26]
	s_waitcnt vmcnt(10) lgkmcnt(10)
	v_fma_f64 v[9:10], v[1:2], v[9:10], 0
	s_waitcnt vmcnt(9) lgkmcnt(9)
	v_fma_f64 v[13:14], v[1:2], v[13:14], 0
	s_waitcnt vmcnt(8) lgkmcnt(8)
	v_fma_f64 v[28:29], v[1:2], v[28:29], 0
	s_waitcnt vmcnt(7) lgkmcnt(7)
	v_fma_f64 v[46:47], v[1:2], v[46:47], 0
	s_waitcnt vmcnt(6) lgkmcnt(6)
	s_delay_alu instid0(VALU_DEP_4) | instskip(NEXT) | instid1(VALU_DEP_4)
	v_fma_f64 v[9:10], v[3:4], v[11:12], v[9:10]
	v_fma_f64 v[11:12], v[3:4], v[15:16], v[13:14]
	s_delay_alu instid0(VALU_DEP_4) | instskip(NEXT) | instid1(VALU_DEP_4)
	v_fma_f64 v[13:14], v[3:4], v[30:31], v[28:29]
	v_fma_f64 v[15:16], v[3:4], v[48:49], v[46:47]
	s_waitcnt vmcnt(4) lgkmcnt(4)
	s_delay_alu instid0(VALU_DEP_4) | instskip(SKIP_1) | instid1(VALU_DEP_4)
	v_fma_f64 v[9:10], v[5:6], v[50:51], v[9:10]
	s_waitcnt vmcnt(3) lgkmcnt(3)
	v_fma_f64 v[11:12], v[5:6], v[54:55], v[11:12]
	s_waitcnt vmcnt(2) lgkmcnt(2)
	s_delay_alu instid0(VALU_DEP_4) | instskip(SKIP_1) | instid1(VALU_DEP_4)
	v_fma_f64 v[13:14], v[5:6], v[58:59], v[13:14]
	s_waitcnt vmcnt(1) lgkmcnt(1)
	v_fma_f64 v[15:16], v[5:6], v[62:63], v[15:16]
	s_waitcnt vmcnt(0) lgkmcnt(0)
	s_delay_alu instid0(VALU_DEP_4) | instskip(NEXT) | instid1(VALU_DEP_4)
	v_fma_f64 v[9:10], v[7:8], v[52:53], v[9:10]
	v_fma_f64 v[11:12], v[7:8], v[56:57], v[11:12]
	s_delay_alu instid0(VALU_DEP_4) | instskip(NEXT) | instid1(VALU_DEP_4)
	v_fma_f64 v[13:14], v[7:8], v[60:61], v[13:14]
	v_fma_f64 v[15:16], v[7:8], v[64:65], v[15:16]
.LBB280_15:                             ;   in Loop: Header=BB280_13 Depth=1
	s_and_not1_saveexec_b32 s43, s6
	s_cbranch_execz .LBB280_24
; %bb.16:                               ;   in Loop: Header=BB280_13 Depth=1
	s_mov_b32 s17, s16
	s_mov_b32 s18, s16
	;; [unrolled: 1-line block ×7, first 2 shown]
	v_dual_mov_b32 v9, s16 :: v_dual_mov_b32 v10, s17
	v_dual_mov_b32 v11, s18 :: v_dual_mov_b32 v12, s19
	;; [unrolled: 1-line block ×4, first 2 shown]
	s_and_saveexec_b32 s44, s4
	s_cbranch_execz .LBB280_23
; %bb.17:                               ;   in Loop: Header=BB280_13 Depth=1
	s_and_not1_b32 vcc_lo, exec_lo, s37
	s_cbranch_vccnz .LBB280_20
; %bb.18:                               ;   in Loop: Header=BB280_13 Depth=1
	v_mov_b32_e32 v9, v18
	s_mov_b64 s[18:19], 0
	s_set_inst_prefetch_distance 0x1
	.p2align	6
.LBB280_19:                             ;   Parent Loop BB280_13 Depth=1
                                        ; =>  This Inner Loop Header: Depth=2
	s_delay_alu instid0(VALU_DEP_1) | instskip(SKIP_1) | instid1(VALU_DEP_1)
	v_ashrrev_i32_e32 v10, 31, v9
	s_cmp_eq_u32 s18, 3
	v_lshlrev_b64 v[10:11], 3, v[9:10]
	s_delay_alu instid0(VALU_DEP_1) | instskip(NEXT) | instid1(VALU_DEP_2)
	v_add_co_u32 v10, vcc_lo, s24, v10
	v_add_co_ci_u32_e32 v11, vcc_lo, s25, v11, vcc_lo
	s_cselect_b32 vcc_lo, -1, 0
	s_cmp_eq_u32 s18, 2
	s_cselect_b32 s6, -1, 0
	flat_load_b64 v[10:11], v[10:11]
	s_cmp_eq_u32 s18, 1
	v_add_nc_u32_e32 v9, s9, v9
	s_cselect_b32 s7, -1, 0
	s_cmp_eq_u32 s18, 0
	s_cselect_b32 s8, -1, 0
	s_add_u32 s18, s18, 1
	s_addc_u32 s19, s19, 0
	s_cmp_eq_u32 s27, s18
	s_waitcnt vmcnt(0) lgkmcnt(0)
	v_dual_cndmask_b32 v8, v8, v11 :: v_dual_cndmask_b32 v7, v7, v10
	v_cndmask_b32_e64 v6, v6, v11, s6
	v_cndmask_b32_e64 v5, v5, v10, s6
	;; [unrolled: 1-line block ×6, first 2 shown]
	s_cbranch_scc0 .LBB280_19
.LBB280_20:                             ;   in Loop: Header=BB280_13 Depth=1
	s_set_inst_prefetch_distance 0x2
	s_mov_b32 s17, s16
	s_mov_b32 s18, s16
	;; [unrolled: 1-line block ×7, first 2 shown]
	v_dual_mov_b32 v9, s16 :: v_dual_mov_b32 v10, s17
	v_dual_mov_b32 v11, s18 :: v_dual_mov_b32 v12, s19
	;; [unrolled: 1-line block ×4, first 2 shown]
	s_and_not1_b32 vcc_lo, exec_lo, s37
	s_cbranch_vccnz .LBB280_23
; %bb.21:                               ;   in Loop: Header=BB280_13 Depth=1
	s_ashr_i32 s31, s30, 31
	v_mov_b32_e32 v9, 0
	v_mov_b32_e32 v10, 0
	s_lshl_b64 s[6:7], s[30:31], 3
	s_mov_b64 s[18:19], 0
	v_add_co_u32 v28, vcc_lo, v32, s6
	v_add_co_ci_u32_e32 v29, vcc_lo, s7, v33, vcc_lo
	v_dual_mov_b32 v12, v10 :: v_dual_mov_b32 v11, v9
	v_dual_mov_b32 v14, v10 :: v_dual_mov_b32 v13, v9
	;; [unrolled: 1-line block ×3, first 2 shown]
.LBB280_22:                             ;   Parent Loop BB280_13 Depth=1
                                        ; =>  This Inner Loop Header: Depth=2
	s_cmp_eq_u32 s18, 1
	s_cselect_b32 vcc_lo, -1, 0
	s_cmp_eq_u32 s18, 2
	v_dual_cndmask_b32 v30, v2, v4 :: v_dual_cndmask_b32 v53, v1, v3
	s_cselect_b32 s6, -1, 0
	s_cmp_eq_u32 s18, 3
	s_cselect_b32 s7, -1, 0
	s_add_i32 s20, s34, s18
	s_add_i32 s22, s39, s18
	s_ashr_i32 s21, s20, 31
	s_ashr_i32 s23, s22, 31
	s_lshl_b64 s[20:21], s[20:21], 3
	v_cndmask_b32_e64 v52, v30, v6, s6
	s_add_i32 s46, s41, s18
	v_add_co_u32 v30, s8, v32, s20
	s_lshl_b64 s[22:23], s[22:23], 3
	s_ashr_i32 s47, s46, 31
	v_add_co_ci_u32_e64 v31, s8, s21, v33, s8
	v_add_co_u32 v46, s8, v32, s22
	s_lshl_b64 s[46:47], s[46:47], 3
	v_add_co_ci_u32_e64 v47, s8, s23, v33, s8
	v_add_co_u32 v48, s8, v32, s46
	s_delay_alu instid0(VALU_DEP_1)
	v_add_co_ci_u32_e64 v49, s8, s47, v33, s8
	flat_load_b64 v[50:51], v[28:29]
	s_clause 0x2
	flat_load_b64 v[30:31], v[30:31]
	flat_load_b64 v[46:47], v[46:47]
	;; [unrolled: 1-line block ×3, first 2 shown]
	v_cndmask_b32_e64 v54, v53, v5, s6
	v_cndmask_b32_e64 v53, v52, v8, s7
	v_add_co_u32 v28, vcc_lo, v28, 8
	v_add_co_ci_u32_e32 v29, vcc_lo, 0, v29, vcc_lo
	s_delay_alu instid0(VALU_DEP_4)
	v_cndmask_b32_e64 v52, v54, v7, s7
	s_add_u32 s18, s18, 1
	s_addc_u32 s19, s19, 0
	s_cmp_lg_u32 s27, s18
	s_waitcnt vmcnt(3) lgkmcnt(3)
	v_fma_f64 v[9:10], v[52:53], v[50:51], v[9:10]
	s_waitcnt vmcnt(2) lgkmcnt(2)
	v_fma_f64 v[11:12], v[52:53], v[30:31], v[11:12]
	;; [unrolled: 2-line block ×4, first 2 shown]
	s_cbranch_scc1 .LBB280_22
.LBB280_23:                             ;   in Loop: Header=BB280_13 Depth=1
	s_or_b32 exec_lo, exec_lo, s44
.LBB280_24:                             ;   in Loop: Header=BB280_13 Depth=1
	s_delay_alu instid0(SALU_CYCLE_1)
	s_or_b32 exec_lo, exec_lo, s43
	s_mov_b64 s[6:7], 0
	s_branch .LBB280_26
.LBB280_25:                             ;   in Loop: Header=BB280_26 Depth=2
	s_or_b32 exec_lo, exec_lo, s8
	s_cmp_eq_u32 s6, 3
	s_cselect_b32 vcc_lo, -1, 0
	s_cmp_eq_u32 s6, 2
	s_waitcnt lgkmcnt(0)
	s_delay_alu instid0(VALU_DEP_1)
	v_dual_cndmask_b32 v16, v16, v29 :: v_dual_cndmask_b32 v15, v15, v28
	s_cselect_b32 vcc_lo, -1, 0
	s_cmp_eq_u32 s6, 1
	v_dual_cndmask_b32 v14, v14, v29 :: v_dual_cndmask_b32 v13, v13, v28
	s_cselect_b32 vcc_lo, -1, 0
	s_cmp_eq_u32 s6, 0
	v_dual_cndmask_b32 v12, v12, v29 :: v_dual_cndmask_b32 v11, v11, v28
	s_cselect_b32 vcc_lo, -1, 0
	s_add_u32 s6, s6, 1
	v_dual_cndmask_b32 v10, v10, v29 :: v_dual_cndmask_b32 v9, v9, v28
	s_addc_u32 s7, s7, 0
	s_cmp_eq_u32 s6, 4
	s_cbranch_scc1 .LBB280_34
.LBB280_26:                             ;   Parent Loop BB280_13 Depth=1
                                        ; =>  This Inner Loop Header: Depth=2
	s_and_saveexec_b32 s8, s0
	s_cbranch_execz .LBB280_28
; %bb.27:                               ;   in Loop: Header=BB280_26 Depth=2
	v_mov_b32_e32 v28, v27
	ds_store_b64 v44, v[27:28]
.LBB280_28:                             ;   in Loop: Header=BB280_26 Depth=2
	s_or_b32 exec_lo, exec_lo, s8
	s_cmp_eq_u32 s6, 1
	s_waitcnt lgkmcnt(0)
	s_waitcnt_vscnt null, 0x0
	s_cselect_b32 vcc_lo, -1, 0
	s_cmp_eq_u32 s6, 2
	s_delay_alu instid0(VALU_DEP_1) | instskip(SKIP_3) | instid1(VALU_DEP_1)
	v_dual_cndmask_b32 v28, v10, v12 :: v_dual_cndmask_b32 v29, v9, v11
	s_cselect_b32 vcc_lo, -1, 0
	s_cmp_eq_u32 s6, 3
	s_barrier
	v_cndmask_b32_e32 v28, v28, v14, vcc_lo
	s_delay_alu instid0(VALU_DEP_4)
	v_cndmask_b32_e32 v30, v29, v13, vcc_lo
	s_cselect_b32 vcc_lo, -1, 0
	buffer_gl0_inv
	v_dual_cndmask_b32 v29, v28, v16 :: v_dual_cndmask_b32 v28, v30, v15
	ds_bpermute_b32 v31, v39, v29
	ds_bpermute_b32 v30, v39, v28
	s_waitcnt lgkmcnt(0)
	v_add_f64 v[28:29], v[28:29], v[30:31]
	ds_bpermute_b32 v30, v40, v28
	ds_bpermute_b32 v31, v40, v29
	s_waitcnt lgkmcnt(0)
	v_add_f64 v[28:29], v[28:29], v[30:31]
	;; [unrolled: 4-line block ×4, first 2 shown]
	ds_bpermute_b32 v30, v43, v28
	ds_bpermute_b32 v31, v43, v29
	s_and_saveexec_b32 s8, s5
	s_cbranch_execz .LBB280_30
; %bb.29:                               ;   in Loop: Header=BB280_26 Depth=2
	s_waitcnt lgkmcnt(0)
	v_add_f64 v[28:29], v[28:29], v[30:31]
	ds_store_b64 v45, v[28:29]
.LBB280_30:                             ;   in Loop: Header=BB280_26 Depth=2
	s_or_b32 exec_lo, exec_lo, s8
	v_mov_b32_e32 v28, 0
	v_mov_b32_e32 v29, 0
	s_waitcnt lgkmcnt(0)
	s_barrier
	buffer_gl0_inv
	s_and_saveexec_b32 s8, s1
	s_cbranch_execz .LBB280_32
; %bb.31:                               ;   in Loop: Header=BB280_26 Depth=2
	ds_load_b64 v[28:29], v44
.LBB280_32:                             ;   in Loop: Header=BB280_26 Depth=2
	s_or_b32 exec_lo, exec_lo, s8
	s_and_saveexec_b32 s8, s0
	s_cbranch_execz .LBB280_25
; %bb.33:                               ;   in Loop: Header=BB280_26 Depth=2
	s_waitcnt lgkmcnt(0)
	ds_bpermute_b32 v30, v41, v28
	ds_bpermute_b32 v31, v41, v29
	s_waitcnt lgkmcnt(0)
	v_add_f64 v[28:29], v[28:29], v[30:31]
	ds_bpermute_b32 v30, v42, v28
	ds_bpermute_b32 v31, v42, v29
	s_waitcnt lgkmcnt(0)
	v_add_f64 v[28:29], v[28:29], v[30:31]
	;; [unrolled: 4-line block ×3, first 2 shown]
	s_branch .LBB280_25
.LBB280_34:                             ;   in Loop: Header=BB280_13 Depth=1
	s_and_saveexec_b32 s6, s2
	s_cbranch_execz .LBB280_12
; %bb.35:                               ;   in Loop: Header=BB280_13 Depth=1
	v_mul_f64 v[9:10], s[12:13], v[9:10]
	v_mul_f64 v[11:12], s[12:13], v[11:12]
	;; [unrolled: 1-line block ×4, first 2 shown]
	s_mul_i32 s7, s29, s26
	s_mov_b32 s19, s16
	s_add_i32 s18, s7, s14
	s_delay_alu instid0(SALU_CYCLE_1) | instskip(NEXT) | instid1(SALU_CYCLE_1)
	s_lshl_b64 s[20:21], s[18:19], 3
	s_add_u32 s20, s33, s20
	s_addc_u32 s21, s36, s21
	s_add_i32 s18, s18, s26
	s_delay_alu instid0(SALU_CYCLE_1) | instskip(NEXT) | instid1(SALU_CYCLE_1)
	s_lshl_b64 s[22:23], s[18:19], 3
	s_add_u32 s22, s33, s22
	s_addc_u32 s23, s36, s23
	;; [unrolled: 5-line block ×4, first 2 shown]
	s_clause 0x3
	global_store_b64 v27, v[9:10], s[20:21]
	global_store_b64 v27, v[11:12], s[22:23]
	;; [unrolled: 1-line block ×4, first 2 shown]
	s_branch .LBB280_12
.LBB280_36:
	s_mov_b32 s29, 0
                                        ; implicit-def: $vgpr1_vgpr2_vgpr3_vgpr4_vgpr5_vgpr6_vgpr7_vgpr8
.LBB280_37:
	s_delay_alu instid0(SALU_CYCLE_1)
	s_cmp_ge_i32 s29, s11
	s_cbranch_scc1 .LBB280_61
; %bb.38:
	v_cmp_gt_u32_e32 vcc_lo, 16, v36
	v_ashrrev_i32_e32 v18, 31, v17
	s_cmp_gt_i32 s27, 0
	s_mov_b32 s15, 0
	v_cmp_ge_i32_e64 s0, s10, v37
	v_cndmask_b32_e64 v9, 0, 1, vcc_lo
	v_cmp_gt_u32_e32 vcc_lo, 24, v36
	v_cmp_ge_i32_e64 s1, s10, v38
	s_cselect_b32 s10, -1, 0
	v_cmp_gt_u32_e64 s2, 32, v0
	v_lshlrev_b32_e32 v9, 4, v9
	v_cndmask_b32_e64 v10, 0, 1, vcc_lo
	v_cmp_gt_u32_e32 vcc_lo, 28, v36
	v_lshlrev_b32_e32 v24, 3, v34
	v_cmp_eq_u32_e64 s3, 0, v34
	v_add_lshl_u32 v25, v9, v36, 2
	v_add_nc_u32_e32 v9, s9, v17
	v_cndmask_b32_e64 v11, 0, 1, vcc_lo
	v_cmp_gt_u32_e32 vcc_lo, 30, v36
	v_lshlrev_b32_e32 v10, 3, v10
	v_and_b32_e32 v30, 56, v35
	v_cmp_gt_u32_e64 s4, 8, v0
	v_lshlrev_b32_e32 v11, 2, v11
	v_cndmask_b32_e64 v12, 0, 1, vcc_lo
	v_cmp_ne_u32_e32 vcc_lo, 31, v36
	v_add_lshl_u32 v26, v10, v36, 2
	v_ashrrev_i32_e32 v10, 31, v9
	v_add_lshl_u32 v27, v11, v36, 2
	v_add_nc_u32_e32 v11, s9, v9
	v_add_co_ci_u32_e32 v13, vcc_lo, 0, v36, vcc_lo
	v_lshlrev_b32_e32 v12, 1, v12
	v_lshlrev_b64 v[15:16], 3, v[9:10]
	v_cmp_eq_u32_e64 s5, 0, v0
	s_delay_alu instid0(VALU_DEP_4)
	v_lshlrev_b32_e32 v29, 2, v13
	v_lshlrev_b64 v[13:14], 3, v[17:18]
	v_add_nc_u32_e32 v18, s9, v11
	v_add_lshl_u32 v28, v12, v36, 2
	v_ashrrev_i32_e32 v12, 31, v11
	s_lshl_b64 s[6:7], s[14:15], 3
	s_mul_i32 s16, s29, s28
	v_add_co_u32 v9, vcc_lo, s24, v13
	v_ashrrev_i32_e32 v19, 31, v18
	v_add_co_ci_u32_e32 v10, vcc_lo, s25, v14, vcc_lo
	v_lshlrev_b64 v[13:14], 3, v[11:12]
	v_add_co_u32 v11, vcc_lo, s24, v15
	v_add_co_ci_u32_e32 v12, vcc_lo, s25, v16, vcc_lo
	v_lshlrev_b64 v[15:16], 3, v[18:19]
	v_mov_b32_e32 v18, 0
	v_add_co_u32 v13, vcc_lo, s24, v13
	v_add_co_ci_u32_e32 v14, vcc_lo, s25, v14, vcc_lo
	s_delay_alu instid0(VALU_DEP_4)
	v_add_co_u32 v15, vcc_lo, s24, v15
	v_add_co_ci_u32_e32 v16, vcc_lo, s25, v16, vcc_lo
	s_add_u32 s14, s33, s6
	s_addc_u32 s20, s36, s7
	s_branch .LBB280_40
.LBB280_39:                             ;   in Loop: Header=BB280_40 Depth=1
	s_or_b32 exec_lo, exec_lo, s6
	s_add_i32 s29, s29, 1
	s_add_i32 s16, s16, s28
	s_cmp_ge_i32 s29, s11
	s_cbranch_scc1 .LBB280_61
.LBB280_40:                             ; =>This Loop Header: Depth=1
                                        ;     Child Loop BB280_53 Depth 2
                                        ;     Child Loop BB280_56 Depth 2
	s_waitcnt lgkmcnt(0)
	v_dual_mov_b32 v20, s15 :: v_dual_mov_b32 v21, s15
	s_and_saveexec_b32 s6, s0
	s_delay_alu instid0(SALU_CYCLE_1)
	s_xor_b32 s6, exec_lo, s6
	s_cbranch_execnz .LBB280_49
; %bb.41:                               ;   in Loop: Header=BB280_40 Depth=1
	s_and_not1_saveexec_b32 s21, s6
	s_cbranch_execnz .LBB280_50
.LBB280_42:                             ;   in Loop: Header=BB280_40 Depth=1
	s_or_b32 exec_lo, exec_lo, s21
	s_and_saveexec_b32 s6, s2
	s_cbranch_execz .LBB280_44
.LBB280_43:                             ;   in Loop: Header=BB280_40 Depth=1
	v_mov_b32_e32 v19, v18
	ds_store_b64 v24, v[18:19]
.LBB280_44:                             ;   in Loop: Header=BB280_40 Depth=1
	s_or_b32 exec_lo, exec_lo, s6
	ds_bpermute_b32 v22, v25, v20
	ds_bpermute_b32 v23, v25, v21
	s_waitcnt lgkmcnt(0)
	s_waitcnt_vscnt null, 0x0
	s_barrier
	buffer_gl0_inv
	v_add_f64 v[19:20], v[20:21], v[22:23]
	ds_bpermute_b32 v21, v26, v19
	ds_bpermute_b32 v22, v26, v20
	s_waitcnt lgkmcnt(0)
	v_add_f64 v[19:20], v[19:20], v[21:22]
	ds_bpermute_b32 v21, v27, v19
	ds_bpermute_b32 v22, v27, v20
	s_waitcnt lgkmcnt(0)
	v_add_f64 v[19:20], v[19:20], v[21:22]
	ds_bpermute_b32 v21, v28, v19
	ds_bpermute_b32 v22, v28, v20
	s_waitcnt lgkmcnt(0)
	v_add_f64 v[19:20], v[19:20], v[21:22]
	ds_bpermute_b32 v21, v29, v19
	ds_bpermute_b32 v22, v29, v20
	s_and_saveexec_b32 s6, s3
	s_cbranch_execz .LBB280_46
; %bb.45:                               ;   in Loop: Header=BB280_40 Depth=1
	s_waitcnt lgkmcnt(0)
	v_add_f64 v[19:20], v[19:20], v[21:22]
	ds_store_b64 v30, v[19:20]
.LBB280_46:                             ;   in Loop: Header=BB280_40 Depth=1
	s_or_b32 exec_lo, exec_lo, s6
	v_mov_b32_e32 v19, 0
	v_mov_b32_e32 v20, 0
	s_waitcnt lgkmcnt(0)
	s_barrier
	buffer_gl0_inv
	s_and_saveexec_b32 s6, s4
	s_cbranch_execnz .LBB280_58
; %bb.47:                               ;   in Loop: Header=BB280_40 Depth=1
	s_or_b32 exec_lo, exec_lo, s6
	s_and_saveexec_b32 s6, s2
	s_cbranch_execnz .LBB280_59
.LBB280_48:                             ;   in Loop: Header=BB280_40 Depth=1
	s_or_b32 exec_lo, exec_lo, s6
	s_and_saveexec_b32 s6, s5
	s_cbranch_execz .LBB280_39
	s_branch .LBB280_60
.LBB280_49:                             ;   in Loop: Header=BB280_40 Depth=1
	s_mul_i32 s18, s29, s28
	s_delay_alu instid0(SALU_CYCLE_1) | instskip(NEXT) | instid1(SALU_CYCLE_1)
	s_ashr_i32 s19, s18, 31
	s_lshl_b64 s[18:19], s[18:19], 3
	s_delay_alu instid0(SALU_CYCLE_1)
	v_add_co_u32 v5, vcc_lo, v32, s18
	v_add_co_ci_u32_e32 v6, vcc_lo, s19, v33, vcc_lo
	flat_load_b128 v[19:22], v[5:6]
	s_clause 0x1
	flat_load_b64 v[1:2], v[9:10]
	flat_load_b64 v[3:4], v[11:12]
	flat_load_b128 v[34:37], v[5:6] offset:16
	s_clause 0x1
	flat_load_b64 v[5:6], v[13:14]
	flat_load_b64 v[7:8], v[15:16]
	s_waitcnt vmcnt(4) lgkmcnt(4)
	v_fma_f64 v[19:20], v[1:2], v[19:20], 0
	s_waitcnt vmcnt(3) lgkmcnt(3)
	s_delay_alu instid0(VALU_DEP_1) | instskip(SKIP_1) | instid1(VALU_DEP_1)
	v_fma_f64 v[19:20], v[3:4], v[21:22], v[19:20]
	s_waitcnt vmcnt(1) lgkmcnt(1)
	v_fma_f64 v[19:20], v[5:6], v[34:35], v[19:20]
	s_waitcnt vmcnt(0) lgkmcnt(0)
	s_delay_alu instid0(VALU_DEP_1)
	v_fma_f64 v[20:21], v[7:8], v[36:37], v[19:20]
	s_and_not1_saveexec_b32 s21, s6
	s_cbranch_execz .LBB280_42
.LBB280_50:                             ;   in Loop: Header=BB280_40 Depth=1
	s_and_saveexec_b32 s22, s1
	s_cbranch_execz .LBB280_57
; %bb.51:                               ;   in Loop: Header=BB280_40 Depth=1
	s_and_not1_b32 vcc_lo, exec_lo, s10
	s_cbranch_vccnz .LBB280_54
; %bb.52:                               ;   in Loop: Header=BB280_40 Depth=1
	v_mov_b32_e32 v22, v17
	s_mov_b64 s[18:19], 0
	s_set_inst_prefetch_distance 0x1
	.p2align	6
.LBB280_53:                             ;   Parent Loop BB280_40 Depth=1
                                        ; =>  This Inner Loop Header: Depth=2
	s_delay_alu instid0(VALU_DEP_1) | instskip(SKIP_1) | instid1(VALU_DEP_1)
	v_ashrrev_i32_e32 v23, 31, v22
	s_cmp_eq_u32 s18, 3
	v_lshlrev_b64 v[34:35], 3, v[22:23]
	v_add_nc_u32_e32 v22, s9, v22
	s_delay_alu instid0(VALU_DEP_2) | instskip(NEXT) | instid1(VALU_DEP_3)
	v_add_co_u32 v34, vcc_lo, s24, v34
	v_add_co_ci_u32_e32 v35, vcc_lo, s25, v35, vcc_lo
	s_cselect_b32 vcc_lo, -1, 0
	s_cmp_eq_u32 s18, 2
	s_cselect_b32 s6, -1, 0
	flat_load_b64 v[34:35], v[34:35]
	s_cmp_eq_u32 s18, 1
	s_cselect_b32 s7, -1, 0
	s_cmp_eq_u32 s18, 0
	s_cselect_b32 s8, -1, 0
	s_add_u32 s18, s18, 1
	s_addc_u32 s19, s19, 0
	s_cmp_eq_u32 s27, s18
	s_waitcnt vmcnt(0) lgkmcnt(0)
	v_dual_cndmask_b32 v8, v8, v35 :: v_dual_cndmask_b32 v7, v7, v34
	v_cndmask_b32_e64 v6, v6, v35, s6
	v_cndmask_b32_e64 v5, v5, v34, s6
	;; [unrolled: 1-line block ×6, first 2 shown]
	s_cbranch_scc0 .LBB280_53
.LBB280_54:                             ;   in Loop: Header=BB280_40 Depth=1
	s_set_inst_prefetch_distance 0x2
	s_and_not1_b32 vcc_lo, exec_lo, s10
	s_cbranch_vccnz .LBB280_57
; %bb.55:                               ;   in Loop: Header=BB280_40 Depth=1
	s_ashr_i32 s17, s16, 31
	s_delay_alu instid0(SALU_CYCLE_1) | instskip(NEXT) | instid1(SALU_CYCLE_1)
	s_lshl_b64 s[6:7], s[16:17], 3
	v_add_co_u32 v22, vcc_lo, v32, s6
	v_add_co_ci_u32_e32 v23, vcc_lo, s7, v33, vcc_lo
	s_mov_b64 s[6:7], 0
	.p2align	6
.LBB280_56:                             ;   Parent Loop BB280_40 Depth=1
                                        ; =>  This Inner Loop Header: Depth=2
	flat_load_b64 v[34:35], v[22:23]
	s_cmp_eq_u32 s6, 1
	s_cselect_b32 vcc_lo, -1, 0
	s_cmp_eq_u32 s6, 2
	v_dual_cndmask_b32 v0, v2, v4 :: v_dual_cndmask_b32 v19, v1, v3
	s_cselect_b32 vcc_lo, -1, 0
	s_cmp_eq_u32 s6, 3
	s_delay_alu instid0(VALU_DEP_1) | instskip(SKIP_3) | instid1(VALU_DEP_1)
	v_dual_cndmask_b32 v0, v0, v6 :: v_dual_cndmask_b32 v19, v19, v5
	s_cselect_b32 vcc_lo, -1, 0
	s_add_u32 s6, s6, 1
	s_addc_u32 s7, s7, 0
	v_dual_cndmask_b32 v37, v0, v8 :: v_dual_cndmask_b32 v36, v19, v7
	v_add_co_u32 v22, vcc_lo, v22, 8
	v_add_co_ci_u32_e32 v23, vcc_lo, 0, v23, vcc_lo
	s_cmp_lg_u32 s27, s6
	s_waitcnt vmcnt(0) lgkmcnt(0)
	v_fma_f64 v[20:21], v[36:37], v[34:35], v[20:21]
	s_cbranch_scc1 .LBB280_56
.LBB280_57:                             ;   in Loop: Header=BB280_40 Depth=1
	s_or_b32 exec_lo, exec_lo, s22
	s_delay_alu instid0(SALU_CYCLE_1)
	s_or_b32 exec_lo, exec_lo, s21
	s_and_saveexec_b32 s6, s2
	s_cbranch_execnz .LBB280_43
	s_branch .LBB280_44
.LBB280_58:                             ;   in Loop: Header=BB280_40 Depth=1
	ds_load_b64 v[19:20], v24
	s_or_b32 exec_lo, exec_lo, s6
	s_and_saveexec_b32 s6, s2
	s_cbranch_execz .LBB280_48
.LBB280_59:                             ;   in Loop: Header=BB280_40 Depth=1
	s_waitcnt lgkmcnt(0)
	ds_bpermute_b32 v21, v27, v19
	ds_bpermute_b32 v22, v27, v20
	s_waitcnt lgkmcnt(0)
	v_add_f64 v[19:20], v[19:20], v[21:22]
	ds_bpermute_b32 v21, v28, v19
	ds_bpermute_b32 v22, v28, v20
	s_waitcnt lgkmcnt(0)
	v_add_f64 v[19:20], v[19:20], v[21:22]
	;; [unrolled: 4-line block ×3, first 2 shown]
	s_or_b32 exec_lo, exec_lo, s6
	s_and_saveexec_b32 s6, s5
	s_cbranch_execz .LBB280_39
.LBB280_60:                             ;   in Loop: Header=BB280_40 Depth=1
	s_waitcnt lgkmcnt(0)
	s_delay_alu instid0(VALU_DEP_1) | instskip(SKIP_2) | instid1(SALU_CYCLE_1)
	v_mul_f64 v[19:20], s[12:13], v[19:20]
	s_mul_hi_u32 s19, s29, s26
	s_mul_i32 s18, s29, s26
	s_lshl_b64 s[18:19], s[18:19], 3
	s_delay_alu instid0(SALU_CYCLE_1)
	s_add_u32 s18, s14, s18
	s_addc_u32 s19, s20, s19
	global_store_b64 v18, v[19:20], s[18:19]
	s_branch .LBB280_39
.LBB280_61:
	s_nop 0
	s_sendmsg sendmsg(MSG_DEALLOC_VGPRS)
	s_endpgm
	.section	.rodata,"a",@progbits
	.p2align	6, 0x0
	.amdhsa_kernel _ZL23rocblas_gemvt_sn_kernelILb1ELi256ELi4EiPKdS1_dEviiT4_lPKT3_lilS5_lilPT5_i
		.amdhsa_group_segment_fixed_size 256
		.amdhsa_private_segment_fixed_size 0
		.amdhsa_kernarg_size 360
		.amdhsa_user_sgpr_count 14
		.amdhsa_user_sgpr_dispatch_ptr 0
		.amdhsa_user_sgpr_queue_ptr 0
		.amdhsa_user_sgpr_kernarg_segment_ptr 1
		.amdhsa_user_sgpr_dispatch_id 0
		.amdhsa_user_sgpr_private_segment_size 0
		.amdhsa_wavefront_size32 1
		.amdhsa_uses_dynamic_stack 0
		.amdhsa_enable_private_segment 0
		.amdhsa_system_sgpr_workgroup_id_x 1
		.amdhsa_system_sgpr_workgroup_id_y 0
		.amdhsa_system_sgpr_workgroup_id_z 1
		.amdhsa_system_sgpr_workgroup_info 0
		.amdhsa_system_vgpr_workitem_id 0
		.amdhsa_next_free_vgpr 66
		.amdhsa_next_free_sgpr 48
		.amdhsa_reserve_vcc 1
		.amdhsa_float_round_mode_32 0
		.amdhsa_float_round_mode_16_64 0
		.amdhsa_float_denorm_mode_32 3
		.amdhsa_float_denorm_mode_16_64 3
		.amdhsa_dx10_clamp 1
		.amdhsa_ieee_mode 1
		.amdhsa_fp16_overflow 0
		.amdhsa_workgroup_processor_mode 1
		.amdhsa_memory_ordered 1
		.amdhsa_forward_progress 0
		.amdhsa_shared_vgpr_count 0
		.amdhsa_exception_fp_ieee_invalid_op 0
		.amdhsa_exception_fp_denorm_src 0
		.amdhsa_exception_fp_ieee_div_zero 0
		.amdhsa_exception_fp_ieee_overflow 0
		.amdhsa_exception_fp_ieee_underflow 0
		.amdhsa_exception_fp_ieee_inexact 0
		.amdhsa_exception_int_div_zero 0
	.end_amdhsa_kernel
	.section	.text._ZL23rocblas_gemvt_sn_kernelILb1ELi256ELi4EiPKdS1_dEviiT4_lPKT3_lilS5_lilPT5_i,"axG",@progbits,_ZL23rocblas_gemvt_sn_kernelILb1ELi256ELi4EiPKdS1_dEviiT4_lPKT3_lilS5_lilPT5_i,comdat
.Lfunc_end280:
	.size	_ZL23rocblas_gemvt_sn_kernelILb1ELi256ELi4EiPKdS1_dEviiT4_lPKT3_lilS5_lilPT5_i, .Lfunc_end280-_ZL23rocblas_gemvt_sn_kernelILb1ELi256ELi4EiPKdS1_dEviiT4_lPKT3_lilS5_lilPT5_i
                                        ; -- End function
	.section	.AMDGPU.csdata,"",@progbits
; Kernel info:
; codeLenInByte = 4024
; NumSgprs: 50
; NumVgprs: 66
; ScratchSize: 0
; MemoryBound: 1
; FloatMode: 240
; IeeeMode: 1
; LDSByteSize: 256 bytes/workgroup (compile time only)
; SGPRBlocks: 6
; VGPRBlocks: 8
; NumSGPRsForWavesPerEU: 50
; NumVGPRsForWavesPerEU: 66
; Occupancy: 16
; WaveLimiterHint : 0
; COMPUTE_PGM_RSRC2:SCRATCH_EN: 0
; COMPUTE_PGM_RSRC2:USER_SGPR: 14
; COMPUTE_PGM_RSRC2:TRAP_HANDLER: 0
; COMPUTE_PGM_RSRC2:TGID_X_EN: 1
; COMPUTE_PGM_RSRC2:TGID_Y_EN: 0
; COMPUTE_PGM_RSRC2:TGID_Z_EN: 1
; COMPUTE_PGM_RSRC2:TIDIG_COMP_CNT: 0
	.section	.text._ZL23rocblas_gemvt_sn_kernelILb1ELi256ELi4ElPKdS1_dEviiT4_lPKT3_lilS5_lilPT5_i,"axG",@progbits,_ZL23rocblas_gemvt_sn_kernelILb1ELi256ELi4ElPKdS1_dEviiT4_lPKT3_lilS5_lilPT5_i,comdat
	.globl	_ZL23rocblas_gemvt_sn_kernelILb1ELi256ELi4ElPKdS1_dEviiT4_lPKT3_lilS5_lilPT5_i ; -- Begin function _ZL23rocblas_gemvt_sn_kernelILb1ELi256ELi4ElPKdS1_dEviiT4_lPKT3_lilS5_lilPT5_i
	.p2align	8
	.type	_ZL23rocblas_gemvt_sn_kernelILb1ELi256ELi4ElPKdS1_dEviiT4_lPKT3_lilS5_lilPT5_i,@function
_ZL23rocblas_gemvt_sn_kernelILb1ELi256ELi4ElPKdS1_dEviiT4_lPKT3_lilS5_lilPT5_i: ; @_ZL23rocblas_gemvt_sn_kernelILb1ELi256ELi4ElPKdS1_dEviiT4_lPKT3_lilS5_lilPT5_i
; %bb.0:
	s_load_b256 s[4:11], s[0:1], 0x8
	s_mov_b32 s2, s15
	s_mov_b64 s[30:31], 0
	s_mov_b64 s[28:29], 0
	s_waitcnt lgkmcnt(0)
	s_mul_i32 s3, s15, s7
	s_mul_hi_u32 s7, s15, s6
	s_mul_i32 s6, s15, s6
	s_add_i32 s7, s7, s3
	s_mov_b32 s3, 0
	s_lshl_b64 s[6:7], s[6:7], 3
	s_delay_alu instid0(SALU_CYCLE_1)
	s_add_u32 s4, s4, s6
	s_addc_u32 s5, s5, s7
	s_load_b64 s[12:13], s[4:5], 0x0
	s_waitcnt lgkmcnt(0)
	v_cmp_eq_f64_e64 s4, s[12:13], 0
	v_cmp_neq_f64_e64 s5, s[12:13], 0
	s_delay_alu instid0(VALU_DEP_2)
	s_and_b32 vcc_lo, exec_lo, s4
	s_cbranch_vccnz .LBB281_2
; %bb.1:
	s_lshl_b64 s[6:7], s[2:3], 3
	s_delay_alu instid0(SALU_CYCLE_1)
	s_add_u32 s6, s8, s6
	s_addc_u32 s7, s9, s7
	s_lshl_b64 s[8:9], s[10:11], 3
	s_load_b64 s[6:7], s[6:7], 0x0
	s_waitcnt lgkmcnt(0)
	s_add_u32 s28, s6, s8
	s_addc_u32 s29, s7, s9
.LBB281_2:
	s_delay_alu instid0(VALU_DEP_1)
	s_and_not1_b32 vcc_lo, exec_lo, s5
	s_cbranch_vccnz .LBB281_4
; %bb.3:
	s_load_b128 s[8:11], s[0:1], 0x38
	s_lshl_b64 s[6:7], s[2:3], 3
	s_waitcnt lgkmcnt(0)
	s_add_u32 s6, s8, s6
	s_addc_u32 s7, s9, s7
	s_lshl_b64 s[8:9], s[10:11], 3
	s_load_b64 s[6:7], s[6:7], 0x0
	s_waitcnt lgkmcnt(0)
	s_add_u32 s30, s6, s8
	s_addc_u32 s31, s7, s9
.LBB281_4:
	s_clause 0x2
	s_load_b64 s[10:11], s[0:1], 0x0
	s_load_b32 s24, s[0:1], 0x68
	s_load_b64 s[8:9], s[0:1], 0x58
	s_mov_b32 s25, 0
	s_waitcnt lgkmcnt(0)
	s_ashr_i32 s6, s11, 31
	s_mul_hi_u32 s3, s11, s2
	s_mul_i32 s5, s6, s2
	s_mul_i32 s2, s11, s2
	s_add_i32 s3, s3, s5
	s_mul_hi_u32 s5, s2, s24
	s_mul_i32 s3, s3, s24
	s_mul_i32 s2, s2, s24
	s_add_i32 s3, s5, s3
	s_delay_alu instid0(SALU_CYCLE_1) | instskip(NEXT) | instid1(SALU_CYCLE_1)
	s_lshl_b64 s[2:3], s[2:3], 3
	s_add_u32 s44, s8, s2
	s_addc_u32 s45, s9, s3
	s_and_not1_b32 vcc_lo, exec_lo, s4
	s_mov_b32 s2, -1
	s_cbranch_vccnz .LBB281_9
; %bb.5:
	v_cmp_eq_u32_e32 vcc_lo, 0, v0
	s_cmp_gt_i32 s11, 0
	s_cselect_b32 s2, -1, 0
	s_delay_alu instid0(SALU_CYCLE_1) | instskip(NEXT) | instid1(SALU_CYCLE_1)
	s_and_b32 s2, vcc_lo, s2
	s_and_saveexec_b32 s7, s2
	s_cbranch_execz .LBB281_8
; %bb.6:
	v_mov_b32_e32 v1, 0
	s_mov_b32 s15, 0
	s_mov_b32 s8, s11
	s_lshl_b64 s[2:3], s[14:15], 3
	s_delay_alu instid0(SALU_CYCLE_1)
	s_add_u32 s2, s44, s2
	v_mov_b32_e32 v2, v1
	s_addc_u32 s3, s45, s3
	s_lshl_b64 s[4:5], s[24:25], 3
.LBB281_7:                              ; =>This Inner Loop Header: Depth=1
	s_add_i32 s8, s8, -1
	global_store_b64 v1, v[1:2], s[2:3]
	s_add_u32 s2, s2, s4
	s_addc_u32 s3, s3, s5
	s_cmp_eq_u32 s8, 0
	s_cbranch_scc0 .LBB281_7
.LBB281_8:
	s_or_b32 exec_lo, exec_lo, s7
	s_mov_b32 s2, 0
.LBB281_9:
	s_delay_alu instid0(SALU_CYCLE_1)
	s_and_not1_b32 vcc_lo, exec_lo, s2
	s_cbranch_vccnz .LBB281_61
; %bb.10:
	s_lshl_b32 s2, s14, 10
	s_clause 0x1
	s_load_b32 s26, s[0:1], 0x28
	s_load_b32 s34, s[0:1], 0x48
	v_lshl_or_b32 v21, v0, 2, s2
	s_ashr_i32 s2, s10, 31
	s_lshr_b32 s1, s6, 30
	s_lshr_b32 s0, s2, 30
	s_add_i32 s1, s11, s1
	v_ashrrev_i32_e32 v22, 31, v21
	s_add_i32 s0, s10, s0
	s_and_b32 s46, s1, -4
	s_and_b32 s0, s0, -4
	v_add_nc_u32_e32 v44, 4, v21
	v_lshlrev_b64 v[19:20], 3, v[21:22]
	s_sub_i32 s25, s10, s0
	v_and_b32_e32 v41, 31, v0
	v_add_nc_u32_e32 v45, s25, v21
	v_cmp_gt_u32_e64 s0, 32, v0
	v_mbcnt_lo_u32_b32 v43, -1, 0
	v_add_co_u32 v17, vcc_lo, s28, v19
	v_add_co_ci_u32_e32 v18, vcc_lo, s29, v20, vcc_lo
	v_cmp_gt_u32_e64 s1, 8, v0
	v_lshrrev_b32_e32 v42, 2, v0
	v_cmp_eq_u32_e64 s2, 0, v0
	v_or_b32_e32 v40, 1, v21
	v_or_b32_e32 v39, 2, v21
	;; [unrolled: 1-line block ×3, first 2 shown]
	s_waitcnt lgkmcnt(0)
	s_ashr_i32 s27, s26, 31
	s_ashr_i32 s35, s34, 31
	s_cmp_lt_i32 s46, 1
	s_cbranch_scc1 .LBB281_36
; %bb.11:
	v_cmp_gt_u32_e32 vcc_lo, 16, v43
	v_mad_i64_i32 v[7:8], null, s34, v38, 0
	s_mov_b32 s16, 0
	s_cmp_gt_i32 s25, 0
	v_cndmask_b32_e64 v1, 0, 1, vcc_lo
	v_cmp_gt_u32_e32 vcc_lo, 24, v43
	s_mov_b32 s15, s16
	v_cmp_ge_i32_e64 s3, s10, v44
	v_cmp_ge_i32_e64 s4, s10, v45
	v_dual_mov_b32 v30, 0 :: v_dual_lshlrev_b32 v1, 4, v1
	v_cndmask_b32_e64 v2, 0, 1, vcc_lo
	v_cmp_gt_u32_e32 vcc_lo, 28, v43
	s_cselect_b32 s47, -1, 0
	s_delay_alu instid0(VALU_DEP_3) | instskip(NEXT) | instid1(VALU_DEP_3)
	v_add_lshl_u32 v46, v1, v43, 2
	v_dual_mov_b32 v33, v18 :: v_dual_lshlrev_b32 v2, 3, v2
	v_cndmask_b32_e64 v3, 0, 1, vcc_lo
	v_cmp_gt_u32_e32 vcc_lo, 30, v43
	v_mov_b32_e32 v32, v17
	v_cmp_eq_u32_e64 s5, 0, v41
	v_add_lshl_u32 v47, v2, v43, 2
	v_lshlrev_b32_e32 v3, 2, v3
	v_cndmask_b32_e64 v4, 0, 1, vcc_lo
	v_cmp_ne_u32_e32 vcc_lo, 31, v43
	v_mad_i64_i32 v[1:2], null, s34, v21, 0
	s_delay_alu instid0(VALU_DEP_4) | instskip(NEXT) | instid1(VALU_DEP_4)
	v_add_lshl_u32 v48, v3, v43, 2
	v_lshlrev_b32_e32 v4, 1, v4
	v_add_co_ci_u32_e32 v5, vcc_lo, 0, v43, vcc_lo
	v_lshlrev_b32_e32 v51, 3, v41
	s_lshl_b64 s[6:7], s[14:15], 3
	s_delay_alu instid0(VALU_DEP_3)
	v_add_lshl_u32 v49, v4, v43, 2
	v_mad_i64_i32 v[3:4], null, s34, v40, 0
	v_lshlrev_b32_e32 v50, 2, v5
	v_lshlrev_b64 v[1:2], 3, v[1:2]
	v_mad_i64_i32 v[5:6], null, s34, v39, 0
	v_and_b32_e32 v52, 56, v42
	s_add_u32 s15, s44, s6
	v_lshlrev_b64 v[3:4], 3, v[3:4]
	s_delay_alu instid0(VALU_DEP_4) | instskip(SKIP_2) | instid1(VALU_DEP_4)
	v_add_co_u32 v22, vcc_lo, s30, v1
	v_add_co_ci_u32_e32 v23, vcc_lo, s31, v2, vcc_lo
	v_lshlrev_b64 v[1:2], 3, v[5:6]
	v_add_co_u32 v24, vcc_lo, s30, v3
	v_add_co_ci_u32_e32 v25, vcc_lo, s31, v4, vcc_lo
	v_lshlrev_b64 v[3:4], 3, v[7:8]
	s_delay_alu instid0(VALU_DEP_4) | instskip(SKIP_2) | instid1(VALU_DEP_3)
	v_add_co_u32 v26, vcc_lo, s30, v1
	v_add_co_ci_u32_e32 v27, vcc_lo, s31, v2, vcc_lo
	s_addc_u32 s48, s45, s7
	v_add_co_u32 v28, vcc_lo, s30, v3
	s_delay_alu instid0(VALU_DEP_4)
	v_add_co_ci_u32_e32 v29, vcc_lo, s31, v4, vcc_lo
	s_lshl_b64 s[36:37], s[34:35], 3
	s_mul_hi_i32 s49, s26, 24
	s_mul_i32 s50, s26, 24
	s_lshl_b64 s[38:39], s[26:27], 5
	s_lshl_b64 s[40:41], s[26:27], 4
	;; [unrolled: 1-line block ×3, first 2 shown]
	s_mov_b32 s33, 0
                                        ; implicit-def: $vgpr1_vgpr2_vgpr3_vgpr4_vgpr5_vgpr6_vgpr7_vgpr8
	s_branch .LBB281_13
.LBB281_12:                             ;   in Loop: Header=BB281_13 Depth=1
	s_or_b32 exec_lo, exec_lo, s6
	v_add_co_u32 v32, vcc_lo, v32, s38
	v_add_co_ci_u32_e32 v33, vcc_lo, s39, v33, vcc_lo
	s_add_i32 s33, s33, 4
	s_delay_alu instid0(SALU_CYCLE_1)
	s_cmp_ge_i32 s33, s46
	s_cbranch_scc1 .LBB281_37
.LBB281_13:                             ; =>This Loop Header: Depth=1
                                        ;     Child Loop BB281_19 Depth 2
                                        ;     Child Loop BB281_22 Depth 2
	;; [unrolled: 1-line block ×3, first 2 shown]
                                        ; implicit-def: $vgpr9_vgpr10_vgpr11_vgpr12_vgpr13_vgpr14_vgpr15_vgpr16
	s_and_saveexec_b32 s6, s3
	s_delay_alu instid0(SALU_CYCLE_1)
	s_xor_b32 s6, exec_lo, s6
	s_cbranch_execz .LBB281_15
; %bb.14:                               ;   in Loop: Header=BB281_13 Depth=1
	s_mul_i32 s7, s33, s27
	s_mul_hi_u32 s8, s33, s26
	s_delay_alu instid0(SALU_CYCLE_1)
	s_add_i32 s9, s8, s7
	s_mul_i32 s8, s33, s26
	s_or_b32 s7, s33, 1
	s_lshl_b64 s[8:9], s[8:9], 3
	s_mul_i32 s17, s7, s27
	s_mul_hi_u32 s18, s7, s26
	v_add_co_u32 v7, vcc_lo, v17, s8
	v_add_co_ci_u32_e32 v8, vcc_lo, s9, v18, vcc_lo
	s_add_i32 s9, s18, s17
	s_mul_i32 s8, s7, s26
	s_or_b32 s7, s33, 2
	s_lshl_b64 s[8:9], s[8:9], 3
	s_mul_i32 s17, s7, s27
	s_mul_hi_u32 s18, s7, s26
	v_add_co_u32 v61, vcc_lo, v17, s8
	v_add_co_ci_u32_e32 v62, vcc_lo, s9, v18, vcc_lo
	s_add_i32 s9, s18, s17
	s_or_b32 s17, s33, 3
	s_mul_i32 s8, s7, s26
	s_mul_i32 s7, s17, s27
	s_mul_hi_u32 s18, s17, s26
	s_lshl_b64 s[8:9], s[8:9], 3
	s_add_i32 s19, s18, s7
	s_mul_i32 s18, s17, s26
	v_add_co_u32 v65, vcc_lo, v17, s8
	v_add_co_ci_u32_e32 v66, vcc_lo, s9, v18, vcc_lo
	s_lshl_b64 s[8:9], s[18:19], 3
	s_delay_alu instid0(SALU_CYCLE_1)
	v_add_co_u32 v69, vcc_lo, v17, s8
	v_add_co_ci_u32_e32 v70, vcc_lo, s9, v18, vcc_lo
	flat_load_b128 v[9:12], v[7:8]
	flat_load_b64 v[1:2], v[22:23]
	s_clause 0x2
	flat_load_b128 v[13:16], v[61:62]
	flat_load_b128 v[34:37], v[65:66]
	;; [unrolled: 1-line block ×3, first 2 shown]
	s_clause 0x1
	flat_load_b64 v[3:4], v[24:25]
	flat_load_b64 v[5:6], v[26:27]
	s_clause 0x3
	flat_load_b128 v[57:60], v[7:8] offset:16
	flat_load_b128 v[61:64], v[61:62] offset:16
	;; [unrolled: 1-line block ×4, first 2 shown]
	flat_load_b64 v[7:8], v[28:29]
	s_waitcnt vmcnt(10) lgkmcnt(10)
	v_fma_f64 v[9:10], v[1:2], v[9:10], 0
	s_waitcnt vmcnt(9) lgkmcnt(9)
	v_fma_f64 v[13:14], v[1:2], v[13:14], 0
	;; [unrolled: 2-line block ×4, first 2 shown]
	s_waitcnt vmcnt(6) lgkmcnt(6)
	s_delay_alu instid0(VALU_DEP_4) | instskip(NEXT) | instid1(VALU_DEP_4)
	v_fma_f64 v[9:10], v[3:4], v[11:12], v[9:10]
	v_fma_f64 v[11:12], v[3:4], v[15:16], v[13:14]
	s_delay_alu instid0(VALU_DEP_4) | instskip(NEXT) | instid1(VALU_DEP_4)
	v_fma_f64 v[13:14], v[3:4], v[36:37], v[34:35]
	v_fma_f64 v[15:16], v[3:4], v[55:56], v[53:54]
	s_waitcnt vmcnt(4) lgkmcnt(4)
	s_delay_alu instid0(VALU_DEP_4) | instskip(SKIP_1) | instid1(VALU_DEP_4)
	v_fma_f64 v[9:10], v[5:6], v[57:58], v[9:10]
	s_waitcnt vmcnt(3) lgkmcnt(3)
	v_fma_f64 v[11:12], v[5:6], v[61:62], v[11:12]
	s_waitcnt vmcnt(2) lgkmcnt(2)
	s_delay_alu instid0(VALU_DEP_4) | instskip(SKIP_1) | instid1(VALU_DEP_4)
	v_fma_f64 v[13:14], v[5:6], v[65:66], v[13:14]
	s_waitcnt vmcnt(1) lgkmcnt(1)
	v_fma_f64 v[15:16], v[5:6], v[69:70], v[15:16]
	s_waitcnt vmcnt(0) lgkmcnt(0)
	s_delay_alu instid0(VALU_DEP_4) | instskip(NEXT) | instid1(VALU_DEP_4)
	v_fma_f64 v[9:10], v[7:8], v[59:60], v[9:10]
	v_fma_f64 v[11:12], v[7:8], v[63:64], v[11:12]
	s_delay_alu instid0(VALU_DEP_4) | instskip(NEXT) | instid1(VALU_DEP_4)
	v_fma_f64 v[13:14], v[7:8], v[67:68], v[13:14]
	v_fma_f64 v[15:16], v[7:8], v[71:72], v[15:16]
.LBB281_15:                             ;   in Loop: Header=BB281_13 Depth=1
	s_and_not1_saveexec_b32 s51, s6
	s_cbranch_execz .LBB281_24
; %bb.16:                               ;   in Loop: Header=BB281_13 Depth=1
	s_mov_b32 s17, s16
	s_mov_b32 s18, s16
	;; [unrolled: 1-line block ×7, first 2 shown]
	v_dual_mov_b32 v9, s16 :: v_dual_mov_b32 v10, s17
	v_dual_mov_b32 v11, s18 :: v_dual_mov_b32 v12, s19
	;; [unrolled: 1-line block ×4, first 2 shown]
	s_and_saveexec_b32 s52, s4
	s_cbranch_execz .LBB281_23
; %bb.17:                               ;   in Loop: Header=BB281_13 Depth=1
	s_and_not1_b32 vcc_lo, exec_lo, s47
	s_cbranch_vccnz .LBB281_20
; %bb.18:                               ;   in Loop: Header=BB281_13 Depth=1
	v_dual_mov_b32 v9, v22 :: v_dual_mov_b32 v10, v23
	s_mov_b64 s[18:19], 0
	.p2align	6
.LBB281_19:                             ;   Parent Loop BB281_13 Depth=1
                                        ; =>  This Inner Loop Header: Depth=2
	flat_load_b64 v[11:12], v[9:10]
	v_add_co_u32 v9, vcc_lo, v9, s36
	s_cmp_eq_u32 s18, 3
	v_add_co_ci_u32_e32 v10, vcc_lo, s37, v10, vcc_lo
	s_cselect_b32 vcc_lo, -1, 0
	s_cmp_eq_u32 s18, 2
	s_cselect_b32 s6, -1, 0
	s_cmp_eq_u32 s18, 1
	s_cselect_b32 s7, -1, 0
	;; [unrolled: 2-line block ×3, first 2 shown]
	s_add_u32 s18, s18, 1
	s_addc_u32 s19, s19, 0
	s_cmp_eq_u32 s25, s18
	s_waitcnt vmcnt(0) lgkmcnt(0)
	v_dual_cndmask_b32 v8, v8, v12 :: v_dual_cndmask_b32 v7, v7, v11
	v_cndmask_b32_e64 v6, v6, v12, s6
	v_cndmask_b32_e64 v5, v5, v11, s6
	;; [unrolled: 1-line block ×6, first 2 shown]
	s_cbranch_scc0 .LBB281_19
.LBB281_20:                             ;   in Loop: Header=BB281_13 Depth=1
	s_mov_b32 s17, s16
	s_mov_b32 s18, s16
	;; [unrolled: 1-line block ×7, first 2 shown]
	v_dual_mov_b32 v9, s16 :: v_dual_mov_b32 v10, s17
	v_dual_mov_b32 v11, s18 :: v_dual_mov_b32 v12, s19
	;; [unrolled: 1-line block ×4, first 2 shown]
	s_and_not1_b32 vcc_lo, exec_lo, s47
	s_cbranch_vccnz .LBB281_23
; %bb.21:                               ;   in Loop: Header=BB281_13 Depth=1
	v_mov_b32_e32 v9, 0
	v_dual_mov_b32 v10, 0 :: v_dual_mov_b32 v35, v33
	v_mov_b32_e32 v34, v32
	s_mov_b64 s[8:9], 0
	s_delay_alu instid0(VALU_DEP_2)
	v_dual_mov_b32 v12, v10 :: v_dual_mov_b32 v11, v9
	v_dual_mov_b32 v14, v10 :: v_dual_mov_b32 v13, v9
	;; [unrolled: 1-line block ×3, first 2 shown]
	s_set_inst_prefetch_distance 0x1
	.p2align	6
.LBB281_22:                             ;   Parent Loop BB281_13 Depth=1
                                        ; =>  This Inner Loop Header: Depth=2
	v_add_co_u32 v36, vcc_lo, v34, s42
	v_add_co_ci_u32_e32 v37, vcc_lo, s43, v35, vcc_lo
	v_add_co_u32 v53, vcc_lo, v34, s40
	v_add_co_ci_u32_e32 v54, vcc_lo, s41, v35, vcc_lo
	;; [unrolled: 2-line block ×3, first 2 shown]
	s_clause 0x3
	flat_load_b64 v[57:58], v[34:35]
	flat_load_b64 v[36:37], v[36:37]
	;; [unrolled: 1-line block ×4, first 2 shown]
	s_cmp_eq_u32 s8, 1
	s_cselect_b32 vcc_lo, -1, 0
	s_cmp_eq_u32 s8, 2
	v_cndmask_b32_e32 v31, v2, v4, vcc_lo
	v_cndmask_b32_e32 v59, v1, v3, vcc_lo
	s_cselect_b32 vcc_lo, -1, 0
	s_cmp_eq_u32 s8, 3
	s_delay_alu instid0(VALU_DEP_2) | instskip(NEXT) | instid1(VALU_DEP_2)
	v_cndmask_b32_e32 v31, v31, v6, vcc_lo
	v_cndmask_b32_e32 v59, v59, v5, vcc_lo
	s_cselect_b32 s6, -1, 0
	v_add_co_u32 v34, vcc_lo, v34, 8
	s_delay_alu instid0(VALU_DEP_3) | instskip(NEXT) | instid1(VALU_DEP_3)
	v_cndmask_b32_e64 v60, v31, v8, s6
	v_cndmask_b32_e64 v59, v59, v7, s6
	v_add_co_ci_u32_e32 v35, vcc_lo, 0, v35, vcc_lo
	s_add_u32 s8, s8, 1
	s_addc_u32 s9, s9, 0
	s_cmp_lg_u32 s25, s8
	s_waitcnt vmcnt(3) lgkmcnt(3)
	v_fma_f64 v[9:10], v[59:60], v[57:58], v[9:10]
	s_waitcnt vmcnt(2) lgkmcnt(2)
	v_fma_f64 v[11:12], v[59:60], v[36:37], v[11:12]
	;; [unrolled: 2-line block ×4, first 2 shown]
	s_cbranch_scc1 .LBB281_22
.LBB281_23:                             ;   in Loop: Header=BB281_13 Depth=1
	s_set_inst_prefetch_distance 0x2
	s_or_b32 exec_lo, exec_lo, s52
.LBB281_24:                             ;   in Loop: Header=BB281_13 Depth=1
	s_delay_alu instid0(SALU_CYCLE_1)
	s_or_b32 exec_lo, exec_lo, s51
	s_mov_b64 s[6:7], 0
	s_branch .LBB281_26
.LBB281_25:                             ;   in Loop: Header=BB281_26 Depth=2
	s_or_b32 exec_lo, exec_lo, s8
	s_cmp_eq_u32 s6, 3
	s_cselect_b32 vcc_lo, -1, 0
	s_cmp_eq_u32 s6, 2
	s_waitcnt lgkmcnt(0)
	s_delay_alu instid0(VALU_DEP_1)
	v_dual_cndmask_b32 v16, v16, v35 :: v_dual_cndmask_b32 v15, v15, v34
	s_cselect_b32 vcc_lo, -1, 0
	s_cmp_eq_u32 s6, 1
	v_dual_cndmask_b32 v14, v14, v35 :: v_dual_cndmask_b32 v13, v13, v34
	s_cselect_b32 vcc_lo, -1, 0
	s_cmp_eq_u32 s6, 0
	v_dual_cndmask_b32 v12, v12, v35 :: v_dual_cndmask_b32 v11, v11, v34
	s_cselect_b32 vcc_lo, -1, 0
	s_add_u32 s6, s6, 1
	v_dual_cndmask_b32 v10, v10, v35 :: v_dual_cndmask_b32 v9, v9, v34
	s_addc_u32 s7, s7, 0
	s_cmp_eq_u32 s6, 4
	s_cbranch_scc1 .LBB281_34
.LBB281_26:                             ;   Parent Loop BB281_13 Depth=1
                                        ; =>  This Inner Loop Header: Depth=2
	s_and_saveexec_b32 s8, s0
	s_cbranch_execz .LBB281_28
; %bb.27:                               ;   in Loop: Header=BB281_26 Depth=2
	v_mov_b32_e32 v31, v30
	ds_store_b64 v51, v[30:31]
.LBB281_28:                             ;   in Loop: Header=BB281_26 Depth=2
	s_or_b32 exec_lo, exec_lo, s8
	s_cmp_eq_u32 s6, 1
	s_waitcnt lgkmcnt(0)
	s_waitcnt_vscnt null, 0x0
	s_cselect_b32 vcc_lo, -1, 0
	s_cmp_eq_u32 s6, 2
	s_delay_alu instid0(VALU_DEP_1) | instskip(SKIP_3) | instid1(VALU_DEP_1)
	v_dual_cndmask_b32 v31, v10, v12 :: v_dual_cndmask_b32 v34, v9, v11
	s_cselect_b32 vcc_lo, -1, 0
	s_cmp_eq_u32 s6, 3
	s_barrier
	v_dual_cndmask_b32 v31, v31, v14 :: v_dual_cndmask_b32 v34, v34, v13
	s_cselect_b32 vcc_lo, -1, 0
	buffer_gl0_inv
	v_dual_cndmask_b32 v35, v31, v16 :: v_dual_cndmask_b32 v34, v34, v15
	ds_bpermute_b32 v37, v46, v35
	ds_bpermute_b32 v36, v46, v34
	s_waitcnt lgkmcnt(0)
	v_add_f64 v[34:35], v[34:35], v[36:37]
	ds_bpermute_b32 v36, v47, v34
	ds_bpermute_b32 v37, v47, v35
	s_waitcnt lgkmcnt(0)
	v_add_f64 v[34:35], v[34:35], v[36:37]
	;; [unrolled: 4-line block ×4, first 2 shown]
	ds_bpermute_b32 v36, v50, v34
	ds_bpermute_b32 v37, v50, v35
	s_and_saveexec_b32 s8, s5
	s_cbranch_execz .LBB281_30
; %bb.29:                               ;   in Loop: Header=BB281_26 Depth=2
	s_waitcnt lgkmcnt(0)
	v_add_f64 v[34:35], v[34:35], v[36:37]
	ds_store_b64 v52, v[34:35]
.LBB281_30:                             ;   in Loop: Header=BB281_26 Depth=2
	s_or_b32 exec_lo, exec_lo, s8
	v_mov_b32_e32 v34, 0
	v_mov_b32_e32 v35, 0
	s_waitcnt lgkmcnt(0)
	s_barrier
	buffer_gl0_inv
	s_and_saveexec_b32 s8, s1
	s_cbranch_execz .LBB281_32
; %bb.31:                               ;   in Loop: Header=BB281_26 Depth=2
	ds_load_b64 v[34:35], v51
.LBB281_32:                             ;   in Loop: Header=BB281_26 Depth=2
	s_or_b32 exec_lo, exec_lo, s8
	s_and_saveexec_b32 s8, s0
	s_cbranch_execz .LBB281_25
; %bb.33:                               ;   in Loop: Header=BB281_26 Depth=2
	s_waitcnt lgkmcnt(0)
	ds_bpermute_b32 v36, v48, v34
	ds_bpermute_b32 v37, v48, v35
	s_waitcnt lgkmcnt(0)
	v_add_f64 v[34:35], v[34:35], v[36:37]
	ds_bpermute_b32 v36, v49, v34
	ds_bpermute_b32 v37, v49, v35
	s_waitcnt lgkmcnt(0)
	v_add_f64 v[34:35], v[34:35], v[36:37]
	;; [unrolled: 4-line block ×3, first 2 shown]
	s_branch .LBB281_25
.LBB281_34:                             ;   in Loop: Header=BB281_13 Depth=1
	s_and_saveexec_b32 s6, s2
	s_cbranch_execz .LBB281_12
; %bb.35:                               ;   in Loop: Header=BB281_13 Depth=1
	v_mul_f64 v[9:10], s[12:13], v[9:10]
	v_mul_f64 v[11:12], s[12:13], v[11:12]
	;; [unrolled: 1-line block ×4, first 2 shown]
	s_mul_hi_u32 s9, s33, s24
	s_mul_i32 s8, s33, s24
	s_delay_alu instid0(SALU_CYCLE_1) | instskip(NEXT) | instid1(SALU_CYCLE_1)
	s_lshl_b64 s[8:9], s[8:9], 3
	s_add_u32 s8, s15, s8
	s_addc_u32 s9, s48, s9
	s_or_b32 s7, s33, 1
	s_delay_alu instid0(SALU_CYCLE_1) | instskip(SKIP_1) | instid1(SALU_CYCLE_1)
	s_mul_hi_u32 s19, s7, s24
	s_mul_i32 s18, s7, s24
	s_lshl_b64 s[18:19], s[18:19], 3
	s_delay_alu instid0(SALU_CYCLE_1) | instskip(SKIP_2) | instid1(SALU_CYCLE_1)
	s_add_u32 s18, s15, s18
	s_addc_u32 s19, s48, s19
	s_or_b32 s7, s33, 2
	s_mul_hi_u32 s21, s7, s24
	s_mul_i32 s20, s7, s24
	s_delay_alu instid0(SALU_CYCLE_1) | instskip(NEXT) | instid1(SALU_CYCLE_1)
	s_lshl_b64 s[20:21], s[20:21], 3
	s_add_u32 s20, s15, s20
	s_addc_u32 s21, s48, s21
	s_or_b32 s7, s33, 3
	s_delay_alu instid0(SALU_CYCLE_1) | instskip(SKIP_1) | instid1(SALU_CYCLE_1)
	s_mul_hi_u32 s23, s7, s24
	s_mul_i32 s22, s7, s24
	s_lshl_b64 s[22:23], s[22:23], 3
	s_delay_alu instid0(SALU_CYCLE_1)
	s_add_u32 s22, s15, s22
	s_addc_u32 s23, s48, s23
	s_clause 0x3
	global_store_b64 v30, v[9:10], s[8:9]
	global_store_b64 v30, v[11:12], s[18:19]
	;; [unrolled: 1-line block ×4, first 2 shown]
	s_branch .LBB281_12
.LBB281_36:
	s_mov_b32 s33, 0
                                        ; implicit-def: $vgpr1_vgpr2_vgpr3_vgpr4_vgpr5_vgpr6_vgpr7_vgpr8
.LBB281_37:
	s_delay_alu instid0(SALU_CYCLE_1)
	s_cmp_ge_i32 s33, s11
	s_cbranch_scc1 .LBB281_61
; %bb.38:
	v_cmp_gt_u32_e32 vcc_lo, 16, v43
	v_mad_i64_i32 v[15:16], null, s34, v38, 0
	s_cmp_gt_i32 s25, 0
	s_mov_b32 s15, 0
	v_cndmask_b32_e64 v9, 0, 1, vcc_lo
	v_cmp_gt_u32_e32 vcc_lo, 24, v43
	s_cselect_b32 s9, -1, 0
	s_lshl_b64 s[6:7], s[14:15], 3
	v_cmp_ge_i32_e64 s0, s10, v44
	v_lshlrev_b32_e32 v9, 4, v9
	v_cndmask_b32_e64 v10, 0, 1, vcc_lo
	v_cmp_gt_u32_e32 vcc_lo, 28, v43
	v_cmp_ge_i32_e64 s1, s10, v45
	s_add_u32 s10, s44, s6
	v_add_lshl_u32 v28, v9, v43, 2
	v_lshlrev_b32_e32 v10, 3, v10
	v_cndmask_b32_e64 v11, 0, 1, vcc_lo
	v_cmp_gt_u32_e32 vcc_lo, 30, v43
	v_lshlrev_b64 v[15:16], 3, v[15:16]
	s_addc_u32 s14, s45, s7
	v_add_lshl_u32 v29, v10, v43, 2
	v_lshlrev_b32_e32 v11, 2, v11
	v_cndmask_b32_e64 v12, 0, 1, vcc_lo
	v_cmp_ne_u32_e32 vcc_lo, 31, v43
	v_mad_i64_i32 v[9:10], null, s34, v21, 0
	s_delay_alu instid0(VALU_DEP_3) | instskip(SKIP_3) | instid1(VALU_DEP_3)
	v_dual_mov_b32 v21, 0 :: v_dual_lshlrev_b32 v12, 1, v12
	v_add_co_ci_u32_e32 v13, vcc_lo, 0, v43, vcc_lo
	v_add_lshl_u32 v30, v11, v43, 2
	s_mul_i32 s6, s27, s33
	v_add_lshl_u32 v31, v12, v43, 2
	v_mad_i64_i32 v[11:12], null, s34, v40, 0
	v_lshlrev_b32_e32 v32, 2, v13
	v_mad_i64_i32 v[13:14], null, s34, v39, 0
	v_lshlrev_b64 v[9:10], 3, v[9:10]
	s_mul_hi_u32 s7, s26, s33
	s_lshl_b64 s[16:17], s[34:35], 3
	s_delay_alu instid0(VALU_DEP_4)
	v_lshlrev_b64 v[11:12], 3, v[11:12]
	s_add_i32 s7, s7, s6
	s_mul_i32 s6, s26, s33
	v_add_co_u32 v9, vcc_lo, s30, v9
	v_lshlrev_b64 v[13:14], 3, v[13:14]
	v_add_co_ci_u32_e32 v10, vcc_lo, s31, v10, vcc_lo
	v_add_co_u32 v11, vcc_lo, s30, v11
	v_add_co_ci_u32_e32 v12, vcc_lo, s31, v12, vcc_lo
	s_delay_alu instid0(VALU_DEP_4)
	v_add_co_u32 v13, vcc_lo, s30, v13
	v_add_co_ci_u32_e32 v14, vcc_lo, s31, v14, vcc_lo
	s_lshl_b64 s[6:7], s[6:7], 3
	v_add_co_u32 v15, vcc_lo, s30, v15
	s_add_u32 s6, s28, s6
	v_add_co_ci_u32_e32 v16, vcc_lo, s31, v16, vcc_lo
	s_addc_u32 s7, s29, s7
	v_add_co_u32 v19, vcc_lo, s6, v19
	v_cmp_gt_u32_e64 s2, 32, v0
	v_lshlrev_b32_e32 v27, 3, v41
	v_cmp_eq_u32_e64 s3, 0, v41
	v_and_b32_e32 v33, 56, v42
	v_cmp_gt_u32_e64 s4, 8, v0
	v_cmp_eq_u32_e64 s5, 0, v0
	v_add_co_ci_u32_e32 v20, vcc_lo, s7, v20, vcc_lo
	s_lshl_b64 s[18:19], s[26:27], 3
	s_branch .LBB281_40
.LBB281_39:                             ;   in Loop: Header=BB281_40 Depth=1
	s_or_b32 exec_lo, exec_lo, s6
	v_add_co_u32 v19, vcc_lo, v19, s18
	v_add_co_ci_u32_e32 v20, vcc_lo, s19, v20, vcc_lo
	s_add_i32 s33, s33, 1
	s_delay_alu instid0(SALU_CYCLE_1)
	s_cmp_ge_i32 s33, s11
	s_cbranch_scc1 .LBB281_61
.LBB281_40:                             ; =>This Loop Header: Depth=1
                                        ;     Child Loop BB281_53 Depth 2
                                        ;     Child Loop BB281_56 Depth 2
	s_waitcnt lgkmcnt(0)
	v_dual_mov_b32 v23, s15 :: v_dual_mov_b32 v24, s15
	s_and_saveexec_b32 s6, s0
	s_delay_alu instid0(SALU_CYCLE_1)
	s_xor_b32 s6, exec_lo, s6
	s_cbranch_execnz .LBB281_49
; %bb.41:                               ;   in Loop: Header=BB281_40 Depth=1
	s_and_not1_saveexec_b32 s22, s6
	s_cbranch_execnz .LBB281_50
.LBB281_42:                             ;   in Loop: Header=BB281_40 Depth=1
	s_or_b32 exec_lo, exec_lo, s22
	s_and_saveexec_b32 s6, s2
	s_cbranch_execz .LBB281_44
.LBB281_43:                             ;   in Loop: Header=BB281_40 Depth=1
	v_mov_b32_e32 v22, v21
	ds_store_b64 v27, v[21:22]
.LBB281_44:                             ;   in Loop: Header=BB281_40 Depth=1
	s_or_b32 exec_lo, exec_lo, s6
	ds_bpermute_b32 v25, v28, v23
	ds_bpermute_b32 v26, v28, v24
	s_waitcnt lgkmcnt(0)
	s_waitcnt_vscnt null, 0x0
	s_barrier
	buffer_gl0_inv
	v_add_f64 v[22:23], v[23:24], v[25:26]
	ds_bpermute_b32 v24, v29, v22
	ds_bpermute_b32 v25, v29, v23
	s_waitcnt lgkmcnt(0)
	v_add_f64 v[22:23], v[22:23], v[24:25]
	ds_bpermute_b32 v24, v30, v22
	ds_bpermute_b32 v25, v30, v23
	s_waitcnt lgkmcnt(0)
	;; [unrolled: 4-line block ×3, first 2 shown]
	v_add_f64 v[22:23], v[22:23], v[24:25]
	ds_bpermute_b32 v24, v32, v22
	ds_bpermute_b32 v25, v32, v23
	s_and_saveexec_b32 s6, s3
	s_cbranch_execz .LBB281_46
; %bb.45:                               ;   in Loop: Header=BB281_40 Depth=1
	s_waitcnt lgkmcnt(0)
	v_add_f64 v[22:23], v[22:23], v[24:25]
	ds_store_b64 v33, v[22:23]
.LBB281_46:                             ;   in Loop: Header=BB281_40 Depth=1
	s_or_b32 exec_lo, exec_lo, s6
	v_mov_b32_e32 v22, 0
	v_mov_b32_e32 v23, 0
	s_waitcnt lgkmcnt(0)
	s_barrier
	buffer_gl0_inv
	s_and_saveexec_b32 s6, s4
	s_cbranch_execnz .LBB281_58
; %bb.47:                               ;   in Loop: Header=BB281_40 Depth=1
	s_or_b32 exec_lo, exec_lo, s6
	s_and_saveexec_b32 s6, s2
	s_cbranch_execnz .LBB281_59
.LBB281_48:                             ;   in Loop: Header=BB281_40 Depth=1
	s_or_b32 exec_lo, exec_lo, s6
	s_and_saveexec_b32 s6, s5
	s_cbranch_execz .LBB281_39
	s_branch .LBB281_60
.LBB281_49:                             ;   in Loop: Header=BB281_40 Depth=1
	s_mul_i32 s7, s33, s27
	s_mul_hi_u32 s8, s33, s26
	s_mul_i32 s20, s33, s26
	s_add_i32 s21, s8, s7
	s_delay_alu instid0(SALU_CYCLE_1) | instskip(NEXT) | instid1(SALU_CYCLE_1)
	s_lshl_b64 s[20:21], s[20:21], 3
	v_add_co_u32 v5, vcc_lo, v17, s20
	v_add_co_ci_u32_e32 v6, vcc_lo, s21, v18, vcc_lo
	flat_load_b128 v[22:25], v[5:6]
	s_clause 0x1
	flat_load_b64 v[1:2], v[9:10]
	flat_load_b64 v[3:4], v[11:12]
	flat_load_b128 v[34:37], v[5:6] offset:16
	s_clause 0x1
	flat_load_b64 v[5:6], v[13:14]
	flat_load_b64 v[7:8], v[15:16]
	s_waitcnt vmcnt(4) lgkmcnt(4)
	v_fma_f64 v[22:23], v[1:2], v[22:23], 0
	s_waitcnt vmcnt(3) lgkmcnt(3)
	s_delay_alu instid0(VALU_DEP_1) | instskip(SKIP_1) | instid1(VALU_DEP_1)
	v_fma_f64 v[22:23], v[3:4], v[24:25], v[22:23]
	s_waitcnt vmcnt(1) lgkmcnt(1)
	v_fma_f64 v[22:23], v[5:6], v[34:35], v[22:23]
	s_waitcnt vmcnt(0) lgkmcnt(0)
	s_delay_alu instid0(VALU_DEP_1)
	v_fma_f64 v[23:24], v[7:8], v[36:37], v[22:23]
	s_and_not1_saveexec_b32 s22, s6
	s_cbranch_execz .LBB281_42
.LBB281_50:                             ;   in Loop: Header=BB281_40 Depth=1
	s_and_saveexec_b32 s23, s1
	s_cbranch_execz .LBB281_57
; %bb.51:                               ;   in Loop: Header=BB281_40 Depth=1
	s_and_not1_b32 vcc_lo, exec_lo, s9
	s_cbranch_vccnz .LBB281_54
; %bb.52:                               ;   in Loop: Header=BB281_40 Depth=1
	v_dual_mov_b32 v26, v10 :: v_dual_mov_b32 v25, v9
	s_mov_b64 s[20:21], 0
	.p2align	6
.LBB281_53:                             ;   Parent Loop BB281_40 Depth=1
                                        ; =>  This Inner Loop Header: Depth=2
	flat_load_b64 v[34:35], v[25:26]
	v_add_co_u32 v25, vcc_lo, v25, s16
	s_cmp_eq_u32 s20, 3
	v_add_co_ci_u32_e32 v26, vcc_lo, s17, v26, vcc_lo
	s_cselect_b32 vcc_lo, -1, 0
	s_cmp_eq_u32 s20, 2
	s_cselect_b32 s6, -1, 0
	s_cmp_eq_u32 s20, 1
	s_cselect_b32 s7, -1, 0
	s_cmp_eq_u32 s20, 0
	s_cselect_b32 s8, -1, 0
	s_add_u32 s20, s20, 1
	s_addc_u32 s21, s21, 0
	s_cmp_eq_u32 s25, s20
	s_waitcnt vmcnt(0) lgkmcnt(0)
	v_dual_cndmask_b32 v8, v8, v35 :: v_dual_cndmask_b32 v7, v7, v34
	v_cndmask_b32_e64 v6, v6, v35, s6
	v_cndmask_b32_e64 v5, v5, v34, s6
	;; [unrolled: 1-line block ×6, first 2 shown]
	s_cbranch_scc0 .LBB281_53
.LBB281_54:                             ;   in Loop: Header=BB281_40 Depth=1
	s_and_not1_b32 vcc_lo, exec_lo, s9
	s_cbranch_vccnz .LBB281_57
; %bb.55:                               ;   in Loop: Header=BB281_40 Depth=1
	v_dual_mov_b32 v26, v20 :: v_dual_mov_b32 v25, v19
	s_mov_b64 s[6:7], 0
	.p2align	6
.LBB281_56:                             ;   Parent Loop BB281_40 Depth=1
                                        ; =>  This Inner Loop Header: Depth=2
	flat_load_b64 v[34:35], v[25:26]
	s_cmp_eq_u32 s6, 1
	s_cselect_b32 vcc_lo, -1, 0
	s_cmp_eq_u32 s6, 2
	v_cndmask_b32_e32 v0, v2, v4, vcc_lo
	v_cndmask_b32_e32 v22, v1, v3, vcc_lo
	s_cselect_b32 vcc_lo, -1, 0
	s_cmp_eq_u32 s6, 3
	s_delay_alu instid0(VALU_DEP_2) | instskip(NEXT) | instid1(VALU_DEP_2)
	v_cndmask_b32_e32 v0, v0, v6, vcc_lo
	v_cndmask_b32_e32 v22, v22, v5, vcc_lo
	s_cselect_b32 vcc_lo, -1, 0
	s_add_u32 s6, s6, 1
	s_addc_u32 s7, s7, 0
	s_delay_alu instid0(VALU_DEP_1)
	v_dual_cndmask_b32 v37, v0, v8 :: v_dual_cndmask_b32 v36, v22, v7
	v_add_co_u32 v25, vcc_lo, v25, 8
	v_add_co_ci_u32_e32 v26, vcc_lo, 0, v26, vcc_lo
	s_cmp_lg_u32 s25, s6
	s_waitcnt vmcnt(0) lgkmcnt(0)
	v_fma_f64 v[23:24], v[36:37], v[34:35], v[23:24]
	s_cbranch_scc1 .LBB281_56
.LBB281_57:                             ;   in Loop: Header=BB281_40 Depth=1
	s_or_b32 exec_lo, exec_lo, s23
	s_delay_alu instid0(SALU_CYCLE_1)
	s_or_b32 exec_lo, exec_lo, s22
	s_and_saveexec_b32 s6, s2
	s_cbranch_execnz .LBB281_43
	s_branch .LBB281_44
.LBB281_58:                             ;   in Loop: Header=BB281_40 Depth=1
	ds_load_b64 v[22:23], v27
	s_or_b32 exec_lo, exec_lo, s6
	s_and_saveexec_b32 s6, s2
	s_cbranch_execz .LBB281_48
.LBB281_59:                             ;   in Loop: Header=BB281_40 Depth=1
	s_waitcnt lgkmcnt(0)
	ds_bpermute_b32 v24, v30, v22
	ds_bpermute_b32 v25, v30, v23
	s_waitcnt lgkmcnt(0)
	v_add_f64 v[22:23], v[22:23], v[24:25]
	ds_bpermute_b32 v24, v31, v22
	ds_bpermute_b32 v25, v31, v23
	s_waitcnt lgkmcnt(0)
	v_add_f64 v[22:23], v[22:23], v[24:25]
	;; [unrolled: 4-line block ×3, first 2 shown]
	s_or_b32 exec_lo, exec_lo, s6
	s_and_saveexec_b32 s6, s5
	s_cbranch_execz .LBB281_39
.LBB281_60:                             ;   in Loop: Header=BB281_40 Depth=1
	s_waitcnt lgkmcnt(0)
	s_delay_alu instid0(VALU_DEP_1) | instskip(SKIP_2) | instid1(SALU_CYCLE_1)
	v_mul_f64 v[22:23], s[12:13], v[22:23]
	s_mul_hi_u32 s21, s33, s24
	s_mul_i32 s20, s33, s24
	s_lshl_b64 s[20:21], s[20:21], 3
	s_delay_alu instid0(SALU_CYCLE_1)
	s_add_u32 s20, s10, s20
	s_addc_u32 s21, s14, s21
	global_store_b64 v21, v[22:23], s[20:21]
	s_branch .LBB281_39
.LBB281_61:
	s_nop 0
	s_sendmsg sendmsg(MSG_DEALLOC_VGPRS)
	s_endpgm
	.section	.rodata,"a",@progbits
	.p2align	6, 0x0
	.amdhsa_kernel _ZL23rocblas_gemvt_sn_kernelILb1ELi256ELi4ElPKdS1_dEviiT4_lPKT3_lilS5_lilPT5_i
		.amdhsa_group_segment_fixed_size 256
		.amdhsa_private_segment_fixed_size 0
		.amdhsa_kernarg_size 360
		.amdhsa_user_sgpr_count 14
		.amdhsa_user_sgpr_dispatch_ptr 0
		.amdhsa_user_sgpr_queue_ptr 0
		.amdhsa_user_sgpr_kernarg_segment_ptr 1
		.amdhsa_user_sgpr_dispatch_id 0
		.amdhsa_user_sgpr_private_segment_size 0
		.amdhsa_wavefront_size32 1
		.amdhsa_uses_dynamic_stack 0
		.amdhsa_enable_private_segment 0
		.amdhsa_system_sgpr_workgroup_id_x 1
		.amdhsa_system_sgpr_workgroup_id_y 0
		.amdhsa_system_sgpr_workgroup_id_z 1
		.amdhsa_system_sgpr_workgroup_info 0
		.amdhsa_system_vgpr_workitem_id 0
		.amdhsa_next_free_vgpr 73
		.amdhsa_next_free_sgpr 53
		.amdhsa_reserve_vcc 1
		.amdhsa_float_round_mode_32 0
		.amdhsa_float_round_mode_16_64 0
		.amdhsa_float_denorm_mode_32 3
		.amdhsa_float_denorm_mode_16_64 3
		.amdhsa_dx10_clamp 1
		.amdhsa_ieee_mode 1
		.amdhsa_fp16_overflow 0
		.amdhsa_workgroup_processor_mode 1
		.amdhsa_memory_ordered 1
		.amdhsa_forward_progress 0
		.amdhsa_shared_vgpr_count 0
		.amdhsa_exception_fp_ieee_invalid_op 0
		.amdhsa_exception_fp_denorm_src 0
		.amdhsa_exception_fp_ieee_div_zero 0
		.amdhsa_exception_fp_ieee_overflow 0
		.amdhsa_exception_fp_ieee_underflow 0
		.amdhsa_exception_fp_ieee_inexact 0
		.amdhsa_exception_int_div_zero 0
	.end_amdhsa_kernel
	.section	.text._ZL23rocblas_gemvt_sn_kernelILb1ELi256ELi4ElPKdS1_dEviiT4_lPKT3_lilS5_lilPT5_i,"axG",@progbits,_ZL23rocblas_gemvt_sn_kernelILb1ELi256ELi4ElPKdS1_dEviiT4_lPKT3_lilS5_lilPT5_i,comdat
.Lfunc_end281:
	.size	_ZL23rocblas_gemvt_sn_kernelILb1ELi256ELi4ElPKdS1_dEviiT4_lPKT3_lilS5_lilPT5_i, .Lfunc_end281-_ZL23rocblas_gemvt_sn_kernelILb1ELi256ELi4ElPKdS1_dEviiT4_lPKT3_lilS5_lilPT5_i
                                        ; -- End function
	.section	.AMDGPU.csdata,"",@progbits
; Kernel info:
; codeLenInByte = 4052
; NumSgprs: 55
; NumVgprs: 73
; ScratchSize: 0
; MemoryBound: 1
; FloatMode: 240
; IeeeMode: 1
; LDSByteSize: 256 bytes/workgroup (compile time only)
; SGPRBlocks: 6
; VGPRBlocks: 9
; NumSGPRsForWavesPerEU: 55
; NumVGPRsForWavesPerEU: 73
; Occupancy: 16
; WaveLimiterHint : 0
; COMPUTE_PGM_RSRC2:SCRATCH_EN: 0
; COMPUTE_PGM_RSRC2:USER_SGPR: 14
; COMPUTE_PGM_RSRC2:TRAP_HANDLER: 0
; COMPUTE_PGM_RSRC2:TGID_X_EN: 1
; COMPUTE_PGM_RSRC2:TGID_Y_EN: 0
; COMPUTE_PGM_RSRC2:TGID_Z_EN: 1
; COMPUTE_PGM_RSRC2:TIDIG_COMP_CNT: 0
	.section	.text._ZL23rocblas_gemvt_sn_kernelILb1ELi256ELi4EiPKdddEviiT4_lPKT3_lilS5_lilPT5_i,"axG",@progbits,_ZL23rocblas_gemvt_sn_kernelILb1ELi256ELi4EiPKdddEviiT4_lPKT3_lilS5_lilPT5_i,comdat
	.globl	_ZL23rocblas_gemvt_sn_kernelILb1ELi256ELi4EiPKdddEviiT4_lPKT3_lilS5_lilPT5_i ; -- Begin function _ZL23rocblas_gemvt_sn_kernelILb1ELi256ELi4EiPKdddEviiT4_lPKT3_lilS5_lilPT5_i
	.p2align	8
	.type	_ZL23rocblas_gemvt_sn_kernelILb1ELi256ELi4EiPKdddEviiT4_lPKT3_lilS5_lilPT5_i,@function
_ZL23rocblas_gemvt_sn_kernelILb1ELi256ELi4EiPKdddEviiT4_lPKT3_lilS5_lilPT5_i: ; @_ZL23rocblas_gemvt_sn_kernelILb1ELi256ELi4EiPKdddEviiT4_lPKT3_lilS5_lilPT5_i
; %bb.0:
	s_load_b64 s[10:11], s[0:1], 0x8
	s_mov_b32 s4, s15
	s_mov_b64 s[2:3], 0
	s_waitcnt lgkmcnt(0)
	v_cmp_neq_f64_e64 s7, s[10:11], 0
	v_cmp_eq_f64_e64 s6, s[10:11], 0
	s_delay_alu instid0(VALU_DEP_2)
	s_and_b32 vcc_lo, exec_lo, s7
	s_cbranch_vccnz .LBB282_2
; %bb.1:
	s_mov_b32 s5, 0
	s_cbranch_execz .LBB282_3
	s_branch .LBB282_4
.LBB282_2:
	s_mov_b32 s5, -1
                                        ; implicit-def: $sgpr2_sgpr3
.LBB282_3:
	s_load_b128 s[16:19], s[0:1], 0x18
	s_mov_b32 s5, 0
	s_delay_alu instid0(SALU_CYCLE_1)
	s_lshl_b64 s[2:3], s[4:5], 3
	s_waitcnt lgkmcnt(0)
	s_add_u32 s2, s16, s2
	s_addc_u32 s3, s17, s3
	s_lshl_b64 s[8:9], s[18:19], 3
	s_load_b64 s[2:3], s[2:3], 0x0
	s_waitcnt lgkmcnt(0)
	s_add_u32 s2, s2, s8
	s_addc_u32 s3, s3, s9
.LBB282_4:
	s_and_not1_b32 vcc_lo, exec_lo, s7
	s_cbranch_vccnz .LBB282_6
; %bb.5:
	s_load_b128 s[16:19], s[0:1], 0x38
	s_lshl_b64 s[8:9], s[4:5], 3
	s_waitcnt lgkmcnt(0)
	s_add_u32 s8, s16, s8
	s_addc_u32 s9, s17, s9
	s_lshl_b64 s[12:13], s[18:19], 3
	s_load_b64 s[8:9], s[8:9], 0x0
	s_waitcnt lgkmcnt(0)
	s_add_u32 s12, s8, s12
	s_addc_u32 s13, s9, s13
	s_branch .LBB282_7
.LBB282_6:
	s_mov_b64 s[12:13], 0
.LBB282_7:
	s_clause 0x2
	s_load_b64 s[24:25], s[0:1], 0x0
	s_load_b32 s26, s[0:1], 0x68
	s_load_b64 s[16:17], s[0:1], 0x58
	s_mov_b32 s27, 0
	s_waitcnt lgkmcnt(0)
	s_ashr_i32 s8, s25, 31
	s_mul_hi_u32 s7, s4, s25
	s_mul_i32 s9, s4, s8
	s_mul_i32 s5, s5, s25
	s_add_i32 s7, s7, s9
	s_mul_i32 s4, s4, s25
	s_add_i32 s5, s7, s5
	s_mul_hi_u32 s7, s4, s26
	s_mul_i32 s5, s5, s26
	s_mul_i32 s4, s4, s26
	s_add_i32 s5, s7, s5
	s_delay_alu instid0(SALU_CYCLE_1) | instskip(NEXT) | instid1(SALU_CYCLE_1)
	s_lshl_b64 s[4:5], s[4:5], 3
	s_add_u32 s33, s16, s4
	s_addc_u32 s36, s17, s5
	s_delay_alu instid0(VALU_DEP_1)
	s_and_not1_b32 vcc_lo, exec_lo, s6
	s_mov_b32 s4, -1
	s_cbranch_vccnz .LBB282_12
; %bb.8:
	v_cmp_eq_u32_e32 vcc_lo, 0, v0
	s_cmp_gt_i32 s25, 0
	s_cselect_b32 s4, -1, 0
	s_delay_alu instid0(SALU_CYCLE_1) | instskip(NEXT) | instid1(SALU_CYCLE_1)
	s_and_b32 s4, vcc_lo, s4
	s_and_saveexec_b32 s9, s4
	s_cbranch_execz .LBB282_11
; %bb.9:
	v_mov_b32_e32 v1, 0
	s_mov_b32 s15, 0
	s_delay_alu instid0(SALU_CYCLE_1) | instskip(SKIP_1) | instid1(VALU_DEP_1)
	s_lshl_b64 s[4:5], s[14:15], 3
	s_mov_b32 s15, s25
	v_mov_b32_e32 v2, v1
	s_add_u32 s4, s33, s4
	s_addc_u32 s5, s36, s5
	s_lshl_b64 s[6:7], s[26:27], 3
.LBB282_10:                             ; =>This Inner Loop Header: Depth=1
	s_add_i32 s15, s15, -1
	global_store_b64 v1, v[1:2], s[4:5]
	s_add_u32 s4, s4, s6
	s_addc_u32 s5, s5, s7
	s_cmp_eq_u32 s15, 0
	s_cbranch_scc0 .LBB282_10
.LBB282_11:
	s_or_b32 exec_lo, exec_lo, s9
	s_mov_b32 s4, 0
.LBB282_12:
	s_delay_alu instid0(SALU_CYCLE_1)
	s_and_not1_b32 vcc_lo, exec_lo, s4
	s_cbranch_vccnz .LBB282_64
; %bb.13:
	s_clause 0x1
	s_load_b32 s28, s[0:1], 0x28
	s_load_b32 s9, s[0:1], 0x48
	s_lshl_b32 s4, s14, 10
	s_ashr_i32 s0, s24, 31
	v_lshl_or_b32 v1, v0, 2, s4
	s_lshr_b32 s0, s0, 30
	s_lshr_b32 s1, s8, 30
	s_add_i32 s0, s24, s0
	s_add_i32 s1, s25, s1
	v_ashrrev_i32_e32 v2, 31, v1
	s_and_b32 s0, s0, -4
	s_and_b32 s15, s1, -4
	s_sub_i32 s27, s24, s0
	v_add_nc_u32_e32 v37, 4, v1
	v_lshlrev_b64 v[2:3], 3, v[1:2]
	v_add_nc_u32_e32 v38, s27, v1
	v_and_b32_e32 v34, 31, v0
	v_cmp_gt_u32_e64 s0, 32, v0
	v_mbcnt_lo_u32_b32 v36, -1, 0
	v_cmp_gt_u32_e64 s1, 8, v0
	v_add_co_u32 v32, vcc_lo, s2, v2
	s_waitcnt lgkmcnt(0)
	v_mul_lo_u32 v17, v1, s9
	v_add_co_ci_u32_e32 v33, vcc_lo, s3, v3, vcc_lo
	v_lshrrev_b32_e32 v35, 2, v0
	v_cmp_eq_u32_e64 s2, 0, v0
	s_cmp_lt_i32 s15, 1
	s_cbranch_scc1 .LBB282_39
; %bb.14:
	v_cmp_gt_u32_e32 vcc_lo, 16, v36
	v_mul_lo_u32 v18, v1, s9
	s_mov_b32 s16, 0
	v_cmp_ge_i32_e64 s3, s24, v37
	v_cmp_ge_i32_e64 s4, s24, v38
	v_cndmask_b32_e64 v2, 0, 1, vcc_lo
	v_cmp_gt_u32_e32 vcc_lo, 24, v36
	v_cmp_eq_u32_e64 s5, 0, v34
	v_lshlrev_b32_e32 v44, 3, v34
	v_ashrrev_i32_e32 v19, 31, v18
	v_dual_mov_b32 v27, 0 :: v_dual_lshlrev_b32 v2, 4, v2
	v_cndmask_b32_e64 v3, 0, 1, vcc_lo
	v_cmp_gt_u32_e32 vcc_lo, 28, v36
	v_and_b32_e32 v45, 56, v35
	s_delay_alu instid0(VALU_DEP_4)
	v_add_lshl_u32 v39, v2, v36, 2
	s_cmp_gt_i32 s27, 0
	v_lshlrev_b32_e32 v2, 3, v3
	v_cndmask_b32_e64 v4, 0, 1, vcc_lo
	v_cmp_gt_u32_e32 vcc_lo, 30, v36
	s_mov_b32 s29, s16
	s_cselect_b32 s37, -1, 0
	v_add_lshl_u32 v40, v2, v36, 2
	v_lshlrev_b32_e32 v1, 2, v4
	v_cndmask_b32_e64 v5, 0, 1, vcc_lo
	v_cmp_ne_u32_e32 vcc_lo, 31, v36
	s_lshl_b32 s38, s28, 2
	s_lshl_b32 s39, s28, 1
	v_add_lshl_u32 v41, v1, v36, 2
	v_lshlrev_b32_e32 v3, 1, v5
	v_add_nc_u32_e32 v1, s9, v18
	v_add_co_ci_u32_e32 v4, vcc_lo, 0, v36, vcc_lo
	v_lshlrev_b64 v[5:6], 3, v[18:19]
	s_delay_alu instid0(VALU_DEP_4) | instskip(NEXT) | instid1(VALU_DEP_4)
	v_add_lshl_u32 v42, v3, v36, 2
	v_add_nc_u32_e32 v3, s9, v1
	v_ashrrev_i32_e32 v2, 31, v1
	v_lshlrev_b32_e32 v43, 2, v4
	s_mov_b32 s40, s16
	v_add_co_u32 v19, vcc_lo, s12, v5
	v_add_nc_u32_e32 v7, s9, v3
	v_lshlrev_b64 v[1:2], 3, v[1:2]
	v_ashrrev_i32_e32 v4, 31, v3
	v_add_co_ci_u32_e32 v20, vcc_lo, s13, v6, vcc_lo
	s_delay_alu instid0(VALU_DEP_4) | instskip(SKIP_1) | instid1(VALU_DEP_3)
	v_ashrrev_i32_e32 v8, 31, v7
	s_mul_i32 s41, s28, 3
	v_lshlrev_b64 v[3:4], 3, v[3:4]
	v_add_co_u32 v21, vcc_lo, s12, v1
	v_add_co_ci_u32_e32 v22, vcc_lo, s13, v2, vcc_lo
	v_lshlrev_b64 v[1:2], 3, v[7:8]
	s_delay_alu instid0(VALU_DEP_4) | instskip(SKIP_2) | instid1(VALU_DEP_3)
	v_add_co_u32 v23, vcc_lo, s12, v3
	v_add_co_ci_u32_e32 v24, vcc_lo, s13, v4, vcc_lo
	s_mov_b32 s42, s16
	v_add_co_u32 v25, vcc_lo, s12, v1
	s_delay_alu instid0(VALU_DEP_4)
	v_add_co_ci_u32_e32 v26, vcc_lo, s13, v2, vcc_lo
	s_mov_b32 s30, 0
	s_mov_b64 s[34:35], s[28:29]
	s_mov_b32 s29, 0
                                        ; implicit-def: $vgpr1_vgpr2_vgpr3_vgpr4_vgpr5_vgpr6_vgpr7_vgpr8
	s_branch .LBB282_16
.LBB282_15:                             ;   in Loop: Header=BB282_16 Depth=1
	s_or_b32 exec_lo, exec_lo, s6
	s_add_i32 s29, s29, 4
	s_add_u32 s34, s34, s38
	s_addc_u32 s35, s35, 0
	s_add_u32 s39, s39, s38
	s_addc_u32 s40, s40, 0
	;; [unrolled: 2-line block ×3, first 2 shown]
	s_add_i32 s30, s30, s38
	s_cmp_ge_i32 s29, s15
	s_cbranch_scc1 .LBB282_40
.LBB282_16:                             ; =>This Loop Header: Depth=1
                                        ;     Child Loop BB282_22 Depth 2
                                        ;     Child Loop BB282_25 Depth 2
	;; [unrolled: 1-line block ×3, first 2 shown]
                                        ; implicit-def: $vgpr9_vgpr10_vgpr11_vgpr12_vgpr13_vgpr14_vgpr15_vgpr16
	s_and_saveexec_b32 s6, s3
	s_delay_alu instid0(SALU_CYCLE_1)
	s_xor_b32 s6, exec_lo, s6
	s_cbranch_execz .LBB282_18
; %bb.17:                               ;   in Loop: Header=BB282_16 Depth=1
	s_mul_i32 s18, s29, s28
	s_delay_alu instid0(SALU_CYCLE_1)
	s_ashr_i32 s19, s18, 31
	s_add_i32 s20, s18, s28
	s_lshl_b64 s[18:19], s[18:19], 3
	s_ashr_i32 s21, s20, 31
	v_add_co_u32 v7, vcc_lo, v32, s18
	v_add_co_ci_u32_e32 v8, vcc_lo, s19, v33, vcc_lo
	s_lshl_b64 s[18:19], s[20:21], 3
	s_add_i32 s20, s20, s28
	v_add_co_u32 v54, vcc_lo, v32, s18
	s_ashr_i32 s21, s20, 31
	s_add_i32 s18, s20, s28
	s_lshl_b64 s[20:21], s[20:21], 3
	v_add_co_ci_u32_e32 v55, vcc_lo, s19, v33, vcc_lo
	s_ashr_i32 s19, s18, 31
	v_add_co_u32 v58, vcc_lo, v32, s20
	s_lshl_b64 s[18:19], s[18:19], 3
	v_add_co_ci_u32_e32 v59, vcc_lo, s21, v33, vcc_lo
	v_add_co_u32 v62, vcc_lo, v32, s18
	v_add_co_ci_u32_e32 v63, vcc_lo, s19, v33, vcc_lo
	flat_load_b128 v[9:12], v[7:8]
	flat_load_b64 v[1:2], v[19:20]
	s_clause 0x2
	flat_load_b128 v[13:16], v[54:55]
	flat_load_b128 v[28:31], v[58:59]
	;; [unrolled: 1-line block ×3, first 2 shown]
	s_clause 0x1
	flat_load_b64 v[3:4], v[21:22]
	flat_load_b64 v[5:6], v[23:24]
	s_clause 0x3
	flat_load_b128 v[50:53], v[7:8] offset:16
	flat_load_b128 v[54:57], v[54:55] offset:16
	;; [unrolled: 1-line block ×4, first 2 shown]
	flat_load_b64 v[7:8], v[25:26]
	s_waitcnt vmcnt(10) lgkmcnt(10)
	v_fma_f64 v[9:10], v[1:2], v[9:10], 0
	s_waitcnt vmcnt(9) lgkmcnt(9)
	v_fma_f64 v[13:14], v[1:2], v[13:14], 0
	;; [unrolled: 2-line block ×4, first 2 shown]
	s_waitcnt vmcnt(6) lgkmcnt(6)
	s_delay_alu instid0(VALU_DEP_4) | instskip(NEXT) | instid1(VALU_DEP_4)
	v_fma_f64 v[9:10], v[3:4], v[11:12], v[9:10]
	v_fma_f64 v[11:12], v[3:4], v[15:16], v[13:14]
	s_delay_alu instid0(VALU_DEP_4) | instskip(NEXT) | instid1(VALU_DEP_4)
	v_fma_f64 v[13:14], v[3:4], v[30:31], v[28:29]
	v_fma_f64 v[15:16], v[3:4], v[48:49], v[46:47]
	s_waitcnt vmcnt(4) lgkmcnt(4)
	s_delay_alu instid0(VALU_DEP_4) | instskip(SKIP_1) | instid1(VALU_DEP_4)
	v_fma_f64 v[9:10], v[5:6], v[50:51], v[9:10]
	s_waitcnt vmcnt(3) lgkmcnt(3)
	v_fma_f64 v[11:12], v[5:6], v[54:55], v[11:12]
	s_waitcnt vmcnt(2) lgkmcnt(2)
	s_delay_alu instid0(VALU_DEP_4) | instskip(SKIP_1) | instid1(VALU_DEP_4)
	v_fma_f64 v[13:14], v[5:6], v[58:59], v[13:14]
	s_waitcnt vmcnt(1) lgkmcnt(1)
	v_fma_f64 v[15:16], v[5:6], v[62:63], v[15:16]
	s_waitcnt vmcnt(0) lgkmcnt(0)
	s_delay_alu instid0(VALU_DEP_4) | instskip(NEXT) | instid1(VALU_DEP_4)
	v_fma_f64 v[9:10], v[7:8], v[52:53], v[9:10]
	v_fma_f64 v[11:12], v[7:8], v[56:57], v[11:12]
	s_delay_alu instid0(VALU_DEP_4) | instskip(NEXT) | instid1(VALU_DEP_4)
	v_fma_f64 v[13:14], v[7:8], v[60:61], v[13:14]
	v_fma_f64 v[15:16], v[7:8], v[64:65], v[15:16]
.LBB282_18:                             ;   in Loop: Header=BB282_16 Depth=1
	s_and_not1_saveexec_b32 s43, s6
	s_cbranch_execz .LBB282_27
; %bb.19:                               ;   in Loop: Header=BB282_16 Depth=1
	s_mov_b32 s17, s16
	s_mov_b32 s18, s16
	;; [unrolled: 1-line block ×7, first 2 shown]
	v_dual_mov_b32 v9, s16 :: v_dual_mov_b32 v10, s17
	v_dual_mov_b32 v11, s18 :: v_dual_mov_b32 v12, s19
	v_dual_mov_b32 v13, s20 :: v_dual_mov_b32 v14, s21
	v_dual_mov_b32 v15, s22 :: v_dual_mov_b32 v16, s23
	s_and_saveexec_b32 s44, s4
	s_cbranch_execz .LBB282_26
; %bb.20:                               ;   in Loop: Header=BB282_16 Depth=1
	s_and_not1_b32 vcc_lo, exec_lo, s37
	s_cbranch_vccnz .LBB282_23
; %bb.21:                               ;   in Loop: Header=BB282_16 Depth=1
	v_mov_b32_e32 v9, v18
	s_mov_b64 s[18:19], 0
	s_set_inst_prefetch_distance 0x1
	.p2align	6
.LBB282_22:                             ;   Parent Loop BB282_16 Depth=1
                                        ; =>  This Inner Loop Header: Depth=2
	s_delay_alu instid0(VALU_DEP_1) | instskip(SKIP_1) | instid1(VALU_DEP_1)
	v_ashrrev_i32_e32 v10, 31, v9
	s_cmp_eq_u32 s18, 3
	v_lshlrev_b64 v[10:11], 3, v[9:10]
	s_delay_alu instid0(VALU_DEP_1) | instskip(NEXT) | instid1(VALU_DEP_2)
	v_add_co_u32 v10, vcc_lo, s12, v10
	v_add_co_ci_u32_e32 v11, vcc_lo, s13, v11, vcc_lo
	s_cselect_b32 vcc_lo, -1, 0
	s_cmp_eq_u32 s18, 2
	s_cselect_b32 s6, -1, 0
	flat_load_b64 v[10:11], v[10:11]
	s_cmp_eq_u32 s18, 1
	v_add_nc_u32_e32 v9, s9, v9
	s_cselect_b32 s7, -1, 0
	s_cmp_eq_u32 s18, 0
	s_cselect_b32 s8, -1, 0
	s_add_u32 s18, s18, 1
	s_addc_u32 s19, s19, 0
	s_cmp_eq_u32 s27, s18
	s_waitcnt vmcnt(0) lgkmcnt(0)
	v_dual_cndmask_b32 v8, v8, v11 :: v_dual_cndmask_b32 v7, v7, v10
	v_cndmask_b32_e64 v6, v6, v11, s6
	v_cndmask_b32_e64 v5, v5, v10, s6
	;; [unrolled: 1-line block ×6, first 2 shown]
	s_cbranch_scc0 .LBB282_22
.LBB282_23:                             ;   in Loop: Header=BB282_16 Depth=1
	s_set_inst_prefetch_distance 0x2
	s_mov_b32 s17, s16
	s_mov_b32 s18, s16
	;; [unrolled: 1-line block ×7, first 2 shown]
	v_dual_mov_b32 v9, s16 :: v_dual_mov_b32 v10, s17
	v_dual_mov_b32 v11, s18 :: v_dual_mov_b32 v12, s19
	;; [unrolled: 1-line block ×4, first 2 shown]
	s_and_not1_b32 vcc_lo, exec_lo, s37
	s_cbranch_vccnz .LBB282_26
; %bb.24:                               ;   in Loop: Header=BB282_16 Depth=1
	s_ashr_i32 s31, s30, 31
	v_mov_b32_e32 v9, 0
	v_mov_b32_e32 v10, 0
	s_lshl_b64 s[6:7], s[30:31], 3
	s_mov_b64 s[18:19], 0
	v_add_co_u32 v28, vcc_lo, v32, s6
	v_add_co_ci_u32_e32 v29, vcc_lo, s7, v33, vcc_lo
	v_dual_mov_b32 v12, v10 :: v_dual_mov_b32 v11, v9
	v_dual_mov_b32 v14, v10 :: v_dual_mov_b32 v13, v9
	;; [unrolled: 1-line block ×3, first 2 shown]
.LBB282_25:                             ;   Parent Loop BB282_16 Depth=1
                                        ; =>  This Inner Loop Header: Depth=2
	s_cmp_eq_u32 s18, 1
	s_cselect_b32 vcc_lo, -1, 0
	s_cmp_eq_u32 s18, 2
	v_dual_cndmask_b32 v30, v2, v4 :: v_dual_cndmask_b32 v53, v1, v3
	s_cselect_b32 s6, -1, 0
	s_cmp_eq_u32 s18, 3
	s_cselect_b32 s7, -1, 0
	s_add_i32 s20, s34, s18
	s_add_i32 s22, s39, s18
	s_ashr_i32 s21, s20, 31
	s_ashr_i32 s23, s22, 31
	s_lshl_b64 s[20:21], s[20:21], 3
	v_cndmask_b32_e64 v52, v30, v6, s6
	s_add_i32 s46, s41, s18
	v_add_co_u32 v30, s8, v32, s20
	s_lshl_b64 s[22:23], s[22:23], 3
	s_ashr_i32 s47, s46, 31
	v_add_co_ci_u32_e64 v31, s8, s21, v33, s8
	v_add_co_u32 v46, s8, v32, s22
	s_lshl_b64 s[46:47], s[46:47], 3
	v_add_co_ci_u32_e64 v47, s8, s23, v33, s8
	v_add_co_u32 v48, s8, v32, s46
	s_delay_alu instid0(VALU_DEP_1)
	v_add_co_ci_u32_e64 v49, s8, s47, v33, s8
	flat_load_b64 v[50:51], v[28:29]
	s_clause 0x2
	flat_load_b64 v[30:31], v[30:31]
	flat_load_b64 v[46:47], v[46:47]
	;; [unrolled: 1-line block ×3, first 2 shown]
	v_cndmask_b32_e64 v54, v53, v5, s6
	v_cndmask_b32_e64 v53, v52, v8, s7
	v_add_co_u32 v28, vcc_lo, v28, 8
	v_add_co_ci_u32_e32 v29, vcc_lo, 0, v29, vcc_lo
	s_delay_alu instid0(VALU_DEP_4)
	v_cndmask_b32_e64 v52, v54, v7, s7
	s_add_u32 s18, s18, 1
	s_addc_u32 s19, s19, 0
	s_cmp_lg_u32 s27, s18
	s_waitcnt vmcnt(3) lgkmcnt(3)
	v_fma_f64 v[9:10], v[52:53], v[50:51], v[9:10]
	s_waitcnt vmcnt(2) lgkmcnt(2)
	v_fma_f64 v[11:12], v[52:53], v[30:31], v[11:12]
	;; [unrolled: 2-line block ×4, first 2 shown]
	s_cbranch_scc1 .LBB282_25
.LBB282_26:                             ;   in Loop: Header=BB282_16 Depth=1
	s_or_b32 exec_lo, exec_lo, s44
.LBB282_27:                             ;   in Loop: Header=BB282_16 Depth=1
	s_delay_alu instid0(SALU_CYCLE_1)
	s_or_b32 exec_lo, exec_lo, s43
	s_mov_b64 s[6:7], 0
	s_branch .LBB282_29
.LBB282_28:                             ;   in Loop: Header=BB282_29 Depth=2
	s_or_b32 exec_lo, exec_lo, s8
	s_cmp_eq_u32 s6, 3
	s_cselect_b32 vcc_lo, -1, 0
	s_cmp_eq_u32 s6, 2
	s_waitcnt lgkmcnt(0)
	s_delay_alu instid0(VALU_DEP_1)
	v_dual_cndmask_b32 v16, v16, v29 :: v_dual_cndmask_b32 v15, v15, v28
	s_cselect_b32 vcc_lo, -1, 0
	s_cmp_eq_u32 s6, 1
	v_dual_cndmask_b32 v14, v14, v29 :: v_dual_cndmask_b32 v13, v13, v28
	s_cselect_b32 vcc_lo, -1, 0
	s_cmp_eq_u32 s6, 0
	v_dual_cndmask_b32 v12, v12, v29 :: v_dual_cndmask_b32 v11, v11, v28
	s_cselect_b32 vcc_lo, -1, 0
	s_add_u32 s6, s6, 1
	v_dual_cndmask_b32 v10, v10, v29 :: v_dual_cndmask_b32 v9, v9, v28
	s_addc_u32 s7, s7, 0
	s_cmp_eq_u32 s6, 4
	s_cbranch_scc1 .LBB282_37
.LBB282_29:                             ;   Parent Loop BB282_16 Depth=1
                                        ; =>  This Inner Loop Header: Depth=2
	s_and_saveexec_b32 s8, s0
	s_cbranch_execz .LBB282_31
; %bb.30:                               ;   in Loop: Header=BB282_29 Depth=2
	v_mov_b32_e32 v28, v27
	ds_store_b64 v44, v[27:28]
.LBB282_31:                             ;   in Loop: Header=BB282_29 Depth=2
	s_or_b32 exec_lo, exec_lo, s8
	s_cmp_eq_u32 s6, 1
	s_waitcnt lgkmcnt(0)
	s_waitcnt_vscnt null, 0x0
	s_cselect_b32 vcc_lo, -1, 0
	s_cmp_eq_u32 s6, 2
	s_delay_alu instid0(VALU_DEP_1) | instskip(SKIP_3) | instid1(VALU_DEP_1)
	v_dual_cndmask_b32 v28, v10, v12 :: v_dual_cndmask_b32 v29, v9, v11
	s_cselect_b32 vcc_lo, -1, 0
	s_cmp_eq_u32 s6, 3
	s_barrier
	v_cndmask_b32_e32 v28, v28, v14, vcc_lo
	s_delay_alu instid0(VALU_DEP_4)
	v_cndmask_b32_e32 v30, v29, v13, vcc_lo
	s_cselect_b32 vcc_lo, -1, 0
	buffer_gl0_inv
	v_dual_cndmask_b32 v29, v28, v16 :: v_dual_cndmask_b32 v28, v30, v15
	ds_bpermute_b32 v31, v39, v29
	ds_bpermute_b32 v30, v39, v28
	s_waitcnt lgkmcnt(0)
	v_add_f64 v[28:29], v[28:29], v[30:31]
	ds_bpermute_b32 v30, v40, v28
	ds_bpermute_b32 v31, v40, v29
	s_waitcnt lgkmcnt(0)
	v_add_f64 v[28:29], v[28:29], v[30:31]
	;; [unrolled: 4-line block ×4, first 2 shown]
	ds_bpermute_b32 v30, v43, v28
	ds_bpermute_b32 v31, v43, v29
	s_and_saveexec_b32 s8, s5
	s_cbranch_execz .LBB282_33
; %bb.32:                               ;   in Loop: Header=BB282_29 Depth=2
	s_waitcnt lgkmcnt(0)
	v_add_f64 v[28:29], v[28:29], v[30:31]
	ds_store_b64 v45, v[28:29]
.LBB282_33:                             ;   in Loop: Header=BB282_29 Depth=2
	s_or_b32 exec_lo, exec_lo, s8
	v_mov_b32_e32 v28, 0
	v_mov_b32_e32 v29, 0
	s_waitcnt lgkmcnt(0)
	s_barrier
	buffer_gl0_inv
	s_and_saveexec_b32 s8, s1
	s_cbranch_execz .LBB282_35
; %bb.34:                               ;   in Loop: Header=BB282_29 Depth=2
	ds_load_b64 v[28:29], v44
.LBB282_35:                             ;   in Loop: Header=BB282_29 Depth=2
	s_or_b32 exec_lo, exec_lo, s8
	s_and_saveexec_b32 s8, s0
	s_cbranch_execz .LBB282_28
; %bb.36:                               ;   in Loop: Header=BB282_29 Depth=2
	s_waitcnt lgkmcnt(0)
	ds_bpermute_b32 v30, v41, v28
	ds_bpermute_b32 v31, v41, v29
	s_waitcnt lgkmcnt(0)
	v_add_f64 v[28:29], v[28:29], v[30:31]
	ds_bpermute_b32 v30, v42, v28
	ds_bpermute_b32 v31, v42, v29
	s_waitcnt lgkmcnt(0)
	v_add_f64 v[28:29], v[28:29], v[30:31]
	;; [unrolled: 4-line block ×3, first 2 shown]
	s_branch .LBB282_28
.LBB282_37:                             ;   in Loop: Header=BB282_16 Depth=1
	s_and_saveexec_b32 s6, s2
	s_cbranch_execz .LBB282_15
; %bb.38:                               ;   in Loop: Header=BB282_16 Depth=1
	v_mul_f64 v[9:10], v[9:10], s[10:11]
	v_mul_f64 v[11:12], v[11:12], s[10:11]
	;; [unrolled: 1-line block ×4, first 2 shown]
	s_mul_i32 s7, s29, s26
	s_mov_b32 s19, s16
	s_add_i32 s18, s7, s14
	s_delay_alu instid0(SALU_CYCLE_1) | instskip(NEXT) | instid1(SALU_CYCLE_1)
	s_lshl_b64 s[20:21], s[18:19], 3
	s_add_u32 s20, s33, s20
	s_addc_u32 s21, s36, s21
	s_add_i32 s18, s18, s26
	s_delay_alu instid0(SALU_CYCLE_1) | instskip(NEXT) | instid1(SALU_CYCLE_1)
	s_lshl_b64 s[22:23], s[18:19], 3
	s_add_u32 s22, s33, s22
	s_addc_u32 s23, s36, s23
	;; [unrolled: 5-line block ×4, first 2 shown]
	s_clause 0x3
	global_store_b64 v27, v[9:10], s[20:21]
	global_store_b64 v27, v[11:12], s[22:23]
	;; [unrolled: 1-line block ×4, first 2 shown]
	s_branch .LBB282_15
.LBB282_39:
	s_mov_b32 s29, 0
                                        ; implicit-def: $vgpr1_vgpr2_vgpr3_vgpr4_vgpr5_vgpr6_vgpr7_vgpr8
.LBB282_40:
	s_delay_alu instid0(SALU_CYCLE_1)
	s_cmp_ge_i32 s29, s25
	s_cbranch_scc1 .LBB282_64
; %bb.41:
	v_cmp_gt_u32_e32 vcc_lo, 16, v36
	v_ashrrev_i32_e32 v18, 31, v17
	s_cmp_gt_i32 s27, 0
	s_mov_b32 s15, 0
	v_cmp_ge_i32_e64 s0, s24, v37
	v_cndmask_b32_e64 v9, 0, 1, vcc_lo
	v_cmp_gt_u32_e32 vcc_lo, 24, v36
	v_cmp_ge_i32_e64 s1, s24, v38
	s_cselect_b32 s20, -1, 0
	v_cmp_gt_u32_e64 s2, 32, v0
	v_lshlrev_b32_e32 v9, 4, v9
	v_cndmask_b32_e64 v10, 0, 1, vcc_lo
	v_cmp_gt_u32_e32 vcc_lo, 28, v36
	v_lshlrev_b32_e32 v24, 3, v34
	v_cmp_eq_u32_e64 s3, 0, v34
	v_add_lshl_u32 v25, v9, v36, 2
	v_add_nc_u32_e32 v9, s9, v17
	v_cndmask_b32_e64 v11, 0, 1, vcc_lo
	v_cmp_gt_u32_e32 vcc_lo, 30, v36
	v_lshlrev_b32_e32 v10, 3, v10
	v_and_b32_e32 v30, 56, v35
	v_cmp_gt_u32_e64 s4, 8, v0
	v_lshlrev_b32_e32 v11, 2, v11
	v_cndmask_b32_e64 v12, 0, 1, vcc_lo
	v_cmp_ne_u32_e32 vcc_lo, 31, v36
	v_add_lshl_u32 v26, v10, v36, 2
	v_ashrrev_i32_e32 v10, 31, v9
	v_add_lshl_u32 v27, v11, v36, 2
	v_add_nc_u32_e32 v11, s9, v9
	v_add_co_ci_u32_e32 v13, vcc_lo, 0, v36, vcc_lo
	v_lshlrev_b32_e32 v12, 1, v12
	v_lshlrev_b64 v[15:16], 3, v[9:10]
	v_cmp_eq_u32_e64 s5, 0, v0
	s_delay_alu instid0(VALU_DEP_4)
	v_lshlrev_b32_e32 v29, 2, v13
	v_lshlrev_b64 v[13:14], 3, v[17:18]
	v_add_nc_u32_e32 v18, s9, v11
	v_add_lshl_u32 v28, v12, v36, 2
	v_ashrrev_i32_e32 v12, 31, v11
	s_lshl_b64 s[6:7], s[14:15], 3
	s_mul_i32 s16, s29, s28
	v_add_co_u32 v9, vcc_lo, s12, v13
	v_ashrrev_i32_e32 v19, 31, v18
	v_add_co_ci_u32_e32 v10, vcc_lo, s13, v14, vcc_lo
	v_lshlrev_b64 v[13:14], 3, v[11:12]
	v_add_co_u32 v11, vcc_lo, s12, v15
	v_add_co_ci_u32_e32 v12, vcc_lo, s13, v16, vcc_lo
	v_lshlrev_b64 v[15:16], 3, v[18:19]
	v_mov_b32_e32 v18, 0
	v_add_co_u32 v13, vcc_lo, s12, v13
	v_add_co_ci_u32_e32 v14, vcc_lo, s13, v14, vcc_lo
	s_delay_alu instid0(VALU_DEP_4)
	v_add_co_u32 v15, vcc_lo, s12, v15
	v_add_co_ci_u32_e32 v16, vcc_lo, s13, v16, vcc_lo
	s_add_u32 s14, s33, s6
	s_addc_u32 s21, s36, s7
	s_branch .LBB282_43
.LBB282_42:                             ;   in Loop: Header=BB282_43 Depth=1
	s_or_b32 exec_lo, exec_lo, s6
	s_add_i32 s29, s29, 1
	s_add_i32 s16, s16, s28
	s_cmp_ge_i32 s29, s25
	s_cbranch_scc1 .LBB282_64
.LBB282_43:                             ; =>This Loop Header: Depth=1
                                        ;     Child Loop BB282_56 Depth 2
                                        ;     Child Loop BB282_59 Depth 2
	s_waitcnt lgkmcnt(0)
	v_dual_mov_b32 v20, s15 :: v_dual_mov_b32 v21, s15
	s_and_saveexec_b32 s6, s0
	s_delay_alu instid0(SALU_CYCLE_1)
	s_xor_b32 s6, exec_lo, s6
	s_cbranch_execnz .LBB282_52
; %bb.44:                               ;   in Loop: Header=BB282_43 Depth=1
	s_and_not1_saveexec_b32 s22, s6
	s_cbranch_execnz .LBB282_53
.LBB282_45:                             ;   in Loop: Header=BB282_43 Depth=1
	s_or_b32 exec_lo, exec_lo, s22
	s_and_saveexec_b32 s6, s2
	s_cbranch_execz .LBB282_47
.LBB282_46:                             ;   in Loop: Header=BB282_43 Depth=1
	v_mov_b32_e32 v19, v18
	ds_store_b64 v24, v[18:19]
.LBB282_47:                             ;   in Loop: Header=BB282_43 Depth=1
	s_or_b32 exec_lo, exec_lo, s6
	ds_bpermute_b32 v22, v25, v20
	ds_bpermute_b32 v23, v25, v21
	s_waitcnt lgkmcnt(0)
	s_waitcnt_vscnt null, 0x0
	s_barrier
	buffer_gl0_inv
	v_add_f64 v[19:20], v[20:21], v[22:23]
	ds_bpermute_b32 v21, v26, v19
	ds_bpermute_b32 v22, v26, v20
	s_waitcnt lgkmcnt(0)
	v_add_f64 v[19:20], v[19:20], v[21:22]
	ds_bpermute_b32 v21, v27, v19
	ds_bpermute_b32 v22, v27, v20
	s_waitcnt lgkmcnt(0)
	;; [unrolled: 4-line block ×3, first 2 shown]
	v_add_f64 v[19:20], v[19:20], v[21:22]
	ds_bpermute_b32 v21, v29, v19
	ds_bpermute_b32 v22, v29, v20
	s_and_saveexec_b32 s6, s3
	s_cbranch_execz .LBB282_49
; %bb.48:                               ;   in Loop: Header=BB282_43 Depth=1
	s_waitcnt lgkmcnt(0)
	v_add_f64 v[19:20], v[19:20], v[21:22]
	ds_store_b64 v30, v[19:20]
.LBB282_49:                             ;   in Loop: Header=BB282_43 Depth=1
	s_or_b32 exec_lo, exec_lo, s6
	v_mov_b32_e32 v19, 0
	v_mov_b32_e32 v20, 0
	s_waitcnt lgkmcnt(0)
	s_barrier
	buffer_gl0_inv
	s_and_saveexec_b32 s6, s4
	s_cbranch_execnz .LBB282_61
; %bb.50:                               ;   in Loop: Header=BB282_43 Depth=1
	s_or_b32 exec_lo, exec_lo, s6
	s_and_saveexec_b32 s6, s2
	s_cbranch_execnz .LBB282_62
.LBB282_51:                             ;   in Loop: Header=BB282_43 Depth=1
	s_or_b32 exec_lo, exec_lo, s6
	s_and_saveexec_b32 s6, s5
	s_cbranch_execz .LBB282_42
	s_branch .LBB282_63
.LBB282_52:                             ;   in Loop: Header=BB282_43 Depth=1
	s_mul_i32 s18, s29, s28
	s_delay_alu instid0(SALU_CYCLE_1) | instskip(NEXT) | instid1(SALU_CYCLE_1)
	s_ashr_i32 s19, s18, 31
	s_lshl_b64 s[18:19], s[18:19], 3
	s_delay_alu instid0(SALU_CYCLE_1)
	v_add_co_u32 v5, vcc_lo, v32, s18
	v_add_co_ci_u32_e32 v6, vcc_lo, s19, v33, vcc_lo
	flat_load_b128 v[19:22], v[5:6]
	s_clause 0x1
	flat_load_b64 v[1:2], v[9:10]
	flat_load_b64 v[3:4], v[11:12]
	flat_load_b128 v[34:37], v[5:6] offset:16
	s_clause 0x1
	flat_load_b64 v[5:6], v[13:14]
	flat_load_b64 v[7:8], v[15:16]
	s_waitcnt vmcnt(4) lgkmcnt(4)
	v_fma_f64 v[19:20], v[1:2], v[19:20], 0
	s_waitcnt vmcnt(3) lgkmcnt(3)
	s_delay_alu instid0(VALU_DEP_1) | instskip(SKIP_1) | instid1(VALU_DEP_1)
	v_fma_f64 v[19:20], v[3:4], v[21:22], v[19:20]
	s_waitcnt vmcnt(1) lgkmcnt(1)
	v_fma_f64 v[19:20], v[5:6], v[34:35], v[19:20]
	s_waitcnt vmcnt(0) lgkmcnt(0)
	s_delay_alu instid0(VALU_DEP_1)
	v_fma_f64 v[20:21], v[7:8], v[36:37], v[19:20]
	s_and_not1_saveexec_b32 s22, s6
	s_cbranch_execz .LBB282_45
.LBB282_53:                             ;   in Loop: Header=BB282_43 Depth=1
	s_and_saveexec_b32 s23, s1
	s_cbranch_execz .LBB282_60
; %bb.54:                               ;   in Loop: Header=BB282_43 Depth=1
	s_and_not1_b32 vcc_lo, exec_lo, s20
	s_cbranch_vccnz .LBB282_57
; %bb.55:                               ;   in Loop: Header=BB282_43 Depth=1
	v_mov_b32_e32 v22, v17
	s_mov_b64 s[18:19], 0
	s_set_inst_prefetch_distance 0x1
	.p2align	6
.LBB282_56:                             ;   Parent Loop BB282_43 Depth=1
                                        ; =>  This Inner Loop Header: Depth=2
	s_delay_alu instid0(VALU_DEP_1) | instskip(SKIP_1) | instid1(VALU_DEP_1)
	v_ashrrev_i32_e32 v23, 31, v22
	s_cmp_eq_u32 s18, 3
	v_lshlrev_b64 v[34:35], 3, v[22:23]
	v_add_nc_u32_e32 v22, s9, v22
	s_delay_alu instid0(VALU_DEP_2) | instskip(NEXT) | instid1(VALU_DEP_3)
	v_add_co_u32 v34, vcc_lo, s12, v34
	v_add_co_ci_u32_e32 v35, vcc_lo, s13, v35, vcc_lo
	s_cselect_b32 vcc_lo, -1, 0
	s_cmp_eq_u32 s18, 2
	s_cselect_b32 s6, -1, 0
	flat_load_b64 v[34:35], v[34:35]
	s_cmp_eq_u32 s18, 1
	s_cselect_b32 s7, -1, 0
	s_cmp_eq_u32 s18, 0
	s_cselect_b32 s8, -1, 0
	s_add_u32 s18, s18, 1
	s_addc_u32 s19, s19, 0
	s_cmp_eq_u32 s27, s18
	s_waitcnt vmcnt(0) lgkmcnt(0)
	v_dual_cndmask_b32 v8, v8, v35 :: v_dual_cndmask_b32 v7, v7, v34
	v_cndmask_b32_e64 v6, v6, v35, s6
	v_cndmask_b32_e64 v5, v5, v34, s6
	;; [unrolled: 1-line block ×6, first 2 shown]
	s_cbranch_scc0 .LBB282_56
.LBB282_57:                             ;   in Loop: Header=BB282_43 Depth=1
	s_set_inst_prefetch_distance 0x2
	s_and_not1_b32 vcc_lo, exec_lo, s20
	s_cbranch_vccnz .LBB282_60
; %bb.58:                               ;   in Loop: Header=BB282_43 Depth=1
	s_ashr_i32 s17, s16, 31
	s_delay_alu instid0(SALU_CYCLE_1) | instskip(NEXT) | instid1(SALU_CYCLE_1)
	s_lshl_b64 s[6:7], s[16:17], 3
	v_add_co_u32 v22, vcc_lo, v32, s6
	v_add_co_ci_u32_e32 v23, vcc_lo, s7, v33, vcc_lo
	s_mov_b64 s[6:7], 0
	.p2align	6
.LBB282_59:                             ;   Parent Loop BB282_43 Depth=1
                                        ; =>  This Inner Loop Header: Depth=2
	flat_load_b64 v[34:35], v[22:23]
	s_cmp_eq_u32 s6, 1
	s_cselect_b32 vcc_lo, -1, 0
	s_cmp_eq_u32 s6, 2
	v_dual_cndmask_b32 v0, v2, v4 :: v_dual_cndmask_b32 v19, v1, v3
	s_cselect_b32 vcc_lo, -1, 0
	s_cmp_eq_u32 s6, 3
	s_delay_alu instid0(VALU_DEP_1) | instskip(SKIP_3) | instid1(VALU_DEP_1)
	v_dual_cndmask_b32 v0, v0, v6 :: v_dual_cndmask_b32 v19, v19, v5
	s_cselect_b32 vcc_lo, -1, 0
	s_add_u32 s6, s6, 1
	s_addc_u32 s7, s7, 0
	v_dual_cndmask_b32 v37, v0, v8 :: v_dual_cndmask_b32 v36, v19, v7
	v_add_co_u32 v22, vcc_lo, v22, 8
	v_add_co_ci_u32_e32 v23, vcc_lo, 0, v23, vcc_lo
	s_cmp_lg_u32 s27, s6
	s_waitcnt vmcnt(0) lgkmcnt(0)
	v_fma_f64 v[20:21], v[36:37], v[34:35], v[20:21]
	s_cbranch_scc1 .LBB282_59
.LBB282_60:                             ;   in Loop: Header=BB282_43 Depth=1
	s_or_b32 exec_lo, exec_lo, s23
	s_delay_alu instid0(SALU_CYCLE_1)
	s_or_b32 exec_lo, exec_lo, s22
	s_and_saveexec_b32 s6, s2
	s_cbranch_execnz .LBB282_46
	s_branch .LBB282_47
.LBB282_61:                             ;   in Loop: Header=BB282_43 Depth=1
	ds_load_b64 v[19:20], v24
	s_or_b32 exec_lo, exec_lo, s6
	s_and_saveexec_b32 s6, s2
	s_cbranch_execz .LBB282_51
.LBB282_62:                             ;   in Loop: Header=BB282_43 Depth=1
	s_waitcnt lgkmcnt(0)
	ds_bpermute_b32 v21, v27, v19
	ds_bpermute_b32 v22, v27, v20
	s_waitcnt lgkmcnt(0)
	v_add_f64 v[19:20], v[19:20], v[21:22]
	ds_bpermute_b32 v21, v28, v19
	ds_bpermute_b32 v22, v28, v20
	s_waitcnt lgkmcnt(0)
	v_add_f64 v[19:20], v[19:20], v[21:22]
	;; [unrolled: 4-line block ×3, first 2 shown]
	s_or_b32 exec_lo, exec_lo, s6
	s_and_saveexec_b32 s6, s5
	s_cbranch_execz .LBB282_42
.LBB282_63:                             ;   in Loop: Header=BB282_43 Depth=1
	s_waitcnt lgkmcnt(0)
	s_delay_alu instid0(VALU_DEP_1) | instskip(SKIP_2) | instid1(SALU_CYCLE_1)
	v_mul_f64 v[19:20], v[19:20], s[10:11]
	s_mul_hi_u32 s19, s29, s26
	s_mul_i32 s18, s29, s26
	s_lshl_b64 s[18:19], s[18:19], 3
	s_delay_alu instid0(SALU_CYCLE_1)
	s_add_u32 s18, s14, s18
	s_addc_u32 s19, s21, s19
	global_store_b64 v18, v[19:20], s[18:19]
	s_branch .LBB282_42
.LBB282_64:
	s_nop 0
	s_sendmsg sendmsg(MSG_DEALLOC_VGPRS)
	s_endpgm
	.section	.rodata,"a",@progbits
	.p2align	6, 0x0
	.amdhsa_kernel _ZL23rocblas_gemvt_sn_kernelILb1ELi256ELi4EiPKdddEviiT4_lPKT3_lilS5_lilPT5_i
		.amdhsa_group_segment_fixed_size 256
		.amdhsa_private_segment_fixed_size 0
		.amdhsa_kernarg_size 360
		.amdhsa_user_sgpr_count 14
		.amdhsa_user_sgpr_dispatch_ptr 0
		.amdhsa_user_sgpr_queue_ptr 0
		.amdhsa_user_sgpr_kernarg_segment_ptr 1
		.amdhsa_user_sgpr_dispatch_id 0
		.amdhsa_user_sgpr_private_segment_size 0
		.amdhsa_wavefront_size32 1
		.amdhsa_uses_dynamic_stack 0
		.amdhsa_enable_private_segment 0
		.amdhsa_system_sgpr_workgroup_id_x 1
		.amdhsa_system_sgpr_workgroup_id_y 0
		.amdhsa_system_sgpr_workgroup_id_z 1
		.amdhsa_system_sgpr_workgroup_info 0
		.amdhsa_system_vgpr_workitem_id 0
		.amdhsa_next_free_vgpr 66
		.amdhsa_next_free_sgpr 48
		.amdhsa_reserve_vcc 1
		.amdhsa_float_round_mode_32 0
		.amdhsa_float_round_mode_16_64 0
		.amdhsa_float_denorm_mode_32 3
		.amdhsa_float_denorm_mode_16_64 3
		.amdhsa_dx10_clamp 1
		.amdhsa_ieee_mode 1
		.amdhsa_fp16_overflow 0
		.amdhsa_workgroup_processor_mode 1
		.amdhsa_memory_ordered 1
		.amdhsa_forward_progress 0
		.amdhsa_shared_vgpr_count 0
		.amdhsa_exception_fp_ieee_invalid_op 0
		.amdhsa_exception_fp_denorm_src 0
		.amdhsa_exception_fp_ieee_div_zero 0
		.amdhsa_exception_fp_ieee_overflow 0
		.amdhsa_exception_fp_ieee_underflow 0
		.amdhsa_exception_fp_ieee_inexact 0
		.amdhsa_exception_int_div_zero 0
	.end_amdhsa_kernel
	.section	.text._ZL23rocblas_gemvt_sn_kernelILb1ELi256ELi4EiPKdddEviiT4_lPKT3_lilS5_lilPT5_i,"axG",@progbits,_ZL23rocblas_gemvt_sn_kernelILb1ELi256ELi4EiPKdddEviiT4_lPKT3_lilS5_lilPT5_i,comdat
.Lfunc_end282:
	.size	_ZL23rocblas_gemvt_sn_kernelILb1ELi256ELi4EiPKdddEviiT4_lPKT3_lilS5_lilPT5_i, .Lfunc_end282-_ZL23rocblas_gemvt_sn_kernelILb1ELi256ELi4EiPKdddEviiT4_lPKT3_lilS5_lilPT5_i
                                        ; -- End function
	.section	.AMDGPU.csdata,"",@progbits
; Kernel info:
; codeLenInByte = 4016
; NumSgprs: 50
; NumVgprs: 66
; ScratchSize: 0
; MemoryBound: 1
; FloatMode: 240
; IeeeMode: 1
; LDSByteSize: 256 bytes/workgroup (compile time only)
; SGPRBlocks: 6
; VGPRBlocks: 8
; NumSGPRsForWavesPerEU: 50
; NumVGPRsForWavesPerEU: 66
; Occupancy: 16
; WaveLimiterHint : 0
; COMPUTE_PGM_RSRC2:SCRATCH_EN: 0
; COMPUTE_PGM_RSRC2:USER_SGPR: 14
; COMPUTE_PGM_RSRC2:TRAP_HANDLER: 0
; COMPUTE_PGM_RSRC2:TGID_X_EN: 1
; COMPUTE_PGM_RSRC2:TGID_Y_EN: 0
; COMPUTE_PGM_RSRC2:TGID_Z_EN: 1
; COMPUTE_PGM_RSRC2:TIDIG_COMP_CNT: 0
	.section	.text._ZL23rocblas_gemvt_sn_kernelILb1ELi256ELi4ElPKdddEviiT4_lPKT3_lilS5_lilPT5_i,"axG",@progbits,_ZL23rocblas_gemvt_sn_kernelILb1ELi256ELi4ElPKdddEviiT4_lPKT3_lilS5_lilPT5_i,comdat
	.globl	_ZL23rocblas_gemvt_sn_kernelILb1ELi256ELi4ElPKdddEviiT4_lPKT3_lilS5_lilPT5_i ; -- Begin function _ZL23rocblas_gemvt_sn_kernelILb1ELi256ELi4ElPKdddEviiT4_lPKT3_lilS5_lilPT5_i
	.p2align	8
	.type	_ZL23rocblas_gemvt_sn_kernelILb1ELi256ELi4ElPKdddEviiT4_lPKT3_lilS5_lilPT5_i,@function
_ZL23rocblas_gemvt_sn_kernelILb1ELi256ELi4ElPKdddEviiT4_lPKT3_lilS5_lilPT5_i: ; @_ZL23rocblas_gemvt_sn_kernelILb1ELi256ELi4ElPKdddEviiT4_lPKT3_lilS5_lilPT5_i
; %bb.0:
	s_load_b64 s[10:11], s[0:1], 0x8
	s_mov_b32 s2, s15
	s_mov_b64 s[28:29], 0
	s_waitcnt lgkmcnt(0)
	v_cmp_neq_f64_e64 s5, s[10:11], 0
	v_cmp_eq_f64_e64 s4, s[10:11], 0
	s_delay_alu instid0(VALU_DEP_2)
	s_and_b32 vcc_lo, exec_lo, s5
	s_cbranch_vccnz .LBB283_2
; %bb.1:
	s_mov_b32 s3, 0
	s_cbranch_execz .LBB283_3
	s_branch .LBB283_4
.LBB283_2:
	s_mov_b32 s3, -1
                                        ; implicit-def: $sgpr28_sgpr29
.LBB283_3:
	s_load_b128 s[16:19], s[0:1], 0x18
	s_mov_b32 s3, 0
	s_delay_alu instid0(SALU_CYCLE_1)
	s_lshl_b64 s[6:7], s[2:3], 3
	s_waitcnt lgkmcnt(0)
	s_add_u32 s6, s16, s6
	s_addc_u32 s7, s17, s7
	s_lshl_b64 s[8:9], s[18:19], 3
	s_load_b64 s[6:7], s[6:7], 0x0
	s_waitcnt lgkmcnt(0)
	s_add_u32 s28, s6, s8
	s_addc_u32 s29, s7, s9
.LBB283_4:
	s_and_not1_b32 vcc_lo, exec_lo, s5
	s_cbranch_vccnz .LBB283_6
; %bb.5:
	s_load_b128 s[16:19], s[0:1], 0x38
	s_lshl_b64 s[6:7], s[2:3], 3
	s_waitcnt lgkmcnt(0)
	s_add_u32 s6, s16, s6
	s_addc_u32 s7, s17, s7
	s_lshl_b64 s[8:9], s[18:19], 3
	s_load_b64 s[6:7], s[6:7], 0x0
	s_waitcnt lgkmcnt(0)
	s_add_u32 s30, s6, s8
	s_addc_u32 s31, s7, s9
	s_branch .LBB283_7
.LBB283_6:
	s_mov_b64 s[30:31], 0
.LBB283_7:
	s_clause 0x2
	s_load_b64 s[12:13], s[0:1], 0x0
	s_load_b32 s24, s[0:1], 0x68
	s_load_b64 s[8:9], s[0:1], 0x58
	s_mov_b32 s25, 0
	s_waitcnt lgkmcnt(0)
	s_ashr_i32 s6, s13, 31
	s_mul_hi_u32 s5, s2, s13
	s_mul_i32 s7, s2, s6
	s_mul_i32 s3, s3, s13
	s_add_i32 s5, s5, s7
	s_mul_i32 s2, s2, s13
	s_add_i32 s3, s5, s3
	s_mul_hi_u32 s5, s2, s24
	s_mul_i32 s3, s3, s24
	s_mul_i32 s2, s2, s24
	s_add_i32 s3, s5, s3
	s_delay_alu instid0(SALU_CYCLE_1) | instskip(NEXT) | instid1(SALU_CYCLE_1)
	s_lshl_b64 s[2:3], s[2:3], 3
	s_add_u32 s44, s8, s2
	s_addc_u32 s45, s9, s3
	s_delay_alu instid0(VALU_DEP_1)
	s_and_not1_b32 vcc_lo, exec_lo, s4
	s_mov_b32 s2, -1
	s_cbranch_vccnz .LBB283_12
; %bb.8:
	v_cmp_eq_u32_e32 vcc_lo, 0, v0
	s_cmp_gt_i32 s13, 0
	s_cselect_b32 s2, -1, 0
	s_delay_alu instid0(SALU_CYCLE_1) | instskip(NEXT) | instid1(SALU_CYCLE_1)
	s_and_b32 s2, vcc_lo, s2
	s_and_saveexec_b32 s7, s2
	s_cbranch_execz .LBB283_11
; %bb.9:
	v_mov_b32_e32 v1, 0
	s_mov_b32 s15, 0
	s_mov_b32 s8, s13
	s_lshl_b64 s[2:3], s[14:15], 3
	s_delay_alu instid0(SALU_CYCLE_1)
	s_add_u32 s2, s44, s2
	v_mov_b32_e32 v2, v1
	s_addc_u32 s3, s45, s3
	s_lshl_b64 s[4:5], s[24:25], 3
.LBB283_10:                             ; =>This Inner Loop Header: Depth=1
	s_add_i32 s8, s8, -1
	global_store_b64 v1, v[1:2], s[2:3]
	s_add_u32 s2, s2, s4
	s_addc_u32 s3, s3, s5
	s_cmp_eq_u32 s8, 0
	s_cbranch_scc0 .LBB283_10
.LBB283_11:
	s_or_b32 exec_lo, exec_lo, s7
	s_mov_b32 s2, 0
.LBB283_12:
	s_delay_alu instid0(SALU_CYCLE_1)
	s_and_not1_b32 vcc_lo, exec_lo, s2
	s_cbranch_vccnz .LBB283_64
; %bb.13:
	s_lshl_b32 s2, s14, 10
	s_clause 0x1
	s_load_b32 s26, s[0:1], 0x28
	s_load_b32 s34, s[0:1], 0x48
	v_lshl_or_b32 v21, v0, 2, s2
	s_ashr_i32 s2, s12, 31
	s_lshr_b32 s1, s6, 30
	s_lshr_b32 s0, s2, 30
	s_add_i32 s1, s13, s1
	v_ashrrev_i32_e32 v22, 31, v21
	s_add_i32 s0, s12, s0
	s_and_b32 s46, s1, -4
	s_and_b32 s0, s0, -4
	v_add_nc_u32_e32 v44, 4, v21
	v_lshlrev_b64 v[19:20], 3, v[21:22]
	s_sub_i32 s25, s12, s0
	v_and_b32_e32 v41, 31, v0
	v_add_nc_u32_e32 v45, s25, v21
	v_cmp_gt_u32_e64 s0, 32, v0
	v_mbcnt_lo_u32_b32 v43, -1, 0
	v_add_co_u32 v17, vcc_lo, s28, v19
	v_add_co_ci_u32_e32 v18, vcc_lo, s29, v20, vcc_lo
	v_cmp_gt_u32_e64 s1, 8, v0
	v_lshrrev_b32_e32 v42, 2, v0
	v_cmp_eq_u32_e64 s2, 0, v0
	v_or_b32_e32 v40, 1, v21
	v_or_b32_e32 v39, 2, v21
	;; [unrolled: 1-line block ×3, first 2 shown]
	s_waitcnt lgkmcnt(0)
	s_ashr_i32 s27, s26, 31
	s_ashr_i32 s35, s34, 31
	s_cmp_lt_i32 s46, 1
	s_cbranch_scc1 .LBB283_39
; %bb.14:
	v_cmp_gt_u32_e32 vcc_lo, 16, v43
	v_mad_i64_i32 v[7:8], null, s34, v38, 0
	s_mov_b32 s16, 0
	s_cmp_gt_i32 s25, 0
	v_cndmask_b32_e64 v1, 0, 1, vcc_lo
	v_cmp_gt_u32_e32 vcc_lo, 24, v43
	s_mov_b32 s15, s16
	v_cmp_ge_i32_e64 s3, s12, v44
	v_cmp_ge_i32_e64 s4, s12, v45
	v_dual_mov_b32 v30, 0 :: v_dual_lshlrev_b32 v1, 4, v1
	v_cndmask_b32_e64 v2, 0, 1, vcc_lo
	v_cmp_gt_u32_e32 vcc_lo, 28, v43
	s_cselect_b32 s47, -1, 0
	s_delay_alu instid0(VALU_DEP_3) | instskip(NEXT) | instid1(VALU_DEP_3)
	v_add_lshl_u32 v46, v1, v43, 2
	v_dual_mov_b32 v33, v18 :: v_dual_lshlrev_b32 v2, 3, v2
	v_cndmask_b32_e64 v3, 0, 1, vcc_lo
	v_cmp_gt_u32_e32 vcc_lo, 30, v43
	v_mov_b32_e32 v32, v17
	v_cmp_eq_u32_e64 s5, 0, v41
	v_add_lshl_u32 v47, v2, v43, 2
	v_lshlrev_b32_e32 v3, 2, v3
	v_cndmask_b32_e64 v4, 0, 1, vcc_lo
	v_cmp_ne_u32_e32 vcc_lo, 31, v43
	v_mad_i64_i32 v[1:2], null, s34, v21, 0
	s_delay_alu instid0(VALU_DEP_4) | instskip(NEXT) | instid1(VALU_DEP_4)
	v_add_lshl_u32 v48, v3, v43, 2
	v_lshlrev_b32_e32 v4, 1, v4
	v_add_co_ci_u32_e32 v5, vcc_lo, 0, v43, vcc_lo
	v_lshlrev_b32_e32 v51, 3, v41
	s_lshl_b64 s[6:7], s[14:15], 3
	s_delay_alu instid0(VALU_DEP_3)
	v_add_lshl_u32 v49, v4, v43, 2
	v_mad_i64_i32 v[3:4], null, s34, v40, 0
	v_lshlrev_b32_e32 v50, 2, v5
	v_lshlrev_b64 v[1:2], 3, v[1:2]
	v_mad_i64_i32 v[5:6], null, s34, v39, 0
	v_and_b32_e32 v52, 56, v42
	s_add_u32 s15, s44, s6
	v_lshlrev_b64 v[3:4], 3, v[3:4]
	s_delay_alu instid0(VALU_DEP_4) | instskip(SKIP_2) | instid1(VALU_DEP_4)
	v_add_co_u32 v22, vcc_lo, s30, v1
	v_add_co_ci_u32_e32 v23, vcc_lo, s31, v2, vcc_lo
	v_lshlrev_b64 v[1:2], 3, v[5:6]
	v_add_co_u32 v24, vcc_lo, s30, v3
	v_add_co_ci_u32_e32 v25, vcc_lo, s31, v4, vcc_lo
	v_lshlrev_b64 v[3:4], 3, v[7:8]
	s_delay_alu instid0(VALU_DEP_4) | instskip(SKIP_2) | instid1(VALU_DEP_3)
	v_add_co_u32 v26, vcc_lo, s30, v1
	v_add_co_ci_u32_e32 v27, vcc_lo, s31, v2, vcc_lo
	s_addc_u32 s48, s45, s7
	v_add_co_u32 v28, vcc_lo, s30, v3
	s_delay_alu instid0(VALU_DEP_4)
	v_add_co_ci_u32_e32 v29, vcc_lo, s31, v4, vcc_lo
	s_lshl_b64 s[36:37], s[34:35], 3
	s_mul_hi_i32 s49, s26, 24
	s_mul_i32 s50, s26, 24
	s_lshl_b64 s[38:39], s[26:27], 5
	s_lshl_b64 s[40:41], s[26:27], 4
	;; [unrolled: 1-line block ×3, first 2 shown]
	s_mov_b32 s33, 0
                                        ; implicit-def: $vgpr1_vgpr2_vgpr3_vgpr4_vgpr5_vgpr6_vgpr7_vgpr8
	s_branch .LBB283_16
.LBB283_15:                             ;   in Loop: Header=BB283_16 Depth=1
	s_or_b32 exec_lo, exec_lo, s6
	v_add_co_u32 v32, vcc_lo, v32, s38
	v_add_co_ci_u32_e32 v33, vcc_lo, s39, v33, vcc_lo
	s_add_i32 s33, s33, 4
	s_delay_alu instid0(SALU_CYCLE_1)
	s_cmp_ge_i32 s33, s46
	s_cbranch_scc1 .LBB283_40
.LBB283_16:                             ; =>This Loop Header: Depth=1
                                        ;     Child Loop BB283_22 Depth 2
                                        ;     Child Loop BB283_25 Depth 2
	;; [unrolled: 1-line block ×3, first 2 shown]
                                        ; implicit-def: $vgpr9_vgpr10_vgpr11_vgpr12_vgpr13_vgpr14_vgpr15_vgpr16
	s_and_saveexec_b32 s6, s3
	s_delay_alu instid0(SALU_CYCLE_1)
	s_xor_b32 s6, exec_lo, s6
	s_cbranch_execz .LBB283_18
; %bb.17:                               ;   in Loop: Header=BB283_16 Depth=1
	s_mul_i32 s7, s33, s27
	s_mul_hi_u32 s8, s33, s26
	s_delay_alu instid0(SALU_CYCLE_1)
	s_add_i32 s9, s8, s7
	s_mul_i32 s8, s33, s26
	s_or_b32 s7, s33, 1
	s_lshl_b64 s[8:9], s[8:9], 3
	s_mul_i32 s17, s7, s27
	s_mul_hi_u32 s18, s7, s26
	v_add_co_u32 v7, vcc_lo, v17, s8
	v_add_co_ci_u32_e32 v8, vcc_lo, s9, v18, vcc_lo
	s_add_i32 s9, s18, s17
	s_mul_i32 s8, s7, s26
	s_or_b32 s7, s33, 2
	s_lshl_b64 s[8:9], s[8:9], 3
	s_mul_i32 s17, s7, s27
	s_mul_hi_u32 s18, s7, s26
	v_add_co_u32 v61, vcc_lo, v17, s8
	v_add_co_ci_u32_e32 v62, vcc_lo, s9, v18, vcc_lo
	s_add_i32 s9, s18, s17
	s_or_b32 s17, s33, 3
	s_mul_i32 s8, s7, s26
	s_mul_i32 s7, s17, s27
	s_mul_hi_u32 s18, s17, s26
	s_lshl_b64 s[8:9], s[8:9], 3
	s_add_i32 s19, s18, s7
	s_mul_i32 s18, s17, s26
	v_add_co_u32 v65, vcc_lo, v17, s8
	v_add_co_ci_u32_e32 v66, vcc_lo, s9, v18, vcc_lo
	s_lshl_b64 s[8:9], s[18:19], 3
	s_delay_alu instid0(SALU_CYCLE_1)
	v_add_co_u32 v69, vcc_lo, v17, s8
	v_add_co_ci_u32_e32 v70, vcc_lo, s9, v18, vcc_lo
	flat_load_b128 v[9:12], v[7:8]
	flat_load_b64 v[1:2], v[22:23]
	s_clause 0x2
	flat_load_b128 v[13:16], v[61:62]
	flat_load_b128 v[34:37], v[65:66]
	;; [unrolled: 1-line block ×3, first 2 shown]
	s_clause 0x1
	flat_load_b64 v[3:4], v[24:25]
	flat_load_b64 v[5:6], v[26:27]
	s_clause 0x3
	flat_load_b128 v[57:60], v[7:8] offset:16
	flat_load_b128 v[61:64], v[61:62] offset:16
	;; [unrolled: 1-line block ×4, first 2 shown]
	flat_load_b64 v[7:8], v[28:29]
	s_waitcnt vmcnt(10) lgkmcnt(10)
	v_fma_f64 v[9:10], v[1:2], v[9:10], 0
	s_waitcnt vmcnt(9) lgkmcnt(9)
	v_fma_f64 v[13:14], v[1:2], v[13:14], 0
	;; [unrolled: 2-line block ×4, first 2 shown]
	s_waitcnt vmcnt(6) lgkmcnt(6)
	s_delay_alu instid0(VALU_DEP_4) | instskip(NEXT) | instid1(VALU_DEP_4)
	v_fma_f64 v[9:10], v[3:4], v[11:12], v[9:10]
	v_fma_f64 v[11:12], v[3:4], v[15:16], v[13:14]
	s_delay_alu instid0(VALU_DEP_4) | instskip(NEXT) | instid1(VALU_DEP_4)
	v_fma_f64 v[13:14], v[3:4], v[36:37], v[34:35]
	v_fma_f64 v[15:16], v[3:4], v[55:56], v[53:54]
	s_waitcnt vmcnt(4) lgkmcnt(4)
	s_delay_alu instid0(VALU_DEP_4) | instskip(SKIP_1) | instid1(VALU_DEP_4)
	v_fma_f64 v[9:10], v[5:6], v[57:58], v[9:10]
	s_waitcnt vmcnt(3) lgkmcnt(3)
	v_fma_f64 v[11:12], v[5:6], v[61:62], v[11:12]
	s_waitcnt vmcnt(2) lgkmcnt(2)
	s_delay_alu instid0(VALU_DEP_4) | instskip(SKIP_1) | instid1(VALU_DEP_4)
	v_fma_f64 v[13:14], v[5:6], v[65:66], v[13:14]
	s_waitcnt vmcnt(1) lgkmcnt(1)
	v_fma_f64 v[15:16], v[5:6], v[69:70], v[15:16]
	s_waitcnt vmcnt(0) lgkmcnt(0)
	s_delay_alu instid0(VALU_DEP_4) | instskip(NEXT) | instid1(VALU_DEP_4)
	v_fma_f64 v[9:10], v[7:8], v[59:60], v[9:10]
	v_fma_f64 v[11:12], v[7:8], v[63:64], v[11:12]
	s_delay_alu instid0(VALU_DEP_4) | instskip(NEXT) | instid1(VALU_DEP_4)
	v_fma_f64 v[13:14], v[7:8], v[67:68], v[13:14]
	v_fma_f64 v[15:16], v[7:8], v[71:72], v[15:16]
.LBB283_18:                             ;   in Loop: Header=BB283_16 Depth=1
	s_and_not1_saveexec_b32 s51, s6
	s_cbranch_execz .LBB283_27
; %bb.19:                               ;   in Loop: Header=BB283_16 Depth=1
	s_mov_b32 s17, s16
	s_mov_b32 s18, s16
	;; [unrolled: 1-line block ×7, first 2 shown]
	v_dual_mov_b32 v9, s16 :: v_dual_mov_b32 v10, s17
	v_dual_mov_b32 v11, s18 :: v_dual_mov_b32 v12, s19
	;; [unrolled: 1-line block ×4, first 2 shown]
	s_and_saveexec_b32 s52, s4
	s_cbranch_execz .LBB283_26
; %bb.20:                               ;   in Loop: Header=BB283_16 Depth=1
	s_and_not1_b32 vcc_lo, exec_lo, s47
	s_cbranch_vccnz .LBB283_23
; %bb.21:                               ;   in Loop: Header=BB283_16 Depth=1
	v_dual_mov_b32 v9, v22 :: v_dual_mov_b32 v10, v23
	s_mov_b64 s[18:19], 0
	.p2align	6
.LBB283_22:                             ;   Parent Loop BB283_16 Depth=1
                                        ; =>  This Inner Loop Header: Depth=2
	flat_load_b64 v[11:12], v[9:10]
	v_add_co_u32 v9, vcc_lo, v9, s36
	s_cmp_eq_u32 s18, 3
	v_add_co_ci_u32_e32 v10, vcc_lo, s37, v10, vcc_lo
	s_cselect_b32 vcc_lo, -1, 0
	s_cmp_eq_u32 s18, 2
	s_cselect_b32 s6, -1, 0
	s_cmp_eq_u32 s18, 1
	s_cselect_b32 s7, -1, 0
	s_cmp_eq_u32 s18, 0
	s_cselect_b32 s8, -1, 0
	s_add_u32 s18, s18, 1
	s_addc_u32 s19, s19, 0
	s_cmp_eq_u32 s25, s18
	s_waitcnt vmcnt(0) lgkmcnt(0)
	v_dual_cndmask_b32 v8, v8, v12 :: v_dual_cndmask_b32 v7, v7, v11
	v_cndmask_b32_e64 v6, v6, v12, s6
	v_cndmask_b32_e64 v5, v5, v11, s6
	;; [unrolled: 1-line block ×6, first 2 shown]
	s_cbranch_scc0 .LBB283_22
.LBB283_23:                             ;   in Loop: Header=BB283_16 Depth=1
	s_mov_b32 s17, s16
	s_mov_b32 s18, s16
	;; [unrolled: 1-line block ×7, first 2 shown]
	v_dual_mov_b32 v9, s16 :: v_dual_mov_b32 v10, s17
	v_dual_mov_b32 v11, s18 :: v_dual_mov_b32 v12, s19
	;; [unrolled: 1-line block ×4, first 2 shown]
	s_and_not1_b32 vcc_lo, exec_lo, s47
	s_cbranch_vccnz .LBB283_26
; %bb.24:                               ;   in Loop: Header=BB283_16 Depth=1
	v_mov_b32_e32 v9, 0
	v_dual_mov_b32 v10, 0 :: v_dual_mov_b32 v35, v33
	v_mov_b32_e32 v34, v32
	s_mov_b64 s[8:9], 0
	s_delay_alu instid0(VALU_DEP_2)
	v_dual_mov_b32 v12, v10 :: v_dual_mov_b32 v11, v9
	v_dual_mov_b32 v14, v10 :: v_dual_mov_b32 v13, v9
	;; [unrolled: 1-line block ×3, first 2 shown]
	s_set_inst_prefetch_distance 0x1
	.p2align	6
.LBB283_25:                             ;   Parent Loop BB283_16 Depth=1
                                        ; =>  This Inner Loop Header: Depth=2
	v_add_co_u32 v36, vcc_lo, v34, s42
	v_add_co_ci_u32_e32 v37, vcc_lo, s43, v35, vcc_lo
	v_add_co_u32 v53, vcc_lo, v34, s40
	v_add_co_ci_u32_e32 v54, vcc_lo, s41, v35, vcc_lo
	;; [unrolled: 2-line block ×3, first 2 shown]
	s_clause 0x3
	flat_load_b64 v[57:58], v[34:35]
	flat_load_b64 v[36:37], v[36:37]
	;; [unrolled: 1-line block ×4, first 2 shown]
	s_cmp_eq_u32 s8, 1
	s_cselect_b32 vcc_lo, -1, 0
	s_cmp_eq_u32 s8, 2
	v_cndmask_b32_e32 v31, v2, v4, vcc_lo
	v_cndmask_b32_e32 v59, v1, v3, vcc_lo
	s_cselect_b32 vcc_lo, -1, 0
	s_cmp_eq_u32 s8, 3
	s_delay_alu instid0(VALU_DEP_2) | instskip(NEXT) | instid1(VALU_DEP_2)
	v_cndmask_b32_e32 v31, v31, v6, vcc_lo
	v_cndmask_b32_e32 v59, v59, v5, vcc_lo
	s_cselect_b32 s6, -1, 0
	v_add_co_u32 v34, vcc_lo, v34, 8
	s_delay_alu instid0(VALU_DEP_3) | instskip(NEXT) | instid1(VALU_DEP_3)
	v_cndmask_b32_e64 v60, v31, v8, s6
	v_cndmask_b32_e64 v59, v59, v7, s6
	v_add_co_ci_u32_e32 v35, vcc_lo, 0, v35, vcc_lo
	s_add_u32 s8, s8, 1
	s_addc_u32 s9, s9, 0
	s_cmp_lg_u32 s25, s8
	s_waitcnt vmcnt(3) lgkmcnt(3)
	v_fma_f64 v[9:10], v[59:60], v[57:58], v[9:10]
	s_waitcnt vmcnt(2) lgkmcnt(2)
	v_fma_f64 v[11:12], v[59:60], v[36:37], v[11:12]
	;; [unrolled: 2-line block ×4, first 2 shown]
	s_cbranch_scc1 .LBB283_25
.LBB283_26:                             ;   in Loop: Header=BB283_16 Depth=1
	s_set_inst_prefetch_distance 0x2
	s_or_b32 exec_lo, exec_lo, s52
.LBB283_27:                             ;   in Loop: Header=BB283_16 Depth=1
	s_delay_alu instid0(SALU_CYCLE_1)
	s_or_b32 exec_lo, exec_lo, s51
	s_mov_b64 s[6:7], 0
	s_branch .LBB283_29
.LBB283_28:                             ;   in Loop: Header=BB283_29 Depth=2
	s_or_b32 exec_lo, exec_lo, s8
	s_cmp_eq_u32 s6, 3
	s_cselect_b32 vcc_lo, -1, 0
	s_cmp_eq_u32 s6, 2
	s_waitcnt lgkmcnt(0)
	s_delay_alu instid0(VALU_DEP_1)
	v_dual_cndmask_b32 v16, v16, v35 :: v_dual_cndmask_b32 v15, v15, v34
	s_cselect_b32 vcc_lo, -1, 0
	s_cmp_eq_u32 s6, 1
	v_dual_cndmask_b32 v14, v14, v35 :: v_dual_cndmask_b32 v13, v13, v34
	s_cselect_b32 vcc_lo, -1, 0
	s_cmp_eq_u32 s6, 0
	v_dual_cndmask_b32 v12, v12, v35 :: v_dual_cndmask_b32 v11, v11, v34
	s_cselect_b32 vcc_lo, -1, 0
	s_add_u32 s6, s6, 1
	v_dual_cndmask_b32 v10, v10, v35 :: v_dual_cndmask_b32 v9, v9, v34
	s_addc_u32 s7, s7, 0
	s_cmp_eq_u32 s6, 4
	s_cbranch_scc1 .LBB283_37
.LBB283_29:                             ;   Parent Loop BB283_16 Depth=1
                                        ; =>  This Inner Loop Header: Depth=2
	s_and_saveexec_b32 s8, s0
	s_cbranch_execz .LBB283_31
; %bb.30:                               ;   in Loop: Header=BB283_29 Depth=2
	v_mov_b32_e32 v31, v30
	ds_store_b64 v51, v[30:31]
.LBB283_31:                             ;   in Loop: Header=BB283_29 Depth=2
	s_or_b32 exec_lo, exec_lo, s8
	s_cmp_eq_u32 s6, 1
	s_waitcnt lgkmcnt(0)
	s_waitcnt_vscnt null, 0x0
	s_cselect_b32 vcc_lo, -1, 0
	s_cmp_eq_u32 s6, 2
	s_delay_alu instid0(VALU_DEP_1) | instskip(SKIP_3) | instid1(VALU_DEP_1)
	v_dual_cndmask_b32 v31, v10, v12 :: v_dual_cndmask_b32 v34, v9, v11
	s_cselect_b32 vcc_lo, -1, 0
	s_cmp_eq_u32 s6, 3
	s_barrier
	v_dual_cndmask_b32 v31, v31, v14 :: v_dual_cndmask_b32 v34, v34, v13
	s_cselect_b32 vcc_lo, -1, 0
	buffer_gl0_inv
	v_dual_cndmask_b32 v35, v31, v16 :: v_dual_cndmask_b32 v34, v34, v15
	ds_bpermute_b32 v37, v46, v35
	ds_bpermute_b32 v36, v46, v34
	s_waitcnt lgkmcnt(0)
	v_add_f64 v[34:35], v[34:35], v[36:37]
	ds_bpermute_b32 v36, v47, v34
	ds_bpermute_b32 v37, v47, v35
	s_waitcnt lgkmcnt(0)
	v_add_f64 v[34:35], v[34:35], v[36:37]
	;; [unrolled: 4-line block ×4, first 2 shown]
	ds_bpermute_b32 v36, v50, v34
	ds_bpermute_b32 v37, v50, v35
	s_and_saveexec_b32 s8, s5
	s_cbranch_execz .LBB283_33
; %bb.32:                               ;   in Loop: Header=BB283_29 Depth=2
	s_waitcnt lgkmcnt(0)
	v_add_f64 v[34:35], v[34:35], v[36:37]
	ds_store_b64 v52, v[34:35]
.LBB283_33:                             ;   in Loop: Header=BB283_29 Depth=2
	s_or_b32 exec_lo, exec_lo, s8
	v_mov_b32_e32 v34, 0
	v_mov_b32_e32 v35, 0
	s_waitcnt lgkmcnt(0)
	s_barrier
	buffer_gl0_inv
	s_and_saveexec_b32 s8, s1
	s_cbranch_execz .LBB283_35
; %bb.34:                               ;   in Loop: Header=BB283_29 Depth=2
	ds_load_b64 v[34:35], v51
.LBB283_35:                             ;   in Loop: Header=BB283_29 Depth=2
	s_or_b32 exec_lo, exec_lo, s8
	s_and_saveexec_b32 s8, s0
	s_cbranch_execz .LBB283_28
; %bb.36:                               ;   in Loop: Header=BB283_29 Depth=2
	s_waitcnt lgkmcnt(0)
	ds_bpermute_b32 v36, v48, v34
	ds_bpermute_b32 v37, v48, v35
	s_waitcnt lgkmcnt(0)
	v_add_f64 v[34:35], v[34:35], v[36:37]
	ds_bpermute_b32 v36, v49, v34
	ds_bpermute_b32 v37, v49, v35
	s_waitcnt lgkmcnt(0)
	v_add_f64 v[34:35], v[34:35], v[36:37]
	ds_bpermute_b32 v36, v50, v34
	ds_bpermute_b32 v37, v50, v35
	s_waitcnt lgkmcnt(0)
	v_add_f64 v[34:35], v[34:35], v[36:37]
	s_branch .LBB283_28
.LBB283_37:                             ;   in Loop: Header=BB283_16 Depth=1
	s_and_saveexec_b32 s6, s2
	s_cbranch_execz .LBB283_15
; %bb.38:                               ;   in Loop: Header=BB283_16 Depth=1
	v_mul_f64 v[9:10], v[9:10], s[10:11]
	v_mul_f64 v[11:12], v[11:12], s[10:11]
	;; [unrolled: 1-line block ×4, first 2 shown]
	s_mul_hi_u32 s9, s33, s24
	s_mul_i32 s8, s33, s24
	s_delay_alu instid0(SALU_CYCLE_1) | instskip(NEXT) | instid1(SALU_CYCLE_1)
	s_lshl_b64 s[8:9], s[8:9], 3
	s_add_u32 s8, s15, s8
	s_addc_u32 s9, s48, s9
	s_or_b32 s7, s33, 1
	s_delay_alu instid0(SALU_CYCLE_1) | instskip(SKIP_1) | instid1(SALU_CYCLE_1)
	s_mul_hi_u32 s19, s7, s24
	s_mul_i32 s18, s7, s24
	s_lshl_b64 s[18:19], s[18:19], 3
	s_delay_alu instid0(SALU_CYCLE_1) | instskip(SKIP_2) | instid1(SALU_CYCLE_1)
	s_add_u32 s18, s15, s18
	s_addc_u32 s19, s48, s19
	s_or_b32 s7, s33, 2
	s_mul_hi_u32 s21, s7, s24
	s_mul_i32 s20, s7, s24
	s_delay_alu instid0(SALU_CYCLE_1) | instskip(NEXT) | instid1(SALU_CYCLE_1)
	s_lshl_b64 s[20:21], s[20:21], 3
	s_add_u32 s20, s15, s20
	s_addc_u32 s21, s48, s21
	s_or_b32 s7, s33, 3
	s_delay_alu instid0(SALU_CYCLE_1) | instskip(SKIP_1) | instid1(SALU_CYCLE_1)
	s_mul_hi_u32 s23, s7, s24
	s_mul_i32 s22, s7, s24
	s_lshl_b64 s[22:23], s[22:23], 3
	s_delay_alu instid0(SALU_CYCLE_1)
	s_add_u32 s22, s15, s22
	s_addc_u32 s23, s48, s23
	s_clause 0x3
	global_store_b64 v30, v[9:10], s[8:9]
	global_store_b64 v30, v[11:12], s[18:19]
	;; [unrolled: 1-line block ×4, first 2 shown]
	s_branch .LBB283_15
.LBB283_39:
	s_mov_b32 s33, 0
                                        ; implicit-def: $vgpr1_vgpr2_vgpr3_vgpr4_vgpr5_vgpr6_vgpr7_vgpr8
.LBB283_40:
	s_delay_alu instid0(SALU_CYCLE_1)
	s_cmp_ge_i32 s33, s13
	s_cbranch_scc1 .LBB283_64
; %bb.41:
	v_cmp_gt_u32_e32 vcc_lo, 16, v43
	v_mad_i64_i32 v[15:16], null, s34, v38, 0
	s_cmp_gt_i32 s25, 0
	s_mov_b32 s15, 0
	v_cndmask_b32_e64 v9, 0, 1, vcc_lo
	v_cmp_gt_u32_e32 vcc_lo, 24, v43
	s_cselect_b32 s9, -1, 0
	s_lshl_b64 s[6:7], s[14:15], 3
	v_cmp_ge_i32_e64 s0, s12, v44
	v_lshlrev_b32_e32 v9, 4, v9
	v_cndmask_b32_e64 v10, 0, 1, vcc_lo
	v_cmp_gt_u32_e32 vcc_lo, 28, v43
	v_cmp_ge_i32_e64 s1, s12, v45
	s_add_u32 s12, s44, s6
	v_add_lshl_u32 v28, v9, v43, 2
	v_lshlrev_b32_e32 v10, 3, v10
	v_cndmask_b32_e64 v11, 0, 1, vcc_lo
	v_cmp_gt_u32_e32 vcc_lo, 30, v43
	v_lshlrev_b64 v[15:16], 3, v[15:16]
	s_addc_u32 s14, s45, s7
	v_add_lshl_u32 v29, v10, v43, 2
	v_lshlrev_b32_e32 v11, 2, v11
	v_cndmask_b32_e64 v12, 0, 1, vcc_lo
	v_cmp_ne_u32_e32 vcc_lo, 31, v43
	v_mad_i64_i32 v[9:10], null, s34, v21, 0
	s_delay_alu instid0(VALU_DEP_3) | instskip(SKIP_3) | instid1(VALU_DEP_3)
	v_dual_mov_b32 v21, 0 :: v_dual_lshlrev_b32 v12, 1, v12
	v_add_co_ci_u32_e32 v13, vcc_lo, 0, v43, vcc_lo
	v_add_lshl_u32 v30, v11, v43, 2
	s_mul_i32 s6, s27, s33
	v_add_lshl_u32 v31, v12, v43, 2
	v_mad_i64_i32 v[11:12], null, s34, v40, 0
	v_lshlrev_b32_e32 v32, 2, v13
	v_mad_i64_i32 v[13:14], null, s34, v39, 0
	v_lshlrev_b64 v[9:10], 3, v[9:10]
	s_mul_hi_u32 s7, s26, s33
	s_lshl_b64 s[16:17], s[34:35], 3
	s_delay_alu instid0(VALU_DEP_4)
	v_lshlrev_b64 v[11:12], 3, v[11:12]
	s_add_i32 s7, s7, s6
	s_mul_i32 s6, s26, s33
	v_add_co_u32 v9, vcc_lo, s30, v9
	v_lshlrev_b64 v[13:14], 3, v[13:14]
	v_add_co_ci_u32_e32 v10, vcc_lo, s31, v10, vcc_lo
	v_add_co_u32 v11, vcc_lo, s30, v11
	v_add_co_ci_u32_e32 v12, vcc_lo, s31, v12, vcc_lo
	s_delay_alu instid0(VALU_DEP_4)
	v_add_co_u32 v13, vcc_lo, s30, v13
	v_add_co_ci_u32_e32 v14, vcc_lo, s31, v14, vcc_lo
	s_lshl_b64 s[6:7], s[6:7], 3
	v_add_co_u32 v15, vcc_lo, s30, v15
	s_add_u32 s6, s28, s6
	v_add_co_ci_u32_e32 v16, vcc_lo, s31, v16, vcc_lo
	s_addc_u32 s7, s29, s7
	v_add_co_u32 v19, vcc_lo, s6, v19
	v_cmp_gt_u32_e64 s2, 32, v0
	v_lshlrev_b32_e32 v27, 3, v41
	v_cmp_eq_u32_e64 s3, 0, v41
	v_and_b32_e32 v33, 56, v42
	v_cmp_gt_u32_e64 s4, 8, v0
	v_cmp_eq_u32_e64 s5, 0, v0
	v_add_co_ci_u32_e32 v20, vcc_lo, s7, v20, vcc_lo
	s_lshl_b64 s[18:19], s[26:27], 3
	s_branch .LBB283_43
.LBB283_42:                             ;   in Loop: Header=BB283_43 Depth=1
	s_or_b32 exec_lo, exec_lo, s6
	v_add_co_u32 v19, vcc_lo, v19, s18
	v_add_co_ci_u32_e32 v20, vcc_lo, s19, v20, vcc_lo
	s_add_i32 s33, s33, 1
	s_delay_alu instid0(SALU_CYCLE_1)
	s_cmp_ge_i32 s33, s13
	s_cbranch_scc1 .LBB283_64
.LBB283_43:                             ; =>This Loop Header: Depth=1
                                        ;     Child Loop BB283_56 Depth 2
                                        ;     Child Loop BB283_59 Depth 2
	s_waitcnt lgkmcnt(0)
	v_dual_mov_b32 v23, s15 :: v_dual_mov_b32 v24, s15
	s_and_saveexec_b32 s6, s0
	s_delay_alu instid0(SALU_CYCLE_1)
	s_xor_b32 s6, exec_lo, s6
	s_cbranch_execnz .LBB283_52
; %bb.44:                               ;   in Loop: Header=BB283_43 Depth=1
	s_and_not1_saveexec_b32 s22, s6
	s_cbranch_execnz .LBB283_53
.LBB283_45:                             ;   in Loop: Header=BB283_43 Depth=1
	s_or_b32 exec_lo, exec_lo, s22
	s_and_saveexec_b32 s6, s2
	s_cbranch_execz .LBB283_47
.LBB283_46:                             ;   in Loop: Header=BB283_43 Depth=1
	v_mov_b32_e32 v22, v21
	ds_store_b64 v27, v[21:22]
.LBB283_47:                             ;   in Loop: Header=BB283_43 Depth=1
	s_or_b32 exec_lo, exec_lo, s6
	ds_bpermute_b32 v25, v28, v23
	ds_bpermute_b32 v26, v28, v24
	s_waitcnt lgkmcnt(0)
	s_waitcnt_vscnt null, 0x0
	s_barrier
	buffer_gl0_inv
	v_add_f64 v[22:23], v[23:24], v[25:26]
	ds_bpermute_b32 v24, v29, v22
	ds_bpermute_b32 v25, v29, v23
	s_waitcnt lgkmcnt(0)
	v_add_f64 v[22:23], v[22:23], v[24:25]
	ds_bpermute_b32 v24, v30, v22
	ds_bpermute_b32 v25, v30, v23
	s_waitcnt lgkmcnt(0)
	;; [unrolled: 4-line block ×3, first 2 shown]
	v_add_f64 v[22:23], v[22:23], v[24:25]
	ds_bpermute_b32 v24, v32, v22
	ds_bpermute_b32 v25, v32, v23
	s_and_saveexec_b32 s6, s3
	s_cbranch_execz .LBB283_49
; %bb.48:                               ;   in Loop: Header=BB283_43 Depth=1
	s_waitcnt lgkmcnt(0)
	v_add_f64 v[22:23], v[22:23], v[24:25]
	ds_store_b64 v33, v[22:23]
.LBB283_49:                             ;   in Loop: Header=BB283_43 Depth=1
	s_or_b32 exec_lo, exec_lo, s6
	v_mov_b32_e32 v22, 0
	v_mov_b32_e32 v23, 0
	s_waitcnt lgkmcnt(0)
	s_barrier
	buffer_gl0_inv
	s_and_saveexec_b32 s6, s4
	s_cbranch_execnz .LBB283_61
; %bb.50:                               ;   in Loop: Header=BB283_43 Depth=1
	s_or_b32 exec_lo, exec_lo, s6
	s_and_saveexec_b32 s6, s2
	s_cbranch_execnz .LBB283_62
.LBB283_51:                             ;   in Loop: Header=BB283_43 Depth=1
	s_or_b32 exec_lo, exec_lo, s6
	s_and_saveexec_b32 s6, s5
	s_cbranch_execz .LBB283_42
	s_branch .LBB283_63
.LBB283_52:                             ;   in Loop: Header=BB283_43 Depth=1
	s_mul_i32 s7, s33, s27
	s_mul_hi_u32 s8, s33, s26
	s_mul_i32 s20, s33, s26
	s_add_i32 s21, s8, s7
	s_delay_alu instid0(SALU_CYCLE_1) | instskip(NEXT) | instid1(SALU_CYCLE_1)
	s_lshl_b64 s[20:21], s[20:21], 3
	v_add_co_u32 v5, vcc_lo, v17, s20
	v_add_co_ci_u32_e32 v6, vcc_lo, s21, v18, vcc_lo
	flat_load_b128 v[22:25], v[5:6]
	s_clause 0x1
	flat_load_b64 v[1:2], v[9:10]
	flat_load_b64 v[3:4], v[11:12]
	flat_load_b128 v[34:37], v[5:6] offset:16
	s_clause 0x1
	flat_load_b64 v[5:6], v[13:14]
	flat_load_b64 v[7:8], v[15:16]
	s_waitcnt vmcnt(4) lgkmcnt(4)
	v_fma_f64 v[22:23], v[1:2], v[22:23], 0
	s_waitcnt vmcnt(3) lgkmcnt(3)
	s_delay_alu instid0(VALU_DEP_1) | instskip(SKIP_1) | instid1(VALU_DEP_1)
	v_fma_f64 v[22:23], v[3:4], v[24:25], v[22:23]
	s_waitcnt vmcnt(1) lgkmcnt(1)
	v_fma_f64 v[22:23], v[5:6], v[34:35], v[22:23]
	s_waitcnt vmcnt(0) lgkmcnt(0)
	s_delay_alu instid0(VALU_DEP_1)
	v_fma_f64 v[23:24], v[7:8], v[36:37], v[22:23]
	s_and_not1_saveexec_b32 s22, s6
	s_cbranch_execz .LBB283_45
.LBB283_53:                             ;   in Loop: Header=BB283_43 Depth=1
	s_and_saveexec_b32 s23, s1
	s_cbranch_execz .LBB283_60
; %bb.54:                               ;   in Loop: Header=BB283_43 Depth=1
	s_and_not1_b32 vcc_lo, exec_lo, s9
	s_cbranch_vccnz .LBB283_57
; %bb.55:                               ;   in Loop: Header=BB283_43 Depth=1
	v_dual_mov_b32 v26, v10 :: v_dual_mov_b32 v25, v9
	s_mov_b64 s[20:21], 0
	.p2align	6
.LBB283_56:                             ;   Parent Loop BB283_43 Depth=1
                                        ; =>  This Inner Loop Header: Depth=2
	flat_load_b64 v[34:35], v[25:26]
	v_add_co_u32 v25, vcc_lo, v25, s16
	s_cmp_eq_u32 s20, 3
	v_add_co_ci_u32_e32 v26, vcc_lo, s17, v26, vcc_lo
	s_cselect_b32 vcc_lo, -1, 0
	s_cmp_eq_u32 s20, 2
	s_cselect_b32 s6, -1, 0
	s_cmp_eq_u32 s20, 1
	s_cselect_b32 s7, -1, 0
	;; [unrolled: 2-line block ×3, first 2 shown]
	s_add_u32 s20, s20, 1
	s_addc_u32 s21, s21, 0
	s_cmp_eq_u32 s25, s20
	s_waitcnt vmcnt(0) lgkmcnt(0)
	v_dual_cndmask_b32 v8, v8, v35 :: v_dual_cndmask_b32 v7, v7, v34
	v_cndmask_b32_e64 v6, v6, v35, s6
	v_cndmask_b32_e64 v5, v5, v34, s6
	;; [unrolled: 1-line block ×6, first 2 shown]
	s_cbranch_scc0 .LBB283_56
.LBB283_57:                             ;   in Loop: Header=BB283_43 Depth=1
	s_and_not1_b32 vcc_lo, exec_lo, s9
	s_cbranch_vccnz .LBB283_60
; %bb.58:                               ;   in Loop: Header=BB283_43 Depth=1
	v_dual_mov_b32 v26, v20 :: v_dual_mov_b32 v25, v19
	s_mov_b64 s[6:7], 0
	.p2align	6
.LBB283_59:                             ;   Parent Loop BB283_43 Depth=1
                                        ; =>  This Inner Loop Header: Depth=2
	flat_load_b64 v[34:35], v[25:26]
	s_cmp_eq_u32 s6, 1
	s_cselect_b32 vcc_lo, -1, 0
	s_cmp_eq_u32 s6, 2
	v_cndmask_b32_e32 v0, v2, v4, vcc_lo
	v_cndmask_b32_e32 v22, v1, v3, vcc_lo
	s_cselect_b32 vcc_lo, -1, 0
	s_cmp_eq_u32 s6, 3
	s_delay_alu instid0(VALU_DEP_2) | instskip(NEXT) | instid1(VALU_DEP_2)
	v_cndmask_b32_e32 v0, v0, v6, vcc_lo
	v_cndmask_b32_e32 v22, v22, v5, vcc_lo
	s_cselect_b32 vcc_lo, -1, 0
	s_add_u32 s6, s6, 1
	s_addc_u32 s7, s7, 0
	s_delay_alu instid0(VALU_DEP_1)
	v_dual_cndmask_b32 v37, v0, v8 :: v_dual_cndmask_b32 v36, v22, v7
	v_add_co_u32 v25, vcc_lo, v25, 8
	v_add_co_ci_u32_e32 v26, vcc_lo, 0, v26, vcc_lo
	s_cmp_lg_u32 s25, s6
	s_waitcnt vmcnt(0) lgkmcnt(0)
	v_fma_f64 v[23:24], v[36:37], v[34:35], v[23:24]
	s_cbranch_scc1 .LBB283_59
.LBB283_60:                             ;   in Loop: Header=BB283_43 Depth=1
	s_or_b32 exec_lo, exec_lo, s23
	s_delay_alu instid0(SALU_CYCLE_1)
	s_or_b32 exec_lo, exec_lo, s22
	s_and_saveexec_b32 s6, s2
	s_cbranch_execnz .LBB283_46
	s_branch .LBB283_47
.LBB283_61:                             ;   in Loop: Header=BB283_43 Depth=1
	ds_load_b64 v[22:23], v27
	s_or_b32 exec_lo, exec_lo, s6
	s_and_saveexec_b32 s6, s2
	s_cbranch_execz .LBB283_51
.LBB283_62:                             ;   in Loop: Header=BB283_43 Depth=1
	s_waitcnt lgkmcnt(0)
	ds_bpermute_b32 v24, v30, v22
	ds_bpermute_b32 v25, v30, v23
	s_waitcnt lgkmcnt(0)
	v_add_f64 v[22:23], v[22:23], v[24:25]
	ds_bpermute_b32 v24, v31, v22
	ds_bpermute_b32 v25, v31, v23
	s_waitcnt lgkmcnt(0)
	v_add_f64 v[22:23], v[22:23], v[24:25]
	;; [unrolled: 4-line block ×3, first 2 shown]
	s_or_b32 exec_lo, exec_lo, s6
	s_and_saveexec_b32 s6, s5
	s_cbranch_execz .LBB283_42
.LBB283_63:                             ;   in Loop: Header=BB283_43 Depth=1
	s_waitcnt lgkmcnt(0)
	s_delay_alu instid0(VALU_DEP_1) | instskip(SKIP_2) | instid1(SALU_CYCLE_1)
	v_mul_f64 v[22:23], v[22:23], s[10:11]
	s_mul_hi_u32 s21, s33, s24
	s_mul_i32 s20, s33, s24
	s_lshl_b64 s[20:21], s[20:21], 3
	s_delay_alu instid0(SALU_CYCLE_1)
	s_add_u32 s20, s12, s20
	s_addc_u32 s21, s14, s21
	global_store_b64 v21, v[22:23], s[20:21]
	s_branch .LBB283_42
.LBB283_64:
	s_nop 0
	s_sendmsg sendmsg(MSG_DEALLOC_VGPRS)
	s_endpgm
	.section	.rodata,"a",@progbits
	.p2align	6, 0x0
	.amdhsa_kernel _ZL23rocblas_gemvt_sn_kernelILb1ELi256ELi4ElPKdddEviiT4_lPKT3_lilS5_lilPT5_i
		.amdhsa_group_segment_fixed_size 256
		.amdhsa_private_segment_fixed_size 0
		.amdhsa_kernarg_size 360
		.amdhsa_user_sgpr_count 14
		.amdhsa_user_sgpr_dispatch_ptr 0
		.amdhsa_user_sgpr_queue_ptr 0
		.amdhsa_user_sgpr_kernarg_segment_ptr 1
		.amdhsa_user_sgpr_dispatch_id 0
		.amdhsa_user_sgpr_private_segment_size 0
		.amdhsa_wavefront_size32 1
		.amdhsa_uses_dynamic_stack 0
		.amdhsa_enable_private_segment 0
		.amdhsa_system_sgpr_workgroup_id_x 1
		.amdhsa_system_sgpr_workgroup_id_y 0
		.amdhsa_system_sgpr_workgroup_id_z 1
		.amdhsa_system_sgpr_workgroup_info 0
		.amdhsa_system_vgpr_workitem_id 0
		.amdhsa_next_free_vgpr 73
		.amdhsa_next_free_sgpr 53
		.amdhsa_reserve_vcc 1
		.amdhsa_float_round_mode_32 0
		.amdhsa_float_round_mode_16_64 0
		.amdhsa_float_denorm_mode_32 3
		.amdhsa_float_denorm_mode_16_64 3
		.amdhsa_dx10_clamp 1
		.amdhsa_ieee_mode 1
		.amdhsa_fp16_overflow 0
		.amdhsa_workgroup_processor_mode 1
		.amdhsa_memory_ordered 1
		.amdhsa_forward_progress 0
		.amdhsa_shared_vgpr_count 0
		.amdhsa_exception_fp_ieee_invalid_op 0
		.amdhsa_exception_fp_denorm_src 0
		.amdhsa_exception_fp_ieee_div_zero 0
		.amdhsa_exception_fp_ieee_overflow 0
		.amdhsa_exception_fp_ieee_underflow 0
		.amdhsa_exception_fp_ieee_inexact 0
		.amdhsa_exception_int_div_zero 0
	.end_amdhsa_kernel
	.section	.text._ZL23rocblas_gemvt_sn_kernelILb1ELi256ELi4ElPKdddEviiT4_lPKT3_lilS5_lilPT5_i,"axG",@progbits,_ZL23rocblas_gemvt_sn_kernelILb1ELi256ELi4ElPKdddEviiT4_lPKT3_lilS5_lilPT5_i,comdat
.Lfunc_end283:
	.size	_ZL23rocblas_gemvt_sn_kernelILb1ELi256ELi4ElPKdddEviiT4_lPKT3_lilS5_lilPT5_i, .Lfunc_end283-_ZL23rocblas_gemvt_sn_kernelILb1ELi256ELi4ElPKdddEviiT4_lPKT3_lilS5_lilPT5_i
                                        ; -- End function
	.section	.AMDGPU.csdata,"",@progbits
; Kernel info:
; codeLenInByte = 4048
; NumSgprs: 55
; NumVgprs: 73
; ScratchSize: 0
; MemoryBound: 1
; FloatMode: 240
; IeeeMode: 1
; LDSByteSize: 256 bytes/workgroup (compile time only)
; SGPRBlocks: 6
; VGPRBlocks: 9
; NumSGPRsForWavesPerEU: 55
; NumVGPRsForWavesPerEU: 73
; Occupancy: 16
; WaveLimiterHint : 0
; COMPUTE_PGM_RSRC2:SCRATCH_EN: 0
; COMPUTE_PGM_RSRC2:USER_SGPR: 14
; COMPUTE_PGM_RSRC2:TRAP_HANDLER: 0
; COMPUTE_PGM_RSRC2:TGID_X_EN: 1
; COMPUTE_PGM_RSRC2:TGID_Y_EN: 0
; COMPUTE_PGM_RSRC2:TGID_Z_EN: 1
; COMPUTE_PGM_RSRC2:TIDIG_COMP_CNT: 0
	.section	.text._ZL36rocblas_gemvt_double_buffered_kernelILb1ELi128ELi4ELi16EPKdS1_KPdEviiT4_lPKT3_lilS7_lilPT5_lili,"axG",@progbits,_ZL36rocblas_gemvt_double_buffered_kernelILb1ELi128ELi4ELi16EPKdS1_KPdEviiT4_lPKT3_lilS7_lilPT5_lili,comdat
	.globl	_ZL36rocblas_gemvt_double_buffered_kernelILb1ELi128ELi4ELi16EPKdS1_KPdEviiT4_lPKT3_lilS7_lilPT5_lili ; -- Begin function _ZL36rocblas_gemvt_double_buffered_kernelILb1ELi128ELi4ELi16EPKdS1_KPdEviiT4_lPKT3_lilS7_lilPT5_lili
	.p2align	8
	.type	_ZL36rocblas_gemvt_double_buffered_kernelILb1ELi128ELi4ELi16EPKdS1_KPdEviiT4_lPKT3_lilS7_lilPT5_lili,@function
_ZL36rocblas_gemvt_double_buffered_kernelILb1ELi128ELi4ELi16EPKdS1_KPdEviiT4_lPKT3_lilS7_lilPT5_lili: ; @_ZL36rocblas_gemvt_double_buffered_kernelILb1ELi128ELi4ELi16EPKdS1_KPdEviiT4_lPKT3_lilS7_lilPT5_lili
; %bb.0:
	s_load_b256 s[4:11], s[0:1], 0x8
	s_waitcnt lgkmcnt(0)
	s_mul_i32 s2, s15, s7
	s_mul_hi_u32 s3, s15, s6
	s_delay_alu instid0(SALU_CYCLE_1) | instskip(SKIP_1) | instid1(SALU_CYCLE_1)
	s_add_i32 s3, s3, s2
	s_mul_i32 s2, s15, s6
	s_lshl_b64 s[2:3], s[2:3], 3
	s_delay_alu instid0(SALU_CYCLE_1) | instskip(SKIP_4) | instid1(VALU_DEP_1)
	s_add_u32 s2, s4, s2
	s_addc_u32 s3, s5, s3
	s_load_b64 s[2:3], s[2:3], 0x0
	s_waitcnt lgkmcnt(0)
	v_cmp_eq_f64_e64 s4, s[2:3], 0
	s_and_b32 vcc_lo, exec_lo, s4
	s_cbranch_vccnz .LBB284_11
; %bb.1:
	s_clause 0x1
	s_load_b32 s4, s[0:1], 0x84
	s_load_b32 s5, s[0:1], 0x0
	s_mov_b32 s16, s15
	s_mov_b32 s17, 0
	s_waitcnt lgkmcnt(0)
	v_cvt_f32_u32_e32 v1, s4
	s_ashr_i32 s7, s5, 31
	s_sub_i32 s12, 0, s4
	s_lshr_b32 s7, s7, 25
	s_delay_alu instid0(SALU_CYCLE_1) | instskip(SKIP_4) | instid1(VALU_DEP_1)
	s_add_i32 s5, s5, s7
	v_rcp_iflag_f32_e32 v1, v1
	s_ashr_i32 s5, s5, 7
	s_waitcnt_depctr 0xfff
	v_mul_f32_e32 v1, 0x4f7ffffe, v1
	v_cvt_u32_f32_e32 v1, v1
	s_delay_alu instid0(VALU_DEP_1) | instskip(NEXT) | instid1(VALU_DEP_1)
	v_readfirstlane_b32 s6, v1
	s_mul_i32 s12, s12, s6
	s_delay_alu instid0(SALU_CYCLE_1) | instskip(NEXT) | instid1(SALU_CYCLE_1)
	s_mul_hi_u32 s7, s6, s12
	s_add_i32 s6, s6, s7
	s_delay_alu instid0(SALU_CYCLE_1) | instskip(NEXT) | instid1(SALU_CYCLE_1)
	s_mul_hi_u32 s6, s5, s6
	s_mul_i32 s7, s6, s4
	s_add_i32 s12, s6, 1
	s_sub_i32 s7, s5, s7
	s_delay_alu instid0(SALU_CYCLE_1)
	s_sub_i32 s15, s7, s4
	s_cmp_ge_u32 s7, s4
	s_cselect_b32 s6, s12, s6
	s_cselect_b32 s7, s15, s7
	s_add_i32 s12, s6, 1
	s_cmp_ge_u32 s7, s4
	s_cselect_b32 s15, s12, s6
	s_delay_alu instid0(SALU_CYCLE_1) | instskip(NEXT) | instid1(SALU_CYCLE_1)
	s_mul_i32 s4, s15, s4
	s_sub_i32 s21, s5, s4
	s_delay_alu instid0(SALU_CYCLE_1) | instskip(SKIP_1) | instid1(SALU_CYCLE_1)
	s_cmp_lt_u32 s14, s21
	s_cselect_b32 s4, -1, 0
	s_cmp_lg_u32 s4, 0
	s_addc_u32 s20, s15, 0
	s_delay_alu instid0(SALU_CYCLE_1)
	s_cmp_eq_u32 s20, 0
	s_cbranch_scc1 .LBB284_11
; %bb.2:
	s_load_b128 s[4:7], s[0:1], 0x58
	s_lshl_b64 s[18:19], s[16:17], 3
	v_and_b32_e32 v139, 0x3ff, v0
	v_bfe_u32 v140, v0, 10, 10
	v_mov_b32_e32 v35, 0
	v_mov_b32_e32 v36, 0
	s_delay_alu instid0(VALU_DEP_2) | instskip(NEXT) | instid1(VALU_DEP_4)
	v_dual_mov_b32 v33, v35 :: v_dual_and_b32 v0, 63, v139
	v_lshl_add_u32 v65, v140, 7, v139
	s_delay_alu instid0(VALU_DEP_3) | instskip(NEXT) | instid1(VALU_DEP_3)
	v_mov_b32_e32 v34, v36
	v_dual_mov_b32 v38, v36 :: v_dual_lshlrev_b32 v143, 3, v0
	s_delay_alu instid0(VALU_DEP_3) | instskip(SKIP_2) | instid1(VALU_DEP_3)
	v_lshrrev_b32_e32 v141, 2, v65
	v_dual_mov_b32 v42, v36 :: v_dual_mov_b32 v41, v35
	v_dual_mov_b32 v37, v35 :: v_dual_mov_b32 v40, v36
	v_dual_mov_b32 v39, v35 :: v_dual_and_b32 v142, 0x7ff0, v141
	s_waitcnt lgkmcnt(0)
	s_add_u32 s16, s4, s18
	s_addc_u32 s17, s5, s19
	s_lshl_b32 s4, s13, 7
	s_load_b64 s[12:13], s[16:17], 0x0
	v_dual_mov_b32 v46, v36 :: v_dual_mov_b32 v45, v35
	v_dual_mov_b32 v44, v36 :: v_dual_mov_b32 v43, v35
	;; [unrolled: 1-line block ×11, first 2 shown]
	s_ashr_i32 s5, s4, 31
	s_cmp_lt_i32 s20, 1
	s_cbranch_scc1 .LBB284_8
; %bb.3:
	v_cvt_f64_i32_e32 v[1:2], s14
	v_cvt_f64_u32_e32 v[3:4], s21
	s_mul_i32 s15, s15, s14
	s_clause 0x1
	s_load_b32 s16, s[0:1], 0x28
	s_load_b128 s[24:27], s[0:1], 0x38
	v_cvt_f64_u32_e32 v[5:6], s15
	s_load_b32 s14, s[0:1], 0x48
	v_mov_b32_e32 v33, 0
	v_dual_mov_b32 v34, 0 :: v_dual_lshlrev_b32 v35, 1, v65
	s_delay_alu instid0(VALU_DEP_1) | instskip(NEXT) | instid1(VALU_DEP_3)
	v_dual_mov_b32 v64, v34 :: v_dual_and_b32 v65, 0x7ff80, v35
	v_dual_mov_b32 v60, v34 :: v_dual_mov_b32 v63, v33
	v_dual_mov_b32 v62, v34 :: v_dual_mov_b32 v59, v33
	;; [unrolled: 1-line block ×4, first 2 shown]
	v_mov_b32_e32 v52, v34
	s_waitcnt lgkmcnt(0)
	s_ashr_i32 s17, s16, 31
	s_add_u32 s8, s8, s18
	s_addc_u32 s9, s9, s19
	s_add_u32 s18, s24, s18
	s_load_b64 s[8:9], s[8:9], 0x0
	s_addc_u32 s19, s25, s19
	s_lshl_b64 s[10:11], s[10:11], 3
	s_load_b64 s[18:19], s[18:19], 0x0
	s_ashr_i32 s15, s14, 31
	v_dual_mov_b32 v57, v33 :: v_dual_mov_b32 v54, v34
	v_dual_mov_b32 v51, v33 :: v_dual_mov_b32 v48, v34
	;; [unrolled: 1-line block ×4, first 2 shown]
	v_min_f64 v[1:2], v[1:2], v[3:4]
	v_dual_mov_b32 v49, v33 :: v_dual_mov_b32 v46, v34
	v_dual_mov_b32 v43, v33 :: v_dual_mov_b32 v40, v34
	v_dual_mov_b32 v45, v33 :: v_dual_mov_b32 v42, v34
	s_waitcnt lgkmcnt(0)
	s_add_u32 s23, s8, s10
	s_addc_u32 s24, s9, s11
	s_lshl_b64 s[8:9], s[26:27], 3
	s_mul_hi_i32 s11, s16, s4
	s_add_u32 s21, s18, s8
	s_addc_u32 s22, s19, s9
	v_dual_mov_b32 v39, v33 :: v_dual_mov_b32 v38, v34
	v_dual_mov_b32 v41, v33 :: v_dual_mov_b32 v36, v34
	v_add_f64 v[1:2], v[1:2], v[5:6]
	s_delay_alu instid0(VALU_DEP_1) | instskip(SKIP_1) | instid1(VALU_DEP_1)
	v_cvt_i32_f64_e32 v4, v[1:2]
	v_mov_b32_e32 v1, 0
	v_mad_i64_i32 v[2:3], null, s16, v142, v[0:1]
	s_delay_alu instid0(VALU_DEP_1) | instskip(NEXT) | instid1(VALU_DEP_4)
	v_lshlrev_b64 v[1:2], 3, v[2:3]
	v_readfirstlane_b32 s10, v4
	s_delay_alu instid0(VALU_DEP_1) | instskip(SKIP_2) | instid1(SALU_CYCLE_1)
	s_lshl_b32 s8, s10, 7
	s_mul_i32 s10, s16, s4
	s_ashr_i32 s9, s8, 31
	s_lshl_b64 s[18:19], s[8:9], 3
	s_lshl_b64 s[8:9], s[10:11], 3
	s_add_u32 s10, s23, s18
	s_addc_u32 s11, s24, s19
	s_add_u32 s8, s10, s8
	s_addc_u32 s9, s11, s9
	v_add_co_u32 v1, vcc_lo, s8, v1
	v_add_co_ci_u32_e32 v2, vcc_lo, s9, v2, vcc_lo
	s_lshl_b64 s[8:9], s[16:17], 3
	v_or_b32_e32 v67, s18, v143
	s_mul_i32 s23, s19, s14
	s_delay_alu instid0(VALU_DEP_2) | instskip(SKIP_4) | instid1(VALU_DEP_1)
	v_mad_i64_i32 v[31:32], null, 0x78, s16, v[1:2]
	global_load_b64 v[1:2], v[1:2], off
	s_lshl_b64 s[18:19], s[4:5], 3
	v_mul_lo_u32 v71, v67, s15
	v_add_co_u32 v69, s5, v65, s18
	v_add_co_ci_u32_e64 v70, null, 0, s19, s5
	v_sub_co_u32 v3, vcc_lo, v31, s8
	v_subrev_co_ci_u32_e32 v4, vcc_lo, s9, v32, vcc_lo
	v_mad_u64_u32 v[65:66], null, v67, s14, 0
	s_delay_alu instid0(VALU_DEP_3) | instskip(NEXT) | instid1(VALU_DEP_3)
	v_sub_co_u32 v5, vcc_lo, v3, s8
	v_subrev_co_ci_u32_e32 v6, vcc_lo, s9, v4, vcc_lo
	global_load_b64 v[3:4], v[3:4], off
	v_sub_co_u32 v7, vcc_lo, v5, s8
	v_subrev_co_ci_u32_e32 v8, vcc_lo, s9, v6, vcc_lo
	global_load_b64 v[5:6], v[5:6], off
	;; [unrolled: 3-line block ×9, first 2 shown]
	v_sub_co_u32 v23, vcc_lo, v21, s8
	v_subrev_co_ci_u32_e32 v24, vcc_lo, s9, v22, vcc_lo
	v_or_b32_e32 v72, 0x200, v67
	s_delay_alu instid0(VALU_DEP_3) | instskip(NEXT) | instid1(VALU_DEP_3)
	v_sub_co_u32 v25, vcc_lo, v23, s8
	v_subrev_co_ci_u32_e32 v26, vcc_lo, s9, v24, vcc_lo
	v_mad_u64_u32 v[67:68], null, v69, s16, s[10:11]
	s_delay_alu instid0(VALU_DEP_3) | instskip(NEXT) | instid1(VALU_DEP_3)
	v_sub_co_u32 v27, vcc_lo, v25, s8
	v_subrev_co_ci_u32_e32 v28, vcc_lo, s9, v26, vcc_lo
	v_mul_lo_u32 v103, v69, s17
	s_delay_alu instid0(VALU_DEP_3) | instskip(NEXT) | instid1(VALU_DEP_3)
	v_sub_co_u32 v29, vcc_lo, v27, s8
	v_subrev_co_ci_u32_e32 v30, vcc_lo, s9, v28, vcc_lo
	global_load_b64 v[21:22], v[21:22], off
	global_load_b64 v[23:24], v[23:24], off
	;; [unrolled: 1-line block ×6, first 2 shown]
	v_add_co_u32 v73, vcc_lo, v69, 8
	v_add_co_ci_u32_e32 v74, vcc_lo, 0, v70, vcc_lo
	v_add_co_u32 v75, vcc_lo, v69, 16
	v_add_co_ci_u32_e32 v76, vcc_lo, 0, v70, vcc_lo
	;; [unrolled: 2-line block ×15, first 2 shown]
	v_mul_lo_u32 v104, v70, s16
	v_mul_lo_u32 v105, v72, s15
	v_mad_u64_u32 v[69:70], null, v72, s14, 0
	v_add3_u32 v66, v66, v71, s23
	v_mad_u64_u32 v[71:72], null, v73, s16, s[10:11]
	v_mul_lo_u32 v106, v73, s17
	v_mul_lo_u32 v107, v74, s16
	v_mad_u64_u32 v[73:74], null, v75, s16, s[10:11]
	v_mul_lo_u32 v108, v75, s17
	v_mul_lo_u32 v109, v76, s16
	;; [unrolled: 3-line block ×3, first 2 shown]
	v_add3_u32 v72, v107, v72, v106
	v_mad_u64_u32 v[77:78], null, v79, s16, s[10:11]
	v_mul_lo_u32 v112, v79, s17
	v_mul_lo_u32 v113, v80, s16
	v_add3_u32 v74, v109, v74, v108
	v_add_co_u32 v144, vcc_lo, 0x400, v71
	v_mad_u64_u32 v[79:80], null, v81, s16, s[10:11]
	v_mul_lo_u32 v114, v81, s17
	v_mul_lo_u32 v115, v82, s16
	v_add_co_ci_u32_e32 v145, vcc_lo, 0, v72, vcc_lo
	v_add3_u32 v76, v111, v76, v110
	v_add_co_u32 v146, vcc_lo, 0x400, v73
	v_mad_u64_u32 v[81:82], null, v83, s16, s[10:11]
	v_mul_lo_u32 v116, v83, s17
	v_mul_lo_u32 v117, v84, s16
	v_add_co_ci_u32_e32 v147, vcc_lo, 0, v74, vcc_lo
	;; [unrolled: 6-line block ×11, first 2 shown]
	v_add3_u32 v96, v131, v96, v130
	v_add_co_u32 v166, vcc_lo, 0x400, v93
	v_add_co_ci_u32_e32 v167, vcc_lo, 0, v94, vcc_lo
	v_add3_u32 v98, v133, v98, v132
	v_add_co_u32 v168, vcc_lo, 0x400, v95
	v_add_co_ci_u32_e32 v169, vcc_lo, 0, v96, vcc_lo
	;; [unrolled: 3-line block ×3, first 2 shown]
	v_add_co_u32 v172, vcc_lo, 0x400, v99
	v_mov_b32_e32 v37, v33
	v_mov_b32_e32 v35, v33
	v_add_co_ci_u32_e32 v173, vcc_lo, 0, v100, vcc_lo
	v_add3_u32 v68, v104, v68, v103
	v_add3_u32 v70, v70, v105, s23
	s_mov_b32 s5, 0
	s_add_i32 s16, s20, -1
	s_lshl_b64 s[10:11], s[14:15], 10
	s_waitcnt vmcnt(15)
	v_dual_mov_b32 v72, v2 :: v_dual_mov_b32 v71, v1
	s_waitcnt vmcnt(14)
	v_dual_mov_b32 v100, v4 :: v_dual_mov_b32 v99, v3
	;; [unrolled: 2-line block ×10, first 2 shown]
	s_waitcnt vmcnt(5)
	v_mov_b32_e32 v82, v22
	s_waitcnt vmcnt(4)
	v_mov_b32_e32 v80, v24
	s_waitcnt vmcnt(3)
	v_dual_mov_b32 v78, v26 :: v_dual_mov_b32 v81, v21
	s_waitcnt vmcnt(2)
	v_dual_mov_b32 v76, v28 :: v_dual_mov_b32 v79, v23
	;; [unrolled: 2-line block ×4, first 2 shown]
	v_mov_b32_e32 v73, v29
	v_mov_b32_e32 v101, v31
.LBB284_4:                              ; =>This Inner Loop Header: Depth=1
	v_add_co_u32 v137, vcc_lo, v67, v143
	v_add_co_ci_u32_e32 v138, vcc_lo, 0, v68, vcc_lo
	s_cmp_lg_u32 s16, s5
	s_delay_alu instid0(VALU_DEP_2) | instskip(NEXT) | instid1(VALU_DEP_2)
	v_add_co_u32 v103, vcc_lo, 0x200, v137
	v_add_co_ci_u32_e32 v104, vcc_lo, 0, v138, vcc_lo
	s_delay_alu instid0(VALU_DEP_2) | instskip(NEXT) | instid1(VALU_DEP_2)
	v_add_co_u32 v105, vcc_lo, v103, s8
	v_add_co_ci_u32_e32 v106, vcc_lo, s9, v104, vcc_lo
	;; [unrolled: 3-line block ×5, first 2 shown]
	s_clause 0x3
	global_load_b64 v[103:104], v[137:138], off offset:512
	global_load_b64 v[105:106], v[105:106], off
	global_load_b64 v[107:108], v[107:108], off
	;; [unrolled: 1-line block ×3, first 2 shown]
	v_add_co_u32 v113, vcc_lo, v111, s8
	v_add_co_ci_u32_e32 v114, vcc_lo, s9, v112, vcc_lo
	global_load_b64 v[111:112], v[111:112], off
	v_add_co_u32 v115, vcc_lo, v113, s8
	v_add_co_ci_u32_e32 v116, vcc_lo, s9, v114, vcc_lo
	global_load_b64 v[113:114], v[113:114], off
	v_add_co_u32 v117, vcc_lo, v115, s8
	v_add_co_ci_u32_e32 v118, vcc_lo, s9, v116, vcc_lo
	global_load_b64 v[115:116], v[115:116], off
	v_add_co_u32 v119, vcc_lo, v117, s8
	v_add_co_ci_u32_e32 v120, vcc_lo, s9, v118, vcc_lo
	global_load_b64 v[117:118], v[117:118], off
	v_add_co_u32 v121, vcc_lo, v119, s8
	v_add_co_ci_u32_e32 v122, vcc_lo, s9, v120, vcc_lo
	global_load_b64 v[119:120], v[119:120], off
	v_add_co_u32 v123, vcc_lo, v121, s8
	v_add_co_ci_u32_e32 v124, vcc_lo, s9, v122, vcc_lo
	global_load_b64 v[121:122], v[121:122], off
	v_add_co_u32 v125, vcc_lo, v123, s8
	v_add_co_ci_u32_e32 v126, vcc_lo, s9, v124, vcc_lo
	global_load_b64 v[123:124], v[123:124], off
	v_add_co_u32 v127, vcc_lo, v125, s8
	v_add_co_ci_u32_e32 v128, vcc_lo, s9, v126, vcc_lo
	global_load_b64 v[125:126], v[125:126], off
	v_add_co_u32 v129, vcc_lo, v127, s8
	v_add_co_ci_u32_e32 v130, vcc_lo, s9, v128, vcc_lo
	s_delay_alu instid0(VALU_DEP_2) | instskip(NEXT) | instid1(VALU_DEP_2)
	v_add_co_u32 v131, vcc_lo, v129, s8
	v_add_co_ci_u32_e32 v132, vcc_lo, s9, v130, vcc_lo
	s_delay_alu instid0(VALU_DEP_2) | instskip(NEXT) | instid1(VALU_DEP_2)
	v_add_co_u32 v133, vcc_lo, v131, s8
	v_add_co_ci_u32_e32 v134, vcc_lo, s9, v132, vcc_lo
	v_add_co_u32 v135, vcc_lo, s21, v65
	v_add_co_ci_u32_e32 v136, vcc_lo, s22, v66, vcc_lo
	global_load_b64 v[127:128], v[127:128], off
	global_load_b64 v[129:130], v[129:130], off
	;; [unrolled: 1-line block ×5, first 2 shown]
	s_cbranch_scc0 .LBB284_6
; %bb.5:                                ;   in Loop: Header=BB284_4 Depth=1
	v_add_co_u32 v73, vcc_lo, v144, v143
	v_add_co_ci_u32_e32 v74, vcc_lo, 0, v145, vcc_lo
	v_add_co_u32 v75, vcc_lo, v146, v143
	v_add_co_ci_u32_e32 v76, vcc_lo, 0, v147, vcc_lo
	;; [unrolled: 2-line block ×15, first 2 shown]
	global_load_b64 v[71:72], v[137:138], off offset:1024
	global_load_b64 v[73:74], v[73:74], off
	global_load_b64 v[75:76], v[75:76], off
	;; [unrolled: 1-line block ×15, first 2 shown]
.LBB284_6:                              ;   in Loop: Header=BB284_4 Depth=1
	v_add_co_u32 v137, vcc_lo, s21, v69
	v_add_co_ci_u32_e32 v138, vcc_lo, s22, v70, vcc_lo
	s_waitcnt vmcnt(0)
	v_fma_f64 v[1:2], v[1:2], v[135:136], v[33:34]
	v_fma_f64 v[29:30], v[29:30], v[135:136], v[63:64]
	;; [unrolled: 1-line block ×3, first 2 shown]
	global_load_b64 v[137:138], v[137:138], off
	v_fma_f64 v[25:26], v[25:26], v[135:136], v[61:62]
	v_fma_f64 v[23:24], v[23:24], v[135:136], v[55:56]
	v_fma_f64 v[21:22], v[21:22], v[135:136], v[57:58]
	v_fma_f64 v[19:20], v[19:20], v[135:136], v[51:52]
	v_fma_f64 v[17:18], v[17:18], v[135:136], v[53:54]
	v_fma_f64 v[15:16], v[15:16], v[135:136], v[47:48]
	v_fma_f64 v[13:14], v[13:14], v[135:136], v[49:50]
	v_fma_f64 v[11:12], v[11:12], v[135:136], v[43:44]
	v_fma_f64 v[9:10], v[9:10], v[135:136], v[45:46]
	v_fma_f64 v[7:8], v[7:8], v[135:136], v[39:40]
	v_fma_f64 v[5:6], v[5:6], v[135:136], v[41:42]
	v_fma_f64 v[3:4], v[3:4], v[135:136], v[37:38]
	v_fma_f64 v[31:32], v[31:32], v[135:136], v[35:36]
	v_add_co_u32 v144, vcc_lo, 0x400, v144
	v_add_co_ci_u32_e32 v145, vcc_lo, 0, v145, vcc_lo
	v_add_co_u32 v146, vcc_lo, 0x400, v146
	v_add_co_ci_u32_e32 v147, vcc_lo, 0, v147, vcc_lo
	;; [unrolled: 2-line block ×15, first 2 shown]
	v_add_co_u32 v67, vcc_lo, 0x400, v67
	s_add_i32 s5, s5, 1
	v_add_co_ci_u32_e32 v68, vcc_lo, 0, v68, vcc_lo
	s_add_u32 s21, s21, s10
	s_addc_u32 s22, s22, s11
	s_cmp_ge_i32 s5, s20
	s_waitcnt vmcnt(0)
	v_fma_f64 v[33:34], v[103:104], v[137:138], v[1:2]
	v_fma_f64 v[63:64], v[105:106], v[137:138], v[29:30]
	;; [unrolled: 1-line block ×16, first 2 shown]
	s_cbranch_scc1 .LBB284_8
; %bb.7:                                ;   in Loop: Header=BB284_4 Depth=1
	v_dual_mov_b32 v1, v71 :: v_dual_mov_b32 v2, v72
	v_dual_mov_b32 v29, v73 :: v_dual_mov_b32 v30, v74
	;; [unrolled: 1-line block ×16, first 2 shown]
	s_branch .LBB284_4
.LBB284_8:
	v_lshlrev_b32_e32 v2, 3, v139
	v_lshlrev_b32_e32 v3, 9, v141
	v_lshl_or_b32 v1, v142, 9, v143
	s_mov_b32 s5, 0
	s_mov_b32 s8, exec_lo
	ds_store_2addr_stride64_b64 v1, v[33:34], v[63:64] offset1:1
	ds_store_2addr_stride64_b64 v1, v[59:60], v[61:62] offset0:2 offset1:3
	ds_store_2addr_stride64_b64 v1, v[55:56], v[57:58] offset0:4 offset1:5
	;; [unrolled: 1-line block ×3, first 2 shown]
	v_or3_b32 v2, v3, v2, 0x1e00
	ds_store_2addr_stride64_b64 v1, v[47:48], v[49:50] offset0:8 offset1:9
	ds_store_2addr_stride64_b64 v1, v[43:44], v[45:46] offset0:10 offset1:11
	;; [unrolled: 1-line block ×3, first 2 shown]
	ds_store_b64 v1, v[37:38] offset:7168
	ds_store_b64 v2, v[35:36]
	s_waitcnt lgkmcnt(0)
	s_barrier
	buffer_gl0_inv
	v_cmpx_eq_u32_e32 0, v140
	s_cbranch_execz .LBB284_11
; %bb.9:
	v_lshlrev_b32_e32 v12, 6, v139
	v_add_nc_u32_e32 v2, 1, v139
	v_add_nc_u32_e32 v3, 2, v139
	;; [unrolled: 1-line block ×3, first 2 shown]
	s_load_b32 s8, s[0:1], 0x68
	v_or_b32_e32 v10, v0, v12
	v_and_or_b32 v2, v2, 63, v12
	v_and_or_b32 v3, v3, 63, v12
	;; [unrolled: 1-line block ×3, first 2 shown]
	s_lshl_b64 s[0:1], s[6:7], 3
	v_lshlrev_b32_e32 v0, 3, v10
	v_lshlrev_b32_e32 v2, 3, v2
	;; [unrolled: 1-line block ×4, first 2 shown]
	s_add_u32 s6, s12, s0
	ds_load_b64 v[0:1], v0
	ds_load_b64 v[2:3], v2
	;; [unrolled: 1-line block ×4, first 2 shown]
	s_addc_u32 s7, s13, s1
	s_waitcnt lgkmcnt(0)
	s_mul_hi_i32 s1, s8, s4
	s_mul_i32 s0, s8, s4
	s_delay_alu instid0(SALU_CYCLE_1) | instskip(NEXT) | instid1(SALU_CYCLE_1)
	s_lshl_b64 s[0:1], s[0:1], 3
	s_add_u32 s0, s6, s0
	s_addc_u32 s1, s7, s1
	v_add_f64 v[0:1], v[0:1], 0
	s_delay_alu instid0(VALU_DEP_1) | instskip(SKIP_1) | instid1(VALU_DEP_1)
	v_add_f64 v[0:1], v[0:1], v[2:3]
	v_add_nc_u32_e32 v2, 4, v139
	v_and_or_b32 v2, v2, 63, v12
	s_delay_alu instid0(VALU_DEP_1) | instskip(SKIP_4) | instid1(VALU_DEP_2)
	v_lshlrev_b32_e32 v2, 3, v2
	ds_load_b64 v[2:3], v2
	v_add_f64 v[0:1], v[0:1], v[4:5]
	v_add_nc_u32_e32 v4, 5, v139
	v_add_nc_u32_e32 v5, 6, v139
	v_and_or_b32 v4, v4, 63, v12
	s_delay_alu instid0(VALU_DEP_2) | instskip(NEXT) | instid1(VALU_DEP_2)
	v_and_or_b32 v5, v5, 63, v12
	v_lshlrev_b32_e32 v4, 3, v4
	v_add_f64 v[0:1], v[0:1], v[6:7]
	v_add_nc_u32_e32 v6, 7, v139
	s_delay_alu instid0(VALU_DEP_4) | instskip(NEXT) | instid1(VALU_DEP_2)
	v_lshlrev_b32_e32 v7, 3, v5
	v_and_or_b32 v6, v6, 63, v12
	s_delay_alu instid0(VALU_DEP_1)
	v_lshlrev_b32_e32 v8, 3, v6
	ds_load_b64 v[4:5], v4
	ds_load_b64 v[6:7], v7
	ds_load_b64 v[8:9], v8
	s_waitcnt lgkmcnt(3)
	v_add_f64 v[0:1], v[0:1], v[2:3]
	v_add_nc_u32_e32 v2, 8, v139
	s_delay_alu instid0(VALU_DEP_1) | instskip(NEXT) | instid1(VALU_DEP_1)
	v_and_or_b32 v2, v2, 63, v12
	v_lshlrev_b32_e32 v2, 3, v2
	ds_load_b64 v[2:3], v2
	s_waitcnt lgkmcnt(3)
	v_add_f64 v[0:1], v[0:1], v[4:5]
	v_add_nc_u32_e32 v4, 9, v139
	v_add_nc_u32_e32 v5, 10, v139
	s_delay_alu instid0(VALU_DEP_2) | instskip(NEXT) | instid1(VALU_DEP_2)
	v_and_or_b32 v4, v4, 63, v12
	v_and_or_b32 v5, v5, 63, v12
	s_delay_alu instid0(VALU_DEP_2) | instskip(SKIP_4) | instid1(VALU_DEP_2)
	v_lshlrev_b32_e32 v4, 3, v4
	s_waitcnt lgkmcnt(2)
	v_add_f64 v[0:1], v[0:1], v[6:7]
	v_add_nc_u32_e32 v6, 11, v139
	v_lshlrev_b32_e32 v7, 3, v5
	v_and_or_b32 v6, v6, 63, v12
	s_waitcnt lgkmcnt(1)
	s_delay_alu instid0(VALU_DEP_4) | instskip(NEXT) | instid1(VALU_DEP_2)
	v_add_f64 v[0:1], v[0:1], v[8:9]
	v_lshlrev_b32_e32 v8, 3, v6
	ds_load_b64 v[4:5], v4
	ds_load_b64 v[6:7], v7
	ds_load_b64 v[8:9], v8
	s_waitcnt lgkmcnt(3)
	v_add_f64 v[0:1], v[0:1], v[2:3]
	v_add_nc_u32_e32 v2, 12, v139
	s_delay_alu instid0(VALU_DEP_1) | instskip(NEXT) | instid1(VALU_DEP_1)
	v_and_or_b32 v2, v2, 63, v12
	v_lshlrev_b32_e32 v2, 3, v2
	ds_load_b64 v[2:3], v2
	s_waitcnt lgkmcnt(3)
	v_add_f64 v[0:1], v[0:1], v[4:5]
	v_add_nc_u32_e32 v4, 13, v139
	v_add_nc_u32_e32 v5, 14, v139
	s_delay_alu instid0(VALU_DEP_2) | instskip(NEXT) | instid1(VALU_DEP_2)
	v_and_or_b32 v4, v4, 63, v12
	v_and_or_b32 v5, v5, 63, v12
	s_delay_alu instid0(VALU_DEP_2) | instskip(SKIP_4) | instid1(VALU_DEP_2)
	v_lshlrev_b32_e32 v4, 3, v4
	s_waitcnt lgkmcnt(2)
	v_add_f64 v[0:1], v[0:1], v[6:7]
	v_add_nc_u32_e32 v6, 15, v139
	v_lshlrev_b32_e32 v7, 3, v5
	v_and_or_b32 v6, v6, 63, v12
	s_waitcnt lgkmcnt(1)
	s_delay_alu instid0(VALU_DEP_4) | instskip(NEXT) | instid1(VALU_DEP_2)
	v_add_f64 v[0:1], v[0:1], v[8:9]
	;; [unrolled: 28-line block ×6, first 2 shown]
	v_lshlrev_b32_e32 v8, 3, v6
	ds_load_b64 v[4:5], v4
	ds_load_b64 v[6:7], v7
	;; [unrolled: 1-line block ×3, first 2 shown]
	s_waitcnt lgkmcnt(3)
	v_add_f64 v[0:1], v[0:1], v[2:3]
	v_xor_b32_e32 v2, 32, v10
	s_delay_alu instid0(VALU_DEP_1)
	v_lshlrev_b32_e32 v2, 3, v2
	ds_load_b64 v[2:3], v2
	s_waitcnt lgkmcnt(3)
	v_add_f64 v[0:1], v[0:1], v[4:5]
	v_add_nc_u32_e32 v4, 33, v139
	v_add_nc_u32_e32 v5, 34, v139
	s_delay_alu instid0(VALU_DEP_2) | instskip(NEXT) | instid1(VALU_DEP_2)
	v_and_or_b32 v4, v4, 63, v12
	v_and_or_b32 v5, v5, 63, v12
	s_delay_alu instid0(VALU_DEP_2) | instskip(SKIP_4) | instid1(VALU_DEP_2)
	v_lshlrev_b32_e32 v4, 3, v4
	s_waitcnt lgkmcnt(2)
	v_add_f64 v[0:1], v[0:1], v[6:7]
	v_add_nc_u32_e32 v6, 35, v139
	v_lshlrev_b32_e32 v7, 3, v5
	v_and_or_b32 v6, v6, 63, v12
	s_waitcnt lgkmcnt(1)
	s_delay_alu instid0(VALU_DEP_4) | instskip(NEXT) | instid1(VALU_DEP_2)
	v_add_f64 v[0:1], v[0:1], v[8:9]
	v_lshlrev_b32_e32 v8, 3, v6
	ds_load_b64 v[4:5], v4
	ds_load_b64 v[6:7], v7
	ds_load_b64 v[8:9], v8
	s_waitcnt lgkmcnt(3)
	v_add_f64 v[0:1], v[0:1], v[2:3]
	v_add_nc_u32_e32 v2, 36, v139
	s_delay_alu instid0(VALU_DEP_1) | instskip(NEXT) | instid1(VALU_DEP_1)
	v_and_or_b32 v2, v2, 63, v12
	v_lshlrev_b32_e32 v2, 3, v2
	ds_load_b64 v[2:3], v2
	s_waitcnt lgkmcnt(3)
	v_add_f64 v[0:1], v[0:1], v[4:5]
	v_add_nc_u32_e32 v4, 37, v139
	v_add_nc_u32_e32 v5, 38, v139
	s_delay_alu instid0(VALU_DEP_2) | instskip(NEXT) | instid1(VALU_DEP_2)
	v_and_or_b32 v4, v4, 63, v12
	v_and_or_b32 v5, v5, 63, v12
	s_delay_alu instid0(VALU_DEP_2) | instskip(SKIP_4) | instid1(VALU_DEP_2)
	v_lshlrev_b32_e32 v4, 3, v4
	s_waitcnt lgkmcnt(2)
	v_add_f64 v[0:1], v[0:1], v[6:7]
	v_add_nc_u32_e32 v6, 39, v139
	v_lshlrev_b32_e32 v7, 3, v5
	v_and_or_b32 v6, v6, 63, v12
	s_waitcnt lgkmcnt(1)
	s_delay_alu instid0(VALU_DEP_4) | instskip(NEXT) | instid1(VALU_DEP_2)
	v_add_f64 v[0:1], v[0:1], v[8:9]
	v_lshlrev_b32_e32 v8, 3, v6
	ds_load_b64 v[4:5], v4
	ds_load_b64 v[6:7], v7
	ds_load_b64 v[8:9], v8
	s_waitcnt lgkmcnt(3)
	v_add_f64 v[0:1], v[0:1], v[2:3]
	v_add_nc_u32_e32 v2, 40, v139
	s_delay_alu instid0(VALU_DEP_1) | instskip(NEXT) | instid1(VALU_DEP_1)
	v_and_or_b32 v2, v2, 63, v12
	;; [unrolled: 28-line block ×6, first 2 shown]
	v_lshlrev_b32_e32 v2, 3, v2
	ds_load_b64 v[2:3], v2
	s_waitcnt lgkmcnt(3)
	v_add_f64 v[0:1], v[0:1], v[4:5]
	v_add_nc_u32_e32 v4, 57, v139
	v_add_nc_u32_e32 v5, 58, v139
	s_delay_alu instid0(VALU_DEP_2) | instskip(NEXT) | instid1(VALU_DEP_2)
	v_and_or_b32 v4, v4, 63, v12
	v_and_or_b32 v5, v5, 63, v12
	s_delay_alu instid0(VALU_DEP_2) | instskip(NEXT) | instid1(VALU_DEP_2)
	v_lshlrev_b32_e32 v4, 3, v4
	v_lshlrev_b32_e32 v5, 3, v5
	s_waitcnt lgkmcnt(2)
	v_add_f64 v[0:1], v[0:1], v[6:7]
	v_add_nc_u32_e32 v6, 59, v139
	s_delay_alu instid0(VALU_DEP_1) | instskip(NEXT) | instid1(VALU_DEP_1)
	v_and_or_b32 v6, v6, 63, v12
	v_lshlrev_b32_e32 v10, 3, v6
	s_waitcnt lgkmcnt(1)
	s_delay_alu instid0(VALU_DEP_4)
	v_add_f64 v[0:1], v[0:1], v[8:9]
	ds_load_b64 v[6:7], v4
	ds_load_b64 v[8:9], v5
	;; [unrolled: 1-line block ×3, first 2 shown]
	s_waitcnt lgkmcnt(3)
	v_add_f64 v[0:1], v[0:1], v[2:3]
	v_mad_i64_i32 v[2:3], null, s8, v139, 0
	s_delay_alu instid0(VALU_DEP_1) | instskip(NEXT) | instid1(VALU_DEP_1)
	v_lshlrev_b64 v[2:3], 3, v[2:3]
	v_add_co_u32 v4, vcc_lo, s0, v2
	s_delay_alu instid0(VALU_DEP_2) | instskip(SKIP_4) | instid1(VALU_DEP_1)
	v_add_co_ci_u32_e32 v5, vcc_lo, s1, v3, vcc_lo
	global_load_b64 v[2:3], v[4:5], off
	s_waitcnt lgkmcnt(2)
	v_add_f64 v[0:1], v[0:1], v[6:7]
	v_add_nc_u32_e32 v6, 60, v139
	v_and_or_b32 v6, v6, 63, v12
	s_delay_alu instid0(VALU_DEP_1)
	v_lshlrev_b32_e32 v6, 3, v6
	ds_load_b64 v[6:7], v6
	s_waitcnt lgkmcnt(2)
	v_add_f64 v[0:1], v[0:1], v[8:9]
	v_add_nc_u32_e32 v8, 61, v139
	v_add_nc_u32_e32 v9, 62, v139
	s_delay_alu instid0(VALU_DEP_2) | instskip(NEXT) | instid1(VALU_DEP_2)
	v_and_or_b32 v8, v8, 63, v12
	v_and_or_b32 v9, v9, 63, v12
	s_delay_alu instid0(VALU_DEP_2) | instskip(SKIP_4) | instid1(VALU_DEP_2)
	v_lshlrev_b32_e32 v8, 3, v8
	s_waitcnt lgkmcnt(1)
	v_add_f64 v[0:1], v[0:1], v[10:11]
	v_add_nc_u32_e32 v10, -1, v139
	v_lshlrev_b32_e32 v11, 3, v9
	v_and_or_b32 v10, v10, 63, v12
	s_delay_alu instid0(VALU_DEP_1)
	v_lshlrev_b32_e32 v12, 3, v10
	ds_load_b64 v[8:9], v8
	ds_load_b64 v[10:11], v11
	;; [unrolled: 1-line block ×3, first 2 shown]
	s_waitcnt lgkmcnt(3)
	v_add_f64 v[0:1], v[0:1], v[6:7]
	s_waitcnt lgkmcnt(2)
	s_delay_alu instid0(VALU_DEP_1) | instskip(SKIP_1) | instid1(VALU_DEP_1)
	v_add_f64 v[0:1], v[0:1], v[8:9]
	s_waitcnt lgkmcnt(1)
	v_add_f64 v[0:1], v[0:1], v[10:11]
	s_waitcnt lgkmcnt(0)
	s_delay_alu instid0(VALU_DEP_1) | instskip(NEXT) | instid1(VALU_DEP_1)
	v_add_f64 v[0:1], v[0:1], v[12:13]
	v_mul_f64 v[6:7], s[2:3], v[0:1]
.LBB284_10:                             ; =>This Inner Loop Header: Depth=1
	s_waitcnt vmcnt(0)
	s_delay_alu instid0(VALU_DEP_1)
	v_add_f64 v[0:1], v[2:3], v[6:7]
	global_atomic_cmpswap_b64 v[0:1], v[4:5], v[0:3], off glc
	s_waitcnt vmcnt(0)
	v_cmp_eq_u64_e32 vcc_lo, v[0:1], v[2:3]
	v_dual_mov_b32 v3, v1 :: v_dual_mov_b32 v2, v0
	s_or_b32 s5, vcc_lo, s5
	s_delay_alu instid0(SALU_CYCLE_1)
	s_and_not1_b32 exec_lo, exec_lo, s5
	s_cbranch_execnz .LBB284_10
.LBB284_11:
	s_endpgm
	.section	.rodata,"a",@progbits
	.p2align	6, 0x0
	.amdhsa_kernel _ZL36rocblas_gemvt_double_buffered_kernelILb1ELi128ELi4ELi16EPKdS1_KPdEviiT4_lPKT3_lilS7_lilPT5_lili
		.amdhsa_group_segment_fixed_size 65536
		.amdhsa_private_segment_fixed_size 0
		.amdhsa_kernarg_size 384
		.amdhsa_user_sgpr_count 13
		.amdhsa_user_sgpr_dispatch_ptr 0
		.amdhsa_user_sgpr_queue_ptr 0
		.amdhsa_user_sgpr_kernarg_segment_ptr 1
		.amdhsa_user_sgpr_dispatch_id 0
		.amdhsa_user_sgpr_private_segment_size 0
		.amdhsa_wavefront_size32 1
		.amdhsa_uses_dynamic_stack 0
		.amdhsa_enable_private_segment 0
		.amdhsa_system_sgpr_workgroup_id_x 1
		.amdhsa_system_sgpr_workgroup_id_y 1
		.amdhsa_system_sgpr_workgroup_id_z 1
		.amdhsa_system_sgpr_workgroup_info 0
		.amdhsa_system_vgpr_workitem_id 1
		.amdhsa_next_free_vgpr 174
		.amdhsa_next_free_sgpr 28
		.amdhsa_reserve_vcc 1
		.amdhsa_float_round_mode_32 0
		.amdhsa_float_round_mode_16_64 0
		.amdhsa_float_denorm_mode_32 3
		.amdhsa_float_denorm_mode_16_64 3
		.amdhsa_dx10_clamp 1
		.amdhsa_ieee_mode 1
		.amdhsa_fp16_overflow 0
		.amdhsa_workgroup_processor_mode 1
		.amdhsa_memory_ordered 1
		.amdhsa_forward_progress 0
		.amdhsa_shared_vgpr_count 0
		.amdhsa_exception_fp_ieee_invalid_op 0
		.amdhsa_exception_fp_denorm_src 0
		.amdhsa_exception_fp_ieee_div_zero 0
		.amdhsa_exception_fp_ieee_overflow 0
		.amdhsa_exception_fp_ieee_underflow 0
		.amdhsa_exception_fp_ieee_inexact 0
		.amdhsa_exception_int_div_zero 0
	.end_amdhsa_kernel
	.section	.text._ZL36rocblas_gemvt_double_buffered_kernelILb1ELi128ELi4ELi16EPKdS1_KPdEviiT4_lPKT3_lilS7_lilPT5_lili,"axG",@progbits,_ZL36rocblas_gemvt_double_buffered_kernelILb1ELi128ELi4ELi16EPKdS1_KPdEviiT4_lPKT3_lilS7_lilPT5_lili,comdat
.Lfunc_end284:
	.size	_ZL36rocblas_gemvt_double_buffered_kernelILb1ELi128ELi4ELi16EPKdS1_KPdEviiT4_lPKT3_lilS7_lilPT5_lili, .Lfunc_end284-_ZL36rocblas_gemvt_double_buffered_kernelILb1ELi128ELi4ELi16EPKdS1_KPdEviiT4_lPKT3_lilS7_lilPT5_lili
                                        ; -- End function
	.section	.AMDGPU.csdata,"",@progbits
; Kernel info:
; codeLenInByte = 6676
; NumSgprs: 30
; NumVgprs: 174
; ScratchSize: 0
; MemoryBound: 0
; FloatMode: 240
; IeeeMode: 1
; LDSByteSize: 65536 bytes/workgroup (compile time only)
; SGPRBlocks: 3
; VGPRBlocks: 21
; NumSGPRsForWavesPerEU: 30
; NumVGPRsForWavesPerEU: 174
; Occupancy: 8
; WaveLimiterHint : 1
; COMPUTE_PGM_RSRC2:SCRATCH_EN: 0
; COMPUTE_PGM_RSRC2:USER_SGPR: 13
; COMPUTE_PGM_RSRC2:TRAP_HANDLER: 0
; COMPUTE_PGM_RSRC2:TGID_X_EN: 1
; COMPUTE_PGM_RSRC2:TGID_Y_EN: 1
; COMPUTE_PGM_RSRC2:TGID_Z_EN: 1
; COMPUTE_PGM_RSRC2:TIDIG_COMP_CNT: 1
	.section	.text._ZL36rocblas_gemvt_double_buffered_kernelILb1ELi128ELi4ELi16EPKddKPdEviiT4_lPKT3_lilS7_lilPT5_lili,"axG",@progbits,_ZL36rocblas_gemvt_double_buffered_kernelILb1ELi128ELi4ELi16EPKddKPdEviiT4_lPKT3_lilS7_lilPT5_lili,comdat
	.globl	_ZL36rocblas_gemvt_double_buffered_kernelILb1ELi128ELi4ELi16EPKddKPdEviiT4_lPKT3_lilS7_lilPT5_lili ; -- Begin function _ZL36rocblas_gemvt_double_buffered_kernelILb1ELi128ELi4ELi16EPKddKPdEviiT4_lPKT3_lilS7_lilPT5_lili
	.p2align	8
	.type	_ZL36rocblas_gemvt_double_buffered_kernelILb1ELi128ELi4ELi16EPKddKPdEviiT4_lPKT3_lilS7_lilPT5_lili,@function
_ZL36rocblas_gemvt_double_buffered_kernelILb1ELi128ELi4ELi16EPKddKPdEviiT4_lPKT3_lilS7_lilPT5_lili: ; @_ZL36rocblas_gemvt_double_buffered_kernelILb1ELi128ELi4ELi16EPKddKPdEviiT4_lPKT3_lilS7_lilPT5_lili
; %bb.0:
	s_load_b64 s[2:3], s[0:1], 0x8
	s_waitcnt lgkmcnt(0)
	v_cmp_eq_f64_e64 s4, s[2:3], 0
	s_delay_alu instid0(VALU_DEP_1)
	s_and_b32 vcc_lo, exec_lo, s4
	s_cbranch_vccnz .LBB285_11
; %bb.1:
	s_clause 0x1
	s_load_b32 s4, s[0:1], 0x84
	s_load_b32 s5, s[0:1], 0x0
	s_mov_b32 s8, s15
	s_waitcnt lgkmcnt(0)
	v_cvt_f32_u32_e32 v1, s4
	s_ashr_i32 s7, s5, 31
	s_sub_i32 s9, 0, s4
	s_lshr_b32 s7, s7, 25
	s_delay_alu instid0(SALU_CYCLE_1) | instskip(SKIP_4) | instid1(VALU_DEP_1)
	s_add_i32 s5, s5, s7
	v_rcp_iflag_f32_e32 v1, v1
	s_ashr_i32 s5, s5, 7
	s_waitcnt_depctr 0xfff
	v_mul_f32_e32 v1, 0x4f7ffffe, v1
	v_cvt_u32_f32_e32 v1, v1
	s_delay_alu instid0(VALU_DEP_1) | instskip(NEXT) | instid1(VALU_DEP_1)
	v_readfirstlane_b32 s6, v1
	s_mul_i32 s9, s9, s6
	s_delay_alu instid0(SALU_CYCLE_1) | instskip(NEXT) | instid1(SALU_CYCLE_1)
	s_mul_hi_u32 s7, s6, s9
	s_add_i32 s6, s6, s7
	s_delay_alu instid0(SALU_CYCLE_1) | instskip(NEXT) | instid1(SALU_CYCLE_1)
	s_mul_hi_u32 s6, s5, s6
	s_mul_i32 s7, s6, s4
	s_add_i32 s9, s6, 1
	s_sub_i32 s7, s5, s7
	s_delay_alu instid0(SALU_CYCLE_1)
	s_sub_i32 s10, s7, s4
	s_cmp_ge_u32 s7, s4
	s_cselect_b32 s6, s9, s6
	s_cselect_b32 s7, s10, s7
	s_add_i32 s9, s6, 1
	s_cmp_ge_u32 s7, s4
	s_cselect_b32 s12, s9, s6
	s_mov_b32 s9, 0
	s_mul_i32 s4, s12, s4
	s_delay_alu instid0(SALU_CYCLE_1) | instskip(NEXT) | instid1(SALU_CYCLE_1)
	s_sub_i32 s15, s5, s4
	s_cmp_lt_u32 s14, s15
	s_cselect_b32 s4, -1, 0
	s_delay_alu instid0(SALU_CYCLE_1) | instskip(SKIP_1) | instid1(SALU_CYCLE_1)
	s_cmp_lg_u32 s4, 0
	s_addc_u32 s20, s12, 0
	s_cmp_eq_u32 s20, 0
	s_cbranch_scc1 .LBB285_11
; %bb.2:
	s_load_b128 s[4:7], s[0:1], 0x58
	s_lshl_b64 s[10:11], s[8:9], 3
	v_and_b32_e32 v139, 0x3ff, v0
	v_bfe_u32 v140, v0, 10, 10
	v_mov_b32_e32 v35, 0
	v_mov_b32_e32 v36, 0
	s_delay_alu instid0(VALU_DEP_2) | instskip(NEXT) | instid1(VALU_DEP_4)
	v_dual_mov_b32 v33, v35 :: v_dual_and_b32 v0, 63, v139
	v_lshl_add_u32 v65, v140, 7, v139
	s_delay_alu instid0(VALU_DEP_3) | instskip(NEXT) | instid1(VALU_DEP_3)
	v_mov_b32_e32 v34, v36
	v_dual_mov_b32 v38, v36 :: v_dual_lshlrev_b32 v143, 3, v0
	s_delay_alu instid0(VALU_DEP_3) | instskip(SKIP_2) | instid1(VALU_DEP_3)
	v_lshrrev_b32_e32 v141, 2, v65
	v_dual_mov_b32 v42, v36 :: v_dual_mov_b32 v41, v35
	v_dual_mov_b32 v37, v35 :: v_dual_mov_b32 v40, v36
	v_dual_mov_b32 v39, v35 :: v_dual_and_b32 v142, 0x7ff0, v141
	s_waitcnt lgkmcnt(0)
	s_add_u32 s8, s4, s10
	s_addc_u32 s9, s5, s11
	s_lshl_b32 s4, s13, 7
	s_load_b64 s[8:9], s[8:9], 0x0
	v_dual_mov_b32 v46, v36 :: v_dual_mov_b32 v45, v35
	v_dual_mov_b32 v44, v36 :: v_dual_mov_b32 v43, v35
	;; [unrolled: 1-line block ×11, first 2 shown]
	s_ashr_i32 s5, s4, 31
	s_cmp_lt_i32 s20, 1
	s_cbranch_scc1 .LBB285_8
; %bb.3:
	v_cvt_f64_i32_e32 v[1:2], s14
	v_cvt_f64_u32_e32 v[3:4], s15
	s_mul_i32 s12, s12, s14
	s_clause 0x2
	s_load_b32 s14, s[0:1], 0x28
	s_load_b128 s[16:19], s[0:1], 0x18
	s_load_b128 s[24:27], s[0:1], 0x38
	v_cvt_f64_u32_e32 v[5:6], s12
	v_mov_b32_e32 v33, 0
	v_dual_mov_b32 v34, 0 :: v_dual_lshlrev_b32 v35, 1, v65
	s_delay_alu instid0(VALU_DEP_1) | instskip(NEXT) | instid1(VALU_DEP_3)
	v_dual_mov_b32 v64, v34 :: v_dual_and_b32 v65, 0x7ff80, v35
	v_dual_mov_b32 v60, v34 :: v_dual_mov_b32 v63, v33
	v_dual_mov_b32 v62, v34 :: v_dual_mov_b32 v59, v33
	;; [unrolled: 1-line block ×4, first 2 shown]
	v_mov_b32_e32 v52, v34
	s_waitcnt lgkmcnt(0)
	s_ashr_i32 s15, s14, 31
	s_add_u32 s16, s16, s10
	s_addc_u32 s17, s17, s11
	s_load_b32 s12, s[0:1], 0x48
	s_load_b64 s[16:17], s[16:17], 0x0
	s_add_u32 s10, s24, s10
	s_addc_u32 s11, s25, s11
	s_lshl_b64 s[18:19], s[18:19], 3
	s_load_b64 s[10:11], s[10:11], 0x0
	s_mul_hi_i32 s25, s14, s4
	s_mul_i32 s24, s14, s4
	v_dual_mov_b32 v57, v33 :: v_dual_mov_b32 v54, v34
	v_dual_mov_b32 v51, v33 :: v_dual_mov_b32 v48, v34
	v_dual_mov_b32 v53, v33 :: v_dual_mov_b32 v50, v34
	v_dual_mov_b32 v47, v33 :: v_dual_mov_b32 v44, v34
	v_min_f64 v[1:2], v[1:2], v[3:4]
	v_dual_mov_b32 v49, v33 :: v_dual_mov_b32 v46, v34
	v_dual_mov_b32 v43, v33 :: v_dual_mov_b32 v40, v34
	s_waitcnt lgkmcnt(0)
	s_ashr_i32 s13, s12, 31
	s_add_u32 s23, s16, s18
	s_addc_u32 s28, s17, s19
	s_lshl_b64 s[16:17], s[26:27], 3
	v_dual_mov_b32 v45, v33 :: v_dual_mov_b32 v42, v34
	s_add_u32 s21, s10, s16
	s_addc_u32 s22, s11, s17
	v_dual_mov_b32 v39, v33 :: v_dual_mov_b32 v38, v34
	v_dual_mov_b32 v41, v33 :: v_dual_mov_b32 v36, v34
	v_add_f64 v[1:2], v[1:2], v[5:6]
	s_delay_alu instid0(VALU_DEP_1) | instskip(SKIP_1) | instid1(VALU_DEP_1)
	v_cvt_i32_f64_e32 v4, v[1:2]
	v_mov_b32_e32 v1, 0
	v_mad_i64_i32 v[2:3], null, s14, v142, v[0:1]
	s_delay_alu instid0(VALU_DEP_1) | instskip(NEXT) | instid1(VALU_DEP_4)
	v_lshlrev_b64 v[1:2], 3, v[2:3]
	v_readfirstlane_b32 s18, v4
	s_delay_alu instid0(VALU_DEP_1) | instskip(NEXT) | instid1(SALU_CYCLE_1)
	s_lshl_b32 s10, s18, 7
	s_ashr_i32 s11, s10, 31
	s_delay_alu instid0(SALU_CYCLE_1)
	s_lshl_b64 s[18:19], s[10:11], 3
	s_lshl_b64 s[10:11], s[24:25], 3
	s_add_u32 s16, s23, s18
	s_addc_u32 s17, s28, s19
	s_add_u32 s10, s16, s10
	s_addc_u32 s11, s17, s11
	v_add_co_u32 v1, vcc_lo, s10, v1
	v_add_co_ci_u32_e32 v2, vcc_lo, s11, v2, vcc_lo
	s_lshl_b64 s[10:11], s[14:15], 3
	v_or_b32_e32 v67, s18, v143
	s_mul_i32 s23, s19, s12
	s_delay_alu instid0(VALU_DEP_2) | instskip(SKIP_4) | instid1(VALU_DEP_1)
	v_mad_i64_i32 v[31:32], null, 0x78, s14, v[1:2]
	global_load_b64 v[1:2], v[1:2], off
	s_lshl_b64 s[18:19], s[4:5], 3
	v_mul_lo_u32 v71, v67, s13
	v_add_co_u32 v69, s5, v65, s18
	v_add_co_ci_u32_e64 v70, null, 0, s19, s5
	v_sub_co_u32 v3, vcc_lo, v31, s10
	v_subrev_co_ci_u32_e32 v4, vcc_lo, s11, v32, vcc_lo
	v_mad_u64_u32 v[65:66], null, v67, s12, 0
	s_delay_alu instid0(VALU_DEP_3) | instskip(NEXT) | instid1(VALU_DEP_3)
	v_sub_co_u32 v5, vcc_lo, v3, s10
	v_subrev_co_ci_u32_e32 v6, vcc_lo, s11, v4, vcc_lo
	global_load_b64 v[3:4], v[3:4], off
	v_sub_co_u32 v7, vcc_lo, v5, s10
	v_subrev_co_ci_u32_e32 v8, vcc_lo, s11, v6, vcc_lo
	global_load_b64 v[5:6], v[5:6], off
	;; [unrolled: 3-line block ×9, first 2 shown]
	v_sub_co_u32 v23, vcc_lo, v21, s10
	v_subrev_co_ci_u32_e32 v24, vcc_lo, s11, v22, vcc_lo
	v_or_b32_e32 v72, 0x200, v67
	s_delay_alu instid0(VALU_DEP_3) | instskip(NEXT) | instid1(VALU_DEP_3)
	v_sub_co_u32 v25, vcc_lo, v23, s10
	v_subrev_co_ci_u32_e32 v26, vcc_lo, s11, v24, vcc_lo
	v_mad_u64_u32 v[67:68], null, v69, s14, s[16:17]
	s_delay_alu instid0(VALU_DEP_3) | instskip(NEXT) | instid1(VALU_DEP_3)
	v_sub_co_u32 v27, vcc_lo, v25, s10
	v_subrev_co_ci_u32_e32 v28, vcc_lo, s11, v26, vcc_lo
	v_mul_lo_u32 v103, v69, s15
	s_delay_alu instid0(VALU_DEP_3) | instskip(NEXT) | instid1(VALU_DEP_3)
	v_sub_co_u32 v29, vcc_lo, v27, s10
	v_subrev_co_ci_u32_e32 v30, vcc_lo, s11, v28, vcc_lo
	global_load_b64 v[21:22], v[21:22], off
	global_load_b64 v[23:24], v[23:24], off
	;; [unrolled: 1-line block ×6, first 2 shown]
	v_add_co_u32 v73, vcc_lo, v69, 8
	v_add_co_ci_u32_e32 v74, vcc_lo, 0, v70, vcc_lo
	v_add_co_u32 v75, vcc_lo, v69, 16
	v_add_co_ci_u32_e32 v76, vcc_lo, 0, v70, vcc_lo
	;; [unrolled: 2-line block ×15, first 2 shown]
	v_mul_lo_u32 v104, v70, s14
	v_mul_lo_u32 v105, v72, s13
	v_mad_u64_u32 v[69:70], null, v72, s12, 0
	v_add3_u32 v66, v66, v71, s23
	v_mad_u64_u32 v[71:72], null, v73, s14, s[16:17]
	v_mul_lo_u32 v106, v73, s15
	v_mul_lo_u32 v107, v74, s14
	v_mad_u64_u32 v[73:74], null, v75, s14, s[16:17]
	v_mul_lo_u32 v108, v75, s15
	v_mul_lo_u32 v109, v76, s14
	;; [unrolled: 3-line block ×3, first 2 shown]
	v_add3_u32 v72, v107, v72, v106
	v_mad_u64_u32 v[77:78], null, v79, s14, s[16:17]
	v_mul_lo_u32 v112, v79, s15
	v_mul_lo_u32 v113, v80, s14
	v_add3_u32 v74, v109, v74, v108
	v_add_co_u32 v144, vcc_lo, 0x400, v71
	v_mad_u64_u32 v[79:80], null, v81, s14, s[16:17]
	v_mul_lo_u32 v114, v81, s15
	v_mul_lo_u32 v115, v82, s14
	v_add_co_ci_u32_e32 v145, vcc_lo, 0, v72, vcc_lo
	v_add3_u32 v76, v111, v76, v110
	v_add_co_u32 v146, vcc_lo, 0x400, v73
	v_mad_u64_u32 v[81:82], null, v83, s14, s[16:17]
	v_mul_lo_u32 v116, v83, s15
	v_mul_lo_u32 v117, v84, s14
	v_add_co_ci_u32_e32 v147, vcc_lo, 0, v74, vcc_lo
	;; [unrolled: 6-line block ×11, first 2 shown]
	v_add3_u32 v96, v131, v96, v130
	v_add_co_u32 v166, vcc_lo, 0x400, v93
	v_add_co_ci_u32_e32 v167, vcc_lo, 0, v94, vcc_lo
	v_add3_u32 v98, v133, v98, v132
	v_add_co_u32 v168, vcc_lo, 0x400, v95
	v_add_co_ci_u32_e32 v169, vcc_lo, 0, v96, vcc_lo
	;; [unrolled: 3-line block ×3, first 2 shown]
	v_add_co_u32 v172, vcc_lo, 0x400, v99
	v_mov_b32_e32 v37, v33
	v_mov_b32_e32 v35, v33
	v_add_co_ci_u32_e32 v173, vcc_lo, 0, v100, vcc_lo
	v_add3_u32 v68, v104, v68, v103
	v_add3_u32 v70, v70, v105, s23
	s_mov_b32 s5, 0
	s_add_i32 s14, s20, -1
	s_lshl_b64 s[12:13], s[12:13], 10
	s_waitcnt vmcnt(15)
	v_dual_mov_b32 v72, v2 :: v_dual_mov_b32 v71, v1
	s_waitcnt vmcnt(14)
	v_dual_mov_b32 v100, v4 :: v_dual_mov_b32 v99, v3
	;; [unrolled: 2-line block ×10, first 2 shown]
	s_waitcnt vmcnt(5)
	v_mov_b32_e32 v82, v22
	s_waitcnt vmcnt(4)
	v_mov_b32_e32 v80, v24
	s_waitcnt vmcnt(3)
	v_dual_mov_b32 v78, v26 :: v_dual_mov_b32 v81, v21
	s_waitcnt vmcnt(2)
	v_dual_mov_b32 v76, v28 :: v_dual_mov_b32 v79, v23
	s_waitcnt vmcnt(1)
	v_dual_mov_b32 v74, v30 :: v_dual_mov_b32 v77, v25
	s_waitcnt vmcnt(0)
	v_dual_mov_b32 v102, v32 :: v_dual_mov_b32 v75, v27
	v_mov_b32_e32 v73, v29
	v_mov_b32_e32 v101, v31
.LBB285_4:                              ; =>This Inner Loop Header: Depth=1
	v_add_co_u32 v137, vcc_lo, v67, v143
	v_add_co_ci_u32_e32 v138, vcc_lo, 0, v68, vcc_lo
	s_cmp_lg_u32 s14, s5
	s_delay_alu instid0(VALU_DEP_2) | instskip(NEXT) | instid1(VALU_DEP_2)
	v_add_co_u32 v103, vcc_lo, 0x200, v137
	v_add_co_ci_u32_e32 v104, vcc_lo, 0, v138, vcc_lo
	s_delay_alu instid0(VALU_DEP_2) | instskip(NEXT) | instid1(VALU_DEP_2)
	v_add_co_u32 v105, vcc_lo, v103, s10
	v_add_co_ci_u32_e32 v106, vcc_lo, s11, v104, vcc_lo
	;; [unrolled: 3-line block ×5, first 2 shown]
	s_clause 0x3
	global_load_b64 v[103:104], v[137:138], off offset:512
	global_load_b64 v[105:106], v[105:106], off
	global_load_b64 v[107:108], v[107:108], off
	;; [unrolled: 1-line block ×3, first 2 shown]
	v_add_co_u32 v113, vcc_lo, v111, s10
	v_add_co_ci_u32_e32 v114, vcc_lo, s11, v112, vcc_lo
	global_load_b64 v[111:112], v[111:112], off
	v_add_co_u32 v115, vcc_lo, v113, s10
	v_add_co_ci_u32_e32 v116, vcc_lo, s11, v114, vcc_lo
	global_load_b64 v[113:114], v[113:114], off
	;; [unrolled: 3-line block ×8, first 2 shown]
	v_add_co_u32 v129, vcc_lo, v127, s10
	v_add_co_ci_u32_e32 v130, vcc_lo, s11, v128, vcc_lo
	s_delay_alu instid0(VALU_DEP_2) | instskip(NEXT) | instid1(VALU_DEP_2)
	v_add_co_u32 v131, vcc_lo, v129, s10
	v_add_co_ci_u32_e32 v132, vcc_lo, s11, v130, vcc_lo
	s_delay_alu instid0(VALU_DEP_2) | instskip(NEXT) | instid1(VALU_DEP_2)
	v_add_co_u32 v133, vcc_lo, v131, s10
	v_add_co_ci_u32_e32 v134, vcc_lo, s11, v132, vcc_lo
	v_add_co_u32 v135, vcc_lo, s21, v65
	v_add_co_ci_u32_e32 v136, vcc_lo, s22, v66, vcc_lo
	global_load_b64 v[127:128], v[127:128], off
	global_load_b64 v[129:130], v[129:130], off
	;; [unrolled: 1-line block ×5, first 2 shown]
	s_cbranch_scc0 .LBB285_6
; %bb.5:                                ;   in Loop: Header=BB285_4 Depth=1
	v_add_co_u32 v73, vcc_lo, v144, v143
	v_add_co_ci_u32_e32 v74, vcc_lo, 0, v145, vcc_lo
	v_add_co_u32 v75, vcc_lo, v146, v143
	v_add_co_ci_u32_e32 v76, vcc_lo, 0, v147, vcc_lo
	;; [unrolled: 2-line block ×15, first 2 shown]
	global_load_b64 v[71:72], v[137:138], off offset:1024
	global_load_b64 v[73:74], v[73:74], off
	global_load_b64 v[75:76], v[75:76], off
	;; [unrolled: 1-line block ×15, first 2 shown]
.LBB285_6:                              ;   in Loop: Header=BB285_4 Depth=1
	v_add_co_u32 v137, vcc_lo, s21, v69
	v_add_co_ci_u32_e32 v138, vcc_lo, s22, v70, vcc_lo
	s_waitcnt vmcnt(0)
	v_fma_f64 v[1:2], v[1:2], v[135:136], v[33:34]
	v_fma_f64 v[29:30], v[29:30], v[135:136], v[63:64]
	;; [unrolled: 1-line block ×3, first 2 shown]
	global_load_b64 v[137:138], v[137:138], off
	v_fma_f64 v[25:26], v[25:26], v[135:136], v[61:62]
	v_fma_f64 v[23:24], v[23:24], v[135:136], v[55:56]
	;; [unrolled: 1-line block ×13, first 2 shown]
	v_add_co_u32 v144, vcc_lo, 0x400, v144
	v_add_co_ci_u32_e32 v145, vcc_lo, 0, v145, vcc_lo
	v_add_co_u32 v146, vcc_lo, 0x400, v146
	v_add_co_ci_u32_e32 v147, vcc_lo, 0, v147, vcc_lo
	;; [unrolled: 2-line block ×15, first 2 shown]
	v_add_co_u32 v67, vcc_lo, 0x400, v67
	s_add_i32 s5, s5, 1
	v_add_co_ci_u32_e32 v68, vcc_lo, 0, v68, vcc_lo
	s_add_u32 s21, s21, s12
	s_addc_u32 s22, s22, s13
	s_cmp_ge_i32 s5, s20
	s_waitcnt vmcnt(0)
	v_fma_f64 v[33:34], v[103:104], v[137:138], v[1:2]
	v_fma_f64 v[63:64], v[105:106], v[137:138], v[29:30]
	;; [unrolled: 1-line block ×16, first 2 shown]
	s_cbranch_scc1 .LBB285_8
; %bb.7:                                ;   in Loop: Header=BB285_4 Depth=1
	v_dual_mov_b32 v1, v71 :: v_dual_mov_b32 v2, v72
	v_dual_mov_b32 v29, v73 :: v_dual_mov_b32 v30, v74
	;; [unrolled: 1-line block ×16, first 2 shown]
	s_branch .LBB285_4
.LBB285_8:
	v_lshlrev_b32_e32 v2, 3, v139
	v_lshlrev_b32_e32 v3, 9, v141
	v_lshl_or_b32 v1, v142, 9, v143
	s_mov_b32 s5, 0
	s_mov_b32 s10, exec_lo
	ds_store_2addr_stride64_b64 v1, v[33:34], v[63:64] offset1:1
	ds_store_2addr_stride64_b64 v1, v[59:60], v[61:62] offset0:2 offset1:3
	ds_store_2addr_stride64_b64 v1, v[55:56], v[57:58] offset0:4 offset1:5
	;; [unrolled: 1-line block ×3, first 2 shown]
	v_or3_b32 v2, v3, v2, 0x1e00
	ds_store_2addr_stride64_b64 v1, v[47:48], v[49:50] offset0:8 offset1:9
	ds_store_2addr_stride64_b64 v1, v[43:44], v[45:46] offset0:10 offset1:11
	;; [unrolled: 1-line block ×3, first 2 shown]
	ds_store_b64 v1, v[37:38] offset:7168
	ds_store_b64 v2, v[35:36]
	s_waitcnt lgkmcnt(0)
	s_barrier
	buffer_gl0_inv
	v_cmpx_eq_u32_e32 0, v140
	s_cbranch_execz .LBB285_11
; %bb.9:
	v_lshlrev_b32_e32 v12, 6, v139
	v_add_nc_u32_e32 v2, 1, v139
	v_add_nc_u32_e32 v3, 2, v139
	;; [unrolled: 1-line block ×3, first 2 shown]
	s_load_b32 s10, s[0:1], 0x68
	v_or_b32_e32 v10, v0, v12
	v_and_or_b32 v2, v2, 63, v12
	v_and_or_b32 v3, v3, 63, v12
	v_and_or_b32 v4, v4, 63, v12
	s_lshl_b64 s[0:1], s[6:7], 3
	v_lshlrev_b32_e32 v0, 3, v10
	v_lshlrev_b32_e32 v2, 3, v2
	;; [unrolled: 1-line block ×4, first 2 shown]
	s_add_u32 s6, s8, s0
	ds_load_b64 v[0:1], v0
	ds_load_b64 v[2:3], v2
	ds_load_b64 v[4:5], v5
	ds_load_b64 v[6:7], v6
	s_addc_u32 s7, s9, s1
	s_waitcnt lgkmcnt(0)
	s_mul_hi_i32 s1, s10, s4
	s_mul_i32 s0, s10, s4
	s_delay_alu instid0(SALU_CYCLE_1) | instskip(NEXT) | instid1(SALU_CYCLE_1)
	s_lshl_b64 s[0:1], s[0:1], 3
	s_add_u32 s0, s6, s0
	s_addc_u32 s1, s7, s1
	v_add_f64 v[0:1], v[0:1], 0
	s_delay_alu instid0(VALU_DEP_1) | instskip(SKIP_1) | instid1(VALU_DEP_1)
	v_add_f64 v[0:1], v[0:1], v[2:3]
	v_add_nc_u32_e32 v2, 4, v139
	v_and_or_b32 v2, v2, 63, v12
	s_delay_alu instid0(VALU_DEP_1) | instskip(SKIP_4) | instid1(VALU_DEP_2)
	v_lshlrev_b32_e32 v2, 3, v2
	ds_load_b64 v[2:3], v2
	v_add_f64 v[0:1], v[0:1], v[4:5]
	v_add_nc_u32_e32 v4, 5, v139
	v_add_nc_u32_e32 v5, 6, v139
	v_and_or_b32 v4, v4, 63, v12
	s_delay_alu instid0(VALU_DEP_2) | instskip(NEXT) | instid1(VALU_DEP_2)
	v_and_or_b32 v5, v5, 63, v12
	v_lshlrev_b32_e32 v4, 3, v4
	v_add_f64 v[0:1], v[0:1], v[6:7]
	v_add_nc_u32_e32 v6, 7, v139
	s_delay_alu instid0(VALU_DEP_4) | instskip(NEXT) | instid1(VALU_DEP_2)
	v_lshlrev_b32_e32 v7, 3, v5
	v_and_or_b32 v6, v6, 63, v12
	s_delay_alu instid0(VALU_DEP_1)
	v_lshlrev_b32_e32 v8, 3, v6
	ds_load_b64 v[4:5], v4
	ds_load_b64 v[6:7], v7
	ds_load_b64 v[8:9], v8
	s_waitcnt lgkmcnt(3)
	v_add_f64 v[0:1], v[0:1], v[2:3]
	v_add_nc_u32_e32 v2, 8, v139
	s_delay_alu instid0(VALU_DEP_1) | instskip(NEXT) | instid1(VALU_DEP_1)
	v_and_or_b32 v2, v2, 63, v12
	v_lshlrev_b32_e32 v2, 3, v2
	ds_load_b64 v[2:3], v2
	s_waitcnt lgkmcnt(3)
	v_add_f64 v[0:1], v[0:1], v[4:5]
	v_add_nc_u32_e32 v4, 9, v139
	v_add_nc_u32_e32 v5, 10, v139
	s_delay_alu instid0(VALU_DEP_2) | instskip(NEXT) | instid1(VALU_DEP_2)
	v_and_or_b32 v4, v4, 63, v12
	v_and_or_b32 v5, v5, 63, v12
	s_delay_alu instid0(VALU_DEP_2) | instskip(SKIP_4) | instid1(VALU_DEP_2)
	v_lshlrev_b32_e32 v4, 3, v4
	s_waitcnt lgkmcnt(2)
	v_add_f64 v[0:1], v[0:1], v[6:7]
	v_add_nc_u32_e32 v6, 11, v139
	v_lshlrev_b32_e32 v7, 3, v5
	v_and_or_b32 v6, v6, 63, v12
	s_waitcnt lgkmcnt(1)
	s_delay_alu instid0(VALU_DEP_4) | instskip(NEXT) | instid1(VALU_DEP_2)
	v_add_f64 v[0:1], v[0:1], v[8:9]
	v_lshlrev_b32_e32 v8, 3, v6
	ds_load_b64 v[4:5], v4
	ds_load_b64 v[6:7], v7
	ds_load_b64 v[8:9], v8
	s_waitcnt lgkmcnt(3)
	v_add_f64 v[0:1], v[0:1], v[2:3]
	v_add_nc_u32_e32 v2, 12, v139
	s_delay_alu instid0(VALU_DEP_1) | instskip(NEXT) | instid1(VALU_DEP_1)
	v_and_or_b32 v2, v2, 63, v12
	v_lshlrev_b32_e32 v2, 3, v2
	ds_load_b64 v[2:3], v2
	s_waitcnt lgkmcnt(3)
	v_add_f64 v[0:1], v[0:1], v[4:5]
	v_add_nc_u32_e32 v4, 13, v139
	v_add_nc_u32_e32 v5, 14, v139
	s_delay_alu instid0(VALU_DEP_2) | instskip(NEXT) | instid1(VALU_DEP_2)
	v_and_or_b32 v4, v4, 63, v12
	v_and_or_b32 v5, v5, 63, v12
	s_delay_alu instid0(VALU_DEP_2) | instskip(SKIP_4) | instid1(VALU_DEP_2)
	v_lshlrev_b32_e32 v4, 3, v4
	s_waitcnt lgkmcnt(2)
	v_add_f64 v[0:1], v[0:1], v[6:7]
	v_add_nc_u32_e32 v6, 15, v139
	v_lshlrev_b32_e32 v7, 3, v5
	v_and_or_b32 v6, v6, 63, v12
	s_waitcnt lgkmcnt(1)
	s_delay_alu instid0(VALU_DEP_4) | instskip(NEXT) | instid1(VALU_DEP_2)
	v_add_f64 v[0:1], v[0:1], v[8:9]
	;; [unrolled: 28-line block ×6, first 2 shown]
	v_lshlrev_b32_e32 v8, 3, v6
	ds_load_b64 v[4:5], v4
	ds_load_b64 v[6:7], v7
	;; [unrolled: 1-line block ×3, first 2 shown]
	s_waitcnt lgkmcnt(3)
	v_add_f64 v[0:1], v[0:1], v[2:3]
	v_xor_b32_e32 v2, 32, v10
	s_delay_alu instid0(VALU_DEP_1)
	v_lshlrev_b32_e32 v2, 3, v2
	ds_load_b64 v[2:3], v2
	s_waitcnt lgkmcnt(3)
	v_add_f64 v[0:1], v[0:1], v[4:5]
	v_add_nc_u32_e32 v4, 33, v139
	v_add_nc_u32_e32 v5, 34, v139
	s_delay_alu instid0(VALU_DEP_2) | instskip(NEXT) | instid1(VALU_DEP_2)
	v_and_or_b32 v4, v4, 63, v12
	v_and_or_b32 v5, v5, 63, v12
	s_delay_alu instid0(VALU_DEP_2) | instskip(SKIP_4) | instid1(VALU_DEP_2)
	v_lshlrev_b32_e32 v4, 3, v4
	s_waitcnt lgkmcnt(2)
	v_add_f64 v[0:1], v[0:1], v[6:7]
	v_add_nc_u32_e32 v6, 35, v139
	v_lshlrev_b32_e32 v7, 3, v5
	v_and_or_b32 v6, v6, 63, v12
	s_waitcnt lgkmcnt(1)
	s_delay_alu instid0(VALU_DEP_4) | instskip(NEXT) | instid1(VALU_DEP_2)
	v_add_f64 v[0:1], v[0:1], v[8:9]
	v_lshlrev_b32_e32 v8, 3, v6
	ds_load_b64 v[4:5], v4
	ds_load_b64 v[6:7], v7
	ds_load_b64 v[8:9], v8
	s_waitcnt lgkmcnt(3)
	v_add_f64 v[0:1], v[0:1], v[2:3]
	v_add_nc_u32_e32 v2, 36, v139
	s_delay_alu instid0(VALU_DEP_1) | instskip(NEXT) | instid1(VALU_DEP_1)
	v_and_or_b32 v2, v2, 63, v12
	v_lshlrev_b32_e32 v2, 3, v2
	ds_load_b64 v[2:3], v2
	s_waitcnt lgkmcnt(3)
	v_add_f64 v[0:1], v[0:1], v[4:5]
	v_add_nc_u32_e32 v4, 37, v139
	v_add_nc_u32_e32 v5, 38, v139
	s_delay_alu instid0(VALU_DEP_2) | instskip(NEXT) | instid1(VALU_DEP_2)
	v_and_or_b32 v4, v4, 63, v12
	v_and_or_b32 v5, v5, 63, v12
	s_delay_alu instid0(VALU_DEP_2) | instskip(SKIP_4) | instid1(VALU_DEP_2)
	v_lshlrev_b32_e32 v4, 3, v4
	s_waitcnt lgkmcnt(2)
	v_add_f64 v[0:1], v[0:1], v[6:7]
	v_add_nc_u32_e32 v6, 39, v139
	v_lshlrev_b32_e32 v7, 3, v5
	v_and_or_b32 v6, v6, 63, v12
	s_waitcnt lgkmcnt(1)
	s_delay_alu instid0(VALU_DEP_4) | instskip(NEXT) | instid1(VALU_DEP_2)
	v_add_f64 v[0:1], v[0:1], v[8:9]
	v_lshlrev_b32_e32 v8, 3, v6
	ds_load_b64 v[4:5], v4
	ds_load_b64 v[6:7], v7
	ds_load_b64 v[8:9], v8
	s_waitcnt lgkmcnt(3)
	v_add_f64 v[0:1], v[0:1], v[2:3]
	v_add_nc_u32_e32 v2, 40, v139
	s_delay_alu instid0(VALU_DEP_1) | instskip(NEXT) | instid1(VALU_DEP_1)
	v_and_or_b32 v2, v2, 63, v12
	;; [unrolled: 28-line block ×6, first 2 shown]
	v_lshlrev_b32_e32 v2, 3, v2
	ds_load_b64 v[2:3], v2
	s_waitcnt lgkmcnt(3)
	v_add_f64 v[0:1], v[0:1], v[4:5]
	v_add_nc_u32_e32 v4, 57, v139
	v_add_nc_u32_e32 v5, 58, v139
	s_delay_alu instid0(VALU_DEP_2) | instskip(NEXT) | instid1(VALU_DEP_2)
	v_and_or_b32 v4, v4, 63, v12
	v_and_or_b32 v5, v5, 63, v12
	s_delay_alu instid0(VALU_DEP_2) | instskip(NEXT) | instid1(VALU_DEP_2)
	v_lshlrev_b32_e32 v4, 3, v4
	v_lshlrev_b32_e32 v5, 3, v5
	s_waitcnt lgkmcnt(2)
	v_add_f64 v[0:1], v[0:1], v[6:7]
	v_add_nc_u32_e32 v6, 59, v139
	s_delay_alu instid0(VALU_DEP_1) | instskip(NEXT) | instid1(VALU_DEP_1)
	v_and_or_b32 v6, v6, 63, v12
	v_lshlrev_b32_e32 v10, 3, v6
	s_waitcnt lgkmcnt(1)
	s_delay_alu instid0(VALU_DEP_4)
	v_add_f64 v[0:1], v[0:1], v[8:9]
	ds_load_b64 v[6:7], v4
	ds_load_b64 v[8:9], v5
	;; [unrolled: 1-line block ×3, first 2 shown]
	s_waitcnt lgkmcnt(3)
	v_add_f64 v[0:1], v[0:1], v[2:3]
	v_mad_i64_i32 v[2:3], null, s10, v139, 0
	s_delay_alu instid0(VALU_DEP_1) | instskip(NEXT) | instid1(VALU_DEP_1)
	v_lshlrev_b64 v[2:3], 3, v[2:3]
	v_add_co_u32 v4, vcc_lo, s0, v2
	s_delay_alu instid0(VALU_DEP_2) | instskip(SKIP_4) | instid1(VALU_DEP_1)
	v_add_co_ci_u32_e32 v5, vcc_lo, s1, v3, vcc_lo
	global_load_b64 v[2:3], v[4:5], off
	s_waitcnt lgkmcnt(2)
	v_add_f64 v[0:1], v[0:1], v[6:7]
	v_add_nc_u32_e32 v6, 60, v139
	v_and_or_b32 v6, v6, 63, v12
	s_delay_alu instid0(VALU_DEP_1)
	v_lshlrev_b32_e32 v6, 3, v6
	ds_load_b64 v[6:7], v6
	s_waitcnt lgkmcnt(2)
	v_add_f64 v[0:1], v[0:1], v[8:9]
	v_add_nc_u32_e32 v8, 61, v139
	v_add_nc_u32_e32 v9, 62, v139
	s_delay_alu instid0(VALU_DEP_2) | instskip(NEXT) | instid1(VALU_DEP_2)
	v_and_or_b32 v8, v8, 63, v12
	v_and_or_b32 v9, v9, 63, v12
	s_delay_alu instid0(VALU_DEP_2) | instskip(SKIP_4) | instid1(VALU_DEP_2)
	v_lshlrev_b32_e32 v8, 3, v8
	s_waitcnt lgkmcnt(1)
	v_add_f64 v[0:1], v[0:1], v[10:11]
	v_add_nc_u32_e32 v10, -1, v139
	v_lshlrev_b32_e32 v11, 3, v9
	v_and_or_b32 v10, v10, 63, v12
	s_delay_alu instid0(VALU_DEP_1)
	v_lshlrev_b32_e32 v12, 3, v10
	ds_load_b64 v[8:9], v8
	ds_load_b64 v[10:11], v11
	;; [unrolled: 1-line block ×3, first 2 shown]
	s_waitcnt lgkmcnt(3)
	v_add_f64 v[0:1], v[0:1], v[6:7]
	s_waitcnt lgkmcnt(2)
	s_delay_alu instid0(VALU_DEP_1) | instskip(SKIP_1) | instid1(VALU_DEP_1)
	v_add_f64 v[0:1], v[0:1], v[8:9]
	s_waitcnt lgkmcnt(1)
	v_add_f64 v[0:1], v[0:1], v[10:11]
	s_waitcnt lgkmcnt(0)
	s_delay_alu instid0(VALU_DEP_1) | instskip(NEXT) | instid1(VALU_DEP_1)
	v_add_f64 v[0:1], v[0:1], v[12:13]
	v_mul_f64 v[6:7], v[0:1], s[2:3]
.LBB285_10:                             ; =>This Inner Loop Header: Depth=1
	s_waitcnt vmcnt(0)
	s_delay_alu instid0(VALU_DEP_1)
	v_add_f64 v[0:1], v[2:3], v[6:7]
	global_atomic_cmpswap_b64 v[0:1], v[4:5], v[0:3], off glc
	s_waitcnt vmcnt(0)
	v_cmp_eq_u64_e32 vcc_lo, v[0:1], v[2:3]
	v_dual_mov_b32 v3, v1 :: v_dual_mov_b32 v2, v0
	s_or_b32 s5, vcc_lo, s5
	s_delay_alu instid0(SALU_CYCLE_1)
	s_and_not1_b32 exec_lo, exec_lo, s5
	s_cbranch_execnz .LBB285_10
.LBB285_11:
	s_endpgm
	.section	.rodata,"a",@progbits
	.p2align	6, 0x0
	.amdhsa_kernel _ZL36rocblas_gemvt_double_buffered_kernelILb1ELi128ELi4ELi16EPKddKPdEviiT4_lPKT3_lilS7_lilPT5_lili
		.amdhsa_group_segment_fixed_size 65536
		.amdhsa_private_segment_fixed_size 0
		.amdhsa_kernarg_size 384
		.amdhsa_user_sgpr_count 13
		.amdhsa_user_sgpr_dispatch_ptr 0
		.amdhsa_user_sgpr_queue_ptr 0
		.amdhsa_user_sgpr_kernarg_segment_ptr 1
		.amdhsa_user_sgpr_dispatch_id 0
		.amdhsa_user_sgpr_private_segment_size 0
		.amdhsa_wavefront_size32 1
		.amdhsa_uses_dynamic_stack 0
		.amdhsa_enable_private_segment 0
		.amdhsa_system_sgpr_workgroup_id_x 1
		.amdhsa_system_sgpr_workgroup_id_y 1
		.amdhsa_system_sgpr_workgroup_id_z 1
		.amdhsa_system_sgpr_workgroup_info 0
		.amdhsa_system_vgpr_workitem_id 1
		.amdhsa_next_free_vgpr 174
		.amdhsa_next_free_sgpr 29
		.amdhsa_reserve_vcc 1
		.amdhsa_float_round_mode_32 0
		.amdhsa_float_round_mode_16_64 0
		.amdhsa_float_denorm_mode_32 3
		.amdhsa_float_denorm_mode_16_64 3
		.amdhsa_dx10_clamp 1
		.amdhsa_ieee_mode 1
		.amdhsa_fp16_overflow 0
		.amdhsa_workgroup_processor_mode 1
		.amdhsa_memory_ordered 1
		.amdhsa_forward_progress 0
		.amdhsa_shared_vgpr_count 0
		.amdhsa_exception_fp_ieee_invalid_op 0
		.amdhsa_exception_fp_denorm_src 0
		.amdhsa_exception_fp_ieee_div_zero 0
		.amdhsa_exception_fp_ieee_overflow 0
		.amdhsa_exception_fp_ieee_underflow 0
		.amdhsa_exception_fp_ieee_inexact 0
		.amdhsa_exception_int_div_zero 0
	.end_amdhsa_kernel
	.section	.text._ZL36rocblas_gemvt_double_buffered_kernelILb1ELi128ELi4ELi16EPKddKPdEviiT4_lPKT3_lilS7_lilPT5_lili,"axG",@progbits,_ZL36rocblas_gemvt_double_buffered_kernelILb1ELi128ELi4ELi16EPKddKPdEviiT4_lPKT3_lilS7_lilPT5_lili,comdat
.Lfunc_end285:
	.size	_ZL36rocblas_gemvt_double_buffered_kernelILb1ELi128ELi4ELi16EPKddKPdEviiT4_lPKT3_lilS7_lilPT5_lili, .Lfunc_end285-_ZL36rocblas_gemvt_double_buffered_kernelILb1ELi128ELi4ELi16EPKddKPdEviiT4_lPKT3_lilS7_lilPT5_lili
                                        ; -- End function
	.section	.AMDGPU.csdata,"",@progbits
; Kernel info:
; codeLenInByte = 6640
; NumSgprs: 31
; NumVgprs: 174
; ScratchSize: 0
; MemoryBound: 0
; FloatMode: 240
; IeeeMode: 1
; LDSByteSize: 65536 bytes/workgroup (compile time only)
; SGPRBlocks: 3
; VGPRBlocks: 21
; NumSGPRsForWavesPerEU: 31
; NumVGPRsForWavesPerEU: 174
; Occupancy: 8
; WaveLimiterHint : 1
; COMPUTE_PGM_RSRC2:SCRATCH_EN: 0
; COMPUTE_PGM_RSRC2:USER_SGPR: 13
; COMPUTE_PGM_RSRC2:TRAP_HANDLER: 0
; COMPUTE_PGM_RSRC2:TGID_X_EN: 1
; COMPUTE_PGM_RSRC2:TGID_Y_EN: 1
; COMPUTE_PGM_RSRC2:TGID_Z_EN: 1
; COMPUTE_PGM_RSRC2:TIDIG_COMP_CNT: 1
	.section	.text._ZL20rocblas_gemvt_kernelILb1ELi256EPKdS1_KPdEviiT2_lPKT1_lilS7_lilS4_lPT3_lili,"axG",@progbits,_ZL20rocblas_gemvt_kernelILb1ELi256EPKdS1_KPdEviiT2_lPKT1_lilS7_lilS4_lPT3_lili,comdat
	.globl	_ZL20rocblas_gemvt_kernelILb1ELi256EPKdS1_KPdEviiT2_lPKT1_lilS7_lilS4_lPT3_lili ; -- Begin function _ZL20rocblas_gemvt_kernelILb1ELi256EPKdS1_KPdEviiT2_lPKT1_lilS7_lilS4_lPT3_lili
	.p2align	8
	.type	_ZL20rocblas_gemvt_kernelILb1ELi256EPKdS1_KPdEviiT2_lPKT1_lilS7_lilS4_lPT3_lili,@function
_ZL20rocblas_gemvt_kernelILb1ELi256EPKdS1_KPdEviiT2_lPKT1_lilS7_lilS4_lPT3_lili: ; @_ZL20rocblas_gemvt_kernelILb1ELi256EPKdS1_KPdEviiT2_lPKT1_lilS7_lilS4_lPT3_lili
; %bb.0:
	s_clause 0x1
	s_load_b256 s[16:23], s[0:1], 0x8
	s_load_b256 s[4:11], s[0:1], 0x58
	s_waitcnt lgkmcnt(0)
	s_mul_i32 s3, s15, s19
	s_mul_hi_u32 s13, s15, s18
	s_mul_i32 s12, s15, s18
	s_add_i32 s13, s13, s3
	s_mul_i32 s3, s15, s7
	s_lshl_b64 s[12:13], s[12:13], 3
	s_mul_hi_u32 s7, s15, s6
	s_add_u32 s12, s16, s12
	s_addc_u32 s13, s17, s13
	s_add_i32 s7, s7, s3
	s_mul_i32 s6, s15, s6
	s_mov_b64 s[16:17], 0
	s_lshl_b64 s[6:7], s[6:7], 3
	s_delay_alu instid0(SALU_CYCLE_1)
	s_add_u32 s4, s4, s6
	s_addc_u32 s5, s5, s7
	s_load_b64 s[6:7], s[12:13], 0x0
	s_load_b64 s[4:5], s[4:5], 0x0
	s_waitcnt lgkmcnt(0)
	v_cmp_eq_f64_e64 s18, s[6:7], 0
	v_cmp_eq_f64_e64 s3, s[4:5], 1.0
	s_delay_alu instid0(VALU_DEP_1) | instskip(NEXT) | instid1(SALU_CYCLE_1)
	s_and_b32 s3, s18, s3
	s_and_b32 vcc_lo, exec_lo, s3
	s_cbranch_vccnz .LBB286_41
; %bb.1:
	v_cmp_neq_f64_e64 s12, s[6:7], 0
	s_mov_b32 s2, s15
	s_and_b32 vcc_lo, exec_lo, s18
	s_mov_b32 s3, 0
	s_cbranch_vccnz .LBB286_3
; %bb.2:
	s_lshl_b64 s[16:17], s[2:3], 3
	s_delay_alu instid0(SALU_CYCLE_1)
	s_add_u32 s16, s20, s16
	s_addc_u32 s17, s21, s17
	s_lshl_b64 s[20:21], s[22:23], 3
	s_load_b64 s[16:17], s[16:17], 0x0
	s_waitcnt lgkmcnt(0)
	s_add_u32 s16, s16, s20
	s_addc_u32 s17, s17, s21
.LBB286_3:
	s_delay_alu instid0(VALU_DEP_1)
	s_and_not1_b32 vcc_lo, exec_lo, s12
	s_cbranch_vccnz .LBB286_5
; %bb.4:
	s_load_b128 s[20:23], s[0:1], 0x38
	s_lshl_b64 s[12:13], s[2:3], 3
	s_waitcnt lgkmcnt(0)
	s_add_u32 s12, s20, s12
	s_addc_u32 s13, s21, s13
	s_lshl_b64 s[20:21], s[22:23], 3
	s_load_b64 s[12:13], s[12:13], 0x0
	s_waitcnt lgkmcnt(0)
	s_add_u32 s12, s12, s20
	s_addc_u32 s13, s13, s21
	s_branch .LBB286_6
.LBB286_5:
	s_mov_b64 s[12:13], 0
.LBB286_6:
	s_lshl_b64 s[2:3], s[2:3], 3
	s_delay_alu instid0(SALU_CYCLE_1)
	s_add_u32 s2, s8, s2
	s_addc_u32 s3, s9, s3
	s_lshl_b64 s[10:11], s[10:11], 3
	s_load_b64 s[8:9], s[2:3], 0x0
	s_load_b32 s15, s[0:1], 0x78
	v_cmp_eq_u32_e64 s2, 0, v0
	s_waitcnt lgkmcnt(0)
	s_add_u32 s10, s8, s10
	s_addc_u32 s11, s9, s11
	s_and_not1_b32 vcc_lo, exec_lo, s18
	s_cbranch_vccnz .LBB286_11
; %bb.7:
	s_mov_b32 s3, 0
	s_mov_b32 s18, 0
                                        ; implicit-def: $vgpr1_vgpr2
                                        ; implicit-def: $sgpr8_sgpr9
	s_and_saveexec_b32 s19, s2
	s_cbranch_execz .LBB286_12
; %bb.8:
	v_cmp_eq_f64_e64 s2, s[4:5], 0
	v_mov_b32_e32 v1, 0
	v_mov_b32_e32 v2, 0
	s_mul_hi_i32 s9, s15, s14
	s_mul_i32 s8, s15, s14
	s_delay_alu instid0(VALU_DEP_3)
	s_and_b32 vcc_lo, exec_lo, s2
	s_cbranch_vccnz .LBB286_10
; %bb.9:
	s_lshl_b64 s[20:21], s[8:9], 3
	s_delay_alu instid0(SALU_CYCLE_1)
	s_add_u32 s20, s10, s20
	s_addc_u32 s21, s11, s21
	s_load_b64 s[20:21], s[20:21], 0x0
	s_waitcnt lgkmcnt(0)
	v_mul_f64 v[1:2], s[4:5], s[20:21]
.LBB286_10:
	s_mov_b32 s18, exec_lo
	s_or_b32 exec_lo, exec_lo, s19
	s_delay_alu instid0(SALU_CYCLE_1)
	s_and_b32 vcc_lo, exec_lo, s3
	s_cbranch_vccnz .LBB286_13
	s_branch .LBB286_39
.LBB286_11:
	s_mov_b32 s18, 0
                                        ; implicit-def: $vgpr1_vgpr2
                                        ; implicit-def: $sgpr8_sgpr9
	s_cbranch_execnz .LBB286_13
	s_branch .LBB286_39
.LBB286_12:
	s_or_b32 exec_lo, exec_lo, s19
	s_delay_alu instid0(SALU_CYCLE_1)
	s_and_b32 vcc_lo, exec_lo, s3
	s_cbranch_vccz .LBB286_39
.LBB286_13:
	s_clause 0x2
	s_load_b32 s2, s[0:1], 0x28
	s_load_b32 s3, s[0:1], 0x0
	;; [unrolled: 1-line block ×3, first 2 shown]
	s_waitcnt lgkmcnt(0)
	s_mul_hi_i32 s9, s2, s14
	v_cmp_gt_i32_e32 vcc_lo, s3, v0
	s_mul_i32 s8, s2, s14
	s_delay_alu instid0(SALU_CYCLE_1) | instskip(NEXT) | instid1(SALU_CYCLE_1)
	s_lshl_b64 s[8:9], s[8:9], 3
	s_add_u32 s1, s8, s16
	v_cndmask_b32_e32 v1, 0, v0, vcc_lo
	s_addc_u32 s2, s9, s17
	s_ashr_i32 s8, s3, 31
	s_mov_b32 s16, 0
	s_lshr_b32 s8, s8, 24
	v_lshlrev_b32_e32 v3, 3, v1
	v_mov_b32_e32 v1, 0
	v_mov_b32_e32 v2, 0
	s_add_i32 s8, s3, s8
	s_delay_alu instid0(VALU_DEP_3) | instskip(NEXT) | instid1(VALU_DEP_1)
	v_add_co_u32 v3, s1, s1, v3
	v_add_co_ci_u32_e64 v4, null, s2, 0, s1
	s_and_b32 s2, s8, 0xffffff00
	s_cmpk_lt_i32 s3, 0x100
	s_cbranch_scc1 .LBB286_16
; %bb.14:
	v_mad_i64_i32 v[1:2], null, s0, v0, 0
	s_ashr_i32 s1, s0, 31
	v_mov_b32_e32 v8, v4
	s_lshl_b64 s[8:9], s[0:1], 11
	v_mov_b32_e32 v7, v3
	s_delay_alu instid0(VALU_DEP_3) | instskip(SKIP_2) | instid1(VALU_DEP_3)
	v_lshlrev_b64 v[5:6], 3, v[1:2]
	v_mov_b32_e32 v1, 0
	v_mov_b32_e32 v2, 0
	v_add_co_u32 v5, vcc_lo, s12, v5
	s_delay_alu instid0(VALU_DEP_4)
	v_add_co_ci_u32_e32 v6, vcc_lo, s13, v6, vcc_lo
.LBB286_15:                             ; =>This Inner Loop Header: Depth=1
	flat_load_b64 v[9:10], v[7:8]
	flat_load_b64 v[11:12], v[5:6]
	v_add_co_u32 v5, vcc_lo, v5, s8
	v_add_co_ci_u32_e32 v6, vcc_lo, s9, v6, vcc_lo
	v_add_co_u32 v7, vcc_lo, 0x800, v7
	v_add_co_ci_u32_e32 v8, vcc_lo, 0, v8, vcc_lo
	s_addk_i32 s16, 0x100
	s_delay_alu instid0(SALU_CYCLE_1)
	s_cmp_ge_i32 s16, s2
	s_waitcnt vmcnt(0) lgkmcnt(0)
	v_fma_f64 v[1:2], v[9:10], v[11:12], v[1:2]
	s_cbranch_scc0 .LBB286_15
.LBB286_16:
	v_add_nc_u32_e32 v5, s2, v0
	s_mov_b32 s1, exec_lo
	s_delay_alu instid0(VALU_DEP_1)
	v_cmpx_gt_i32_e64 s3, v5
	s_cbranch_execz .LBB286_18
; %bb.17:
	v_mad_i64_i32 v[6:7], null, s0, v5, 0
	s_ashr_i32 s3, s2, 31
	s_delay_alu instid0(SALU_CYCLE_1) | instskip(NEXT) | instid1(SALU_CYCLE_1)
	s_lshl_b64 s[2:3], s[2:3], 3
	v_add_co_u32 v3, vcc_lo, v3, s2
	s_delay_alu instid0(VALU_DEP_2) | instskip(SKIP_1) | instid1(VALU_DEP_2)
	v_lshlrev_b64 v[5:6], 3, v[6:7]
	v_add_co_ci_u32_e32 v4, vcc_lo, s3, v4, vcc_lo
	v_add_co_u32 v5, vcc_lo, s12, v5
	s_delay_alu instid0(VALU_DEP_3)
	v_add_co_ci_u32_e32 v6, vcc_lo, s13, v6, vcc_lo
	flat_load_b64 v[3:4], v[3:4]
	flat_load_b64 v[5:6], v[5:6]
	s_waitcnt vmcnt(0) lgkmcnt(0)
	v_fma_f64 v[1:2], v[3:4], v[5:6], v[1:2]
.LBB286_18:
	s_or_b32 exec_lo, exec_lo, s1
	v_lshlrev_b32_e32 v3, 3, v0
	s_mov_b32 s0, exec_lo
	ds_store_b64 v3, v[1:2]
	s_waitcnt lgkmcnt(0)
	s_barrier
	buffer_gl0_inv
	v_cmpx_gt_u32_e32 0x80, v0
	s_cbranch_execz .LBB286_20
; %bb.19:
	ds_load_2addr_stride64_b64 v[4:7], v3 offset1:2
	s_waitcnt lgkmcnt(0)
	v_add_f64 v[1:2], v[6:7], v[4:5]
	ds_store_b64 v3, v[1:2]
.LBB286_20:
	s_or_b32 exec_lo, exec_lo, s0
	s_delay_alu instid0(SALU_CYCLE_1)
	s_mov_b32 s0, exec_lo
	s_waitcnt lgkmcnt(0)
	s_barrier
	buffer_gl0_inv
	v_cmpx_gt_u32_e32 64, v0
	s_cbranch_execz .LBB286_22
; %bb.21:
	ds_load_2addr_stride64_b64 v[4:7], v3 offset1:1
	s_waitcnt lgkmcnt(0)
	v_add_f64 v[1:2], v[6:7], v[4:5]
	ds_store_b64 v3, v[1:2]
.LBB286_22:
	s_or_b32 exec_lo, exec_lo, s0
	s_delay_alu instid0(SALU_CYCLE_1)
	s_mov_b32 s0, exec_lo
	s_waitcnt lgkmcnt(0)
	s_barrier
	buffer_gl0_inv
	v_cmpx_gt_u32_e32 32, v0
	s_cbranch_execz .LBB286_24
; %bb.23:
	ds_load_2addr_b64 v[4:7], v3 offset1:32
	s_waitcnt lgkmcnt(0)
	v_add_f64 v[1:2], v[6:7], v[4:5]
	ds_store_b64 v3, v[1:2]
.LBB286_24:
	s_or_b32 exec_lo, exec_lo, s0
	s_delay_alu instid0(SALU_CYCLE_1)
	s_mov_b32 s0, exec_lo
	s_waitcnt lgkmcnt(0)
	s_barrier
	buffer_gl0_inv
	v_cmpx_gt_u32_e32 16, v0
	s_cbranch_execz .LBB286_26
; %bb.25:
	ds_load_2addr_b64 v[4:7], v3 offset1:16
	s_waitcnt lgkmcnt(0)
	v_add_f64 v[1:2], v[6:7], v[4:5]
	ds_store_b64 v3, v[1:2]
.LBB286_26:
	;; [unrolled: 14-line block ×5, first 2 shown]
	s_or_b32 exec_lo, exec_lo, s0
	v_cmp_eq_u32_e32 vcc_lo, 0, v0
	s_waitcnt lgkmcnt(0)
	s_barrier
	buffer_gl0_inv
	s_and_saveexec_b32 s0, vcc_lo
	s_cbranch_execz .LBB286_34
; %bb.33:
	v_mov_b32_e32 v4, 0
	ds_load_b128 v[0:3], v4
	s_waitcnt lgkmcnt(0)
	v_add_f64 v[0:1], v[2:3], v[0:1]
	ds_store_b64 v4, v[0:1]
.LBB286_34:
	s_or_b32 exec_lo, exec_lo, s0
	s_waitcnt lgkmcnt(0)
	s_barrier
	buffer_gl0_inv
                                        ; implicit-def: $vgpr1_vgpr2
                                        ; implicit-def: $sgpr8_sgpr9
	s_and_saveexec_b32 s0, vcc_lo
	s_cbranch_execz .LBB286_38
; %bb.35:
	v_mov_b32_e32 v0, 0
	v_cmp_eq_f64_e64 s1, s[4:5], 0
	s_mul_hi_i32 s9, s15, s14
	s_mul_i32 s8, s15, s14
	ds_load_b64 v[0:1], v0
	s_waitcnt lgkmcnt(0)
	v_mul_f64 v[1:2], s[6:7], v[0:1]
	s_and_b32 vcc_lo, exec_lo, s1
	s_cbranch_vccnz .LBB286_37
; %bb.36:
	s_lshl_b64 s[2:3], s[8:9], 3
	s_delay_alu instid0(SALU_CYCLE_1) | instskip(SKIP_3) | instid1(VALU_DEP_1)
	s_add_u32 s2, s10, s2
	s_addc_u32 s3, s11, s3
	s_load_b64 s[2:3], s[2:3], 0x0
	s_waitcnt lgkmcnt(0)
	v_fma_f64 v[1:2], s[4:5], s[2:3], v[1:2]
.LBB286_37:
	s_or_b32 s18, s18, exec_lo
.LBB286_38:
	s_or_b32 exec_lo, exec_lo, s0
.LBB286_39:
	s_and_saveexec_b32 s0, s18
	s_cbranch_execz .LBB286_41
; %bb.40:
	s_lshl_b64 s[0:1], s[8:9], 3
	v_mov_b32_e32 v0, 0
	s_add_u32 s0, s10, s0
	s_addc_u32 s1, s11, s1
	global_store_b64 v0, v[1:2], s[0:1]
.LBB286_41:
	s_nop 0
	s_sendmsg sendmsg(MSG_DEALLOC_VGPRS)
	s_endpgm
	.section	.rodata,"a",@progbits
	.p2align	6, 0x0
	.amdhsa_kernel _ZL20rocblas_gemvt_kernelILb1ELi256EPKdS1_KPdEviiT2_lPKT1_lilS7_lilS4_lPT3_lili
		.amdhsa_group_segment_fixed_size 2048
		.amdhsa_private_segment_fixed_size 0
		.amdhsa_kernarg_size 140
		.amdhsa_user_sgpr_count 14
		.amdhsa_user_sgpr_dispatch_ptr 0
		.amdhsa_user_sgpr_queue_ptr 0
		.amdhsa_user_sgpr_kernarg_segment_ptr 1
		.amdhsa_user_sgpr_dispatch_id 0
		.amdhsa_user_sgpr_private_segment_size 0
		.amdhsa_wavefront_size32 1
		.amdhsa_uses_dynamic_stack 0
		.amdhsa_enable_private_segment 0
		.amdhsa_system_sgpr_workgroup_id_x 1
		.amdhsa_system_sgpr_workgroup_id_y 0
		.amdhsa_system_sgpr_workgroup_id_z 1
		.amdhsa_system_sgpr_workgroup_info 0
		.amdhsa_system_vgpr_workitem_id 0
		.amdhsa_next_free_vgpr 13
		.amdhsa_next_free_sgpr 24
		.amdhsa_reserve_vcc 1
		.amdhsa_float_round_mode_32 0
		.amdhsa_float_round_mode_16_64 0
		.amdhsa_float_denorm_mode_32 3
		.amdhsa_float_denorm_mode_16_64 3
		.amdhsa_dx10_clamp 1
		.amdhsa_ieee_mode 1
		.amdhsa_fp16_overflow 0
		.amdhsa_workgroup_processor_mode 1
		.amdhsa_memory_ordered 1
		.amdhsa_forward_progress 0
		.amdhsa_shared_vgpr_count 0
		.amdhsa_exception_fp_ieee_invalid_op 0
		.amdhsa_exception_fp_denorm_src 0
		.amdhsa_exception_fp_ieee_div_zero 0
		.amdhsa_exception_fp_ieee_overflow 0
		.amdhsa_exception_fp_ieee_underflow 0
		.amdhsa_exception_fp_ieee_inexact 0
		.amdhsa_exception_int_div_zero 0
	.end_amdhsa_kernel
	.section	.text._ZL20rocblas_gemvt_kernelILb1ELi256EPKdS1_KPdEviiT2_lPKT1_lilS7_lilS4_lPT3_lili,"axG",@progbits,_ZL20rocblas_gemvt_kernelILb1ELi256EPKdS1_KPdEviiT2_lPKT1_lilS7_lilS4_lPT3_lili,comdat
.Lfunc_end286:
	.size	_ZL20rocblas_gemvt_kernelILb1ELi256EPKdS1_KPdEviiT2_lPKT1_lilS7_lilS4_lPT3_lili, .Lfunc_end286-_ZL20rocblas_gemvt_kernelILb1ELi256EPKdS1_KPdEviiT2_lPKT1_lilS7_lilS4_lPT3_lili
                                        ; -- End function
	.section	.AMDGPU.csdata,"",@progbits
; Kernel info:
; codeLenInByte = 1536
; NumSgprs: 26
; NumVgprs: 13
; ScratchSize: 0
; MemoryBound: 0
; FloatMode: 240
; IeeeMode: 1
; LDSByteSize: 2048 bytes/workgroup (compile time only)
; SGPRBlocks: 3
; VGPRBlocks: 1
; NumSGPRsForWavesPerEU: 26
; NumVGPRsForWavesPerEU: 13
; Occupancy: 16
; WaveLimiterHint : 1
; COMPUTE_PGM_RSRC2:SCRATCH_EN: 0
; COMPUTE_PGM_RSRC2:USER_SGPR: 14
; COMPUTE_PGM_RSRC2:TRAP_HANDLER: 0
; COMPUTE_PGM_RSRC2:TGID_X_EN: 1
; COMPUTE_PGM_RSRC2:TGID_Y_EN: 0
; COMPUTE_PGM_RSRC2:TGID_Z_EN: 1
; COMPUTE_PGM_RSRC2:TIDIG_COMP_CNT: 0
	.section	.text._ZL20rocblas_gemvt_kernelILb1ELi256EPKddKPdEviiT2_lPKT1_lilS7_lilS4_lPT3_lili,"axG",@progbits,_ZL20rocblas_gemvt_kernelILb1ELi256EPKddKPdEviiT2_lPKT1_lilS7_lilS4_lPT3_lili,comdat
	.globl	_ZL20rocblas_gemvt_kernelILb1ELi256EPKddKPdEviiT2_lPKT1_lilS7_lilS4_lPT3_lili ; -- Begin function _ZL20rocblas_gemvt_kernelILb1ELi256EPKddKPdEviiT2_lPKT1_lilS7_lilS4_lPT3_lili
	.p2align	8
	.type	_ZL20rocblas_gemvt_kernelILb1ELi256EPKddKPdEviiT2_lPKT1_lilS7_lilS4_lPT3_lili,@function
_ZL20rocblas_gemvt_kernelILb1ELi256EPKddKPdEviiT2_lPKT1_lilS7_lilS4_lPT3_lili: ; @_ZL20rocblas_gemvt_kernelILb1ELi256EPKddKPdEviiT2_lPKT1_lilS7_lilS4_lPT3_lili
; %bb.0:
	s_clause 0x1
	s_load_b64 s[6:7], s[0:1], 0x8
	s_load_b64 s[4:5], s[0:1], 0x58
	s_waitcnt lgkmcnt(0)
	v_cmp_eq_f64_e64 s12, s[6:7], 0
	v_cmp_eq_f64_e64 s3, s[4:5], 1.0
	s_delay_alu instid0(VALU_DEP_1) | instskip(NEXT) | instid1(SALU_CYCLE_1)
	s_and_b32 s3, s12, s3
	s_and_b32 vcc_lo, exec_lo, s3
	s_cbranch_vccnz .LBB287_43
; %bb.1:
	v_cmp_neq_f64_e64 s8, s[6:7], 0
	s_mov_b32 s2, s15
	s_delay_alu instid0(VALU_DEP_1)
	s_and_b32 vcc_lo, exec_lo, s8
	s_cbranch_vccnz .LBB287_3
; %bb.2:
	s_mov_b32 s3, 0
	s_mov_b64 s[10:11], 0
	s_cbranch_execz .LBB287_4
	s_branch .LBB287_5
.LBB287_3:
	s_mov_b32 s3, -1
                                        ; implicit-def: $sgpr10_sgpr11
.LBB287_4:
	s_load_b128 s[16:19], s[0:1], 0x18
	s_mov_b32 s3, 0
	s_delay_alu instid0(SALU_CYCLE_1)
	s_lshl_b64 s[10:11], s[2:3], 3
	s_waitcnt lgkmcnt(0)
	s_add_u32 s10, s16, s10
	s_addc_u32 s11, s17, s11
	s_lshl_b64 s[16:17], s[18:19], 3
	s_load_b64 s[10:11], s[10:11], 0x0
	s_waitcnt lgkmcnt(0)
	s_add_u32 s10, s10, s16
	s_addc_u32 s11, s11, s17
.LBB287_5:
	s_and_not1_b32 vcc_lo, exec_lo, s8
	s_cbranch_vccnz .LBB287_7
; %bb.6:
	s_load_b128 s[16:19], s[0:1], 0x38
	s_lshl_b64 s[8:9], s[2:3], 3
	s_waitcnt lgkmcnt(0)
	s_add_u32 s8, s16, s8
	s_addc_u32 s9, s17, s9
	s_lshl_b64 s[16:17], s[18:19], 3
	s_load_b64 s[8:9], s[8:9], 0x0
	s_waitcnt lgkmcnt(0)
	s_add_u32 s8, s8, s16
	s_addc_u32 s9, s9, s17
	s_branch .LBB287_8
.LBB287_7:
	s_mov_b64 s[8:9], 0
.LBB287_8:
	s_clause 0x1
	s_load_b128 s[20:23], s[0:1], 0x68
	s_load_b32 s17, s[0:1], 0x78
	s_lshl_b64 s[2:3], s[2:3], 3
	s_waitcnt lgkmcnt(0)
	s_add_u32 s2, s20, s2
	s_addc_u32 s3, s21, s3
	s_lshl_b64 s[20:21], s[22:23], 3
	s_load_b64 s[18:19], s[2:3], 0x0
	v_cmp_eq_u32_e64 s2, 0, v0
	s_waitcnt lgkmcnt(0)
	s_add_u32 s15, s18, s20
	s_addc_u32 s16, s19, s21
	s_and_not1_b32 vcc_lo, exec_lo, s12
	s_cbranch_vccnz .LBB287_13
; %bb.9:
	s_mov_b32 s3, 0
	s_mov_b32 s18, 0
                                        ; implicit-def: $vgpr1_vgpr2
                                        ; implicit-def: $sgpr12_sgpr13
	s_and_saveexec_b32 s19, s2
	s_cbranch_execz .LBB287_14
; %bb.10:
	v_cmp_eq_f64_e64 s2, s[4:5], 0
	v_mov_b32_e32 v1, 0
	v_mov_b32_e32 v2, 0
	s_mul_hi_i32 s13, s17, s14
	s_mul_i32 s12, s17, s14
	s_delay_alu instid0(VALU_DEP_3)
	s_and_b32 vcc_lo, exec_lo, s2
	s_cbranch_vccnz .LBB287_12
; %bb.11:
	s_lshl_b64 s[20:21], s[12:13], 3
	s_delay_alu instid0(SALU_CYCLE_1)
	s_add_u32 s20, s15, s20
	s_addc_u32 s21, s16, s21
	s_load_b64 s[20:21], s[20:21], 0x0
	s_waitcnt lgkmcnt(0)
	v_mul_f64 v[1:2], s[20:21], s[4:5]
.LBB287_12:
	s_mov_b32 s18, exec_lo
	s_or_b32 exec_lo, exec_lo, s19
	s_delay_alu instid0(SALU_CYCLE_1)
	s_and_b32 vcc_lo, exec_lo, s3
	s_cbranch_vccnz .LBB287_15
	s_branch .LBB287_41
.LBB287_13:
	s_mov_b32 s18, 0
                                        ; implicit-def: $vgpr1_vgpr2
                                        ; implicit-def: $sgpr12_sgpr13
	s_cbranch_execnz .LBB287_15
	s_branch .LBB287_41
.LBB287_14:
	s_or_b32 exec_lo, exec_lo, s19
	s_delay_alu instid0(SALU_CYCLE_1)
	s_and_b32 vcc_lo, exec_lo, s3
	s_cbranch_vccz .LBB287_41
.LBB287_15:
	s_clause 0x2
	s_load_b32 s2, s[0:1], 0x28
	s_load_b32 s3, s[0:1], 0x0
	;; [unrolled: 1-line block ×3, first 2 shown]
	s_waitcnt lgkmcnt(0)
	s_mul_hi_i32 s13, s2, s14
	v_cmp_gt_i32_e32 vcc_lo, s3, v0
	s_mul_i32 s12, s2, s14
	s_delay_alu instid0(SALU_CYCLE_1) | instskip(NEXT) | instid1(SALU_CYCLE_1)
	s_lshl_b64 s[12:13], s[12:13], 3
	s_add_u32 s1, s12, s10
	v_cndmask_b32_e32 v1, 0, v0, vcc_lo
	s_addc_u32 s2, s13, s11
	s_ashr_i32 s10, s3, 31
	s_mov_b32 s12, 0
	s_lshr_b32 s10, s10, 24
	v_lshlrev_b32_e32 v3, 3, v1
	v_mov_b32_e32 v1, 0
	v_mov_b32_e32 v2, 0
	s_add_i32 s10, s3, s10
	s_delay_alu instid0(VALU_DEP_3) | instskip(NEXT) | instid1(VALU_DEP_1)
	v_add_co_u32 v3, s1, s1, v3
	v_add_co_ci_u32_e64 v4, null, s2, 0, s1
	s_and_b32 s2, s10, 0xffffff00
	s_cmpk_lt_i32 s3, 0x100
	s_cbranch_scc1 .LBB287_18
; %bb.16:
	v_mad_i64_i32 v[1:2], null, s0, v0, 0
	s_ashr_i32 s1, s0, 31
	v_mov_b32_e32 v8, v4
	s_lshl_b64 s[10:11], s[0:1], 11
	v_mov_b32_e32 v7, v3
	s_delay_alu instid0(VALU_DEP_3) | instskip(SKIP_2) | instid1(VALU_DEP_3)
	v_lshlrev_b64 v[5:6], 3, v[1:2]
	v_mov_b32_e32 v1, 0
	v_mov_b32_e32 v2, 0
	v_add_co_u32 v5, vcc_lo, s8, v5
	s_delay_alu instid0(VALU_DEP_4)
	v_add_co_ci_u32_e32 v6, vcc_lo, s9, v6, vcc_lo
.LBB287_17:                             ; =>This Inner Loop Header: Depth=1
	flat_load_b64 v[9:10], v[7:8]
	flat_load_b64 v[11:12], v[5:6]
	v_add_co_u32 v5, vcc_lo, v5, s10
	v_add_co_ci_u32_e32 v6, vcc_lo, s11, v6, vcc_lo
	v_add_co_u32 v7, vcc_lo, 0x800, v7
	v_add_co_ci_u32_e32 v8, vcc_lo, 0, v8, vcc_lo
	s_addk_i32 s12, 0x100
	s_delay_alu instid0(SALU_CYCLE_1)
	s_cmp_ge_i32 s12, s2
	s_waitcnt vmcnt(0) lgkmcnt(0)
	v_fma_f64 v[1:2], v[9:10], v[11:12], v[1:2]
	s_cbranch_scc0 .LBB287_17
.LBB287_18:
	v_add_nc_u32_e32 v5, s2, v0
	s_mov_b32 s1, exec_lo
	s_delay_alu instid0(VALU_DEP_1)
	v_cmpx_gt_i32_e64 s3, v5
	s_cbranch_execz .LBB287_20
; %bb.19:
	v_mad_i64_i32 v[6:7], null, s0, v5, 0
	s_ashr_i32 s3, s2, 31
	s_delay_alu instid0(SALU_CYCLE_1) | instskip(NEXT) | instid1(SALU_CYCLE_1)
	s_lshl_b64 s[2:3], s[2:3], 3
	v_add_co_u32 v3, vcc_lo, v3, s2
	s_delay_alu instid0(VALU_DEP_2) | instskip(SKIP_1) | instid1(VALU_DEP_2)
	v_lshlrev_b64 v[5:6], 3, v[6:7]
	v_add_co_ci_u32_e32 v4, vcc_lo, s3, v4, vcc_lo
	v_add_co_u32 v5, vcc_lo, s8, v5
	s_delay_alu instid0(VALU_DEP_3)
	v_add_co_ci_u32_e32 v6, vcc_lo, s9, v6, vcc_lo
	flat_load_b64 v[3:4], v[3:4]
	flat_load_b64 v[5:6], v[5:6]
	s_waitcnt vmcnt(0) lgkmcnt(0)
	v_fma_f64 v[1:2], v[3:4], v[5:6], v[1:2]
.LBB287_20:
	s_or_b32 exec_lo, exec_lo, s1
	v_lshlrev_b32_e32 v3, 3, v0
	s_mov_b32 s0, exec_lo
	ds_store_b64 v3, v[1:2]
	s_waitcnt lgkmcnt(0)
	s_barrier
	buffer_gl0_inv
	v_cmpx_gt_u32_e32 0x80, v0
	s_cbranch_execz .LBB287_22
; %bb.21:
	ds_load_2addr_stride64_b64 v[4:7], v3 offset1:2
	s_waitcnt lgkmcnt(0)
	v_add_f64 v[1:2], v[6:7], v[4:5]
	ds_store_b64 v3, v[1:2]
.LBB287_22:
	s_or_b32 exec_lo, exec_lo, s0
	s_delay_alu instid0(SALU_CYCLE_1)
	s_mov_b32 s0, exec_lo
	s_waitcnt lgkmcnt(0)
	s_barrier
	buffer_gl0_inv
	v_cmpx_gt_u32_e32 64, v0
	s_cbranch_execz .LBB287_24
; %bb.23:
	ds_load_2addr_stride64_b64 v[4:7], v3 offset1:1
	s_waitcnt lgkmcnt(0)
	v_add_f64 v[1:2], v[6:7], v[4:5]
	ds_store_b64 v3, v[1:2]
.LBB287_24:
	s_or_b32 exec_lo, exec_lo, s0
	s_delay_alu instid0(SALU_CYCLE_1)
	s_mov_b32 s0, exec_lo
	s_waitcnt lgkmcnt(0)
	s_barrier
	buffer_gl0_inv
	v_cmpx_gt_u32_e32 32, v0
	s_cbranch_execz .LBB287_26
; %bb.25:
	ds_load_2addr_b64 v[4:7], v3 offset1:32
	s_waitcnt lgkmcnt(0)
	v_add_f64 v[1:2], v[6:7], v[4:5]
	ds_store_b64 v3, v[1:2]
.LBB287_26:
	s_or_b32 exec_lo, exec_lo, s0
	s_delay_alu instid0(SALU_CYCLE_1)
	s_mov_b32 s0, exec_lo
	s_waitcnt lgkmcnt(0)
	s_barrier
	buffer_gl0_inv
	v_cmpx_gt_u32_e32 16, v0
	s_cbranch_execz .LBB287_28
; %bb.27:
	ds_load_2addr_b64 v[4:7], v3 offset1:16
	s_waitcnt lgkmcnt(0)
	v_add_f64 v[1:2], v[6:7], v[4:5]
	ds_store_b64 v3, v[1:2]
.LBB287_28:
	;; [unrolled: 14-line block ×5, first 2 shown]
	s_or_b32 exec_lo, exec_lo, s0
	v_cmp_eq_u32_e32 vcc_lo, 0, v0
	s_waitcnt lgkmcnt(0)
	s_barrier
	buffer_gl0_inv
	s_and_saveexec_b32 s0, vcc_lo
	s_cbranch_execz .LBB287_36
; %bb.35:
	v_mov_b32_e32 v4, 0
	ds_load_b128 v[0:3], v4
	s_waitcnt lgkmcnt(0)
	v_add_f64 v[0:1], v[2:3], v[0:1]
	ds_store_b64 v4, v[0:1]
.LBB287_36:
	s_or_b32 exec_lo, exec_lo, s0
	s_waitcnt lgkmcnt(0)
	s_barrier
	buffer_gl0_inv
                                        ; implicit-def: $vgpr1_vgpr2
                                        ; implicit-def: $sgpr12_sgpr13
	s_and_saveexec_b32 s0, vcc_lo
	s_cbranch_execz .LBB287_40
; %bb.37:
	v_mov_b32_e32 v0, 0
	v_cmp_eq_f64_e64 s1, s[4:5], 0
	s_mul_hi_i32 s13, s17, s14
	s_mul_i32 s12, s17, s14
	ds_load_b64 v[0:1], v0
	s_waitcnt lgkmcnt(0)
	v_mul_f64 v[1:2], v[0:1], s[6:7]
	s_and_b32 vcc_lo, exec_lo, s1
	s_cbranch_vccnz .LBB287_39
; %bb.38:
	s_lshl_b64 s[2:3], s[12:13], 3
	s_delay_alu instid0(SALU_CYCLE_1) | instskip(SKIP_3) | instid1(VALU_DEP_1)
	s_add_u32 s2, s15, s2
	s_addc_u32 s3, s16, s3
	s_load_b64 s[2:3], s[2:3], 0x0
	s_waitcnt lgkmcnt(0)
	v_fma_f64 v[1:2], s[2:3], s[4:5], v[1:2]
.LBB287_39:
	s_or_b32 s18, s18, exec_lo
.LBB287_40:
	s_or_b32 exec_lo, exec_lo, s0
.LBB287_41:
	s_and_saveexec_b32 s0, s18
	s_cbranch_execz .LBB287_43
; %bb.42:
	s_lshl_b64 s[0:1], s[12:13], 3
	v_mov_b32_e32 v0, 0
	s_add_u32 s0, s15, s0
	s_addc_u32 s1, s16, s1
	global_store_b64 v0, v[1:2], s[0:1]
.LBB287_43:
	s_nop 0
	s_sendmsg sendmsg(MSG_DEALLOC_VGPRS)
	s_endpgm
	.section	.rodata,"a",@progbits
	.p2align	6, 0x0
	.amdhsa_kernel _ZL20rocblas_gemvt_kernelILb1ELi256EPKddKPdEviiT2_lPKT1_lilS7_lilS4_lPT3_lili
		.amdhsa_group_segment_fixed_size 2048
		.amdhsa_private_segment_fixed_size 0
		.amdhsa_kernarg_size 140
		.amdhsa_user_sgpr_count 14
		.amdhsa_user_sgpr_dispatch_ptr 0
		.amdhsa_user_sgpr_queue_ptr 0
		.amdhsa_user_sgpr_kernarg_segment_ptr 1
		.amdhsa_user_sgpr_dispatch_id 0
		.amdhsa_user_sgpr_private_segment_size 0
		.amdhsa_wavefront_size32 1
		.amdhsa_uses_dynamic_stack 0
		.amdhsa_enable_private_segment 0
		.amdhsa_system_sgpr_workgroup_id_x 1
		.amdhsa_system_sgpr_workgroup_id_y 0
		.amdhsa_system_sgpr_workgroup_id_z 1
		.amdhsa_system_sgpr_workgroup_info 0
		.amdhsa_system_vgpr_workitem_id 0
		.amdhsa_next_free_vgpr 13
		.amdhsa_next_free_sgpr 24
		.amdhsa_reserve_vcc 1
		.amdhsa_float_round_mode_32 0
		.amdhsa_float_round_mode_16_64 0
		.amdhsa_float_denorm_mode_32 3
		.amdhsa_float_denorm_mode_16_64 3
		.amdhsa_dx10_clamp 1
		.amdhsa_ieee_mode 1
		.amdhsa_fp16_overflow 0
		.amdhsa_workgroup_processor_mode 1
		.amdhsa_memory_ordered 1
		.amdhsa_forward_progress 0
		.amdhsa_shared_vgpr_count 0
		.amdhsa_exception_fp_ieee_invalid_op 0
		.amdhsa_exception_fp_denorm_src 0
		.amdhsa_exception_fp_ieee_div_zero 0
		.amdhsa_exception_fp_ieee_overflow 0
		.amdhsa_exception_fp_ieee_underflow 0
		.amdhsa_exception_fp_ieee_inexact 0
		.amdhsa_exception_int_div_zero 0
	.end_amdhsa_kernel
	.section	.text._ZL20rocblas_gemvt_kernelILb1ELi256EPKddKPdEviiT2_lPKT1_lilS7_lilS4_lPT3_lili,"axG",@progbits,_ZL20rocblas_gemvt_kernelILb1ELi256EPKddKPdEviiT2_lPKT1_lilS7_lilS4_lPT3_lili,comdat
.Lfunc_end287:
	.size	_ZL20rocblas_gemvt_kernelILb1ELi256EPKddKPdEviiT2_lPKT1_lilS7_lilS4_lPT3_lili, .Lfunc_end287-_ZL20rocblas_gemvt_kernelILb1ELi256EPKddKPdEviiT2_lPKT1_lilS7_lilS4_lPT3_lili
                                        ; -- End function
	.section	.AMDGPU.csdata,"",@progbits
; Kernel info:
; codeLenInByte = 1496
; NumSgprs: 26
; NumVgprs: 13
; ScratchSize: 0
; MemoryBound: 0
; FloatMode: 240
; IeeeMode: 1
; LDSByteSize: 2048 bytes/workgroup (compile time only)
; SGPRBlocks: 3
; VGPRBlocks: 1
; NumSGPRsForWavesPerEU: 26
; NumVGPRsForWavesPerEU: 13
; Occupancy: 16
; WaveLimiterHint : 1
; COMPUTE_PGM_RSRC2:SCRATCH_EN: 0
; COMPUTE_PGM_RSRC2:USER_SGPR: 14
; COMPUTE_PGM_RSRC2:TRAP_HANDLER: 0
; COMPUTE_PGM_RSRC2:TGID_X_EN: 1
; COMPUTE_PGM_RSRC2:TGID_Y_EN: 0
; COMPUTE_PGM_RSRC2:TGID_Z_EN: 1
; COMPUTE_PGM_RSRC2:TIDIG_COMP_CNT: 0
	.section	.text._ZL32rocblas_gemvt_warp_reduce_kernelILb1ELi1024EiPKdS1_KPdEviiT3_lPKT2_lT1_lS7_lS8_lS4_lPT4_lS8_li,"axG",@progbits,_ZL32rocblas_gemvt_warp_reduce_kernelILb1ELi1024EiPKdS1_KPdEviiT3_lPKT2_lT1_lS7_lS8_lS4_lPT4_lS8_li,comdat
	.globl	_ZL32rocblas_gemvt_warp_reduce_kernelILb1ELi1024EiPKdS1_KPdEviiT3_lPKT2_lT1_lS7_lS8_lS4_lPT4_lS8_li ; -- Begin function _ZL32rocblas_gemvt_warp_reduce_kernelILb1ELi1024EiPKdS1_KPdEviiT3_lPKT2_lT1_lS7_lS8_lS4_lPT4_lS8_li
	.p2align	8
	.type	_ZL32rocblas_gemvt_warp_reduce_kernelILb1ELi1024EiPKdS1_KPdEviiT3_lPKT2_lT1_lS7_lS8_lS4_lPT4_lS8_li,@function
_ZL32rocblas_gemvt_warp_reduce_kernelILb1ELi1024EiPKdS1_KPdEviiT3_lPKT2_lT1_lS7_lS8_lS4_lPT4_lS8_li: ; @_ZL32rocblas_gemvt_warp_reduce_kernelILb1ELi1024EiPKdS1_KPdEviiT3_lPKT2_lT1_lS7_lS8_lS4_lPT4_lS8_li
; %bb.0:
	s_clause 0x1
	s_load_b256 s[16:23], s[0:1], 0x8
	s_load_b256 s[4:11], s[0:1], 0x58
	s_mov_b32 s2, s15
	s_waitcnt lgkmcnt(0)
	s_mul_i32 s3, s15, s19
	s_mul_hi_u32 s13, s15, s18
	s_mul_i32 s12, s15, s18
	s_add_i32 s13, s13, s3
	s_mul_i32 s3, s15, s7
	s_lshl_b64 s[12:13], s[12:13], 3
	s_mul_hi_u32 s7, s15, s6
	s_add_u32 s12, s16, s12
	s_addc_u32 s13, s17, s13
	s_add_i32 s7, s7, s3
	s_mul_i32 s6, s15, s6
	s_mov_b64 s[16:17], 0
	s_lshl_b64 s[6:7], s[6:7], 3
	s_delay_alu instid0(SALU_CYCLE_1)
	s_add_u32 s4, s4, s6
	s_addc_u32 s5, s5, s7
	s_load_b64 s[6:7], s[12:13], 0x0
	s_load_b64 s[4:5], s[4:5], 0x0
	s_waitcnt lgkmcnt(0)
	v_cmp_eq_f64_e64 s15, s[6:7], 0
	v_cmp_eq_f64_e64 s3, s[4:5], 1.0
	s_delay_alu instid0(VALU_DEP_1) | instskip(NEXT) | instid1(SALU_CYCLE_1)
	s_and_b32 s3, s15, s3
	s_and_b32 vcc_lo, exec_lo, s3
	s_cbranch_vccnz .LBB288_34
; %bb.1:
	v_cmp_neq_f64_e64 s12, s[6:7], 0
	s_and_b32 vcc_lo, exec_lo, s15
	s_mov_b32 s3, 0
	s_cbranch_vccnz .LBB288_3
; %bb.2:
	s_lshl_b64 s[16:17], s[2:3], 3
	s_delay_alu instid0(SALU_CYCLE_1)
	s_add_u32 s16, s20, s16
	s_addc_u32 s17, s21, s17
	s_lshl_b64 s[18:19], s[22:23], 3
	s_load_b64 s[16:17], s[16:17], 0x0
	s_waitcnt lgkmcnt(0)
	s_add_u32 s16, s16, s18
	s_addc_u32 s17, s17, s19
.LBB288_3:
	s_delay_alu instid0(VALU_DEP_1)
	s_and_not1_b32 vcc_lo, exec_lo, s12
	s_cbranch_vccnz .LBB288_5
; %bb.4:
	s_load_b128 s[20:23], s[0:1], 0x38
	s_lshl_b64 s[12:13], s[2:3], 3
	s_waitcnt lgkmcnt(0)
	s_add_u32 s12, s20, s12
	s_addc_u32 s13, s21, s13
	s_lshl_b64 s[18:19], s[22:23], 3
	s_load_b64 s[12:13], s[12:13], 0x0
	s_waitcnt lgkmcnt(0)
	s_add_u32 s12, s12, s18
	s_addc_u32 s13, s13, s19
	s_branch .LBB288_6
.LBB288_5:
	s_mov_b64 s[12:13], 0
.LBB288_6:
	s_lshl_b64 s[2:3], s[2:3], 3
	s_delay_alu instid0(SALU_CYCLE_1)
	s_add_u32 s2, s8, s2
	s_addc_u32 s3, s9, s3
	s_lshl_b64 s[10:11], s[10:11], 3
	s_load_b64 s[8:9], s[2:3], 0x0
	s_load_b32 s18, s[0:1], 0x78
	v_cmp_eq_u32_e64 s2, 0, v0
	s_waitcnt lgkmcnt(0)
	s_add_u32 s10, s8, s10
	s_addc_u32 s11, s9, s11
	s_and_not1_b32 vcc_lo, exec_lo, s15
	s_cbranch_vccnz .LBB288_11
; %bb.7:
	s_mov_b32 s3, 0
	s_mov_b32 s15, 0
                                        ; implicit-def: $vgpr1_vgpr2
                                        ; implicit-def: $sgpr8_sgpr9
	s_and_saveexec_b32 s19, s2
	s_cbranch_execz .LBB288_12
; %bb.8:
	v_cmp_eq_f64_e64 s2, s[4:5], 0
	v_mov_b32_e32 v1, 0
	v_mov_b32_e32 v2, 0
	s_mul_i32 s8, s14, s18
	s_delay_alu instid0(SALU_CYCLE_1) | instskip(NEXT) | instid1(VALU_DEP_3)
	s_ashr_i32 s9, s8, 31
	s_and_b32 vcc_lo, exec_lo, s2
	s_cbranch_vccnz .LBB288_10
; %bb.9:
	s_lshl_b64 s[20:21], s[8:9], 3
	s_delay_alu instid0(SALU_CYCLE_1)
	s_add_u32 s20, s10, s20
	s_addc_u32 s21, s11, s21
	s_load_b64 s[20:21], s[20:21], 0x0
	s_waitcnt lgkmcnt(0)
	v_mul_f64 v[1:2], s[4:5], s[20:21]
.LBB288_10:
	s_mov_b32 s15, exec_lo
	s_or_b32 exec_lo, exec_lo, s19
	s_delay_alu instid0(SALU_CYCLE_1)
	s_and_b32 vcc_lo, exec_lo, s3
	s_cbranch_vccnz .LBB288_13
	s_branch .LBB288_32
.LBB288_11:
	s_mov_b32 s15, 0
                                        ; implicit-def: $vgpr1_vgpr2
                                        ; implicit-def: $sgpr8_sgpr9
	s_cbranch_execnz .LBB288_13
	s_branch .LBB288_32
.LBB288_12:
	s_or_b32 exec_lo, exec_lo, s19
	s_delay_alu instid0(SALU_CYCLE_1)
	s_and_b32 vcc_lo, exec_lo, s3
	s_cbranch_vccz .LBB288_32
.LBB288_13:
	s_clause 0x2
	s_load_b32 s2, s[0:1], 0x28
	s_load_b32 s3, s[0:1], 0x0
	;; [unrolled: 1-line block ×3, first 2 shown]
	s_waitcnt lgkmcnt(0)
	s_mul_i32 s8, s14, s2
	v_cmp_gt_i32_e32 vcc_lo, s3, v0
	s_ashr_i32 s9, s8, 31
	s_delay_alu instid0(SALU_CYCLE_1)
	s_lshl_b64 s[8:9], s[8:9], 3
	v_cndmask_b32_e32 v1, 0, v0, vcc_lo
	s_add_u32 s0, s8, s16
	s_addc_u32 s2, s9, s17
	s_ashr_i32 s8, s3, 31
	s_mov_b32 s9, 0
	v_lshlrev_b32_e32 v1, 3, v1
	s_lshr_b32 s8, s8, 22
	s_delay_alu instid0(SALU_CYCLE_1) | instskip(NEXT) | instid1(VALU_DEP_1)
	s_add_i32 s8, s3, s8
	v_add_co_u32 v3, s0, s0, v1
	v_mov_b32_e32 v1, 0
	v_add_co_ci_u32_e64 v4, null, s2, 0, s0
	v_mov_b32_e32 v2, 0
	s_and_b32 s2, s8, 0xfffffc00
	s_mov_b32 s8, exec_lo
	v_cmpx_gt_i32_e64 s2, v0
	s_cbranch_execz .LBB288_17
; %bb.14:
	v_mul_lo_u32 v5, v0, s1
	v_dual_mov_b32 v1, 0 :: v_dual_mov_b32 v8, v4
	v_dual_mov_b32 v2, 0 :: v_dual_mov_b32 v7, v3
	v_mov_b32_e32 v9, v0
	s_lshl_b32 s16, s1, 10
	.p2align	6
.LBB288_15:                             ; =>This Inner Loop Header: Depth=1
	s_delay_alu instid0(VALU_DEP_4) | instskip(NEXT) | instid1(VALU_DEP_2)
	v_ashrrev_i32_e32 v6, 31, v5
	v_add_nc_u32_e32 v9, 0x400, v9
	s_delay_alu instid0(VALU_DEP_2) | instskip(NEXT) | instid1(VALU_DEP_2)
	v_lshlrev_b64 v[10:11], 3, v[5:6]
	v_cmp_le_i32_e64 s0, s2, v9
	v_add_nc_u32_e32 v5, s16, v5
	s_delay_alu instid0(VALU_DEP_2) | instskip(NEXT) | instid1(VALU_DEP_3)
	s_or_b32 s9, s0, s9
	v_add_co_u32 v10, vcc_lo, s12, v10
	s_delay_alu instid0(VALU_DEP_4)
	v_add_co_ci_u32_e32 v11, vcc_lo, s13, v11, vcc_lo
	flat_load_b64 v[12:13], v[7:8]
	flat_load_b64 v[10:11], v[10:11]
	v_add_co_u32 v7, vcc_lo, 0x2000, v7
	v_add_co_ci_u32_e32 v8, vcc_lo, 0, v8, vcc_lo
	s_waitcnt vmcnt(0) lgkmcnt(0)
	v_fma_f64 v[1:2], v[12:13], v[10:11], v[1:2]
	s_and_not1_b32 exec_lo, exec_lo, s9
	s_cbranch_execnz .LBB288_15
; %bb.16:
	s_or_b32 exec_lo, exec_lo, s9
.LBB288_17:
	s_delay_alu instid0(SALU_CYCLE_1) | instskip(SKIP_2) | instid1(VALU_DEP_1)
	s_or_b32 exec_lo, exec_lo, s8
	v_or_b32_e32 v5, s2, v0
	s_mov_b32 s0, exec_lo
	v_cmpx_gt_i32_e64 s3, v5
	s_cbranch_execz .LBB288_19
; %bb.18:
	v_mul_lo_u32 v5, v5, s1
	s_ashr_i32 s3, s2, 31
	s_delay_alu instid0(SALU_CYCLE_1) | instskip(NEXT) | instid1(SALU_CYCLE_1)
	s_lshl_b64 s[2:3], s[2:3], 3
	v_add_co_u32 v3, vcc_lo, v3, s2
	v_add_co_ci_u32_e32 v4, vcc_lo, s3, v4, vcc_lo
	s_delay_alu instid0(VALU_DEP_3) | instskip(NEXT) | instid1(VALU_DEP_1)
	v_ashrrev_i32_e32 v6, 31, v5
	v_lshlrev_b64 v[5:6], 3, v[5:6]
	s_delay_alu instid0(VALU_DEP_1) | instskip(NEXT) | instid1(VALU_DEP_2)
	v_add_co_u32 v5, vcc_lo, s12, v5
	v_add_co_ci_u32_e32 v6, vcc_lo, s13, v6, vcc_lo
	flat_load_b64 v[3:4], v[3:4]
	flat_load_b64 v[5:6], v[5:6]
	s_waitcnt vmcnt(0) lgkmcnt(0)
	v_fma_f64 v[1:2], v[3:4], v[5:6], v[1:2]
.LBB288_19:
	s_or_b32 exec_lo, exec_lo, s0
	v_and_b32_e32 v11, 31, v0
	v_cmp_gt_u32_e32 vcc_lo, 32, v0
	s_delay_alu instid0(VALU_DEP_2)
	v_lshlrev_b32_e32 v5, 3, v11
	s_and_saveexec_b32 s0, vcc_lo
	s_cbranch_execz .LBB288_21
; %bb.20:
	v_mov_b32_e32 v3, 0
	s_delay_alu instid0(VALU_DEP_1)
	v_mov_b32_e32 v4, v3
	ds_store_b64 v5, v[3:4]
.LBB288_21:
	s_or_b32 exec_lo, exec_lo, s0
	v_mbcnt_lo_u32_b32 v10, -1, 0
	s_mov_b32 s1, exec_lo
	s_waitcnt lgkmcnt(0)
	s_barrier
	buffer_gl0_inv
	v_cmp_gt_u32_e64 s0, 16, v10
	s_delay_alu instid0(VALU_DEP_1) | instskip(SKIP_1) | instid1(VALU_DEP_2)
	v_cndmask_b32_e64 v3, 0, 1, s0
	v_cmp_gt_u32_e64 s0, 24, v10
	v_lshlrev_b32_e32 v3, 4, v3
	s_delay_alu instid0(VALU_DEP_1)
	v_add_lshl_u32 v6, v3, v10, 2
	ds_bpermute_b32 v3, v6, v1
	ds_bpermute_b32 v4, v6, v2
	s_waitcnt lgkmcnt(0)
	v_add_f64 v[1:2], v[1:2], v[3:4]
	v_cndmask_b32_e64 v3, 0, 1, s0
	v_cmp_gt_u32_e64 s0, 28, v10
	s_delay_alu instid0(VALU_DEP_2) | instskip(NEXT) | instid1(VALU_DEP_1)
	v_lshlrev_b32_e32 v3, 3, v3
	v_add_lshl_u32 v7, v3, v10, 2
	ds_bpermute_b32 v3, v7, v1
	ds_bpermute_b32 v4, v7, v2
	s_waitcnt lgkmcnt(0)
	v_add_f64 v[1:2], v[1:2], v[3:4]
	v_cndmask_b32_e64 v3, 0, 1, s0
	v_cmp_gt_u32_e64 s0, 30, v10
	s_delay_alu instid0(VALU_DEP_2) | instskip(NEXT) | instid1(VALU_DEP_1)
	v_lshlrev_b32_e32 v3, 2, v3
	v_add_lshl_u32 v8, v3, v10, 2
	ds_bpermute_b32 v3, v8, v1
	ds_bpermute_b32 v4, v8, v2
	s_waitcnt lgkmcnt(0)
	v_add_f64 v[1:2], v[1:2], v[3:4]
	v_cndmask_b32_e64 v3, 0, 1, s0
	v_cmp_ne_u32_e64 s0, 31, v10
	s_delay_alu instid0(VALU_DEP_2) | instskip(NEXT) | instid1(VALU_DEP_1)
	v_lshlrev_b32_e32 v3, 1, v3
	v_add_lshl_u32 v9, v3, v10, 2
	ds_bpermute_b32 v3, v9, v1
	ds_bpermute_b32 v4, v9, v2
	s_waitcnt lgkmcnt(0)
	v_add_f64 v[1:2], v[1:2], v[3:4]
	v_add_co_ci_u32_e64 v3, s0, 0, v10, s0
	s_delay_alu instid0(VALU_DEP_1)
	v_lshlrev_b32_e32 v10, 2, v3
	ds_bpermute_b32 v3, v10, v1
	ds_bpermute_b32 v4, v10, v2
	v_cmpx_eq_u32_e32 0, v11
	s_cbranch_execz .LBB288_23
; %bb.22:
	s_waitcnt lgkmcnt(0)
	v_add_f64 v[1:2], v[1:2], v[3:4]
	v_lshrrev_b32_e32 v3, 2, v0
	s_delay_alu instid0(VALU_DEP_1)
	v_and_b32_e32 v3, 0xf8, v3
	ds_store_b64 v3, v[1:2]
.LBB288_23:
	s_or_b32 exec_lo, exec_lo, s1
	s_waitcnt lgkmcnt(0)
	v_mov_b32_e32 v3, 0
	v_mov_b32_e32 v4, 0
	s_barrier
	buffer_gl0_inv
	s_and_saveexec_b32 s0, vcc_lo
	s_cbranch_execz .LBB288_25
; %bb.24:
	ds_load_b64 v[3:4], v5
.LBB288_25:
	s_or_b32 exec_lo, exec_lo, s0
	s_and_saveexec_b32 s0, vcc_lo
	s_cbranch_execz .LBB288_27
; %bb.26:
	s_waitcnt lgkmcnt(0)
	ds_bpermute_b32 v1, v6, v3
	ds_bpermute_b32 v2, v6, v4
	s_waitcnt lgkmcnt(0)
	v_add_f64 v[1:2], v[3:4], v[1:2]
	ds_bpermute_b32 v3, v7, v1
	ds_bpermute_b32 v4, v7, v2
	s_waitcnt lgkmcnt(0)
	v_add_f64 v[1:2], v[1:2], v[3:4]
	;; [unrolled: 4-line block ×5, first 2 shown]
.LBB288_27:
	s_or_b32 exec_lo, exec_lo, s0
	s_delay_alu instid0(SALU_CYCLE_1)
	s_mov_b32 s0, exec_lo
                                        ; implicit-def: $vgpr1_vgpr2
                                        ; implicit-def: $sgpr8_sgpr9
	v_cmpx_eq_u32_e32 0, v0
	s_cbranch_execz .LBB288_31
; %bb.28:
	v_cmp_eq_f64_e64 s1, s[4:5], 0
	s_waitcnt lgkmcnt(0)
	s_delay_alu instid0(VALU_DEP_3) | instskip(SKIP_1) | instid1(SALU_CYCLE_1)
	v_mul_f64 v[1:2], s[6:7], v[3:4]
	s_mul_i32 s8, s14, s18
	s_ashr_i32 s9, s8, 31
	s_delay_alu instid0(VALU_DEP_2)
	s_and_b32 vcc_lo, exec_lo, s1
	s_cbranch_vccnz .LBB288_30
; %bb.29:
	s_lshl_b64 s[2:3], s[8:9], 3
	s_delay_alu instid0(SALU_CYCLE_1) | instskip(SKIP_3) | instid1(VALU_DEP_1)
	s_add_u32 s2, s10, s2
	s_addc_u32 s3, s11, s3
	s_load_b64 s[2:3], s[2:3], 0x0
	s_waitcnt lgkmcnt(0)
	v_fma_f64 v[1:2], s[4:5], s[2:3], v[1:2]
.LBB288_30:
	s_or_b32 s15, s15, exec_lo
.LBB288_31:
	s_or_b32 exec_lo, exec_lo, s0
.LBB288_32:
	s_and_saveexec_b32 s0, s15
	s_cbranch_execz .LBB288_34
; %bb.33:
	s_lshl_b64 s[0:1], s[8:9], 3
	v_mov_b32_e32 v0, 0
	s_add_u32 s0, s10, s0
	s_addc_u32 s1, s11, s1
	global_store_b64 v0, v[1:2], s[0:1]
.LBB288_34:
	s_nop 0
	s_sendmsg sendmsg(MSG_DEALLOC_VGPRS)
	s_endpgm
	.section	.rodata,"a",@progbits
	.p2align	6, 0x0
	.amdhsa_kernel _ZL32rocblas_gemvt_warp_reduce_kernelILb1ELi1024EiPKdS1_KPdEviiT3_lPKT2_lT1_lS7_lS8_lS4_lPT4_lS8_li
		.amdhsa_group_segment_fixed_size 256
		.amdhsa_private_segment_fixed_size 0
		.amdhsa_kernarg_size 140
		.amdhsa_user_sgpr_count 14
		.amdhsa_user_sgpr_dispatch_ptr 0
		.amdhsa_user_sgpr_queue_ptr 0
		.amdhsa_user_sgpr_kernarg_segment_ptr 1
		.amdhsa_user_sgpr_dispatch_id 0
		.amdhsa_user_sgpr_private_segment_size 0
		.amdhsa_wavefront_size32 1
		.amdhsa_uses_dynamic_stack 0
		.amdhsa_enable_private_segment 0
		.amdhsa_system_sgpr_workgroup_id_x 1
		.amdhsa_system_sgpr_workgroup_id_y 0
		.amdhsa_system_sgpr_workgroup_id_z 1
		.amdhsa_system_sgpr_workgroup_info 0
		.amdhsa_system_vgpr_workitem_id 0
		.amdhsa_next_free_vgpr 14
		.amdhsa_next_free_sgpr 24
		.amdhsa_reserve_vcc 1
		.amdhsa_float_round_mode_32 0
		.amdhsa_float_round_mode_16_64 0
		.amdhsa_float_denorm_mode_32 3
		.amdhsa_float_denorm_mode_16_64 3
		.amdhsa_dx10_clamp 1
		.amdhsa_ieee_mode 1
		.amdhsa_fp16_overflow 0
		.amdhsa_workgroup_processor_mode 1
		.amdhsa_memory_ordered 1
		.amdhsa_forward_progress 0
		.amdhsa_shared_vgpr_count 0
		.amdhsa_exception_fp_ieee_invalid_op 0
		.amdhsa_exception_fp_denorm_src 0
		.amdhsa_exception_fp_ieee_div_zero 0
		.amdhsa_exception_fp_ieee_overflow 0
		.amdhsa_exception_fp_ieee_underflow 0
		.amdhsa_exception_fp_ieee_inexact 0
		.amdhsa_exception_int_div_zero 0
	.end_amdhsa_kernel
	.section	.text._ZL32rocblas_gemvt_warp_reduce_kernelILb1ELi1024EiPKdS1_KPdEviiT3_lPKT2_lT1_lS7_lS8_lS4_lPT4_lS8_li,"axG",@progbits,_ZL32rocblas_gemvt_warp_reduce_kernelILb1ELi1024EiPKdS1_KPdEviiT3_lPKT2_lT1_lS7_lS8_lS4_lPT4_lS8_li,comdat
.Lfunc_end288:
	.size	_ZL32rocblas_gemvt_warp_reduce_kernelILb1ELi1024EiPKdS1_KPdEviiT3_lPKT2_lT1_lS7_lS8_lS4_lPT4_lS8_li, .Lfunc_end288-_ZL32rocblas_gemvt_warp_reduce_kernelILb1ELi1024EiPKdS1_KPdEviiT3_lPKT2_lT1_lS7_lS8_lS4_lPT4_lS8_li
                                        ; -- End function
	.section	.AMDGPU.csdata,"",@progbits
; Kernel info:
; codeLenInByte = 1644
; NumSgprs: 26
; NumVgprs: 14
; ScratchSize: 0
; MemoryBound: 0
; FloatMode: 240
; IeeeMode: 1
; LDSByteSize: 256 bytes/workgroup (compile time only)
; SGPRBlocks: 3
; VGPRBlocks: 1
; NumSGPRsForWavesPerEU: 26
; NumVGPRsForWavesPerEU: 14
; Occupancy: 16
; WaveLimiterHint : 1
; COMPUTE_PGM_RSRC2:SCRATCH_EN: 0
; COMPUTE_PGM_RSRC2:USER_SGPR: 14
; COMPUTE_PGM_RSRC2:TRAP_HANDLER: 0
; COMPUTE_PGM_RSRC2:TGID_X_EN: 1
; COMPUTE_PGM_RSRC2:TGID_Y_EN: 0
; COMPUTE_PGM_RSRC2:TGID_Z_EN: 1
; COMPUTE_PGM_RSRC2:TIDIG_COMP_CNT: 0
	.section	.text._ZL32rocblas_gemvt_warp_reduce_kernelILb1ELi1024ElPKdS1_KPdEviiT3_lPKT2_lT1_lS7_lS8_lS4_lPT4_lS8_li,"axG",@progbits,_ZL32rocblas_gemvt_warp_reduce_kernelILb1ELi1024ElPKdS1_KPdEviiT3_lPKT2_lT1_lS7_lS8_lS4_lPT4_lS8_li,comdat
	.globl	_ZL32rocblas_gemvt_warp_reduce_kernelILb1ELi1024ElPKdS1_KPdEviiT3_lPKT2_lT1_lS7_lS8_lS4_lPT4_lS8_li ; -- Begin function _ZL32rocblas_gemvt_warp_reduce_kernelILb1ELi1024ElPKdS1_KPdEviiT3_lPKT2_lT1_lS7_lS8_lS4_lPT4_lS8_li
	.p2align	8
	.type	_ZL32rocblas_gemvt_warp_reduce_kernelILb1ELi1024ElPKdS1_KPdEviiT3_lPKT2_lT1_lS7_lS8_lS4_lPT4_lS8_li,@function
_ZL32rocblas_gemvt_warp_reduce_kernelILb1ELi1024ElPKdS1_KPdEviiT3_lPKT2_lT1_lS7_lS8_lS4_lPT4_lS8_li: ; @_ZL32rocblas_gemvt_warp_reduce_kernelILb1ELi1024ElPKdS1_KPdEviiT3_lPKT2_lT1_lS7_lS8_lS4_lPT4_lS8_li
; %bb.0:
	s_clause 0x1
	s_load_b256 s[16:23], s[0:1], 0x8
	s_load_b256 s[4:11], s[0:1], 0x58
	s_mov_b32 s2, s15
	s_mov_b64 s[24:25], 0
	s_waitcnt lgkmcnt(0)
	s_mul_i32 s3, s15, s19
	s_mul_hi_u32 s13, s15, s18
	s_mul_i32 s12, s15, s18
	s_add_i32 s13, s13, s3
	s_mul_i32 s3, s15, s7
	s_lshl_b64 s[12:13], s[12:13], 3
	s_mul_hi_u32 s7, s15, s6
	s_add_u32 s12, s16, s12
	s_addc_u32 s13, s17, s13
	s_add_i32 s7, s7, s3
	s_mul_i32 s6, s15, s6
	s_delay_alu instid0(SALU_CYCLE_1) | instskip(NEXT) | instid1(SALU_CYCLE_1)
	s_lshl_b64 s[6:7], s[6:7], 3
	s_add_u32 s4, s4, s6
	s_addc_u32 s5, s5, s7
	s_load_b64 s[16:17], s[12:13], 0x0
	s_load_b64 s[12:13], s[4:5], 0x0
	s_waitcnt lgkmcnt(0)
	v_cmp_eq_f64_e64 s15, s[16:17], 0
	v_cmp_eq_f64_e64 s3, s[12:13], 1.0
	s_delay_alu instid0(VALU_DEP_1) | instskip(NEXT) | instid1(SALU_CYCLE_1)
	s_and_b32 s3, s15, s3
	s_and_b32 vcc_lo, exec_lo, s3
	s_cbranch_vccnz .LBB289_34
; %bb.1:
	v_cmp_neq_f64_e64 s28, s[16:17], 0
	s_clause 0x1
	s_load_b64 s[26:27], s[0:1], 0x28
	s_load_b64 s[18:19], s[0:1], 0x78
	s_and_b32 vcc_lo, exec_lo, s15
	s_mov_b32 s3, 0
	s_cbranch_vccnz .LBB289_3
; %bb.2:
	s_lshl_b64 s[4:5], s[2:3], 3
	s_delay_alu instid0(SALU_CYCLE_1)
	s_add_u32 s4, s20, s4
	s_addc_u32 s5, s21, s5
	s_lshl_b64 s[6:7], s[22:23], 3
	s_load_b64 s[4:5], s[4:5], 0x0
	s_waitcnt lgkmcnt(0)
	s_add_u32 s24, s4, s6
	s_addc_u32 s25, s5, s7
.LBB289_3:
	s_clause 0x1
	s_load_b128 s[4:7], s[0:1], 0x38
	s_load_b64 s[20:21], s[0:1], 0x48
	s_delay_alu instid0(VALU_DEP_1)
	s_and_not1_b32 vcc_lo, exec_lo, s28
	s_cbranch_vccnz .LBB289_5
; %bb.4:
	s_lshl_b64 s[22:23], s[2:3], 3
	s_waitcnt lgkmcnt(0)
	s_add_u32 s4, s4, s22
	s_addc_u32 s5, s5, s23
	s_lshl_b64 s[6:7], s[6:7], 3
	s_load_b64 s[4:5], s[4:5], 0x0
	s_waitcnt lgkmcnt(0)
	s_add_u32 s4, s4, s6
	s_addc_u32 s5, s5, s7
	s_branch .LBB289_6
.LBB289_5:
	s_waitcnt lgkmcnt(0)
	s_mov_b64 s[4:5], 0
.LBB289_6:
	s_lshl_b64 s[2:3], s[2:3], 3
	s_delay_alu instid0(SALU_CYCLE_1)
	s_add_u32 s2, s8, s2
	s_addc_u32 s3, s9, s3
	s_lshl_b64 s[8:9], s[10:11], 3
	s_load_b64 s[6:7], s[2:3], 0x0
	v_cmp_eq_u32_e64 s2, 0, v0
	s_waitcnt lgkmcnt(0)
	s_add_u32 s8, s6, s8
	s_addc_u32 s9, s7, s9
	s_and_not1_b32 vcc_lo, exec_lo, s15
	s_cbranch_vccnz .LBB289_11
; %bb.7:
	s_mov_b32 s3, 0
	s_mov_b32 s10, 0
                                        ; implicit-def: $vgpr1_vgpr2
                                        ; implicit-def: $sgpr6_sgpr7
	s_and_saveexec_b32 s11, s2
	s_cbranch_execz .LBB289_12
; %bb.8:
	v_cmp_eq_f64_e64 s2, s[12:13], 0
	s_mul_i32 s6, s14, s19
	s_mul_hi_u32 s7, s14, s18
	s_ashr_i32 s10, s14, 31
	v_mov_b32_e32 v1, 0
	v_mov_b32_e32 v2, 0
	s_add_i32 s6, s7, s6
	s_mul_i32 s10, s10, s18
	s_delay_alu instid0(SALU_CYCLE_1) | instskip(SKIP_1) | instid1(VALU_DEP_3)
	s_add_i32 s7, s6, s10
	s_mul_i32 s6, s14, s18
	s_and_b32 vcc_lo, exec_lo, s2
	s_cbranch_vccnz .LBB289_10
; %bb.9:
	s_lshl_b64 s[22:23], s[6:7], 3
	s_delay_alu instid0(SALU_CYCLE_1)
	s_add_u32 s22, s8, s22
	s_addc_u32 s23, s9, s23
	s_load_b64 s[22:23], s[22:23], 0x0
	s_waitcnt lgkmcnt(0)
	v_mul_f64 v[1:2], s[12:13], s[22:23]
.LBB289_10:
	s_mov_b32 s10, exec_lo
	s_or_b32 exec_lo, exec_lo, s11
	s_delay_alu instid0(SALU_CYCLE_1)
	s_and_b32 vcc_lo, exec_lo, s3
	s_cbranch_vccnz .LBB289_13
	s_branch .LBB289_32
.LBB289_11:
	s_mov_b32 s10, 0
                                        ; implicit-def: $vgpr1_vgpr2
                                        ; implicit-def: $sgpr6_sgpr7
	s_cbranch_execnz .LBB289_13
	s_branch .LBB289_32
.LBB289_12:
	s_or_b32 exec_lo, exec_lo, s11
	s_delay_alu instid0(SALU_CYCLE_1)
	s_and_b32 vcc_lo, exec_lo, s3
	s_cbranch_vccz .LBB289_32
.LBB289_13:
	s_load_b32 s3, s[0:1], 0x0
	s_mul_i32 s0, s14, s27
	s_mul_hi_u32 s2, s14, s26
	s_ashr_i32 s1, s14, 31
	s_add_i32 s0, s2, s0
	s_mul_i32 s2, s1, s26
	s_mul_i32 s6, s14, s26
	s_add_i32 s7, s0, s2
	s_mov_b32 s15, 0
	s_lshl_b64 s[6:7], s[6:7], 3
	s_mov_b32 s11, exec_lo
	s_add_u32 s0, s6, s24
	s_addc_u32 s6, s7, s25
	s_waitcnt lgkmcnt(0)
	v_cmp_gt_i32_e32 vcc_lo, s3, v0
	s_ashr_i32 s2, s3, 31
	s_delay_alu instid0(SALU_CYCLE_1) | instskip(NEXT) | instid1(SALU_CYCLE_1)
	s_lshr_b32 s2, s2, 22
	s_add_i32 s2, s3, s2
	v_cndmask_b32_e32 v1, 0, v0, vcc_lo
	s_and_b32 s2, s2, 0xfffffc00
	s_delay_alu instid0(VALU_DEP_1) | instskip(SKIP_2) | instid1(VALU_DEP_3)
	v_lshlrev_b32_e32 v3, 3, v1
	v_mov_b32_e32 v1, 0
	v_mov_b32_e32 v2, 0
	v_add_co_u32 v3, s0, s0, v3
	s_delay_alu instid0(VALU_DEP_1)
	v_add_co_ci_u32_e64 v4, null, s6, 0, s0
	v_cmpx_gt_i32_e64 s2, v0
	s_cbranch_execz .LBB289_17
; %bb.14:
	v_mad_u64_u32 v[1:2], null, s20, v0, 0
	s_lshl_b64 s[6:7], s[20:21], 13
	v_mov_b32_e32 v9, v0
	s_delay_alu instid0(VALU_DEP_2) | instskip(NEXT) | instid1(VALU_DEP_1)
	v_mad_u64_u32 v[5:6], null, s21, v0, v[2:3]
	v_mov_b32_e32 v2, v5
	v_dual_mov_b32 v6, v4 :: v_dual_mov_b32 v5, v3
	s_delay_alu instid0(VALU_DEP_2) | instskip(SKIP_2) | instid1(VALU_DEP_3)
	v_lshlrev_b64 v[7:8], 3, v[1:2]
	v_mov_b32_e32 v1, 0
	v_mov_b32_e32 v2, 0
	v_add_co_u32 v7, vcc_lo, s4, v7
	s_delay_alu instid0(VALU_DEP_4)
	v_add_co_ci_u32_e32 v8, vcc_lo, s5, v8, vcc_lo
	.p2align	6
.LBB289_15:                             ; =>This Inner Loop Header: Depth=1
	flat_load_b64 v[10:11], v[5:6]
	flat_load_b64 v[12:13], v[7:8]
	v_add_nc_u32_e32 v9, 0x400, v9
	v_add_co_u32 v5, vcc_lo, 0x2000, v5
	v_add_co_ci_u32_e32 v6, vcc_lo, 0, v6, vcc_lo
	s_delay_alu instid0(VALU_DEP_3) | instskip(SKIP_1) | instid1(VALU_DEP_1)
	v_cmp_le_i32_e32 vcc_lo, s2, v9
	v_add_co_u32 v7, s0, v7, s6
	v_add_co_ci_u32_e64 v8, s0, s7, v8, s0
	s_or_b32 s15, vcc_lo, s15
	s_waitcnt vmcnt(0) lgkmcnt(0)
	v_fma_f64 v[1:2], v[10:11], v[12:13], v[1:2]
	s_and_not1_b32 exec_lo, exec_lo, s15
	s_cbranch_execnz .LBB289_15
; %bb.16:
	s_or_b32 exec_lo, exec_lo, s15
.LBB289_17:
	s_delay_alu instid0(SALU_CYCLE_1) | instskip(SKIP_2) | instid1(VALU_DEP_1)
	s_or_b32 exec_lo, exec_lo, s11
	v_or_b32_e32 v5, s2, v0
	s_mov_b32 s0, exec_lo
	v_cmpx_gt_i32_e64 s3, v5
	s_cbranch_execz .LBB289_19
; %bb.18:
	v_ashrrev_i32_e32 v8, 31, v5
	v_mul_lo_u32 v9, v5, s21
	v_mad_u64_u32 v[6:7], null, v5, s20, 0
	s_ashr_i32 s3, s2, 31
	s_delay_alu instid0(VALU_DEP_3) | instskip(SKIP_1) | instid1(SALU_CYCLE_1)
	v_mul_lo_u32 v5, v8, s20
	s_lshl_b64 s[2:3], s[2:3], 3
	v_add_co_u32 v3, vcc_lo, v3, s2
	v_add_co_ci_u32_e32 v4, vcc_lo, s3, v4, vcc_lo
	s_delay_alu instid0(VALU_DEP_3) | instskip(NEXT) | instid1(VALU_DEP_1)
	v_add3_u32 v7, v7, v9, v5
	v_lshlrev_b64 v[5:6], 3, v[6:7]
	s_delay_alu instid0(VALU_DEP_1) | instskip(NEXT) | instid1(VALU_DEP_2)
	v_add_co_u32 v5, vcc_lo, s4, v5
	v_add_co_ci_u32_e32 v6, vcc_lo, s5, v6, vcc_lo
	flat_load_b64 v[3:4], v[3:4]
	flat_load_b64 v[5:6], v[5:6]
	s_waitcnt vmcnt(0) lgkmcnt(0)
	v_fma_f64 v[1:2], v[3:4], v[5:6], v[1:2]
.LBB289_19:
	s_or_b32 exec_lo, exec_lo, s0
	v_and_b32_e32 v11, 31, v0
	v_cmp_gt_u32_e32 vcc_lo, 32, v0
	s_delay_alu instid0(VALU_DEP_2)
	v_lshlrev_b32_e32 v5, 3, v11
	s_and_saveexec_b32 s0, vcc_lo
	s_cbranch_execz .LBB289_21
; %bb.20:
	v_mov_b32_e32 v3, 0
	s_delay_alu instid0(VALU_DEP_1)
	v_mov_b32_e32 v4, v3
	ds_store_b64 v5, v[3:4]
.LBB289_21:
	s_or_b32 exec_lo, exec_lo, s0
	v_mbcnt_lo_u32_b32 v10, -1, 0
	s_mov_b32 s2, exec_lo
	s_waitcnt lgkmcnt(0)
	s_barrier
	buffer_gl0_inv
	v_cmp_gt_u32_e64 s0, 16, v10
	s_delay_alu instid0(VALU_DEP_1) | instskip(SKIP_1) | instid1(VALU_DEP_2)
	v_cndmask_b32_e64 v3, 0, 1, s0
	v_cmp_gt_u32_e64 s0, 24, v10
	v_lshlrev_b32_e32 v3, 4, v3
	s_delay_alu instid0(VALU_DEP_1)
	v_add_lshl_u32 v6, v3, v10, 2
	ds_bpermute_b32 v3, v6, v1
	ds_bpermute_b32 v4, v6, v2
	s_waitcnt lgkmcnt(0)
	v_add_f64 v[1:2], v[1:2], v[3:4]
	v_cndmask_b32_e64 v3, 0, 1, s0
	v_cmp_gt_u32_e64 s0, 28, v10
	s_delay_alu instid0(VALU_DEP_2) | instskip(NEXT) | instid1(VALU_DEP_1)
	v_lshlrev_b32_e32 v3, 3, v3
	v_add_lshl_u32 v7, v3, v10, 2
	ds_bpermute_b32 v3, v7, v1
	ds_bpermute_b32 v4, v7, v2
	s_waitcnt lgkmcnt(0)
	v_add_f64 v[1:2], v[1:2], v[3:4]
	v_cndmask_b32_e64 v3, 0, 1, s0
	v_cmp_gt_u32_e64 s0, 30, v10
	s_delay_alu instid0(VALU_DEP_2) | instskip(NEXT) | instid1(VALU_DEP_1)
	v_lshlrev_b32_e32 v3, 2, v3
	v_add_lshl_u32 v8, v3, v10, 2
	ds_bpermute_b32 v3, v8, v1
	ds_bpermute_b32 v4, v8, v2
	s_waitcnt lgkmcnt(0)
	v_add_f64 v[1:2], v[1:2], v[3:4]
	v_cndmask_b32_e64 v3, 0, 1, s0
	v_cmp_ne_u32_e64 s0, 31, v10
	s_delay_alu instid0(VALU_DEP_2) | instskip(NEXT) | instid1(VALU_DEP_1)
	v_lshlrev_b32_e32 v3, 1, v3
	v_add_lshl_u32 v9, v3, v10, 2
	ds_bpermute_b32 v3, v9, v1
	ds_bpermute_b32 v4, v9, v2
	s_waitcnt lgkmcnt(0)
	v_add_f64 v[1:2], v[1:2], v[3:4]
	v_add_co_ci_u32_e64 v3, s0, 0, v10, s0
	s_delay_alu instid0(VALU_DEP_1)
	v_lshlrev_b32_e32 v10, 2, v3
	ds_bpermute_b32 v3, v10, v1
	ds_bpermute_b32 v4, v10, v2
	v_cmpx_eq_u32_e32 0, v11
	s_cbranch_execz .LBB289_23
; %bb.22:
	s_waitcnt lgkmcnt(0)
	v_add_f64 v[1:2], v[1:2], v[3:4]
	v_lshrrev_b32_e32 v3, 2, v0
	s_delay_alu instid0(VALU_DEP_1)
	v_and_b32_e32 v3, 0xf8, v3
	ds_store_b64 v3, v[1:2]
.LBB289_23:
	s_or_b32 exec_lo, exec_lo, s2
	s_waitcnt lgkmcnt(0)
	v_mov_b32_e32 v3, 0
	v_mov_b32_e32 v4, 0
	s_barrier
	buffer_gl0_inv
	s_and_saveexec_b32 s0, vcc_lo
	s_cbranch_execz .LBB289_25
; %bb.24:
	ds_load_b64 v[3:4], v5
.LBB289_25:
	s_or_b32 exec_lo, exec_lo, s0
	s_and_saveexec_b32 s0, vcc_lo
	s_cbranch_execz .LBB289_27
; %bb.26:
	s_waitcnt lgkmcnt(0)
	ds_bpermute_b32 v1, v6, v3
	ds_bpermute_b32 v2, v6, v4
	s_waitcnt lgkmcnt(0)
	v_add_f64 v[1:2], v[3:4], v[1:2]
	ds_bpermute_b32 v3, v7, v1
	ds_bpermute_b32 v4, v7, v2
	s_waitcnt lgkmcnt(0)
	v_add_f64 v[1:2], v[1:2], v[3:4]
	;; [unrolled: 4-line block ×5, first 2 shown]
.LBB289_27:
	s_or_b32 exec_lo, exec_lo, s0
	s_delay_alu instid0(SALU_CYCLE_1)
	s_mov_b32 s0, exec_lo
                                        ; implicit-def: $vgpr1_vgpr2
                                        ; implicit-def: $sgpr6_sgpr7
	v_cmpx_eq_u32_e32 0, v0
	s_cbranch_execz .LBB289_31
; %bb.28:
	v_cmp_eq_f64_e64 s2, s[12:13], 0
	s_waitcnt lgkmcnt(0)
	s_delay_alu instid0(VALU_DEP_3)
	v_mul_f64 v[1:2], s[16:17], v[3:4]
	s_mul_i32 s3, s14, s19
	s_mul_hi_u32 s4, s14, s18
	s_mul_i32 s1, s1, s18
	s_add_i32 s3, s4, s3
	s_mul_i32 s6, s14, s18
	s_add_i32 s7, s3, s1
	s_delay_alu instid0(VALU_DEP_2)
	s_and_b32 vcc_lo, exec_lo, s2
	s_cbranch_vccnz .LBB289_30
; %bb.29:
	s_lshl_b64 s[2:3], s[6:7], 3
	s_delay_alu instid0(SALU_CYCLE_1) | instskip(SKIP_3) | instid1(VALU_DEP_1)
	s_add_u32 s2, s8, s2
	s_addc_u32 s3, s9, s3
	s_load_b64 s[2:3], s[2:3], 0x0
	s_waitcnt lgkmcnt(0)
	v_fma_f64 v[1:2], s[12:13], s[2:3], v[1:2]
.LBB289_30:
	s_or_b32 s10, s10, exec_lo
.LBB289_31:
	s_or_b32 exec_lo, exec_lo, s0
.LBB289_32:
	s_and_saveexec_b32 s0, s10
	s_cbranch_execz .LBB289_34
; %bb.33:
	s_lshl_b64 s[0:1], s[6:7], 3
	v_mov_b32_e32 v0, 0
	s_add_u32 s0, s8, s0
	s_addc_u32 s1, s9, s1
	global_store_b64 v0, v[1:2], s[0:1]
.LBB289_34:
	s_nop 0
	s_sendmsg sendmsg(MSG_DEALLOC_VGPRS)
	s_endpgm
	.section	.rodata,"a",@progbits
	.p2align	6, 0x0
	.amdhsa_kernel _ZL32rocblas_gemvt_warp_reduce_kernelILb1ELi1024ElPKdS1_KPdEviiT3_lPKT2_lT1_lS7_lS8_lS4_lPT4_lS8_li
		.amdhsa_group_segment_fixed_size 256
		.amdhsa_private_segment_fixed_size 0
		.amdhsa_kernarg_size 140
		.amdhsa_user_sgpr_count 14
		.amdhsa_user_sgpr_dispatch_ptr 0
		.amdhsa_user_sgpr_queue_ptr 0
		.amdhsa_user_sgpr_kernarg_segment_ptr 1
		.amdhsa_user_sgpr_dispatch_id 0
		.amdhsa_user_sgpr_private_segment_size 0
		.amdhsa_wavefront_size32 1
		.amdhsa_uses_dynamic_stack 0
		.amdhsa_enable_private_segment 0
		.amdhsa_system_sgpr_workgroup_id_x 1
		.amdhsa_system_sgpr_workgroup_id_y 0
		.amdhsa_system_sgpr_workgroup_id_z 1
		.amdhsa_system_sgpr_workgroup_info 0
		.amdhsa_system_vgpr_workitem_id 0
		.amdhsa_next_free_vgpr 14
		.amdhsa_next_free_sgpr 29
		.amdhsa_reserve_vcc 1
		.amdhsa_float_round_mode_32 0
		.amdhsa_float_round_mode_16_64 0
		.amdhsa_float_denorm_mode_32 3
		.amdhsa_float_denorm_mode_16_64 3
		.amdhsa_dx10_clamp 1
		.amdhsa_ieee_mode 1
		.amdhsa_fp16_overflow 0
		.amdhsa_workgroup_processor_mode 1
		.amdhsa_memory_ordered 1
		.amdhsa_forward_progress 0
		.amdhsa_shared_vgpr_count 0
		.amdhsa_exception_fp_ieee_invalid_op 0
		.amdhsa_exception_fp_denorm_src 0
		.amdhsa_exception_fp_ieee_div_zero 0
		.amdhsa_exception_fp_ieee_overflow 0
		.amdhsa_exception_fp_ieee_underflow 0
		.amdhsa_exception_fp_ieee_inexact 0
		.amdhsa_exception_int_div_zero 0
	.end_amdhsa_kernel
	.section	.text._ZL32rocblas_gemvt_warp_reduce_kernelILb1ELi1024ElPKdS1_KPdEviiT3_lPKT2_lT1_lS7_lS8_lS4_lPT4_lS8_li,"axG",@progbits,_ZL32rocblas_gemvt_warp_reduce_kernelILb1ELi1024ElPKdS1_KPdEviiT3_lPKT2_lT1_lS7_lS8_lS4_lPT4_lS8_li,comdat
.Lfunc_end289:
	.size	_ZL32rocblas_gemvt_warp_reduce_kernelILb1ELi1024ElPKdS1_KPdEviiT3_lPKT2_lT1_lS7_lS8_lS4_lPT4_lS8_li, .Lfunc_end289-_ZL32rocblas_gemvt_warp_reduce_kernelILb1ELi1024ElPKdS1_KPdEviiT3_lPKT2_lT1_lS7_lS8_lS4_lPT4_lS8_li
                                        ; -- End function
	.section	.AMDGPU.csdata,"",@progbits
; Kernel info:
; codeLenInByte = 1752
; NumSgprs: 31
; NumVgprs: 14
; ScratchSize: 0
; MemoryBound: 0
; FloatMode: 240
; IeeeMode: 1
; LDSByteSize: 256 bytes/workgroup (compile time only)
; SGPRBlocks: 3
; VGPRBlocks: 1
; NumSGPRsForWavesPerEU: 31
; NumVGPRsForWavesPerEU: 14
; Occupancy: 16
; WaveLimiterHint : 1
; COMPUTE_PGM_RSRC2:SCRATCH_EN: 0
; COMPUTE_PGM_RSRC2:USER_SGPR: 14
; COMPUTE_PGM_RSRC2:TRAP_HANDLER: 0
; COMPUTE_PGM_RSRC2:TGID_X_EN: 1
; COMPUTE_PGM_RSRC2:TGID_Y_EN: 0
; COMPUTE_PGM_RSRC2:TGID_Z_EN: 1
; COMPUTE_PGM_RSRC2:TIDIG_COMP_CNT: 0
	.section	.text._ZL32rocblas_gemvt_warp_reduce_kernelILb1ELi1024EiPKddKPdEviiT3_lPKT2_lT1_lS7_lS8_lS4_lPT4_lS8_li,"axG",@progbits,_ZL32rocblas_gemvt_warp_reduce_kernelILb1ELi1024EiPKddKPdEviiT3_lPKT2_lT1_lS7_lS8_lS4_lPT4_lS8_li,comdat
	.globl	_ZL32rocblas_gemvt_warp_reduce_kernelILb1ELi1024EiPKddKPdEviiT3_lPKT2_lT1_lS7_lS8_lS4_lPT4_lS8_li ; -- Begin function _ZL32rocblas_gemvt_warp_reduce_kernelILb1ELi1024EiPKddKPdEviiT3_lPKT2_lT1_lS7_lS8_lS4_lPT4_lS8_li
	.p2align	8
	.type	_ZL32rocblas_gemvt_warp_reduce_kernelILb1ELi1024EiPKddKPdEviiT3_lPKT2_lT1_lS7_lS8_lS4_lPT4_lS8_li,@function
_ZL32rocblas_gemvt_warp_reduce_kernelILb1ELi1024EiPKddKPdEviiT3_lPKT2_lT1_lS7_lS8_lS4_lPT4_lS8_li: ; @_ZL32rocblas_gemvt_warp_reduce_kernelILb1ELi1024EiPKddKPdEviiT3_lPKT2_lT1_lS7_lS8_lS4_lPT4_lS8_li
; %bb.0:
	s_clause 0x1
	s_load_b64 s[6:7], s[0:1], 0x8
	s_load_b64 s[4:5], s[0:1], 0x58
	s_waitcnt lgkmcnt(0)
	v_cmp_eq_f64_e64 s12, s[6:7], 0
	v_cmp_eq_f64_e64 s3, s[4:5], 1.0
	s_delay_alu instid0(VALU_DEP_1) | instskip(NEXT) | instid1(SALU_CYCLE_1)
	s_and_b32 s3, s12, s3
	s_and_b32 vcc_lo, exec_lo, s3
	s_cbranch_vccnz .LBB290_36
; %bb.1:
	v_cmp_neq_f64_e64 s8, s[6:7], 0
	s_mov_b32 s2, s15
	s_delay_alu instid0(VALU_DEP_1)
	s_and_b32 vcc_lo, exec_lo, s8
	s_cbranch_vccnz .LBB290_3
; %bb.2:
	s_mov_b32 s3, 0
	s_mov_b64 s[10:11], 0
	s_cbranch_execz .LBB290_4
	s_branch .LBB290_5
.LBB290_3:
	s_mov_b32 s3, -1
                                        ; implicit-def: $sgpr10_sgpr11
.LBB290_4:
	s_load_b128 s[16:19], s[0:1], 0x18
	s_mov_b32 s3, 0
	s_delay_alu instid0(SALU_CYCLE_1)
	s_lshl_b64 s[10:11], s[2:3], 3
	s_waitcnt lgkmcnt(0)
	s_add_u32 s10, s16, s10
	s_addc_u32 s11, s17, s11
	s_lshl_b64 s[16:17], s[18:19], 3
	s_load_b64 s[10:11], s[10:11], 0x0
	s_waitcnt lgkmcnt(0)
	s_add_u32 s10, s10, s16
	s_addc_u32 s11, s11, s17
.LBB290_5:
	s_and_not1_b32 vcc_lo, exec_lo, s8
	s_cbranch_vccnz .LBB290_7
; %bb.6:
	s_load_b128 s[16:19], s[0:1], 0x38
	s_lshl_b64 s[8:9], s[2:3], 3
	s_waitcnt lgkmcnt(0)
	s_add_u32 s8, s16, s8
	s_addc_u32 s9, s17, s9
	s_lshl_b64 s[16:17], s[18:19], 3
	s_load_b64 s[8:9], s[8:9], 0x0
	s_waitcnt lgkmcnt(0)
	s_add_u32 s8, s8, s16
	s_addc_u32 s9, s9, s17
	s_branch .LBB290_8
.LBB290_7:
	s_mov_b64 s[8:9], 0
.LBB290_8:
	s_clause 0x1
	s_load_b128 s[20:23], s[0:1], 0x68
	s_load_b32 s17, s[0:1], 0x78
	s_lshl_b64 s[2:3], s[2:3], 3
	s_waitcnt lgkmcnt(0)
	s_add_u32 s2, s20, s2
	s_addc_u32 s3, s21, s3
	s_lshl_b64 s[20:21], s[22:23], 3
	s_load_b64 s[18:19], s[2:3], 0x0
	v_cmp_eq_u32_e64 s2, 0, v0
	s_waitcnt lgkmcnt(0)
	s_add_u32 s15, s18, s20
	s_addc_u32 s16, s19, s21
	s_and_not1_b32 vcc_lo, exec_lo, s12
	s_cbranch_vccnz .LBB290_13
; %bb.9:
	s_mov_b32 s3, 0
	s_mov_b32 s18, 0
                                        ; implicit-def: $vgpr1_vgpr2
                                        ; implicit-def: $sgpr12_sgpr13
	s_and_saveexec_b32 s19, s2
	s_cbranch_execz .LBB290_14
; %bb.10:
	v_cmp_eq_f64_e64 s2, s[4:5], 0
	v_mov_b32_e32 v1, 0
	v_mov_b32_e32 v2, 0
	s_mul_i32 s12, s14, s17
	s_delay_alu instid0(SALU_CYCLE_1) | instskip(NEXT) | instid1(VALU_DEP_3)
	s_ashr_i32 s13, s12, 31
	s_and_b32 vcc_lo, exec_lo, s2
	s_cbranch_vccnz .LBB290_12
; %bb.11:
	s_lshl_b64 s[20:21], s[12:13], 3
	s_delay_alu instid0(SALU_CYCLE_1)
	s_add_u32 s20, s15, s20
	s_addc_u32 s21, s16, s21
	s_load_b64 s[20:21], s[20:21], 0x0
	s_waitcnt lgkmcnt(0)
	v_mul_f64 v[1:2], s[20:21], s[4:5]
.LBB290_12:
	s_mov_b32 s18, exec_lo
	s_or_b32 exec_lo, exec_lo, s19
	s_delay_alu instid0(SALU_CYCLE_1)
	s_and_b32 vcc_lo, exec_lo, s3
	s_cbranch_vccnz .LBB290_15
	s_branch .LBB290_34
.LBB290_13:
	s_mov_b32 s18, 0
                                        ; implicit-def: $vgpr1_vgpr2
                                        ; implicit-def: $sgpr12_sgpr13
	s_cbranch_execnz .LBB290_15
	s_branch .LBB290_34
.LBB290_14:
	s_or_b32 exec_lo, exec_lo, s19
	s_delay_alu instid0(SALU_CYCLE_1)
	s_and_b32 vcc_lo, exec_lo, s3
	s_cbranch_vccz .LBB290_34
.LBB290_15:
	s_clause 0x2
	s_load_b32 s2, s[0:1], 0x28
	s_load_b32 s3, s[0:1], 0x0
	;; [unrolled: 1-line block ×3, first 2 shown]
	s_waitcnt lgkmcnt(0)
	s_mul_i32 s12, s14, s2
	v_cmp_gt_i32_e32 vcc_lo, s3, v0
	s_ashr_i32 s13, s12, 31
	s_delay_alu instid0(SALU_CYCLE_1)
	s_lshl_b64 s[12:13], s[12:13], 3
	v_cndmask_b32_e32 v1, 0, v0, vcc_lo
	s_add_u32 s0, s12, s10
	s_addc_u32 s2, s13, s11
	s_ashr_i32 s10, s3, 31
	s_mov_b32 s11, 0
	v_lshlrev_b32_e32 v1, 3, v1
	s_lshr_b32 s10, s10, 22
	s_delay_alu instid0(SALU_CYCLE_1) | instskip(NEXT) | instid1(VALU_DEP_1)
	s_add_i32 s10, s3, s10
	v_add_co_u32 v3, s0, s0, v1
	v_mov_b32_e32 v1, 0
	v_add_co_ci_u32_e64 v4, null, s2, 0, s0
	v_mov_b32_e32 v2, 0
	s_and_b32 s2, s10, 0xfffffc00
	s_mov_b32 s10, exec_lo
	v_cmpx_gt_i32_e64 s2, v0
	s_cbranch_execz .LBB290_19
; %bb.16:
	v_mul_lo_u32 v5, v0, s1
	v_dual_mov_b32 v1, 0 :: v_dual_mov_b32 v8, v4
	v_dual_mov_b32 v2, 0 :: v_dual_mov_b32 v7, v3
	v_mov_b32_e32 v9, v0
	s_lshl_b32 s12, s1, 10
	.p2align	6
.LBB290_17:                             ; =>This Inner Loop Header: Depth=1
	s_delay_alu instid0(VALU_DEP_4) | instskip(NEXT) | instid1(VALU_DEP_2)
	v_ashrrev_i32_e32 v6, 31, v5
	v_add_nc_u32_e32 v9, 0x400, v9
	s_delay_alu instid0(VALU_DEP_2) | instskip(NEXT) | instid1(VALU_DEP_2)
	v_lshlrev_b64 v[10:11], 3, v[5:6]
	v_cmp_le_i32_e64 s0, s2, v9
	v_add_nc_u32_e32 v5, s12, v5
	s_delay_alu instid0(VALU_DEP_2) | instskip(NEXT) | instid1(VALU_DEP_3)
	s_or_b32 s11, s0, s11
	v_add_co_u32 v10, vcc_lo, s8, v10
	s_delay_alu instid0(VALU_DEP_4)
	v_add_co_ci_u32_e32 v11, vcc_lo, s9, v11, vcc_lo
	flat_load_b64 v[12:13], v[7:8]
	flat_load_b64 v[10:11], v[10:11]
	v_add_co_u32 v7, vcc_lo, 0x2000, v7
	v_add_co_ci_u32_e32 v8, vcc_lo, 0, v8, vcc_lo
	s_waitcnt vmcnt(0) lgkmcnt(0)
	v_fma_f64 v[1:2], v[12:13], v[10:11], v[1:2]
	s_and_not1_b32 exec_lo, exec_lo, s11
	s_cbranch_execnz .LBB290_17
; %bb.18:
	s_or_b32 exec_lo, exec_lo, s11
.LBB290_19:
	s_delay_alu instid0(SALU_CYCLE_1) | instskip(SKIP_2) | instid1(VALU_DEP_1)
	s_or_b32 exec_lo, exec_lo, s10
	v_or_b32_e32 v5, s2, v0
	s_mov_b32 s0, exec_lo
	v_cmpx_gt_i32_e64 s3, v5
	s_cbranch_execz .LBB290_21
; %bb.20:
	v_mul_lo_u32 v5, v5, s1
	s_ashr_i32 s3, s2, 31
	s_delay_alu instid0(SALU_CYCLE_1) | instskip(NEXT) | instid1(SALU_CYCLE_1)
	s_lshl_b64 s[2:3], s[2:3], 3
	v_add_co_u32 v3, vcc_lo, v3, s2
	v_add_co_ci_u32_e32 v4, vcc_lo, s3, v4, vcc_lo
	s_delay_alu instid0(VALU_DEP_3) | instskip(NEXT) | instid1(VALU_DEP_1)
	v_ashrrev_i32_e32 v6, 31, v5
	v_lshlrev_b64 v[5:6], 3, v[5:6]
	s_delay_alu instid0(VALU_DEP_1) | instskip(NEXT) | instid1(VALU_DEP_2)
	v_add_co_u32 v5, vcc_lo, s8, v5
	v_add_co_ci_u32_e32 v6, vcc_lo, s9, v6, vcc_lo
	flat_load_b64 v[3:4], v[3:4]
	flat_load_b64 v[5:6], v[5:6]
	s_waitcnt vmcnt(0) lgkmcnt(0)
	v_fma_f64 v[1:2], v[3:4], v[5:6], v[1:2]
.LBB290_21:
	s_or_b32 exec_lo, exec_lo, s0
	v_and_b32_e32 v11, 31, v0
	v_cmp_gt_u32_e32 vcc_lo, 32, v0
	s_delay_alu instid0(VALU_DEP_2)
	v_lshlrev_b32_e32 v5, 3, v11
	s_and_saveexec_b32 s0, vcc_lo
	s_cbranch_execz .LBB290_23
; %bb.22:
	v_mov_b32_e32 v3, 0
	s_delay_alu instid0(VALU_DEP_1)
	v_mov_b32_e32 v4, v3
	ds_store_b64 v5, v[3:4]
.LBB290_23:
	s_or_b32 exec_lo, exec_lo, s0
	v_mbcnt_lo_u32_b32 v10, -1, 0
	s_mov_b32 s1, exec_lo
	s_waitcnt lgkmcnt(0)
	s_barrier
	buffer_gl0_inv
	v_cmp_gt_u32_e64 s0, 16, v10
	s_delay_alu instid0(VALU_DEP_1) | instskip(SKIP_1) | instid1(VALU_DEP_2)
	v_cndmask_b32_e64 v3, 0, 1, s0
	v_cmp_gt_u32_e64 s0, 24, v10
	v_lshlrev_b32_e32 v3, 4, v3
	s_delay_alu instid0(VALU_DEP_1)
	v_add_lshl_u32 v6, v3, v10, 2
	ds_bpermute_b32 v3, v6, v1
	ds_bpermute_b32 v4, v6, v2
	s_waitcnt lgkmcnt(0)
	v_add_f64 v[1:2], v[1:2], v[3:4]
	v_cndmask_b32_e64 v3, 0, 1, s0
	v_cmp_gt_u32_e64 s0, 28, v10
	s_delay_alu instid0(VALU_DEP_2) | instskip(NEXT) | instid1(VALU_DEP_1)
	v_lshlrev_b32_e32 v3, 3, v3
	v_add_lshl_u32 v7, v3, v10, 2
	ds_bpermute_b32 v3, v7, v1
	ds_bpermute_b32 v4, v7, v2
	s_waitcnt lgkmcnt(0)
	v_add_f64 v[1:2], v[1:2], v[3:4]
	v_cndmask_b32_e64 v3, 0, 1, s0
	v_cmp_gt_u32_e64 s0, 30, v10
	s_delay_alu instid0(VALU_DEP_2) | instskip(NEXT) | instid1(VALU_DEP_1)
	v_lshlrev_b32_e32 v3, 2, v3
	v_add_lshl_u32 v8, v3, v10, 2
	ds_bpermute_b32 v3, v8, v1
	ds_bpermute_b32 v4, v8, v2
	s_waitcnt lgkmcnt(0)
	v_add_f64 v[1:2], v[1:2], v[3:4]
	v_cndmask_b32_e64 v3, 0, 1, s0
	v_cmp_ne_u32_e64 s0, 31, v10
	s_delay_alu instid0(VALU_DEP_2) | instskip(NEXT) | instid1(VALU_DEP_1)
	v_lshlrev_b32_e32 v3, 1, v3
	v_add_lshl_u32 v9, v3, v10, 2
	ds_bpermute_b32 v3, v9, v1
	ds_bpermute_b32 v4, v9, v2
	s_waitcnt lgkmcnt(0)
	v_add_f64 v[1:2], v[1:2], v[3:4]
	v_add_co_ci_u32_e64 v3, s0, 0, v10, s0
	s_delay_alu instid0(VALU_DEP_1)
	v_lshlrev_b32_e32 v10, 2, v3
	ds_bpermute_b32 v3, v10, v1
	ds_bpermute_b32 v4, v10, v2
	v_cmpx_eq_u32_e32 0, v11
	s_cbranch_execz .LBB290_25
; %bb.24:
	s_waitcnt lgkmcnt(0)
	v_add_f64 v[1:2], v[1:2], v[3:4]
	v_lshrrev_b32_e32 v3, 2, v0
	s_delay_alu instid0(VALU_DEP_1)
	v_and_b32_e32 v3, 0xf8, v3
	ds_store_b64 v3, v[1:2]
.LBB290_25:
	s_or_b32 exec_lo, exec_lo, s1
	s_waitcnt lgkmcnt(0)
	v_mov_b32_e32 v3, 0
	v_mov_b32_e32 v4, 0
	s_barrier
	buffer_gl0_inv
	s_and_saveexec_b32 s0, vcc_lo
	s_cbranch_execz .LBB290_27
; %bb.26:
	ds_load_b64 v[3:4], v5
.LBB290_27:
	s_or_b32 exec_lo, exec_lo, s0
	s_and_saveexec_b32 s0, vcc_lo
	s_cbranch_execz .LBB290_29
; %bb.28:
	s_waitcnt lgkmcnt(0)
	ds_bpermute_b32 v1, v6, v3
	ds_bpermute_b32 v2, v6, v4
	s_waitcnt lgkmcnt(0)
	v_add_f64 v[1:2], v[3:4], v[1:2]
	ds_bpermute_b32 v3, v7, v1
	ds_bpermute_b32 v4, v7, v2
	s_waitcnt lgkmcnt(0)
	v_add_f64 v[1:2], v[1:2], v[3:4]
	;; [unrolled: 4-line block ×5, first 2 shown]
.LBB290_29:
	s_or_b32 exec_lo, exec_lo, s0
	s_delay_alu instid0(SALU_CYCLE_1)
	s_mov_b32 s0, exec_lo
                                        ; implicit-def: $vgpr1_vgpr2
                                        ; implicit-def: $sgpr12_sgpr13
	v_cmpx_eq_u32_e32 0, v0
	s_cbranch_execz .LBB290_33
; %bb.30:
	v_cmp_eq_f64_e64 s1, s[4:5], 0
	s_waitcnt lgkmcnt(0)
	s_delay_alu instid0(VALU_DEP_3) | instskip(SKIP_1) | instid1(SALU_CYCLE_1)
	v_mul_f64 v[1:2], v[3:4], s[6:7]
	s_mul_i32 s12, s14, s17
	s_ashr_i32 s13, s12, 31
	s_delay_alu instid0(VALU_DEP_2)
	s_and_b32 vcc_lo, exec_lo, s1
	s_cbranch_vccnz .LBB290_32
; %bb.31:
	s_lshl_b64 s[2:3], s[12:13], 3
	s_delay_alu instid0(SALU_CYCLE_1) | instskip(SKIP_3) | instid1(VALU_DEP_1)
	s_add_u32 s2, s15, s2
	s_addc_u32 s3, s16, s3
	s_load_b64 s[2:3], s[2:3], 0x0
	s_waitcnt lgkmcnt(0)
	v_fma_f64 v[1:2], s[2:3], s[4:5], v[1:2]
.LBB290_32:
	s_or_b32 s18, s18, exec_lo
.LBB290_33:
	s_or_b32 exec_lo, exec_lo, s0
.LBB290_34:
	s_and_saveexec_b32 s0, s18
	s_cbranch_execz .LBB290_36
; %bb.35:
	s_lshl_b64 s[0:1], s[12:13], 3
	v_mov_b32_e32 v0, 0
	s_add_u32 s0, s15, s0
	s_addc_u32 s1, s16, s1
	global_store_b64 v0, v[1:2], s[0:1]
.LBB290_36:
	s_nop 0
	s_sendmsg sendmsg(MSG_DEALLOC_VGPRS)
	s_endpgm
	.section	.rodata,"a",@progbits
	.p2align	6, 0x0
	.amdhsa_kernel _ZL32rocblas_gemvt_warp_reduce_kernelILb1ELi1024EiPKddKPdEviiT3_lPKT2_lT1_lS7_lS8_lS4_lPT4_lS8_li
		.amdhsa_group_segment_fixed_size 256
		.amdhsa_private_segment_fixed_size 0
		.amdhsa_kernarg_size 140
		.amdhsa_user_sgpr_count 14
		.amdhsa_user_sgpr_dispatch_ptr 0
		.amdhsa_user_sgpr_queue_ptr 0
		.amdhsa_user_sgpr_kernarg_segment_ptr 1
		.amdhsa_user_sgpr_dispatch_id 0
		.amdhsa_user_sgpr_private_segment_size 0
		.amdhsa_wavefront_size32 1
		.amdhsa_uses_dynamic_stack 0
		.amdhsa_enable_private_segment 0
		.amdhsa_system_sgpr_workgroup_id_x 1
		.amdhsa_system_sgpr_workgroup_id_y 0
		.amdhsa_system_sgpr_workgroup_id_z 1
		.amdhsa_system_sgpr_workgroup_info 0
		.amdhsa_system_vgpr_workitem_id 0
		.amdhsa_next_free_vgpr 14
		.amdhsa_next_free_sgpr 24
		.amdhsa_reserve_vcc 1
		.amdhsa_float_round_mode_32 0
		.amdhsa_float_round_mode_16_64 0
		.amdhsa_float_denorm_mode_32 3
		.amdhsa_float_denorm_mode_16_64 3
		.amdhsa_dx10_clamp 1
		.amdhsa_ieee_mode 1
		.amdhsa_fp16_overflow 0
		.amdhsa_workgroup_processor_mode 1
		.amdhsa_memory_ordered 1
		.amdhsa_forward_progress 0
		.amdhsa_shared_vgpr_count 0
		.amdhsa_exception_fp_ieee_invalid_op 0
		.amdhsa_exception_fp_denorm_src 0
		.amdhsa_exception_fp_ieee_div_zero 0
		.amdhsa_exception_fp_ieee_overflow 0
		.amdhsa_exception_fp_ieee_underflow 0
		.amdhsa_exception_fp_ieee_inexact 0
		.amdhsa_exception_int_div_zero 0
	.end_amdhsa_kernel
	.section	.text._ZL32rocblas_gemvt_warp_reduce_kernelILb1ELi1024EiPKddKPdEviiT3_lPKT2_lT1_lS7_lS8_lS4_lPT4_lS8_li,"axG",@progbits,_ZL32rocblas_gemvt_warp_reduce_kernelILb1ELi1024EiPKddKPdEviiT3_lPKT2_lT1_lS7_lS8_lS4_lPT4_lS8_li,comdat
.Lfunc_end290:
	.size	_ZL32rocblas_gemvt_warp_reduce_kernelILb1ELi1024EiPKddKPdEviiT3_lPKT2_lT1_lS7_lS8_lS4_lPT4_lS8_li, .Lfunc_end290-_ZL32rocblas_gemvt_warp_reduce_kernelILb1ELi1024EiPKddKPdEviiT3_lPKT2_lT1_lS7_lS8_lS4_lPT4_lS8_li
                                        ; -- End function
	.section	.AMDGPU.csdata,"",@progbits
; Kernel info:
; codeLenInByte = 1604
; NumSgprs: 26
; NumVgprs: 14
; ScratchSize: 0
; MemoryBound: 0
; FloatMode: 240
; IeeeMode: 1
; LDSByteSize: 256 bytes/workgroup (compile time only)
; SGPRBlocks: 3
; VGPRBlocks: 1
; NumSGPRsForWavesPerEU: 26
; NumVGPRsForWavesPerEU: 14
; Occupancy: 16
; WaveLimiterHint : 1
; COMPUTE_PGM_RSRC2:SCRATCH_EN: 0
; COMPUTE_PGM_RSRC2:USER_SGPR: 14
; COMPUTE_PGM_RSRC2:TRAP_HANDLER: 0
; COMPUTE_PGM_RSRC2:TGID_X_EN: 1
; COMPUTE_PGM_RSRC2:TGID_Y_EN: 0
; COMPUTE_PGM_RSRC2:TGID_Z_EN: 1
; COMPUTE_PGM_RSRC2:TIDIG_COMP_CNT: 0
	.section	.text._ZL32rocblas_gemvt_warp_reduce_kernelILb1ELi1024ElPKddKPdEviiT3_lPKT2_lT1_lS7_lS8_lS4_lPT4_lS8_li,"axG",@progbits,_ZL32rocblas_gemvt_warp_reduce_kernelILb1ELi1024ElPKddKPdEviiT3_lPKT2_lT1_lS7_lS8_lS4_lPT4_lS8_li,comdat
	.globl	_ZL32rocblas_gemvt_warp_reduce_kernelILb1ELi1024ElPKddKPdEviiT3_lPKT2_lT1_lS7_lS8_lS4_lPT4_lS8_li ; -- Begin function _ZL32rocblas_gemvt_warp_reduce_kernelILb1ELi1024ElPKddKPdEviiT3_lPKT2_lT1_lS7_lS8_lS4_lPT4_lS8_li
	.p2align	8
	.type	_ZL32rocblas_gemvt_warp_reduce_kernelILb1ELi1024ElPKddKPdEviiT3_lPKT2_lT1_lS7_lS8_lS4_lPT4_lS8_li,@function
_ZL32rocblas_gemvt_warp_reduce_kernelILb1ELi1024ElPKddKPdEviiT3_lPKT2_lT1_lS7_lS8_lS4_lPT4_lS8_li: ; @_ZL32rocblas_gemvt_warp_reduce_kernelILb1ELi1024ElPKddKPdEviiT3_lPKT2_lT1_lS7_lS8_lS4_lPT4_lS8_li
; %bb.0:
	s_clause 0x1
	s_load_b64 s[10:11], s[0:1], 0x8
	s_load_b64 s[8:9], s[0:1], 0x58
	s_waitcnt lgkmcnt(0)
	v_cmp_eq_f64_e64 s20, s[10:11], 0
	v_cmp_eq_f64_e64 s3, s[8:9], 1.0
	s_delay_alu instid0(VALU_DEP_1) | instskip(NEXT) | instid1(SALU_CYCLE_1)
	s_and_b32 s3, s20, s3
	s_and_b32 vcc_lo, exec_lo, s3
	s_cbranch_vccnz .LBB291_36
; %bb.1:
	s_mov_b32 s2, s15
	v_cmp_neq_f64_e64 s15, s[10:11], 0
	s_clause 0x1
	s_load_b128 s[4:7], s[0:1], 0x18
	s_load_b64 s[16:17], s[0:1], 0x28
	s_delay_alu instid0(VALU_DEP_1)
	s_and_b32 vcc_lo, exec_lo, s15
	s_cbranch_vccnz .LBB291_3
; %bb.2:
	s_mov_b32 s3, 0
	s_mov_b64 s[18:19], 0
	s_cbranch_execz .LBB291_4
	s_branch .LBB291_5
.LBB291_3:
	s_mov_b32 s3, -1
                                        ; implicit-def: $sgpr18_sgpr19
.LBB291_4:
	s_mov_b32 s3, 0
	s_delay_alu instid0(SALU_CYCLE_1)
	s_lshl_b64 s[12:13], s[2:3], 3
	s_waitcnt lgkmcnt(0)
	s_add_u32 s4, s4, s12
	s_addc_u32 s5, s5, s13
	s_lshl_b64 s[6:7], s[6:7], 3
	s_load_b64 s[4:5], s[4:5], 0x0
	s_waitcnt lgkmcnt(0)
	s_add_u32 s18, s4, s6
	s_addc_u32 s19, s5, s7
.LBB291_5:
	s_waitcnt lgkmcnt(0)
	s_clause 0x1
	s_load_b128 s[4:7], s[0:1], 0x38
	s_load_b64 s[12:13], s[0:1], 0x48
	s_and_not1_b32 vcc_lo, exec_lo, s15
	s_cbranch_vccnz .LBB291_7
; %bb.6:
	s_lshl_b64 s[22:23], s[2:3], 3
	s_waitcnt lgkmcnt(0)
	s_add_u32 s4, s4, s22
	s_addc_u32 s5, s5, s23
	s_lshl_b64 s[6:7], s[6:7], 3
	s_load_b64 s[4:5], s[4:5], 0x0
	s_waitcnt lgkmcnt(0)
	s_add_u32 s6, s4, s6
	s_addc_u32 s7, s5, s7
	s_branch .LBB291_8
.LBB291_7:
	s_waitcnt lgkmcnt(0)
	s_mov_b64 s[6:7], 0
.LBB291_8:
	s_clause 0x1
	s_load_b128 s[24:27], s[0:1], 0x68
	s_load_b64 s[4:5], s[0:1], 0x78
	s_lshl_b64 s[2:3], s[2:3], 3
	s_waitcnt lgkmcnt(0)
	s_add_u32 s2, s24, s2
	s_addc_u32 s3, s25, s3
	s_lshl_b64 s[24:25], s[26:27], 3
	s_load_b64 s[22:23], s[2:3], 0x0
	v_cmp_eq_u32_e64 s2, 0, v0
	s_waitcnt lgkmcnt(0)
	s_add_u32 s15, s22, s24
	s_addc_u32 s22, s23, s25
	s_and_not1_b32 vcc_lo, exec_lo, s20
	s_cbranch_vccnz .LBB291_13
; %bb.9:
	s_mov_b32 s3, 0
	s_mov_b32 s23, 0
                                        ; implicit-def: $vgpr1_vgpr2
                                        ; implicit-def: $sgpr20_sgpr21
	s_and_saveexec_b32 s24, s2
	s_cbranch_execz .LBB291_14
; %bb.10:
	v_cmp_eq_f64_e64 s2, s[8:9], 0
	s_mul_i32 s20, s14, s5
	s_mul_hi_u32 s21, s14, s4
	s_ashr_i32 s23, s14, 31
	v_mov_b32_e32 v1, 0
	v_mov_b32_e32 v2, 0
	s_add_i32 s20, s21, s20
	s_mul_i32 s23, s23, s4
	s_delay_alu instid0(SALU_CYCLE_1) | instskip(SKIP_1) | instid1(VALU_DEP_3)
	s_add_i32 s21, s20, s23
	s_mul_i32 s20, s14, s4
	s_and_b32 vcc_lo, exec_lo, s2
	s_cbranch_vccnz .LBB291_12
; %bb.11:
	s_lshl_b64 s[26:27], s[20:21], 3
	s_delay_alu instid0(SALU_CYCLE_1)
	s_add_u32 s26, s15, s26
	s_addc_u32 s27, s22, s27
	s_load_b64 s[26:27], s[26:27], 0x0
	s_waitcnt lgkmcnt(0)
	v_mul_f64 v[1:2], s[26:27], s[8:9]
.LBB291_12:
	s_mov_b32 s23, exec_lo
	s_or_b32 exec_lo, exec_lo, s24
	s_delay_alu instid0(SALU_CYCLE_1)
	s_and_b32 vcc_lo, exec_lo, s3
	s_cbranch_vccnz .LBB291_15
	s_branch .LBB291_34
.LBB291_13:
	s_mov_b32 s23, 0
                                        ; implicit-def: $vgpr1_vgpr2
                                        ; implicit-def: $sgpr20_sgpr21
	s_cbranch_execnz .LBB291_15
	s_branch .LBB291_34
.LBB291_14:
	s_or_b32 exec_lo, exec_lo, s24
	s_delay_alu instid0(SALU_CYCLE_1)
	s_and_b32 vcc_lo, exec_lo, s3
	s_cbranch_vccz .LBB291_34
.LBB291_15:
	s_load_b32 s3, s[0:1], 0x0
	s_mul_i32 s0, s14, s17
	s_mul_hi_u32 s2, s14, s16
	s_ashr_i32 s1, s14, 31
	s_add_i32 s0, s2, s0
	s_mul_i32 s2, s1, s16
	s_mul_i32 s16, s14, s16
	s_add_i32 s17, s0, s2
	s_delay_alu instid0(SALU_CYCLE_1) | instskip(NEXT) | instid1(SALU_CYCLE_1)
	s_lshl_b64 s[16:17], s[16:17], 3
	s_add_u32 s0, s16, s18
	s_addc_u32 s16, s17, s19
	s_mov_b32 s19, 0
	s_mov_b32 s18, exec_lo
	s_waitcnt lgkmcnt(0)
	v_cmp_gt_i32_e32 vcc_lo, s3, v0
	s_ashr_i32 s2, s3, 31
	s_delay_alu instid0(SALU_CYCLE_1) | instskip(NEXT) | instid1(SALU_CYCLE_1)
	s_lshr_b32 s2, s2, 22
	s_add_i32 s2, s3, s2
	v_cndmask_b32_e32 v1, 0, v0, vcc_lo
	s_and_b32 s2, s2, 0xfffffc00
	s_delay_alu instid0(VALU_DEP_1) | instskip(SKIP_2) | instid1(VALU_DEP_3)
	v_lshlrev_b32_e32 v3, 3, v1
	v_mov_b32_e32 v1, 0
	v_mov_b32_e32 v2, 0
	v_add_co_u32 v3, s0, s0, v3
	s_delay_alu instid0(VALU_DEP_1)
	v_add_co_ci_u32_e64 v4, null, s16, 0, s0
	v_cmpx_gt_i32_e64 s2, v0
	s_cbranch_execz .LBB291_19
; %bb.16:
	v_mad_u64_u32 v[1:2], null, s12, v0, 0
	s_lshl_b64 s[16:17], s[12:13], 13
	v_mov_b32_e32 v9, v0
	s_delay_alu instid0(VALU_DEP_2) | instskip(NEXT) | instid1(VALU_DEP_1)
	v_mad_u64_u32 v[5:6], null, s13, v0, v[2:3]
	v_mov_b32_e32 v2, v5
	v_dual_mov_b32 v6, v4 :: v_dual_mov_b32 v5, v3
	s_delay_alu instid0(VALU_DEP_2) | instskip(SKIP_2) | instid1(VALU_DEP_3)
	v_lshlrev_b64 v[7:8], 3, v[1:2]
	v_mov_b32_e32 v1, 0
	v_mov_b32_e32 v2, 0
	v_add_co_u32 v7, vcc_lo, s6, v7
	s_delay_alu instid0(VALU_DEP_4)
	v_add_co_ci_u32_e32 v8, vcc_lo, s7, v8, vcc_lo
	.p2align	6
.LBB291_17:                             ; =>This Inner Loop Header: Depth=1
	flat_load_b64 v[10:11], v[5:6]
	flat_load_b64 v[12:13], v[7:8]
	v_add_nc_u32_e32 v9, 0x400, v9
	v_add_co_u32 v5, vcc_lo, 0x2000, v5
	v_add_co_ci_u32_e32 v6, vcc_lo, 0, v6, vcc_lo
	s_delay_alu instid0(VALU_DEP_3) | instskip(SKIP_1) | instid1(VALU_DEP_1)
	v_cmp_le_i32_e32 vcc_lo, s2, v9
	v_add_co_u32 v7, s0, v7, s16
	v_add_co_ci_u32_e64 v8, s0, s17, v8, s0
	s_or_b32 s19, vcc_lo, s19
	s_waitcnt vmcnt(0) lgkmcnt(0)
	v_fma_f64 v[1:2], v[10:11], v[12:13], v[1:2]
	s_and_not1_b32 exec_lo, exec_lo, s19
	s_cbranch_execnz .LBB291_17
; %bb.18:
	s_or_b32 exec_lo, exec_lo, s19
.LBB291_19:
	s_delay_alu instid0(SALU_CYCLE_1) | instskip(SKIP_2) | instid1(VALU_DEP_1)
	s_or_b32 exec_lo, exec_lo, s18
	v_or_b32_e32 v5, s2, v0
	s_mov_b32 s0, exec_lo
	v_cmpx_gt_i32_e64 s3, v5
	s_cbranch_execz .LBB291_21
; %bb.20:
	v_ashrrev_i32_e32 v8, 31, v5
	v_mul_lo_u32 v9, v5, s13
	v_mad_u64_u32 v[6:7], null, v5, s12, 0
	s_ashr_i32 s3, s2, 31
	s_delay_alu instid0(VALU_DEP_3) | instskip(SKIP_1) | instid1(SALU_CYCLE_1)
	v_mul_lo_u32 v5, v8, s12
	s_lshl_b64 s[2:3], s[2:3], 3
	v_add_co_u32 v3, vcc_lo, v3, s2
	v_add_co_ci_u32_e32 v4, vcc_lo, s3, v4, vcc_lo
	s_delay_alu instid0(VALU_DEP_3) | instskip(NEXT) | instid1(VALU_DEP_1)
	v_add3_u32 v7, v7, v9, v5
	v_lshlrev_b64 v[5:6], 3, v[6:7]
	s_delay_alu instid0(VALU_DEP_1) | instskip(NEXT) | instid1(VALU_DEP_2)
	v_add_co_u32 v5, vcc_lo, s6, v5
	v_add_co_ci_u32_e32 v6, vcc_lo, s7, v6, vcc_lo
	flat_load_b64 v[3:4], v[3:4]
	flat_load_b64 v[5:6], v[5:6]
	s_waitcnt vmcnt(0) lgkmcnt(0)
	v_fma_f64 v[1:2], v[3:4], v[5:6], v[1:2]
.LBB291_21:
	s_or_b32 exec_lo, exec_lo, s0
	v_and_b32_e32 v11, 31, v0
	v_cmp_gt_u32_e32 vcc_lo, 32, v0
	s_delay_alu instid0(VALU_DEP_2)
	v_lshlrev_b32_e32 v5, 3, v11
	s_and_saveexec_b32 s0, vcc_lo
	s_cbranch_execz .LBB291_23
; %bb.22:
	v_mov_b32_e32 v3, 0
	s_delay_alu instid0(VALU_DEP_1)
	v_mov_b32_e32 v4, v3
	ds_store_b64 v5, v[3:4]
.LBB291_23:
	s_or_b32 exec_lo, exec_lo, s0
	v_mbcnt_lo_u32_b32 v10, -1, 0
	s_mov_b32 s2, exec_lo
	s_waitcnt lgkmcnt(0)
	s_barrier
	buffer_gl0_inv
	v_cmp_gt_u32_e64 s0, 16, v10
	s_delay_alu instid0(VALU_DEP_1) | instskip(SKIP_1) | instid1(VALU_DEP_2)
	v_cndmask_b32_e64 v3, 0, 1, s0
	v_cmp_gt_u32_e64 s0, 24, v10
	v_lshlrev_b32_e32 v3, 4, v3
	s_delay_alu instid0(VALU_DEP_1)
	v_add_lshl_u32 v6, v3, v10, 2
	ds_bpermute_b32 v3, v6, v1
	ds_bpermute_b32 v4, v6, v2
	s_waitcnt lgkmcnt(0)
	v_add_f64 v[1:2], v[1:2], v[3:4]
	v_cndmask_b32_e64 v3, 0, 1, s0
	v_cmp_gt_u32_e64 s0, 28, v10
	s_delay_alu instid0(VALU_DEP_2) | instskip(NEXT) | instid1(VALU_DEP_1)
	v_lshlrev_b32_e32 v3, 3, v3
	v_add_lshl_u32 v7, v3, v10, 2
	ds_bpermute_b32 v3, v7, v1
	ds_bpermute_b32 v4, v7, v2
	s_waitcnt lgkmcnt(0)
	v_add_f64 v[1:2], v[1:2], v[3:4]
	v_cndmask_b32_e64 v3, 0, 1, s0
	v_cmp_gt_u32_e64 s0, 30, v10
	s_delay_alu instid0(VALU_DEP_2) | instskip(NEXT) | instid1(VALU_DEP_1)
	v_lshlrev_b32_e32 v3, 2, v3
	v_add_lshl_u32 v8, v3, v10, 2
	ds_bpermute_b32 v3, v8, v1
	ds_bpermute_b32 v4, v8, v2
	s_waitcnt lgkmcnt(0)
	v_add_f64 v[1:2], v[1:2], v[3:4]
	v_cndmask_b32_e64 v3, 0, 1, s0
	v_cmp_ne_u32_e64 s0, 31, v10
	s_delay_alu instid0(VALU_DEP_2) | instskip(NEXT) | instid1(VALU_DEP_1)
	v_lshlrev_b32_e32 v3, 1, v3
	v_add_lshl_u32 v9, v3, v10, 2
	ds_bpermute_b32 v3, v9, v1
	ds_bpermute_b32 v4, v9, v2
	s_waitcnt lgkmcnt(0)
	v_add_f64 v[1:2], v[1:2], v[3:4]
	v_add_co_ci_u32_e64 v3, s0, 0, v10, s0
	s_delay_alu instid0(VALU_DEP_1)
	v_lshlrev_b32_e32 v10, 2, v3
	ds_bpermute_b32 v3, v10, v1
	ds_bpermute_b32 v4, v10, v2
	v_cmpx_eq_u32_e32 0, v11
	s_cbranch_execz .LBB291_25
; %bb.24:
	s_waitcnt lgkmcnt(0)
	v_add_f64 v[1:2], v[1:2], v[3:4]
	v_lshrrev_b32_e32 v3, 2, v0
	s_delay_alu instid0(VALU_DEP_1)
	v_and_b32_e32 v3, 0xf8, v3
	ds_store_b64 v3, v[1:2]
.LBB291_25:
	s_or_b32 exec_lo, exec_lo, s2
	s_waitcnt lgkmcnt(0)
	v_mov_b32_e32 v3, 0
	v_mov_b32_e32 v4, 0
	s_barrier
	buffer_gl0_inv
	s_and_saveexec_b32 s0, vcc_lo
	s_cbranch_execz .LBB291_27
; %bb.26:
	ds_load_b64 v[3:4], v5
.LBB291_27:
	s_or_b32 exec_lo, exec_lo, s0
	s_and_saveexec_b32 s0, vcc_lo
	s_cbranch_execz .LBB291_29
; %bb.28:
	s_waitcnt lgkmcnt(0)
	ds_bpermute_b32 v1, v6, v3
	ds_bpermute_b32 v2, v6, v4
	s_waitcnt lgkmcnt(0)
	v_add_f64 v[1:2], v[3:4], v[1:2]
	ds_bpermute_b32 v3, v7, v1
	ds_bpermute_b32 v4, v7, v2
	s_waitcnt lgkmcnt(0)
	v_add_f64 v[1:2], v[1:2], v[3:4]
	;; [unrolled: 4-line block ×5, first 2 shown]
.LBB291_29:
	s_or_b32 exec_lo, exec_lo, s0
	s_delay_alu instid0(SALU_CYCLE_1)
	s_mov_b32 s0, exec_lo
                                        ; implicit-def: $vgpr1_vgpr2
                                        ; implicit-def: $sgpr20_sgpr21
	v_cmpx_eq_u32_e32 0, v0
	s_cbranch_execz .LBB291_33
; %bb.30:
	v_cmp_eq_f64_e64 s2, s[8:9], 0
	s_waitcnt lgkmcnt(0)
	s_delay_alu instid0(VALU_DEP_3)
	v_mul_f64 v[1:2], v[3:4], s[10:11]
	s_mul_i32 s3, s14, s5
	s_mul_hi_u32 s5, s14, s4
	s_mul_i32 s1, s1, s4
	s_add_i32 s3, s5, s3
	s_mul_i32 s20, s14, s4
	s_add_i32 s21, s3, s1
	s_delay_alu instid0(VALU_DEP_2)
	s_and_b32 vcc_lo, exec_lo, s2
	s_cbranch_vccnz .LBB291_32
; %bb.31:
	s_lshl_b64 s[2:3], s[20:21], 3
	s_delay_alu instid0(SALU_CYCLE_1) | instskip(SKIP_3) | instid1(VALU_DEP_1)
	s_add_u32 s2, s15, s2
	s_addc_u32 s3, s22, s3
	s_load_b64 s[2:3], s[2:3], 0x0
	s_waitcnt lgkmcnt(0)
	v_fma_f64 v[1:2], s[2:3], s[8:9], v[1:2]
.LBB291_32:
	s_or_b32 s23, s23, exec_lo
.LBB291_33:
	s_or_b32 exec_lo, exec_lo, s0
.LBB291_34:
	s_and_saveexec_b32 s0, s23
	s_cbranch_execz .LBB291_36
; %bb.35:
	s_lshl_b64 s[0:1], s[20:21], 3
	v_mov_b32_e32 v0, 0
	s_add_u32 s0, s15, s0
	s_addc_u32 s1, s22, s1
	global_store_b64 v0, v[1:2], s[0:1]
.LBB291_36:
	s_nop 0
	s_sendmsg sendmsg(MSG_DEALLOC_VGPRS)
	s_endpgm
	.section	.rodata,"a",@progbits
	.p2align	6, 0x0
	.amdhsa_kernel _ZL32rocblas_gemvt_warp_reduce_kernelILb1ELi1024ElPKddKPdEviiT3_lPKT2_lT1_lS7_lS8_lS4_lPT4_lS8_li
		.amdhsa_group_segment_fixed_size 256
		.amdhsa_private_segment_fixed_size 0
		.amdhsa_kernarg_size 140
		.amdhsa_user_sgpr_count 14
		.amdhsa_user_sgpr_dispatch_ptr 0
		.amdhsa_user_sgpr_queue_ptr 0
		.amdhsa_user_sgpr_kernarg_segment_ptr 1
		.amdhsa_user_sgpr_dispatch_id 0
		.amdhsa_user_sgpr_private_segment_size 0
		.amdhsa_wavefront_size32 1
		.amdhsa_uses_dynamic_stack 0
		.amdhsa_enable_private_segment 0
		.amdhsa_system_sgpr_workgroup_id_x 1
		.amdhsa_system_sgpr_workgroup_id_y 0
		.amdhsa_system_sgpr_workgroup_id_z 1
		.amdhsa_system_sgpr_workgroup_info 0
		.amdhsa_system_vgpr_workitem_id 0
		.amdhsa_next_free_vgpr 14
		.amdhsa_next_free_sgpr 28
		.amdhsa_reserve_vcc 1
		.amdhsa_float_round_mode_32 0
		.amdhsa_float_round_mode_16_64 0
		.amdhsa_float_denorm_mode_32 3
		.amdhsa_float_denorm_mode_16_64 3
		.amdhsa_dx10_clamp 1
		.amdhsa_ieee_mode 1
		.amdhsa_fp16_overflow 0
		.amdhsa_workgroup_processor_mode 1
		.amdhsa_memory_ordered 1
		.amdhsa_forward_progress 0
		.amdhsa_shared_vgpr_count 0
		.amdhsa_exception_fp_ieee_invalid_op 0
		.amdhsa_exception_fp_denorm_src 0
		.amdhsa_exception_fp_ieee_div_zero 0
		.amdhsa_exception_fp_ieee_overflow 0
		.amdhsa_exception_fp_ieee_underflow 0
		.amdhsa_exception_fp_ieee_inexact 0
		.amdhsa_exception_int_div_zero 0
	.end_amdhsa_kernel
	.section	.text._ZL32rocblas_gemvt_warp_reduce_kernelILb1ELi1024ElPKddKPdEviiT3_lPKT2_lT1_lS7_lS8_lS4_lPT4_lS8_li,"axG",@progbits,_ZL32rocblas_gemvt_warp_reduce_kernelILb1ELi1024ElPKddKPdEviiT3_lPKT2_lT1_lS7_lS8_lS4_lPT4_lS8_li,comdat
.Lfunc_end291:
	.size	_ZL32rocblas_gemvt_warp_reduce_kernelILb1ELi1024ElPKddKPdEviiT3_lPKT2_lT1_lS7_lS8_lS4_lPT4_lS8_li, .Lfunc_end291-_ZL32rocblas_gemvt_warp_reduce_kernelILb1ELi1024ElPKddKPdEviiT3_lPKT2_lT1_lS7_lS8_lS4_lPT4_lS8_li
                                        ; -- End function
	.section	.AMDGPU.csdata,"",@progbits
; Kernel info:
; codeLenInByte = 1720
; NumSgprs: 30
; NumVgprs: 14
; ScratchSize: 0
; MemoryBound: 0
; FloatMode: 240
; IeeeMode: 1
; LDSByteSize: 256 bytes/workgroup (compile time only)
; SGPRBlocks: 3
; VGPRBlocks: 1
; NumSGPRsForWavesPerEU: 30
; NumVGPRsForWavesPerEU: 14
; Occupancy: 16
; WaveLimiterHint : 1
; COMPUTE_PGM_RSRC2:SCRATCH_EN: 0
; COMPUTE_PGM_RSRC2:USER_SGPR: 14
; COMPUTE_PGM_RSRC2:TRAP_HANDLER: 0
; COMPUTE_PGM_RSRC2:TGID_X_EN: 1
; COMPUTE_PGM_RSRC2:TGID_Y_EN: 0
; COMPUTE_PGM_RSRC2:TGID_Z_EN: 1
; COMPUTE_PGM_RSRC2:TIDIG_COMP_CNT: 0
	.section	.text._ZL34rocblas_gemvn_sm_mn_batched_kernelILi32ELi24EPK19rocblas_complex_numIfES3_KPS1_EviiT2_lPKT1_lilS9_lilS6_lPT3_lili,"axG",@progbits,_ZL34rocblas_gemvn_sm_mn_batched_kernelILi32ELi24EPK19rocblas_complex_numIfES3_KPS1_EviiT2_lPKT1_lilS9_lilS6_lPT3_lili,comdat
	.globl	_ZL34rocblas_gemvn_sm_mn_batched_kernelILi32ELi24EPK19rocblas_complex_numIfES3_KPS1_EviiT2_lPKT1_lilS9_lilS6_lPT3_lili ; -- Begin function _ZL34rocblas_gemvn_sm_mn_batched_kernelILi32ELi24EPK19rocblas_complex_numIfES3_KPS1_EviiT2_lPKT1_lilS9_lilS6_lPT3_lili
	.p2align	8
	.type	_ZL34rocblas_gemvn_sm_mn_batched_kernelILi32ELi24EPK19rocblas_complex_numIfES3_KPS1_EviiT2_lPKT1_lilS9_lilS6_lPT3_lili,@function
_ZL34rocblas_gemvn_sm_mn_batched_kernelILi32ELi24EPK19rocblas_complex_numIfES3_KPS1_EviiT2_lPKT1_lilS9_lilS6_lPT3_lili: ; @_ZL34rocblas_gemvn_sm_mn_batched_kernelILi32ELi24EPK19rocblas_complex_numIfES3_KPS1_EviiT2_lPKT1_lilS9_lilS6_lPT3_lili
; %bb.0:
	s_endpgm
	.section	.rodata,"a",@progbits
	.p2align	6, 0x0
	.amdhsa_kernel _ZL34rocblas_gemvn_sm_mn_batched_kernelILi32ELi24EPK19rocblas_complex_numIfES3_KPS1_EviiT2_lPKT1_lilS9_lilS6_lPT3_lili
		.amdhsa_group_segment_fixed_size 0
		.amdhsa_private_segment_fixed_size 0
		.amdhsa_kernarg_size 140
		.amdhsa_user_sgpr_count 15
		.amdhsa_user_sgpr_dispatch_ptr 0
		.amdhsa_user_sgpr_queue_ptr 0
		.amdhsa_user_sgpr_kernarg_segment_ptr 1
		.amdhsa_user_sgpr_dispatch_id 0
		.amdhsa_user_sgpr_private_segment_size 0
		.amdhsa_wavefront_size32 1
		.amdhsa_uses_dynamic_stack 0
		.amdhsa_enable_private_segment 0
		.amdhsa_system_sgpr_workgroup_id_x 1
		.amdhsa_system_sgpr_workgroup_id_y 0
		.amdhsa_system_sgpr_workgroup_id_z 0
		.amdhsa_system_sgpr_workgroup_info 0
		.amdhsa_system_vgpr_workitem_id 0
		.amdhsa_next_free_vgpr 1
		.amdhsa_next_free_sgpr 1
		.amdhsa_reserve_vcc 0
		.amdhsa_float_round_mode_32 0
		.amdhsa_float_round_mode_16_64 0
		.amdhsa_float_denorm_mode_32 3
		.amdhsa_float_denorm_mode_16_64 3
		.amdhsa_dx10_clamp 1
		.amdhsa_ieee_mode 1
		.amdhsa_fp16_overflow 0
		.amdhsa_workgroup_processor_mode 1
		.amdhsa_memory_ordered 1
		.amdhsa_forward_progress 0
		.amdhsa_shared_vgpr_count 0
		.amdhsa_exception_fp_ieee_invalid_op 0
		.amdhsa_exception_fp_denorm_src 0
		.amdhsa_exception_fp_ieee_div_zero 0
		.amdhsa_exception_fp_ieee_overflow 0
		.amdhsa_exception_fp_ieee_underflow 0
		.amdhsa_exception_fp_ieee_inexact 0
		.amdhsa_exception_int_div_zero 0
	.end_amdhsa_kernel
	.section	.text._ZL34rocblas_gemvn_sm_mn_batched_kernelILi32ELi24EPK19rocblas_complex_numIfES3_KPS1_EviiT2_lPKT1_lilS9_lilS6_lPT3_lili,"axG",@progbits,_ZL34rocblas_gemvn_sm_mn_batched_kernelILi32ELi24EPK19rocblas_complex_numIfES3_KPS1_EviiT2_lPKT1_lilS9_lilS6_lPT3_lili,comdat
.Lfunc_end292:
	.size	_ZL34rocblas_gemvn_sm_mn_batched_kernelILi32ELi24EPK19rocblas_complex_numIfES3_KPS1_EviiT2_lPKT1_lilS9_lilS6_lPT3_lili, .Lfunc_end292-_ZL34rocblas_gemvn_sm_mn_batched_kernelILi32ELi24EPK19rocblas_complex_numIfES3_KPS1_EviiT2_lPKT1_lilS9_lilS6_lPT3_lili
                                        ; -- End function
	.section	.AMDGPU.csdata,"",@progbits
; Kernel info:
; codeLenInByte = 4
; NumSgprs: 0
; NumVgprs: 0
; ScratchSize: 0
; MemoryBound: 0
; FloatMode: 240
; IeeeMode: 1
; LDSByteSize: 0 bytes/workgroup (compile time only)
; SGPRBlocks: 0
; VGPRBlocks: 0
; NumSGPRsForWavesPerEU: 1
; NumVGPRsForWavesPerEU: 1
; Occupancy: 12
; WaveLimiterHint : 0
; COMPUTE_PGM_RSRC2:SCRATCH_EN: 0
; COMPUTE_PGM_RSRC2:USER_SGPR: 15
; COMPUTE_PGM_RSRC2:TRAP_HANDLER: 0
; COMPUTE_PGM_RSRC2:TGID_X_EN: 1
; COMPUTE_PGM_RSRC2:TGID_Y_EN: 0
; COMPUTE_PGM_RSRC2:TGID_Z_EN: 0
; COMPUTE_PGM_RSRC2:TIDIG_COMP_CNT: 0
	.section	.text._ZL34rocblas_gemvn_sm_mn_batched_kernelILi32ELi24EPK19rocblas_complex_numIfES1_KPS1_EviiT2_lPKT1_lilS9_lilS6_lPT3_lili,"axG",@progbits,_ZL34rocblas_gemvn_sm_mn_batched_kernelILi32ELi24EPK19rocblas_complex_numIfES1_KPS1_EviiT2_lPKT1_lilS9_lilS6_lPT3_lili,comdat
	.globl	_ZL34rocblas_gemvn_sm_mn_batched_kernelILi32ELi24EPK19rocblas_complex_numIfES1_KPS1_EviiT2_lPKT1_lilS9_lilS6_lPT3_lili ; -- Begin function _ZL34rocblas_gemvn_sm_mn_batched_kernelILi32ELi24EPK19rocblas_complex_numIfES1_KPS1_EviiT2_lPKT1_lilS9_lilS6_lPT3_lili
	.p2align	8
	.type	_ZL34rocblas_gemvn_sm_mn_batched_kernelILi32ELi24EPK19rocblas_complex_numIfES1_KPS1_EviiT2_lPKT1_lilS9_lilS6_lPT3_lili,@function
_ZL34rocblas_gemvn_sm_mn_batched_kernelILi32ELi24EPK19rocblas_complex_numIfES1_KPS1_EviiT2_lPKT1_lilS9_lilS6_lPT3_lili: ; @_ZL34rocblas_gemvn_sm_mn_batched_kernelILi32ELi24EPK19rocblas_complex_numIfES1_KPS1_EviiT2_lPKT1_lilS9_lilS6_lPT3_lili
; %bb.0:
	s_endpgm
	.section	.rodata,"a",@progbits
	.p2align	6, 0x0
	.amdhsa_kernel _ZL34rocblas_gemvn_sm_mn_batched_kernelILi32ELi24EPK19rocblas_complex_numIfES1_KPS1_EviiT2_lPKT1_lilS9_lilS6_lPT3_lili
		.amdhsa_group_segment_fixed_size 0
		.amdhsa_private_segment_fixed_size 0
		.amdhsa_kernarg_size 140
		.amdhsa_user_sgpr_count 15
		.amdhsa_user_sgpr_dispatch_ptr 0
		.amdhsa_user_sgpr_queue_ptr 0
		.amdhsa_user_sgpr_kernarg_segment_ptr 1
		.amdhsa_user_sgpr_dispatch_id 0
		.amdhsa_user_sgpr_private_segment_size 0
		.amdhsa_wavefront_size32 1
		.amdhsa_uses_dynamic_stack 0
		.amdhsa_enable_private_segment 0
		.amdhsa_system_sgpr_workgroup_id_x 1
		.amdhsa_system_sgpr_workgroup_id_y 0
		.amdhsa_system_sgpr_workgroup_id_z 0
		.amdhsa_system_sgpr_workgroup_info 0
		.amdhsa_system_vgpr_workitem_id 0
		.amdhsa_next_free_vgpr 1
		.amdhsa_next_free_sgpr 1
		.amdhsa_reserve_vcc 0
		.amdhsa_float_round_mode_32 0
		.amdhsa_float_round_mode_16_64 0
		.amdhsa_float_denorm_mode_32 3
		.amdhsa_float_denorm_mode_16_64 3
		.amdhsa_dx10_clamp 1
		.amdhsa_ieee_mode 1
		.amdhsa_fp16_overflow 0
		.amdhsa_workgroup_processor_mode 1
		.amdhsa_memory_ordered 1
		.amdhsa_forward_progress 0
		.amdhsa_shared_vgpr_count 0
		.amdhsa_exception_fp_ieee_invalid_op 0
		.amdhsa_exception_fp_denorm_src 0
		.amdhsa_exception_fp_ieee_div_zero 0
		.amdhsa_exception_fp_ieee_overflow 0
		.amdhsa_exception_fp_ieee_underflow 0
		.amdhsa_exception_fp_ieee_inexact 0
		.amdhsa_exception_int_div_zero 0
	.end_amdhsa_kernel
	.section	.text._ZL34rocblas_gemvn_sm_mn_batched_kernelILi32ELi24EPK19rocblas_complex_numIfES1_KPS1_EviiT2_lPKT1_lilS9_lilS6_lPT3_lili,"axG",@progbits,_ZL34rocblas_gemvn_sm_mn_batched_kernelILi32ELi24EPK19rocblas_complex_numIfES1_KPS1_EviiT2_lPKT1_lilS9_lilS6_lPT3_lili,comdat
.Lfunc_end293:
	.size	_ZL34rocblas_gemvn_sm_mn_batched_kernelILi32ELi24EPK19rocblas_complex_numIfES1_KPS1_EviiT2_lPKT1_lilS9_lilS6_lPT3_lili, .Lfunc_end293-_ZL34rocblas_gemvn_sm_mn_batched_kernelILi32ELi24EPK19rocblas_complex_numIfES1_KPS1_EviiT2_lPKT1_lilS9_lilS6_lPT3_lili
                                        ; -- End function
	.section	.AMDGPU.csdata,"",@progbits
; Kernel info:
; codeLenInByte = 4
; NumSgprs: 0
; NumVgprs: 0
; ScratchSize: 0
; MemoryBound: 0
; FloatMode: 240
; IeeeMode: 1
; LDSByteSize: 0 bytes/workgroup (compile time only)
; SGPRBlocks: 0
; VGPRBlocks: 0
; NumSGPRsForWavesPerEU: 1
; NumVGPRsForWavesPerEU: 1
; Occupancy: 12
; WaveLimiterHint : 0
; COMPUTE_PGM_RSRC2:SCRATCH_EN: 0
; COMPUTE_PGM_RSRC2:USER_SGPR: 15
; COMPUTE_PGM_RSRC2:TRAP_HANDLER: 0
; COMPUTE_PGM_RSRC2:TGID_X_EN: 1
; COMPUTE_PGM_RSRC2:TGID_Y_EN: 0
; COMPUTE_PGM_RSRC2:TGID_Z_EN: 0
; COMPUTE_PGM_RSRC2:TIDIG_COMP_CNT: 0
	.section	.text._ZL20rocblas_gemvn_kernelILi64ELi4EiPK19rocblas_complex_numIfES3_KPS1_EviiT3_lPKT2_lT1_lS9_lSA_lS6_lPT4_lSA_li,"axG",@progbits,_ZL20rocblas_gemvn_kernelILi64ELi4EiPK19rocblas_complex_numIfES3_KPS1_EviiT3_lPKT2_lT1_lS9_lSA_lS6_lPT4_lSA_li,comdat
	.globl	_ZL20rocblas_gemvn_kernelILi64ELi4EiPK19rocblas_complex_numIfES3_KPS1_EviiT3_lPKT2_lT1_lS9_lSA_lS6_lPT4_lSA_li ; -- Begin function _ZL20rocblas_gemvn_kernelILi64ELi4EiPK19rocblas_complex_numIfES3_KPS1_EviiT3_lPKT2_lT1_lS9_lSA_lS6_lPT4_lSA_li
	.p2align	8
	.type	_ZL20rocblas_gemvn_kernelILi64ELi4EiPK19rocblas_complex_numIfES3_KPS1_EviiT3_lPKT2_lT1_lS9_lSA_lS6_lPT4_lSA_li,@function
_ZL20rocblas_gemvn_kernelILi64ELi4EiPK19rocblas_complex_numIfES3_KPS1_EviiT3_lPKT2_lT1_lS9_lSA_lS6_lPT4_lSA_li: ; @_ZL20rocblas_gemvn_kernelILi64ELi4EiPK19rocblas_complex_numIfES3_KPS1_EviiT3_lPKT2_lT1_lS9_lSA_lS6_lPT4_lSA_li
; %bb.0:
	s_load_b64 s[4:5], s[0:1], 0x9c
	s_waitcnt lgkmcnt(0)
	s_lshr_b32 s3, s4, 16
	s_and_b32 s4, s4, 0xffff
	s_and_b32 s5, s5, 0xffff
	s_mul_i32 s3, s3, s4
	s_delay_alu instid0(SALU_CYCLE_1) | instskip(NEXT) | instid1(SALU_CYCLE_1)
	s_mul_i32 s3, s3, s5
	s_cmpk_lg_i32 s3, 0x100
	s_cbranch_scc1 .LBB294_51
; %bb.1:
	s_clause 0x1
	s_load_b256 s[16:23], s[0:1], 0x8
	s_load_b256 s[4:11], s[0:1], 0x58
	s_mov_b32 s2, s15
	s_waitcnt lgkmcnt(0)
	s_mul_i32 s3, s15, s19
	s_mul_hi_u32 s13, s15, s18
	s_mul_i32 s12, s15, s18
	s_add_i32 s13, s13, s3
	s_mul_i32 s3, s15, s7
	s_lshl_b64 s[12:13], s[12:13], 3
	s_mul_hi_u32 s7, s15, s6
	s_add_u32 s12, s16, s12
	s_addc_u32 s13, s17, s13
	s_mul_i32 s6, s15, s6
	s_load_b64 s[12:13], s[12:13], 0x0
	s_add_i32 s7, s7, s3
	s_delay_alu instid0(SALU_CYCLE_1) | instskip(NEXT) | instid1(SALU_CYCLE_1)
	s_lshl_b64 s[6:7], s[6:7], 3
	s_add_u32 s4, s4, s6
	s_addc_u32 s5, s5, s7
	s_load_b64 s[4:5], s[4:5], 0x0
	s_waitcnt lgkmcnt(0)
	v_cmp_neq_f32_e64 s3, s12, 0
	v_cmp_neq_f32_e64 s6, s13, 0
	s_delay_alu instid0(VALU_DEP_1)
	s_or_b32 s6, s3, s6
	s_mov_b32 s3, 0
	s_and_b32 vcc_lo, exec_lo, s6
	s_mov_b32 s6, -1
	s_cbranch_vccnz .LBB294_3
; %bb.2:
	v_cmp_neq_f32_e64 s6, s4, 1.0
	v_cmp_neq_f32_e64 s7, s5, 0
	s_delay_alu instid0(VALU_DEP_1)
	s_or_b32 s6, s6, s7
.LBB294_3:
	s_delay_alu instid0(SALU_CYCLE_1)
	s_and_not1_b32 vcc_lo, exec_lo, s6
	s_cbranch_vccnz .LBB294_51
; %bb.4:
	s_or_b32 s6, s12, s13
	s_mov_b64 s[18:19], 0
	s_and_b32 s7, s6, 0x7fffffff
	s_mov_b64 s[16:17], 0
	s_cmp_lg_u32 s7, 0
	s_cselect_b32 s6, -1, 0
	s_cmp_eq_u32 s7, 0
	s_cselect_b32 s24, -1, 0
	s_delay_alu instid0(SALU_CYCLE_1)
	s_and_b32 vcc_lo, exec_lo, s24
	s_cbranch_vccnz .LBB294_6
; %bb.5:
	s_lshl_b64 s[16:17], s[2:3], 3
	s_delay_alu instid0(SALU_CYCLE_1)
	s_add_u32 s16, s20, s16
	s_addc_u32 s17, s21, s17
	s_lshl_b64 s[20:21], s[22:23], 3
	s_load_b64 s[16:17], s[16:17], 0x0
	s_waitcnt lgkmcnt(0)
	s_add_u32 s16, s16, s20
	s_addc_u32 s17, s17, s21
.LBB294_6:
	s_and_not1_b32 vcc_lo, exec_lo, s6
	s_cbranch_vccnz .LBB294_8
; %bb.7:
	s_load_b128 s[20:23], s[0:1], 0x38
	s_lshl_b64 s[6:7], s[2:3], 3
	s_waitcnt lgkmcnt(0)
	s_add_u32 s6, s20, s6
	s_addc_u32 s7, s21, s7
	s_lshl_b64 s[18:19], s[22:23], 3
	s_load_b64 s[6:7], s[6:7], 0x0
	s_waitcnt lgkmcnt(0)
	s_add_u32 s18, s6, s18
	s_addc_u32 s19, s7, s19
.LBB294_8:
	s_lshl_b64 s[2:3], s[2:3], 3
	v_and_b32_e32 v1, 0x3ff, v0
	s_add_u32 s2, s8, s2
	s_addc_u32 s3, s9, s3
	v_bfe_u32 v53, v0, 10, 10
	s_load_b64 s[20:21], s[2:3], 0x0
	s_clause 0x1
	s_load_b64 s[6:7], s[0:1], 0x0
	s_load_b32 s15, s[0:1], 0x78
	s_lshl_b64 s[10:11], s[10:11], 3
	s_mov_b32 s3, -1
	v_lshl_add_u32 v0, v53, 6, v1
	s_delay_alu instid0(VALU_DEP_1)
	v_cmp_gt_u32_e64 s2, 0x100, v0
	s_waitcnt lgkmcnt(0)
	s_add_u32 s9, s20, s10
	s_addc_u32 s10, s21, s11
	s_and_not1_b32 vcc_lo, exec_lo, s24
	s_cbranch_vccnz .LBB294_15
; %bb.9:
	s_and_saveexec_b32 s3, s2
	s_cbranch_execz .LBB294_14
; %bb.10:
	v_lshl_or_b32 v2, s14, 8, v0
	v_mov_b32_e32 v3, 0
	s_ashr_i32 s21, s6, 31
	s_mov_b32 s20, s6
	s_delay_alu instid0(VALU_DEP_1) | instid1(SALU_CYCLE_1)
	v_cmp_gt_i64_e32 vcc_lo, s[20:21], v[2:3]
	s_and_b32 exec_lo, exec_lo, vcc_lo
	s_cbranch_execz .LBB294_14
; %bb.11:
	v_mad_u64_u32 v[4:5], null, s15, v2, 0
	s_ashr_i32 s11, s15, 31
	v_cmp_neq_f32_e64 s2, s4, 0
	v_cmp_neq_f32_e64 s8, s5, 0
	s_delay_alu instid0(VALU_DEP_3) | instskip(NEXT) | instid1(VALU_DEP_2)
	v_mad_u64_u32 v[6:7], null, s11, v2, v[5:6]
	s_or_b32 s2, s2, s8
	s_delay_alu instid0(SALU_CYCLE_1) | instskip(NEXT) | instid1(VALU_DEP_1)
	s_and_not1_b32 vcc_lo, exec_lo, s2
	v_dual_mov_b32 v5, v6 :: v_dual_mov_b32 v6, v3
	s_delay_alu instid0(VALU_DEP_1)
	v_lshlrev_b64 v[4:5], 3, v[4:5]
	s_cbranch_vccnz .LBB294_13
; %bb.12:
	s_delay_alu instid0(VALU_DEP_1) | instskip(NEXT) | instid1(VALU_DEP_2)
	v_add_co_u32 v2, vcc_lo, s9, v4
	v_add_co_ci_u32_e32 v3, vcc_lo, s10, v5, vcc_lo
	global_load_b64 v[2:3], v[2:3], off
	s_waitcnt vmcnt(0)
	v_mul_f32_e32 v6, s4, v3
	s_delay_alu instid0(VALU_DEP_1) | instskip(NEXT) | instid1(VALU_DEP_1)
	v_dual_mul_f32 v7, s5, v3 :: v_dual_fmac_f32 v6, s5, v2
	v_fma_f32 v3, s4, v2, -v7
.LBB294_13:
	s_delay_alu instid0(VALU_DEP_1) | instskip(NEXT) | instid1(VALU_DEP_2)
	v_add_co_u32 v7, vcc_lo, s9, v4
	v_add_co_ci_u32_e32 v8, vcc_lo, s10, v5, vcc_lo
	s_delay_alu instid0(VALU_DEP_3)
	v_mov_b32_e32 v5, v3
	global_store_b64 v[7:8], v[5:6], off
.LBB294_14:
	s_or_b32 exec_lo, exec_lo, s3
	s_mov_b32 s3, 0
.LBB294_15:
	s_delay_alu instid0(SALU_CYCLE_1)
	s_and_not1_b32 vcc_lo, exec_lo, s3
	s_cbranch_vccnz .LBB294_51
; %bb.16:
	s_clause 0x1
	s_load_b32 s20, s[0:1], 0x28
	s_load_b32 s8, s[0:1], 0x48
	s_ashr_i32 s2, s7, 31
	s_lshl_b32 s11, s14, 8
	s_lshr_b32 s0, s2, 28
	v_dual_mov_b32 v2, 0 :: v_dual_lshlrev_b32 v55, 2, v53
	v_dual_mov_b32 v3, 0 :: v_dual_add_nc_u32 v54, s11, v1
	v_dual_mov_b32 v5, 0 :: v_dual_mov_b32 v4, 0
	v_dual_mov_b32 v7, 0 :: v_dual_mov_b32 v6, 0
	v_dual_mov_b32 v9, 0 :: v_dual_mov_b32 v8, 0
	s_add_i32 s0, s7, s0
	s_mov_b32 s21, exec_lo
	s_and_b32 s14, s0, -16
	s_delay_alu instid0(SALU_CYCLE_1)
	v_cmpx_gt_i32_e64 s14, v55
	s_cbranch_execz .LBB294_28
; %bb.17:
	s_waitcnt lgkmcnt(0)
	v_mul_lo_u32 v3, s20, v55
	v_add_nc_u32_e32 v2, 64, v54
	v_cmp_gt_i32_e32 vcc_lo, s6, v54
	s_lshl_b32 s22, s20, 4
	s_lshl_b32 s24, s8, 4
	s_mov_b32 s23, 0
	s_mov_b32 s25, 0
	s_delay_alu instid0(VALU_DEP_3) | instskip(SKIP_1) | instid1(VALU_DEP_1)
	v_add3_u32 v56, v3, s20, v1
	v_mul_lo_u32 v3, v53, s20
	v_lshl_add_u32 v57, v3, 2, v1
	v_mov_b32_e32 v3, 0
	v_add_nc_u32_e32 v5, 0xc0, v54
	v_add_nc_u32_e32 v4, 0x80, v54
	v_cmp_gt_i32_e64 s0, s6, v2
	s_delay_alu instid0(VALU_DEP_4) | instskip(NEXT) | instid1(VALU_DEP_4)
	v_dual_mov_b32 v7, v3 :: v_dual_add_nc_u32 v2, 2, v55
	v_cmp_gt_i32_e64 s2, s6, v5
	v_mul_lo_u32 v5, v53, s8
	v_mov_b32_e32 v6, v3
	s_delay_alu instid0(VALU_DEP_4)
	v_mad_u64_u32 v[10:11], null, s20, v2, v[1:2]
	v_mov_b32_e32 v9, v3
	v_mul_lo_u32 v58, s8, v2
	v_mov_b32_e32 v8, v3
	v_dual_mov_b32 v5, v3 :: v_dual_lshlrev_b32 v60, 2, v5
	v_cmp_gt_i32_e64 s1, s6, v4
	v_add_nc_u32_e32 v4, 3, v55
	s_delay_alu instid0(VALU_DEP_1)
	v_mad_u64_u32 v[11:12], null, s20, v4, v[1:2]
	v_mad_u64_u32 v[12:13], null, s8, v55, s[8:9]
	v_mul_lo_u32 v59, s8, v4
	v_mov_b32_e32 v2, v3
	v_mov_b32_e32 v4, v3
	s_branch .LBB294_22
.LBB294_18:                             ;   in Loop: Header=BB294_22 Depth=1
	s_or_b32 exec_lo, exec_lo, s28
	s_waitcnt vmcnt(3) lgkmcnt(3)
	v_mul_f32_e32 v45, v26, v44
	v_mul_f32_e32 v44, v25, v44
	s_waitcnt vmcnt(1) lgkmcnt(1)
	v_dual_mul_f32 v46, v22, v42 :: v_dual_mul_f32 v47, v16, v40
	v_mul_f32_e32 v42, v21, v42
	v_fma_f32 v45, v25, v43, -v45
	v_fmac_f32_e32 v44, v26, v43
	s_waitcnt vmcnt(0) lgkmcnt(0)
	v_mul_f32_e32 v43, v14, v38
	v_mul_f32_e32 v38, v13, v38
	v_fma_f32 v46, v21, v41, -v46
	v_dual_add_f32 v4, v4, v45 :: v_dual_add_f32 v5, v5, v44
	s_delay_alu instid0(VALU_DEP_3) | instskip(SKIP_4) | instid1(VALU_DEP_3)
	v_fmac_f32_e32 v38, v14, v37
	v_fmac_f32_e32 v42, v22, v41
	v_mul_f32_e32 v40, v15, v40
	v_fma_f32 v41, v15, v39, -v47
	v_add_f32_e32 v4, v4, v46
	v_dual_add_f32 v5, v5, v42 :: v_dual_fmac_f32 v40, v16, v39
	v_fma_f32 v39, v13, v37, -v43
	s_delay_alu instid0(VALU_DEP_2) | instskip(NEXT) | instid1(VALU_DEP_1)
	v_dual_add_f32 v4, v4, v41 :: v_dual_add_f32 v5, v5, v40
	v_dual_add_f32 v4, v4, v39 :: v_dual_add_f32 v5, v5, v38
.LBB294_19:                             ;   in Loop: Header=BB294_22 Depth=1
	s_or_b32 exec_lo, exec_lo, s27
	s_waitcnt vmcnt(3) lgkmcnt(3)
	v_mul_f32_e32 v37, v26, v36
	v_mul_f32_e32 v36, v25, v36
	s_waitcnt vmcnt(1) lgkmcnt(1)
	v_dual_mul_f32 v38, v22, v34 :: v_dual_mul_f32 v39, v16, v32
	v_mul_f32_e32 v34, v21, v34
	v_mul_f32_e32 v32, v15, v32
	v_fma_f32 v37, v25, v35, -v37
	s_delay_alu instid0(VALU_DEP_4) | instskip(NEXT) | instid1(VALU_DEP_3)
	v_fma_f32 v38, v21, v33, -v38
	v_fmac_f32_e32 v32, v16, v31
	v_fmac_f32_e32 v34, v22, v33
	;; [unrolled: 1-line block ×3, first 2 shown]
	v_add_f32_e32 v6, v6, v37
	s_waitcnt vmcnt(0) lgkmcnt(0)
	v_mul_f32_e32 v35, v14, v30
	v_mul_f32_e32 v30, v13, v30
	v_fma_f32 v33, v15, v31, -v39
	v_dual_add_f32 v7, v7, v36 :: v_dual_add_f32 v6, v6, v38
	s_delay_alu instid0(VALU_DEP_4) | instskip(NEXT) | instid1(VALU_DEP_2)
	v_fma_f32 v31, v13, v29, -v35
	v_dual_fmac_f32 v30, v14, v29 :: v_dual_add_f32 v7, v7, v34
	s_delay_alu instid0(VALU_DEP_1) | instskip(NEXT) | instid1(VALU_DEP_1)
	v_dual_add_f32 v6, v6, v33 :: v_dual_add_f32 v7, v7, v32
	v_dual_add_f32 v6, v6, v31 :: v_dual_add_f32 v7, v7, v30
.LBB294_20:                             ;   in Loop: Header=BB294_22 Depth=1
	s_or_b32 exec_lo, exec_lo, s3
	s_waitcnt vmcnt(3) lgkmcnt(3)
	v_mul_f32_e32 v29, v26, v28
	v_mul_f32_e32 v28, v25, v28
	s_waitcnt vmcnt(1) lgkmcnt(1)
	v_mul_f32_e32 v31, v16, v20
	v_mul_f32_e32 v20, v15, v20
	v_fma_f32 v25, v25, v27, -v29
	v_fmac_f32_e32 v28, v26, v27
	s_waitcnt vmcnt(0) lgkmcnt(0)
	v_mul_f32_e32 v26, v14, v18
	v_mul_f32_e32 v18, v13, v18
	v_fma_f32 v15, v15, v19, -v31
	v_dual_add_f32 v8, v8, v25 :: v_dual_add_f32 v9, v9, v28
	v_fmac_f32_e32 v20, v16, v19
	s_delay_alu instid0(VALU_DEP_4) | instskip(SKIP_3) | instid1(VALU_DEP_2)
	v_fmac_f32_e32 v18, v14, v17
	v_mul_f32_e32 v30, v22, v24
	v_mul_f32_e32 v24, v21, v24
	v_fma_f32 v13, v13, v17, -v26
	v_fmac_f32_e32 v24, v22, v23
	s_delay_alu instid0(VALU_DEP_1) | instskip(NEXT) | instid1(VALU_DEP_1)
	v_add_f32_e32 v9, v9, v24
	v_add_f32_e32 v9, v9, v20
	s_delay_alu instid0(VALU_DEP_1) | instskip(SKIP_1) | instid1(VALU_DEP_1)
	v_add_f32_e32 v9, v9, v18
	v_fma_f32 v21, v21, v23, -v30
	v_add_f32_e32 v8, v8, v21
	s_delay_alu instid0(VALU_DEP_1) | instskip(NEXT) | instid1(VALU_DEP_1)
	v_add_f32_e32 v8, v8, v15
	v_add_f32_e32 v8, v8, v13
.LBB294_21:                             ;   in Loop: Header=BB294_22 Depth=1
	s_or_b32 exec_lo, exec_lo, s26
	v_add_nc_u32_e32 v55, 16, v55
	v_add_nc_u32_e32 v56, s22, v56
	;; [unrolled: 1-line block ×5, first 2 shown]
	v_cmp_le_i32_e64 s3, s14, v55
	s_add_i32 s25, s25, s24
	s_delay_alu instid0(VALU_DEP_1) | instskip(NEXT) | instid1(SALU_CYCLE_1)
	s_or_b32 s23, s3, s23
	s_and_not1_b32 exec_lo, exec_lo, s23
	s_cbranch_execz .LBB294_27
.LBB294_22:                             ; =>This Inner Loop Header: Depth=1
	s_and_saveexec_b32 s26, vcc_lo
	s_cbranch_execz .LBB294_21
; %bb.23:                               ;   in Loop: Header=BB294_22 Depth=1
	v_add_nc_u32_e32 v13, s25, v60
	v_add_nc_u32_e32 v15, s25, v12
	;; [unrolled: 1-line block ×5, first 2 shown]
	v_ashrrev_i32_e32 v14, 31, v13
	v_ashrrev_i32_e32 v16, 31, v15
	;; [unrolled: 1-line block ×4, first 2 shown]
	v_add_nc_u32_e32 v23, s11, v56
	v_lshlrev_b64 v[13:14], 3, v[13:14]
	v_lshlrev_b64 v[15:16], 3, v[15:16]
	;; [unrolled: 1-line block ×3, first 2 shown]
	v_ashrrev_i32_e32 v22, 31, v21
	v_lshlrev_b64 v[19:20], 3, v[19:20]
	v_ashrrev_i32_e32 v24, 31, v23
	v_add_co_u32 v13, s3, s18, v13
	s_delay_alu instid0(VALU_DEP_1)
	v_add_co_ci_u32_e64 v14, s3, s19, v14, s3
	v_add_co_u32 v15, s3, s18, v15
	v_add_nc_u32_e32 v25, s11, v10
	v_add_co_ci_u32_e64 v16, s3, s19, v16, s3
	v_add_co_u32 v17, s3, s18, v17
	v_lshlrev_b64 v[21:22], 3, v[21:22]
	v_add_nc_u32_e32 v27, s11, v11
	v_add_co_ci_u32_e64 v18, s3, s19, v18, s3
	v_add_co_u32 v19, s3, s18, v19
	v_lshlrev_b64 v[23:24], 3, v[23:24]
	v_ashrrev_i32_e32 v26, 31, v25
	v_add_co_ci_u32_e64 v20, s3, s19, v20, s3
	v_add_co_u32 v51, s3, s16, v21
	v_ashrrev_i32_e32 v28, 31, v27
	v_add_co_ci_u32_e64 v52, s3, s17, v22, s3
	v_lshlrev_b64 v[21:22], 3, v[25:26]
	v_add_co_u32 v49, s3, s16, v23
	s_delay_alu instid0(VALU_DEP_1) | instskip(SKIP_1) | instid1(VALU_DEP_4)
	v_add_co_ci_u32_e64 v50, s3, s17, v24, s3
	v_lshlrev_b64 v[23:24], 3, v[27:28]
	v_add_co_u32 v47, s3, s16, v21
	s_delay_alu instid0(VALU_DEP_1) | instskip(NEXT) | instid1(VALU_DEP_3)
	v_add_co_ci_u32_e64 v48, s3, s17, v22, s3
	v_add_co_u32 v45, s3, s16, v23
	s_delay_alu instid0(VALU_DEP_1)
	v_add_co_ci_u32_e64 v46, s3, s17, v24, s3
	s_clause 0x3
	flat_load_b64 v[25:26], v[13:14]
	flat_load_b64 v[21:22], v[15:16]
	;; [unrolled: 1-line block ×4, first 2 shown]
	s_clause 0x3
	flat_load_b64 v[27:28], v[51:52]
	flat_load_b64 v[23:24], v[49:50]
	;; [unrolled: 1-line block ×4, first 2 shown]
	s_and_saveexec_b32 s3, s0
	s_cbranch_execz .LBB294_20
; %bb.24:                               ;   in Loop: Header=BB294_22 Depth=1
	s_clause 0x3
	flat_load_b64 v[35:36], v[51:52] offset:512
	flat_load_b64 v[33:34], v[49:50] offset:512
	flat_load_b64 v[31:32], v[47:48] offset:512
	flat_load_b64 v[29:30], v[45:46] offset:512
	s_and_saveexec_b32 s27, s1
	s_cbranch_execz .LBB294_19
; %bb.25:                               ;   in Loop: Header=BB294_22 Depth=1
	s_clause 0x3
	flat_load_b64 v[43:44], v[51:52] offset:1024
	flat_load_b64 v[41:42], v[49:50] offset:1024
	flat_load_b64 v[39:40], v[47:48] offset:1024
	flat_load_b64 v[37:38], v[45:46] offset:1024
	s_and_saveexec_b32 s28, s2
	s_cbranch_execz .LBB294_18
; %bb.26:                               ;   in Loop: Header=BB294_22 Depth=1
	s_clause 0x3
	flat_load_b64 v[51:52], v[51:52] offset:1536
	flat_load_b64 v[49:50], v[49:50] offset:1536
	flat_load_b64 v[47:48], v[47:48] offset:1536
	flat_load_b64 v[45:46], v[45:46] offset:1536
	s_waitcnt vmcnt(3) lgkmcnt(3)
	v_mul_f32_e32 v61, v26, v52
	v_mul_f32_e32 v52, v25, v52
	s_waitcnt vmcnt(1) lgkmcnt(1)
	v_dual_mul_f32 v62, v22, v50 :: v_dual_mul_f32 v63, v16, v48
	v_mul_f32_e32 v50, v21, v50
	v_mul_f32_e32 v48, v15, v48
	v_fma_f32 v61, v25, v51, -v61
	s_delay_alu instid0(VALU_DEP_4) | instskip(NEXT) | instid1(VALU_DEP_4)
	v_fma_f32 v62, v21, v49, -v62
	v_fmac_f32_e32 v50, v22, v49
	v_fmac_f32_e32 v52, v26, v51
	s_waitcnt vmcnt(0) lgkmcnt(0)
	v_mul_f32_e32 v51, v14, v46
	v_mul_f32_e32 v46, v13, v46
	v_fma_f32 v49, v15, v47, -v63
	s_delay_alu instid0(VALU_DEP_2) | instskip(SKIP_2) | instid1(VALU_DEP_3)
	v_dual_add_f32 v3, v3, v52 :: v_dual_fmac_f32 v46, v14, v45
	v_fmac_f32_e32 v48, v16, v47
	v_fma_f32 v47, v13, v45, -v51
	v_dual_add_f32 v3, v3, v50 :: v_dual_add_f32 v2, v2, v61
	s_delay_alu instid0(VALU_DEP_1) | instskip(NEXT) | instid1(VALU_DEP_1)
	v_dual_add_f32 v3, v3, v48 :: v_dual_add_f32 v2, v2, v62
	v_dual_add_f32 v3, v3, v46 :: v_dual_add_f32 v2, v2, v49
	s_delay_alu instid0(VALU_DEP_1)
	v_add_f32_e32 v2, v2, v47
	s_branch .LBB294_18
.LBB294_27:
	s_or_b32 exec_lo, exec_lo, s23
.LBB294_28:
	s_delay_alu instid0(SALU_CYCLE_1) | instskip(SKIP_1) | instid1(SALU_CYCLE_1)
	s_or_b32 exec_lo, exec_lo, s21
	s_sub_i32 s0, s7, s14
	s_cmp_lt_i32 s0, 1
	s_cbranch_scc1 .LBB294_46
; %bb.29:
	v_cmp_gt_i32_e32 vcc_lo, s7, v55
	v_dual_mov_b32 v10, 0 :: v_dual_mov_b32 v11, 0
	v_or_b32_e32 v18, 1, v55
	v_dual_mov_b32 v12, 0 :: v_dual_mov_b32 v13, 0
	v_dual_mov_b32 v14, 0 :: v_dual_mov_b32 v15, 0
	;; [unrolled: 1-line block ×3, first 2 shown]
	s_and_saveexec_b32 s1, vcc_lo
	s_cbranch_execz .LBB294_37
; %bb.30:
	s_waitcnt lgkmcnt(0)
	v_mul_lo_u32 v10, v55, s8
	v_dual_mov_b32 v17, 0 :: v_dual_mov_b32 v16, 0
	v_dual_mov_b32 v15, 0 :: v_dual_mov_b32 v14, 0
	;; [unrolled: 1-line block ×3, first 2 shown]
	s_mov_b32 s2, exec_lo
	s_delay_alu instid0(VALU_DEP_4) | instskip(NEXT) | instid1(VALU_DEP_1)
	v_ashrrev_i32_e32 v11, 31, v10
	v_lshlrev_b64 v[10:11], 3, v[10:11]
	s_delay_alu instid0(VALU_DEP_1) | instskip(NEXT) | instid1(VALU_DEP_1)
	v_add_co_u32 v10, s0, s18, v10
	v_add_co_ci_u32_e64 v11, s0, s19, v11, s0
	flat_load_b64 v[10:11], v[10:11]
	v_cmpx_gt_i32_e64 s7, v18
	s_cbranch_execz .LBB294_36
; %bb.31:
	v_mul_lo_u32 v12, v18, s8
	v_or_b32_e32 v19, 2, v55
	v_dual_mov_b32 v17, 0 :: v_dual_mov_b32 v16, 0
	v_dual_mov_b32 v15, 0 :: v_dual_mov_b32 v14, 0
	s_mov_b32 s3, exec_lo
	s_delay_alu instid0(VALU_DEP_4) | instskip(NEXT) | instid1(VALU_DEP_1)
	v_ashrrev_i32_e32 v13, 31, v12
	v_lshlrev_b64 v[12:13], 3, v[12:13]
	s_delay_alu instid0(VALU_DEP_1) | instskip(NEXT) | instid1(VALU_DEP_1)
	v_add_co_u32 v12, s0, s18, v12
	v_add_co_ci_u32_e64 v13, s0, s19, v13, s0
	flat_load_b64 v[12:13], v[12:13]
	v_cmpx_gt_i32_e64 s7, v19
	s_cbranch_execz .LBB294_35
; %bb.32:
	v_mul_lo_u32 v14, v19, s8
	v_or_b32_e32 v19, 3, v55
	v_dual_mov_b32 v17, 0 :: v_dual_mov_b32 v16, 0
	s_mov_b32 s14, exec_lo
	s_delay_alu instid0(VALU_DEP_3) | instskip(NEXT) | instid1(VALU_DEP_1)
	v_ashrrev_i32_e32 v15, 31, v14
	v_lshlrev_b64 v[14:15], 3, v[14:15]
	s_delay_alu instid0(VALU_DEP_1) | instskip(NEXT) | instid1(VALU_DEP_1)
	v_add_co_u32 v14, s0, s18, v14
	v_add_co_ci_u32_e64 v15, s0, s19, v15, s0
	flat_load_b64 v[14:15], v[14:15]
	v_cmpx_gt_i32_e64 s7, v19
	s_cbranch_execz .LBB294_34
; %bb.33:
	v_mul_lo_u32 v16, v19, s8
	s_delay_alu instid0(VALU_DEP_1) | instskip(NEXT) | instid1(VALU_DEP_1)
	v_ashrrev_i32_e32 v17, 31, v16
	v_lshlrev_b64 v[16:17], 3, v[16:17]
	s_delay_alu instid0(VALU_DEP_1) | instskip(NEXT) | instid1(VALU_DEP_1)
	v_add_co_u32 v16, s0, s18, v16
	v_add_co_ci_u32_e64 v17, s0, s19, v17, s0
	flat_load_b64 v[16:17], v[16:17]
.LBB294_34:
	s_or_b32 exec_lo, exec_lo, s14
.LBB294_35:
	s_delay_alu instid0(SALU_CYCLE_1)
	s_or_b32 exec_lo, exec_lo, s3
.LBB294_36:
	s_delay_alu instid0(SALU_CYCLE_1)
	s_or_b32 exec_lo, exec_lo, s2
.LBB294_37:
	s_delay_alu instid0(SALU_CYCLE_1) | instskip(NEXT) | instid1(SALU_CYCLE_1)
	s_or_b32 exec_lo, exec_lo, s1
	s_mov_b32 s1, exec_lo
	v_cmpx_gt_i32_e64 s6, v54
	s_cbranch_execz .LBB294_45
; %bb.38:
	s_waitcnt lgkmcnt(0)
	v_mul_lo_u32 v19, v55, s20
	v_mul_lo_u32 v20, v18, s20
	v_or_b32_e32 v21, 2, v55
	v_or_b32_e32 v22, 3, v55
	s_mov_b32 s0, exec_lo
	s_delay_alu instid0(VALU_DEP_2)
	v_mul_lo_u32 v23, v21, s20
	v_cndmask_b32_e32 v19, 0, v19, vcc_lo
	v_cmp_gt_i32_e32 vcc_lo, s7, v18
	v_mul_lo_u32 v24, v22, s20
	v_cndmask_b32_e32 v20, 0, v20, vcc_lo
	v_cmp_gt_i32_e32 vcc_lo, s7, v21
	v_add_nc_u32_e32 v18, v19, v54
	s_delay_alu instid0(VALU_DEP_3) | instskip(NEXT) | instid1(VALU_DEP_2)
	v_dual_cndmask_b32 v23, 0, v23 :: v_dual_add_nc_u32 v20, v20, v54
	v_ashrrev_i32_e32 v19, 31, v18
	v_cmp_gt_i32_e32 vcc_lo, s7, v22
	s_delay_alu instid0(VALU_DEP_3) | instskip(NEXT) | instid1(VALU_DEP_3)
	v_ashrrev_i32_e32 v21, 31, v20
	v_lshlrev_b64 v[18:19], 3, v[18:19]
	v_cndmask_b32_e32 v24, 0, v24, vcc_lo
	s_delay_alu instid0(VALU_DEP_3) | instskip(NEXT) | instid1(VALU_DEP_2)
	v_lshlrev_b64 v[20:21], 3, v[20:21]
	v_add_nc_u32_e32 v26, v24, v54
	s_delay_alu instid0(VALU_DEP_4) | instskip(SKIP_1) | instid1(VALU_DEP_4)
	v_add_co_u32 v24, vcc_lo, s16, v18
	v_add_co_ci_u32_e32 v25, vcc_lo, s17, v19, vcc_lo
	v_add_co_u32 v20, vcc_lo, s16, v20
	v_add_co_ci_u32_e32 v21, vcc_lo, s17, v21, vcc_lo
	s_clause 0x1
	flat_load_b64 v[28:29], v[24:25]
	flat_load_b64 v[30:31], v[20:21]
	s_waitcnt vmcnt(0) lgkmcnt(0)
	v_dual_mul_f32 v35, v13, v31 :: v_dual_add_nc_u32 v22, v23, v54
	v_dual_mul_f32 v31, v12, v31 :: v_dual_mul_f32 v34, v11, v29
	v_mul_f32_e32 v29, v10, v29
	s_delay_alu instid0(VALU_DEP_3) | instskip(NEXT) | instid1(VALU_DEP_3)
	v_ashrrev_i32_e32 v23, 31, v22
	v_fmac_f32_e32 v31, v13, v30
	s_delay_alu instid0(VALU_DEP_4) | instskip(NEXT) | instid1(VALU_DEP_4)
	v_fma_f32 v34, v10, v28, -v34
	v_fmac_f32_e32 v29, v11, v28
	v_ashrrev_i32_e32 v27, 31, v26
	v_lshlrev_b64 v[18:19], 3, v[22:23]
	v_fma_f32 v28, v12, v30, -v35
	s_delay_alu instid0(VALU_DEP_4) | instskip(NEXT) | instid1(VALU_DEP_4)
	v_dual_add_f32 v8, v8, v34 :: v_dual_add_f32 v29, v9, v29
	v_lshlrev_b64 v[26:27], 3, v[26:27]
	s_delay_alu instid0(VALU_DEP_4) | instskip(SKIP_1) | instid1(VALU_DEP_3)
	v_add_co_u32 v22, vcc_lo, s16, v18
	v_add_co_ci_u32_e32 v23, vcc_lo, s17, v19, vcc_lo
	v_add_co_u32 v18, vcc_lo, s16, v26
	s_delay_alu instid0(VALU_DEP_4)
	v_add_co_ci_u32_e32 v19, vcc_lo, s17, v27, vcc_lo
	s_clause 0x1
	flat_load_b64 v[26:27], v[22:23]
	flat_load_b64 v[32:33], v[18:19]
	s_waitcnt vmcnt(0) lgkmcnt(0)
	v_dual_mul_f32 v30, v15, v27 :: v_dual_mul_f32 v35, v17, v33
	v_mul_f32_e32 v27, v14, v27
	v_mul_f32_e32 v9, v16, v33
	s_delay_alu instid0(VALU_DEP_3) | instskip(NEXT) | instid1(VALU_DEP_3)
	v_fma_f32 v30, v14, v26, -v30
	v_dual_fmac_f32 v27, v15, v26 :: v_dual_add_f32 v26, v8, v28
	v_dual_add_f32 v28, v29, v31 :: v_dual_add_nc_u32 v29, 64, v54
	v_fma_f32 v8, v16, v32, -v35
	s_delay_alu instid0(VALU_DEP_3) | instskip(NEXT) | instid1(VALU_DEP_3)
	v_dual_fmac_f32 v9, v17, v32 :: v_dual_add_f32 v26, v26, v30
	v_add_f32_e32 v27, v28, v27
	s_delay_alu instid0(VALU_DEP_4)
	v_cmpx_gt_i32_e64 s6, v29
	s_cbranch_execz .LBB294_44
; %bb.39:
	s_clause 0x3
	flat_load_b64 v[28:29], v[24:25] offset:512
	flat_load_b64 v[30:31], v[20:21] offset:512
	;; [unrolled: 1-line block ×4, first 2 shown]
	s_mov_b32 s2, exec_lo
	s_waitcnt vmcnt(2) lgkmcnt(2)
	v_dual_mul_f32 v36, v11, v29 :: v_dual_mul_f32 v37, v13, v31
	v_mul_f32_e32 v29, v10, v29
	s_waitcnt vmcnt(1) lgkmcnt(1)
	v_dual_mul_f32 v31, v12, v31 :: v_dual_mul_f32 v38, v15, v33
	s_delay_alu instid0(VALU_DEP_3) | instskip(SKIP_1) | instid1(VALU_DEP_3)
	v_fma_f32 v36, v10, v28, -v36
	v_fma_f32 v37, v12, v30, -v37
	v_fmac_f32_e32 v31, v13, v30
	s_delay_alu instid0(VALU_DEP_4) | instskip(NEXT) | instid1(VALU_DEP_4)
	v_fma_f32 v30, v14, v32, -v38
	v_add_f32_e32 v6, v6, v36
	v_mul_f32_e32 v33, v14, v33
	s_waitcnt vmcnt(0) lgkmcnt(0)
	v_dual_fmac_f32 v29, v11, v28 :: v_dual_mul_f32 v28, v17, v35
	s_delay_alu instid0(VALU_DEP_2) | instskip(NEXT) | instid1(VALU_DEP_2)
	v_dual_fmac_f32 v33, v15, v32 :: v_dual_add_f32 v32, v6, v37
	v_add_f32_e32 v29, v7, v29
	v_mul_f32_e32 v7, v16, v35
	s_delay_alu instid0(VALU_DEP_4) | instskip(NEXT) | instid1(VALU_DEP_3)
	v_fma_f32 v6, v16, v34, -v28
	v_dual_add_f32 v28, v32, v30 :: v_dual_add_f32 v29, v29, v31
	v_add_nc_u32_e32 v31, 0x80, v54
	s_delay_alu instid0(VALU_DEP_4) | instskip(NEXT) | instid1(VALU_DEP_3)
	v_fmac_f32_e32 v7, v17, v34
	v_add_f32_e32 v29, v29, v33
	s_delay_alu instid0(VALU_DEP_3)
	v_cmpx_gt_i32_e64 s6, v31
	s_cbranch_execz .LBB294_43
; %bb.40:
	s_clause 0x3
	flat_load_b64 v[30:31], v[24:25] offset:1024
	flat_load_b64 v[32:33], v[20:21] offset:1024
	;; [unrolled: 1-line block ×4, first 2 shown]
	s_mov_b32 s3, exec_lo
	s_waitcnt vmcnt(2) lgkmcnt(2)
	v_dual_mul_f32 v38, v11, v31 :: v_dual_mul_f32 v39, v13, v33
	v_mul_f32_e32 v31, v10, v31
	s_waitcnt vmcnt(1) lgkmcnt(1)
	v_dual_mul_f32 v33, v12, v33 :: v_dual_mul_f32 v40, v15, v35
	s_delay_alu instid0(VALU_DEP_3) | instskip(SKIP_2) | instid1(VALU_DEP_4)
	v_fma_f32 v38, v10, v30, -v38
	v_mul_f32_e32 v35, v14, v35
	v_fma_f32 v39, v12, v32, -v39
	v_fmac_f32_e32 v33, v13, v32
	v_fma_f32 v32, v14, v34, -v40
	v_add_f32_e32 v4, v4, v38
	s_waitcnt vmcnt(0) lgkmcnt(0)
	v_dual_fmac_f32 v31, v11, v30 :: v_dual_mul_f32 v30, v17, v37
	s_delay_alu instid0(VALU_DEP_2) | instskip(NEXT) | instid1(VALU_DEP_2)
	v_dual_fmac_f32 v35, v15, v34 :: v_dual_add_f32 v34, v4, v39
	v_add_f32_e32 v31, v5, v31
	v_mul_f32_e32 v5, v16, v37
	s_delay_alu instid0(VALU_DEP_4) | instskip(NEXT) | instid1(VALU_DEP_3)
	v_fma_f32 v4, v16, v36, -v30
	v_dual_add_f32 v30, v34, v32 :: v_dual_add_f32 v31, v31, v33
	v_add_nc_u32_e32 v33, 0xc0, v54
	s_delay_alu instid0(VALU_DEP_4) | instskip(NEXT) | instid1(VALU_DEP_3)
	v_fmac_f32_e32 v5, v17, v36
	v_add_f32_e32 v31, v31, v35
	s_delay_alu instid0(VALU_DEP_3)
	v_cmpx_gt_i32_e64 s6, v33
	s_cbranch_execz .LBB294_42
; %bb.41:
	s_clause 0x3
	flat_load_b64 v[24:25], v[24:25] offset:1536
	flat_load_b64 v[20:21], v[20:21] offset:1536
	;; [unrolled: 1-line block ×4, first 2 shown]
	s_waitcnt vmcnt(3) lgkmcnt(3)
	v_mul_f32_e32 v32, v11, v25
	s_waitcnt vmcnt(1) lgkmcnt(1)
	v_dual_mul_f32 v25, v10, v25 :: v_dual_mul_f32 v34, v15, v23
	v_mul_f32_e32 v23, v14, v23
	s_delay_alu instid0(VALU_DEP_3) | instskip(SKIP_1) | instid1(VALU_DEP_4)
	v_fma_f32 v10, v10, v24, -v32
	v_mul_f32_e32 v33, v13, v21
	v_fmac_f32_e32 v25, v11, v24
	s_delay_alu instid0(VALU_DEP_4) | instskip(NEXT) | instid1(VALU_DEP_4)
	v_fmac_f32_e32 v23, v15, v22
	v_add_f32_e32 v2, v2, v10
	s_waitcnt vmcnt(0) lgkmcnt(0)
	v_mul_f32_e32 v10, v16, v19
	v_mul_f32_e32 v21, v12, v21
	v_fma_f32 v12, v12, v20, -v33
	s_delay_alu instid0(VALU_DEP_3) | instskip(NEXT) | instid1(VALU_DEP_2)
	v_dual_add_f32 v3, v3, v25 :: v_dual_fmac_f32 v10, v17, v18
	v_add_f32_e32 v2, v2, v12
	s_delay_alu instid0(VALU_DEP_4) | instskip(SKIP_1) | instid1(VALU_DEP_1)
	v_fmac_f32_e32 v21, v13, v20
	v_fma_f32 v13, v14, v22, -v34
	v_dual_mul_f32 v11, v17, v19 :: v_dual_add_f32 v2, v2, v13
	s_delay_alu instid0(VALU_DEP_1) | instskip(NEXT) | instid1(VALU_DEP_1)
	v_fma_f32 v11, v16, v18, -v11
	v_dual_add_f32 v2, v2, v11 :: v_dual_add_f32 v3, v3, v21
	s_delay_alu instid0(VALU_DEP_1) | instskip(NEXT) | instid1(VALU_DEP_1)
	v_add_f32_e32 v3, v3, v23
	v_add_f32_e32 v3, v3, v10
.LBB294_42:
	s_or_b32 exec_lo, exec_lo, s3
	s_delay_alu instid0(VALU_DEP_2)
	v_dual_add_f32 v4, v30, v4 :: v_dual_add_f32 v5, v31, v5
.LBB294_43:
	s_or_b32 exec_lo, exec_lo, s2
	s_delay_alu instid0(VALU_DEP_2)
	v_dual_add_f32 v6, v28, v6 :: v_dual_add_f32 v7, v29, v7
.LBB294_44:
	s_or_b32 exec_lo, exec_lo, s0
	s_delay_alu instid0(VALU_DEP_2)
	v_dual_add_f32 v8, v26, v8 :: v_dual_add_f32 v9, v27, v9
.LBB294_45:
	s_or_b32 exec_lo, exec_lo, s1
.LBB294_46:
	s_waitcnt vmcnt(0) lgkmcnt(0)
	v_lshlrev_b32_e32 v10, 8, v53
	s_mov_b32 s0, exec_lo
	s_delay_alu instid0(VALU_DEP_1)
	v_add_lshl_u32 v1, v10, v1, 3
	ds_store_2addr_stride64_b64 v1, v[8:9], v[6:7] offset1:1
	ds_store_2addr_stride64_b64 v1, v[4:5], v[2:3] offset0:2 offset1:3
	s_waitcnt lgkmcnt(0)
	s_waitcnt_vscnt null, 0x0
	s_barrier
	buffer_gl0_inv
	v_cmpx_gt_u32_e32 0x100, v0
	s_cbranch_execz .LBB294_51
; %bb.47:
	v_lshlrev_b32_e32 v9, 3, v0
	v_or_b32_e32 v0, s11, v0
	ds_load_2addr_stride64_b64 v[1:4], v9 offset1:4
	ds_load_2addr_stride64_b64 v[5:8], v9 offset0:8 offset1:12
	v_cmp_gt_i32_e32 vcc_lo, s6, v0
	s_waitcnt lgkmcnt(1)
	v_dual_add_f32 v1, v1, v3 :: v_dual_add_f32 v2, v2, v4
	s_waitcnt lgkmcnt(0)
	s_delay_alu instid0(VALU_DEP_1) | instskip(NEXT) | instid1(VALU_DEP_1)
	v_add_f32_e32 v1, v1, v5
	v_dual_add_f32 v3, v2, v6 :: v_dual_add_f32 v2, v1, v7
	s_delay_alu instid0(VALU_DEP_1)
	v_add_f32_e32 v3, v3, v8
	ds_store_b64 v9, v[2:3]
	s_and_b32 exec_lo, exec_lo, vcc_lo
	s_cbranch_execz .LBB294_51
; %bb.48:
	v_mul_lo_u32 v4, v0, s15
	v_mul_f32_e32 v1, s12, v3
	v_mul_f32_e32 v0, s13, v3
	v_cmp_neq_f32_e64 s0, s4, 0
	v_cmp_neq_f32_e64 s1, s5, 0
	s_delay_alu instid0(VALU_DEP_4) | instskip(NEXT) | instid1(VALU_DEP_4)
	v_fmac_f32_e32 v1, s13, v2
	v_fma_f32 v0, v2, s12, -v0
	v_ashrrev_i32_e32 v5, 31, v4
	s_delay_alu instid0(VALU_DEP_4) | instskip(NEXT) | instid1(SALU_CYCLE_1)
	s_or_b32 s0, s0, s1
	s_and_not1_b32 vcc_lo, exec_lo, s0
	s_delay_alu instid0(VALU_DEP_1)
	v_lshlrev_b64 v[3:4], 3, v[4:5]
	s_cbranch_vccnz .LBB294_50
; %bb.49:
	s_delay_alu instid0(VALU_DEP_1) | instskip(NEXT) | instid1(VALU_DEP_2)
	v_add_co_u32 v5, vcc_lo, s9, v3
	v_add_co_ci_u32_e32 v6, vcc_lo, s10, v4, vcc_lo
	global_load_b64 v[5:6], v[5:6], off
	s_waitcnt vmcnt(0)
	v_mul_f32_e32 v2, s5, v6
	v_mul_f32_e32 v6, s4, v6
	s_delay_alu instid0(VALU_DEP_2) | instskip(NEXT) | instid1(VALU_DEP_2)
	v_fma_f32 v2, s4, v5, -v2
	v_fmac_f32_e32 v6, s5, v5
	s_delay_alu instid0(VALU_DEP_2) | instskip(NEXT) | instid1(VALU_DEP_2)
	v_add_f32_e32 v0, v0, v2
	v_add_f32_e32 v1, v1, v6
.LBB294_50:
	s_delay_alu instid0(VALU_DEP_1) | instskip(NEXT) | instid1(VALU_DEP_2)
	v_add_co_u32 v2, vcc_lo, s9, v3
	v_add_co_ci_u32_e32 v3, vcc_lo, s10, v4, vcc_lo
	global_store_b64 v[2:3], v[0:1], off
.LBB294_51:
	s_nop 0
	s_sendmsg sendmsg(MSG_DEALLOC_VGPRS)
	s_endpgm
	.section	.rodata,"a",@progbits
	.p2align	6, 0x0
	.amdhsa_kernel _ZL20rocblas_gemvn_kernelILi64ELi4EiPK19rocblas_complex_numIfES3_KPS1_EviiT3_lPKT2_lT1_lS9_lSA_lS6_lPT4_lSA_li
		.amdhsa_group_segment_fixed_size 8192
		.amdhsa_private_segment_fixed_size 0
		.amdhsa_kernarg_size 400
		.amdhsa_user_sgpr_count 14
		.amdhsa_user_sgpr_dispatch_ptr 0
		.amdhsa_user_sgpr_queue_ptr 0
		.amdhsa_user_sgpr_kernarg_segment_ptr 1
		.amdhsa_user_sgpr_dispatch_id 0
		.amdhsa_user_sgpr_private_segment_size 0
		.amdhsa_wavefront_size32 1
		.amdhsa_uses_dynamic_stack 0
		.amdhsa_enable_private_segment 0
		.amdhsa_system_sgpr_workgroup_id_x 1
		.amdhsa_system_sgpr_workgroup_id_y 0
		.amdhsa_system_sgpr_workgroup_id_z 1
		.amdhsa_system_sgpr_workgroup_info 0
		.amdhsa_system_vgpr_workitem_id 1
		.amdhsa_next_free_vgpr 64
		.amdhsa_next_free_sgpr 29
		.amdhsa_reserve_vcc 1
		.amdhsa_float_round_mode_32 0
		.amdhsa_float_round_mode_16_64 0
		.amdhsa_float_denorm_mode_32 3
		.amdhsa_float_denorm_mode_16_64 3
		.amdhsa_dx10_clamp 1
		.amdhsa_ieee_mode 1
		.amdhsa_fp16_overflow 0
		.amdhsa_workgroup_processor_mode 1
		.amdhsa_memory_ordered 1
		.amdhsa_forward_progress 0
		.amdhsa_shared_vgpr_count 0
		.amdhsa_exception_fp_ieee_invalid_op 0
		.amdhsa_exception_fp_denorm_src 0
		.amdhsa_exception_fp_ieee_div_zero 0
		.amdhsa_exception_fp_ieee_overflow 0
		.amdhsa_exception_fp_ieee_underflow 0
		.amdhsa_exception_fp_ieee_inexact 0
		.amdhsa_exception_int_div_zero 0
	.end_amdhsa_kernel
	.section	.text._ZL20rocblas_gemvn_kernelILi64ELi4EiPK19rocblas_complex_numIfES3_KPS1_EviiT3_lPKT2_lT1_lS9_lSA_lS6_lPT4_lSA_li,"axG",@progbits,_ZL20rocblas_gemvn_kernelILi64ELi4EiPK19rocblas_complex_numIfES3_KPS1_EviiT3_lPKT2_lT1_lS9_lSA_lS6_lPT4_lSA_li,comdat
.Lfunc_end294:
	.size	_ZL20rocblas_gemvn_kernelILi64ELi4EiPK19rocblas_complex_numIfES3_KPS1_EviiT3_lPKT2_lT1_lS9_lSA_lS6_lPT4_lSA_li, .Lfunc_end294-_ZL20rocblas_gemvn_kernelILi64ELi4EiPK19rocblas_complex_numIfES3_KPS1_EviiT3_lPKT2_lT1_lS9_lSA_lS6_lPT4_lSA_li
                                        ; -- End function
	.section	.AMDGPU.csdata,"",@progbits
; Kernel info:
; codeLenInByte = 3932
; NumSgprs: 31
; NumVgprs: 64
; ScratchSize: 0
; MemoryBound: 0
; FloatMode: 240
; IeeeMode: 1
; LDSByteSize: 8192 bytes/workgroup (compile time only)
; SGPRBlocks: 3
; VGPRBlocks: 7
; NumSGPRsForWavesPerEU: 31
; NumVGPRsForWavesPerEU: 64
; Occupancy: 16
; WaveLimiterHint : 1
; COMPUTE_PGM_RSRC2:SCRATCH_EN: 0
; COMPUTE_PGM_RSRC2:USER_SGPR: 14
; COMPUTE_PGM_RSRC2:TRAP_HANDLER: 0
; COMPUTE_PGM_RSRC2:TGID_X_EN: 1
; COMPUTE_PGM_RSRC2:TGID_Y_EN: 0
; COMPUTE_PGM_RSRC2:TGID_Z_EN: 1
; COMPUTE_PGM_RSRC2:TIDIG_COMP_CNT: 1
	.section	.text._ZL20rocblas_gemvn_kernelILi64ELi4ElPK19rocblas_complex_numIfES3_KPS1_EviiT3_lPKT2_lT1_lS9_lSA_lS6_lPT4_lSA_li,"axG",@progbits,_ZL20rocblas_gemvn_kernelILi64ELi4ElPK19rocblas_complex_numIfES3_KPS1_EviiT3_lPKT2_lT1_lS9_lSA_lS6_lPT4_lSA_li,comdat
	.globl	_ZL20rocblas_gemvn_kernelILi64ELi4ElPK19rocblas_complex_numIfES3_KPS1_EviiT3_lPKT2_lT1_lS9_lSA_lS6_lPT4_lSA_li ; -- Begin function _ZL20rocblas_gemvn_kernelILi64ELi4ElPK19rocblas_complex_numIfES3_KPS1_EviiT3_lPKT2_lT1_lS9_lSA_lS6_lPT4_lSA_li
	.p2align	8
	.type	_ZL20rocblas_gemvn_kernelILi64ELi4ElPK19rocblas_complex_numIfES3_KPS1_EviiT3_lPKT2_lT1_lS9_lSA_lS6_lPT4_lSA_li,@function
_ZL20rocblas_gemvn_kernelILi64ELi4ElPK19rocblas_complex_numIfES3_KPS1_EviiT3_lPKT2_lT1_lS9_lSA_lS6_lPT4_lSA_li: ; @_ZL20rocblas_gemvn_kernelILi64ELi4ElPK19rocblas_complex_numIfES3_KPS1_EviiT3_lPKT2_lT1_lS9_lSA_lS6_lPT4_lSA_li
; %bb.0:
	s_load_b64 s[4:5], s[0:1], 0x9c
	s_waitcnt lgkmcnt(0)
	s_lshr_b32 s3, s4, 16
	s_and_b32 s4, s4, 0xffff
	s_and_b32 s5, s5, 0xffff
	s_mul_i32 s3, s3, s4
	s_delay_alu instid0(SALU_CYCLE_1) | instskip(NEXT) | instid1(SALU_CYCLE_1)
	s_mul_i32 s3, s3, s5
	s_cmpk_lg_i32 s3, 0x100
	s_cbranch_scc1 .LBB295_51
; %bb.1:
	s_clause 0x1
	s_load_b256 s[16:23], s[0:1], 0x8
	s_load_b256 s[4:11], s[0:1], 0x58
	s_mov_b32 s2, s15
	s_waitcnt lgkmcnt(0)
	s_mul_i32 s3, s15, s19
	s_mul_hi_u32 s13, s15, s18
	s_mul_i32 s12, s15, s18
	s_add_i32 s13, s13, s3
	s_mul_i32 s3, s15, s7
	s_lshl_b64 s[12:13], s[12:13], 3
	s_mul_hi_u32 s7, s15, s6
	s_add_u32 s12, s16, s12
	s_addc_u32 s13, s17, s13
	s_mul_i32 s6, s15, s6
	s_load_b64 s[16:17], s[12:13], 0x0
	s_add_i32 s7, s7, s3
	s_delay_alu instid0(SALU_CYCLE_1) | instskip(NEXT) | instid1(SALU_CYCLE_1)
	s_lshl_b64 s[6:7], s[6:7], 3
	s_add_u32 s4, s4, s6
	s_addc_u32 s5, s5, s7
	s_load_b64 s[12:13], s[4:5], 0x0
	s_waitcnt lgkmcnt(0)
	v_cmp_neq_f32_e64 s3, s16, 0
	v_cmp_neq_f32_e64 s4, s17, 0
	s_delay_alu instid0(VALU_DEP_1)
	s_or_b32 s4, s3, s4
	s_mov_b32 s3, 0
	s_and_b32 vcc_lo, exec_lo, s4
	s_mov_b32 s4, -1
	s_cbranch_vccnz .LBB295_3
; %bb.2:
	v_cmp_neq_f32_e64 s4, s12, 1.0
	v_cmp_neq_f32_e64 s5, s13, 0
	s_delay_alu instid0(VALU_DEP_1)
	s_or_b32 s4, s4, s5
.LBB295_3:
	s_delay_alu instid0(SALU_CYCLE_1)
	s_and_not1_b32 vcc_lo, exec_lo, s4
	s_cbranch_vccnz .LBB295_51
; %bb.4:
	s_clause 0x1
	s_load_b64 s[24:25], s[0:1], 0x28
	s_load_b64 s[18:19], s[0:1], 0x78
	s_or_b32 s4, s16, s17
	s_mov_b64 s[28:29], 0
	s_bitset0_b32 s4, 31
	s_mov_b64 s[26:27], 0
	s_cmp_lg_u32 s4, 0
	s_cselect_b32 s30, -1, 0
	s_cmp_eq_u32 s4, 0
	s_cselect_b32 s15, -1, 0
	s_delay_alu instid0(SALU_CYCLE_1)
	s_and_b32 vcc_lo, exec_lo, s15
	s_cbranch_vccnz .LBB295_6
; %bb.5:
	s_lshl_b64 s[4:5], s[2:3], 3
	s_delay_alu instid0(SALU_CYCLE_1)
	s_add_u32 s4, s20, s4
	s_addc_u32 s5, s21, s5
	s_lshl_b64 s[6:7], s[22:23], 3
	s_load_b64 s[4:5], s[4:5], 0x0
	s_waitcnt lgkmcnt(0)
	s_add_u32 s26, s4, s6
	s_addc_u32 s27, s5, s7
.LBB295_6:
	s_clause 0x1
	s_load_b128 s[4:7], s[0:1], 0x38
	s_load_b64 s[20:21], s[0:1], 0x48
	s_and_not1_b32 vcc_lo, exec_lo, s30
	s_cbranch_vccnz .LBB295_8
; %bb.7:
	s_lshl_b64 s[22:23], s[2:3], 3
	s_waitcnt lgkmcnt(0)
	s_add_u32 s4, s4, s22
	s_addc_u32 s5, s5, s23
	s_lshl_b64 s[6:7], s[6:7], 3
	s_load_b64 s[4:5], s[4:5], 0x0
	s_waitcnt lgkmcnt(0)
	s_add_u32 s28, s4, s6
	s_addc_u32 s29, s5, s7
.LBB295_8:
	s_lshl_b64 s[2:3], s[2:3], 3
	v_and_b32_e32 v61, 0x3ff, v0
	s_add_u32 s2, s8, s2
	s_addc_u32 s3, s9, s3
	v_bfe_u32 v62, v0, 10, 10
	s_load_b64 s[2:3], s[2:3], 0x0
	s_waitcnt lgkmcnt(0)
	s_load_b64 s[6:7], s[0:1], 0x0
	s_lshl_b64 s[8:9], s[10:11], 3
	s_mov_b32 s1, -1
	v_lshl_add_u32 v60, v62, 6, v61
	s_delay_alu instid0(VALU_DEP_1)
	v_cmp_gt_u32_e64 s0, 0x100, v60
	s_add_u32 s5, s2, s8
	s_addc_u32 s22, s3, s9
	s_and_not1_b32 vcc_lo, exec_lo, s15
	s_cbranch_vccnz .LBB295_15
; %bb.9:
	s_and_saveexec_b32 s1, s0
	s_cbranch_execz .LBB295_14
; %bb.10:
	v_lshl_or_b32 v0, s14, 8, v60
	v_mov_b32_e32 v1, 0
	s_waitcnt lgkmcnt(0)
	s_ashr_i32 s3, s6, 31
	s_mov_b32 s2, s6
	s_delay_alu instid0(VALU_DEP_1) | instid1(SALU_CYCLE_1)
	v_cmp_gt_i64_e32 vcc_lo, s[2:3], v[0:1]
	s_and_b32 exec_lo, exec_lo, vcc_lo
	s_cbranch_execz .LBB295_14
; %bb.11:
	v_mad_u64_u32 v[2:3], null, v0, s18, 0
	v_cmp_neq_f32_e64 s0, s12, 0
	v_cmp_neq_f32_e64 s2, s13, 0
	s_delay_alu instid0(VALU_DEP_1) | instskip(NEXT) | instid1(VALU_DEP_3)
	s_or_b32 s0, s0, s2
	v_mad_u64_u32 v[4:5], null, v0, s19, v[3:4]
	s_and_not1_b32 vcc_lo, exec_lo, s0
	s_delay_alu instid0(VALU_DEP_1) | instskip(NEXT) | instid1(VALU_DEP_1)
	v_dual_mov_b32 v3, v4 :: v_dual_mov_b32 v4, v1
	v_lshlrev_b64 v[2:3], 3, v[2:3]
	s_cbranch_vccnz .LBB295_13
; %bb.12:
	s_delay_alu instid0(VALU_DEP_1) | instskip(NEXT) | instid1(VALU_DEP_2)
	v_add_co_u32 v0, vcc_lo, s5, v2
	v_add_co_ci_u32_e32 v1, vcc_lo, s22, v3, vcc_lo
	global_load_b64 v[0:1], v[0:1], off
	s_waitcnt vmcnt(0)
	v_mul_f32_e32 v4, s12, v1
	s_delay_alu instid0(VALU_DEP_1) | instskip(NEXT) | instid1(VALU_DEP_1)
	v_dual_mul_f32 v5, s13, v1 :: v_dual_fmac_f32 v4, s13, v0
	v_fma_f32 v1, s12, v0, -v5
.LBB295_13:
	s_delay_alu instid0(VALU_DEP_1) | instskip(NEXT) | instid1(VALU_DEP_2)
	v_add_co_u32 v5, vcc_lo, s5, v2
	v_add_co_ci_u32_e32 v6, vcc_lo, s22, v3, vcc_lo
	s_delay_alu instid0(VALU_DEP_3)
	v_mov_b32_e32 v3, v1
	global_store_b64 v[5:6], v[3:4], off
.LBB295_14:
	s_or_b32 exec_lo, exec_lo, s1
	s_mov_b32 s1, 0
.LBB295_15:
	s_delay_alu instid0(SALU_CYCLE_1)
	s_and_not1_b32 vcc_lo, exec_lo, s1
	s_cbranch_vccnz .LBB295_51
; %bb.16:
	s_waitcnt lgkmcnt(0)
	s_ashr_i32 s0, s7, 31
	s_lshl_b32 s23, s14, 8
	s_lshr_b32 s0, s0, 28
	v_dual_mov_b32 v0, 0 :: v_dual_lshlrev_b32 v63, 2, v62
	v_dual_mov_b32 v1, 0 :: v_dual_add_nc_u32 v2, s23, v61
	v_dual_mov_b32 v5, 0 :: v_dual_mov_b32 v4, 0
	v_dual_mov_b32 v7, 0 :: v_dual_mov_b32 v6, 0
	v_dual_mov_b32 v9, 0 :: v_dual_mov_b32 v8, 0
	s_add_i32 s0, s7, s0
	s_mov_b32 s31, exec_lo
	s_and_b32 s30, s0, -16
	s_delay_alu instid0(SALU_CYCLE_1)
	v_cmpx_gt_i32_e64 s30, v63
	s_cbranch_execz .LBB295_28
; %bb.17:
	v_lshlrev_b32_e32 v17, 2, v62
	v_mad_u64_u32 v[0:1], null, s20, v62, 0
	v_mad_u64_u32 v[6:7], null, s24, v62, 0
	s_delay_alu instid0(VALU_DEP_3)
	v_or_b32_e32 v13, 3, v17
	v_ashrrev_i32_e32 v3, 31, v2
	v_add_nc_u32_e32 v8, 64, v2
	v_or_b32_e32 v20, 2, v17
	v_mad_u64_u32 v[10:11], null, s21, v62, v[1:2]
	v_mad_u64_u32 v[4:5], null, s24, v13, 0
	s_delay_alu instid0(VALU_DEP_3)
	v_mad_u64_u32 v[18:19], null, s24, v20, 0
	v_add_nc_u32_e32 v15, 0xc0, v2
	v_cmp_gt_i32_e32 vcc_lo, s6, v2
	v_mov_b32_e32 v1, v10
	s_lshl_b64 s[8:9], s[24:25], 7
	v_mad_u64_u32 v[11:12], null, s25, v13, v[5:6]
	v_lshlrev_b64 v[12:13], 3, v[2:3]
	v_mov_b32_e32 v3, v7
	v_cmp_gt_i32_e64 s0, s6, v8
	v_mad_u64_u32 v[8:9], null, s24, v17, s[24:25]
	v_add_nc_u32_e32 v14, 0x80, v2
	v_cmp_gt_i32_e64 s2, s6, v15
	v_mov_b32_e32 v5, v11
	s_lshl_b64 s[10:11], s[20:21], 7
	s_lshl_b64 s[14:15], s[20:21], 3
	s_mov_b32 s33, 0
	s_delay_alu instid0(VALU_DEP_4) | instskip(SKIP_3) | instid1(VALU_DEP_4)
	v_mov_b32_e32 v7, v9
	v_mov_b32_e32 v9, v19
	v_cmp_gt_i32_e64 s1, s6, v14
	v_mad_u64_u32 v[14:15], null, s25, v62, v[3:4]
	v_mad_u64_u32 v[15:16], null, s25, v17, v[7:8]
	s_delay_alu instid0(VALU_DEP_4)
	v_mad_u64_u32 v[16:17], null, s25, v20, v[9:10]
	v_lshlrev_b64 v[10:11], 3, v[4:5]
	v_lshlrev_b64 v[4:5], 5, v[0:1]
	v_mov_b32_e32 v7, v14
	v_add_co_u32 v3, s3, s26, v12
	v_mov_b32_e32 v9, v15
	v_mov_b32_e32 v19, v16
	;; [unrolled: 1-line block ×3, first 2 shown]
	v_add_co_ci_u32_e64 v64, s3, s27, v13, s3
	v_add_co_u32 v12, s3, s28, v4
	v_lshlrev_b64 v[14:15], 5, v[6:7]
	v_lshlrev_b64 v[16:17], 3, v[8:9]
	v_mov_b32_e32 v8, v1
	v_lshlrev_b64 v[18:19], 3, v[18:19]
	v_add_co_ci_u32_e64 v13, s3, s29, v5, s3
	v_mov_b32_e32 v0, v1
	v_mov_b32_e32 v5, v1
	v_mov_b32_e32 v4, v1
	v_mov_b32_e32 v7, v1
	v_mov_b32_e32 v6, v1
	v_mov_b32_e32 v9, v1
	s_branch .LBB295_22
.LBB295_18:                             ;   in Loop: Header=BB295_22 Depth=1
	s_or_b32 exec_lo, exec_lo, s35
	s_waitcnt vmcnt(2) lgkmcnt(2)
	v_dual_mul_f32 v52, v33, v51 :: v_dual_mul_f32 v53, v23, v49
	v_mul_f32_e32 v51, v32, v51
	s_waitcnt vmcnt(1) lgkmcnt(1)
	v_dual_mul_f32 v49, v22, v49 :: v_dual_mul_f32 v54, v21, v47
	s_delay_alu instid0(VALU_DEP_3)
	v_fma_f32 v52, v32, v50, -v52
	v_fma_f32 v53, v22, v48, -v53
	v_fmac_f32_e32 v51, v33, v50
	s_waitcnt vmcnt(0) lgkmcnt(0)
	v_dual_mul_f32 v47, v20, v47 :: v_dual_mul_f32 v50, v25, v45
	v_add_f32_e32 v4, v4, v52
	v_fmac_f32_e32 v49, v23, v48
	v_fma_f32 v48, v20, v46, -v54
	v_mul_f32_e32 v45, v24, v45
	s_delay_alu instid0(VALU_DEP_4) | instskip(SKIP_2) | instid1(VALU_DEP_4)
	v_dual_fmac_f32 v47, v21, v46 :: v_dual_add_f32 v4, v4, v53
	v_add_f32_e32 v5, v5, v51
	v_fma_f32 v46, v24, v44, -v50
	v_fmac_f32_e32 v45, v25, v44
	s_delay_alu instid0(VALU_DEP_3) | instskip(NEXT) | instid1(VALU_DEP_1)
	v_dual_add_f32 v4, v4, v48 :: v_dual_add_f32 v5, v5, v49
	v_dual_add_f32 v4, v4, v46 :: v_dual_add_f32 v5, v5, v47
	s_delay_alu instid0(VALU_DEP_1)
	v_add_f32_e32 v5, v5, v45
.LBB295_19:                             ;   in Loop: Header=BB295_22 Depth=1
	s_or_b32 exec_lo, exec_lo, s34
	s_waitcnt vmcnt(2) lgkmcnt(2)
	v_dual_mul_f32 v44, v33, v43 :: v_dual_mul_f32 v45, v23, v41
	v_mul_f32_e32 v43, v32, v43
	s_waitcnt vmcnt(1) lgkmcnt(1)
	v_dual_mul_f32 v41, v22, v41 :: v_dual_mul_f32 v46, v21, v39
	s_delay_alu instid0(VALU_DEP_3) | instskip(SKIP_2) | instid1(VALU_DEP_4)
	v_fma_f32 v44, v32, v42, -v44
	v_mul_f32_e32 v39, v20, v39
	v_fma_f32 v45, v22, v40, -v45
	v_fmac_f32_e32 v41, v23, v40
	v_fma_f32 v40, v20, v38, -v46
	v_dual_add_f32 v6, v6, v44 :: v_dual_fmac_f32 v43, v33, v42
	s_waitcnt vmcnt(0) lgkmcnt(0)
	v_mul_f32_e32 v42, v25, v37
	v_fmac_f32_e32 v39, v21, v38
	v_mul_f32_e32 v37, v24, v37
	v_dual_add_f32 v6, v6, v45 :: v_dual_add_f32 v7, v7, v43
	s_delay_alu instid0(VALU_DEP_4) | instskip(NEXT) | instid1(VALU_DEP_3)
	v_fma_f32 v38, v24, v36, -v42
	v_fmac_f32_e32 v37, v25, v36
	s_delay_alu instid0(VALU_DEP_3) | instskip(NEXT) | instid1(VALU_DEP_1)
	v_add_f32_e32 v6, v6, v40
	v_dual_add_f32 v6, v6, v38 :: v_dual_add_f32 v7, v7, v41
	s_delay_alu instid0(VALU_DEP_1) | instskip(NEXT) | instid1(VALU_DEP_1)
	v_add_f32_e32 v7, v7, v39
	v_add_f32_e32 v7, v7, v37
.LBB295_20:                             ;   in Loop: Header=BB295_22 Depth=1
	s_or_b32 exec_lo, exec_lo, s3
	s_waitcnt vmcnt(3) lgkmcnt(3)
	v_mul_f32_e32 v36, v33, v35
	s_waitcnt vmcnt(1) lgkmcnt(1)
	v_dual_mul_f32 v35, v32, v35 :: v_dual_mul_f32 v38, v21, v29
	v_mul_f32_e32 v29, v20, v29
	s_delay_alu instid0(VALU_DEP_3) | instskip(SKIP_1) | instid1(VALU_DEP_4)
	v_fma_f32 v32, v32, v34, -v36
	v_mul_f32_e32 v37, v23, v31
	v_fma_f32 v20, v20, v28, -v38
	s_delay_alu instid0(VALU_DEP_4) | instskip(NEXT) | instid1(VALU_DEP_4)
	v_fmac_f32_e32 v29, v21, v28
	v_dual_add_f32 v8, v8, v32 :: v_dual_mul_f32 v31, v22, v31
	s_delay_alu instid0(VALU_DEP_4) | instskip(NEXT) | instid1(VALU_DEP_1)
	v_fma_f32 v22, v22, v30, -v37
	v_add_f32_e32 v8, v8, v22
	v_fmac_f32_e32 v35, v33, v34
	s_delay_alu instid0(VALU_DEP_4) | instskip(SKIP_2) | instid1(VALU_DEP_3)
	v_fmac_f32_e32 v31, v23, v30
	s_waitcnt vmcnt(0) lgkmcnt(0)
	v_mul_f32_e32 v23, v24, v27
	v_dual_add_f32 v8, v8, v20 :: v_dual_add_f32 v9, v9, v35
	v_mul_f32_e32 v33, v25, v27
	s_delay_alu instid0(VALU_DEP_3) | instskip(NEXT) | instid1(VALU_DEP_3)
	v_fmac_f32_e32 v23, v25, v26
	v_add_f32_e32 v9, v9, v31
	s_delay_alu instid0(VALU_DEP_3) | instskip(NEXT) | instid1(VALU_DEP_2)
	v_fma_f32 v21, v24, v26, -v33
	v_add_f32_e32 v9, v9, v29
	s_delay_alu instid0(VALU_DEP_1)
	v_dual_add_f32 v8, v8, v21 :: v_dual_add_f32 v9, v9, v23
.LBB295_21:                             ;   in Loop: Header=BB295_22 Depth=1
	s_or_b32 exec_lo, exec_lo, s4
	v_add_nc_u32_e32 v63, 16, v63
	v_add_co_u32 v3, s3, v3, s8
	s_delay_alu instid0(VALU_DEP_1) | instskip(NEXT) | instid1(VALU_DEP_3)
	v_add_co_ci_u32_e64 v64, s3, s9, v64, s3
	v_cmp_le_i32_e64 s3, s30, v63
	v_add_co_u32 v12, s4, v12, s10
	s_delay_alu instid0(VALU_DEP_1) | instskip(NEXT) | instid1(VALU_DEP_3)
	v_add_co_ci_u32_e64 v13, s4, s11, v13, s4
	s_or_b32 s33, s3, s33
	s_delay_alu instid0(SALU_CYCLE_1)
	s_and_not1_b32 exec_lo, exec_lo, s33
	s_cbranch_execz .LBB295_27
.LBB295_22:                             ; =>This Inner Loop Header: Depth=1
	s_and_saveexec_b32 s4, vcc_lo
	s_cbranch_execz .LBB295_21
; %bb.23:                               ;   in Loop: Header=BB295_22 Depth=1
	v_add_co_u32 v20, s3, v12, s14
	s_delay_alu instid0(VALU_DEP_1) | instskip(NEXT) | instid1(VALU_DEP_2)
	v_add_co_ci_u32_e64 v21, s3, s15, v13, s3
	v_add_co_u32 v24, s3, v20, s14
	s_delay_alu instid0(VALU_DEP_1) | instskip(SKIP_4) | instid1(VALU_DEP_1)
	v_add_co_ci_u32_e64 v25, s3, s15, v21, s3
	s_clause 0x1
	flat_load_b64 v[22:23], v[20:21]
	flat_load_b64 v[20:21], v[24:25]
	v_add_co_u32 v24, s3, v24, s14
	v_add_co_ci_u32_e64 v25, s3, s15, v25, s3
	v_add_co_u32 v58, s3, v3, v14
	s_delay_alu instid0(VALU_DEP_1) | instskip(SKIP_1) | instid1(VALU_DEP_1)
	v_add_co_ci_u32_e64 v59, s3, v64, v15, s3
	v_add_co_u32 v56, s3, v3, v16
	v_add_co_ci_u32_e64 v57, s3, v64, v17, s3
	v_add_co_u32 v54, s3, v3, v18
	s_delay_alu instid0(VALU_DEP_1) | instskip(SKIP_1) | instid1(VALU_DEP_1)
	v_add_co_ci_u32_e64 v55, s3, v64, v19, s3
	v_add_co_u32 v52, s3, v3, v10
	v_add_co_ci_u32_e64 v53, s3, v64, v11, s3
	s_clause 0x1
	flat_load_b64 v[32:33], v[12:13]
	flat_load_b64 v[24:25], v[24:25]
	s_clause 0x3
	flat_load_b64 v[34:35], v[58:59]
	flat_load_b64 v[30:31], v[56:57]
	;; [unrolled: 1-line block ×4, first 2 shown]
	s_and_saveexec_b32 s3, s0
	s_cbranch_execz .LBB295_20
; %bb.24:                               ;   in Loop: Header=BB295_22 Depth=1
	s_clause 0x3
	flat_load_b64 v[42:43], v[58:59] offset:512
	flat_load_b64 v[40:41], v[56:57] offset:512
	flat_load_b64 v[38:39], v[54:55] offset:512
	flat_load_b64 v[36:37], v[52:53] offset:512
	s_and_saveexec_b32 s34, s1
	s_cbranch_execz .LBB295_19
; %bb.25:                               ;   in Loop: Header=BB295_22 Depth=1
	s_clause 0x3
	flat_load_b64 v[50:51], v[58:59] offset:1024
	flat_load_b64 v[48:49], v[56:57] offset:1024
	flat_load_b64 v[46:47], v[54:55] offset:1024
	flat_load_b64 v[44:45], v[52:53] offset:1024
	;; [unrolled: 8-line block ×3, first 2 shown]
	s_waitcnt vmcnt(2) lgkmcnt(2)
	v_dual_mul_f32 v65, v33, v59 :: v_dual_mul_f32 v66, v23, v57
	v_mul_f32_e32 v59, v32, v59
	s_delay_alu instid0(VALU_DEP_2)
	v_fma_f32 v65, v32, v58, -v65
	s_waitcnt vmcnt(1) lgkmcnt(1)
	v_mul_f32_e32 v67, v21, v55
	v_fma_f32 v66, v22, v56, -v66
	v_mul_f32_e32 v55, v20, v55
	v_add_f32_e32 v0, v0, v65
	v_mul_f32_e32 v57, v22, v57
	s_delay_alu instid0(VALU_DEP_3) | instskip(NEXT) | instid1(VALU_DEP_2)
	v_fmac_f32_e32 v55, v21, v54
	v_dual_add_f32 v0, v0, v66 :: v_dual_fmac_f32 v57, v23, v56
	v_fma_f32 v56, v20, v54, -v67
	v_fmac_f32_e32 v59, v33, v58
	s_waitcnt vmcnt(0) lgkmcnt(0)
	v_mul_f32_e32 v58, v25, v53
	v_mul_f32_e32 v53, v24, v53
	s_delay_alu instid0(VALU_DEP_3) | instskip(NEXT) | instid1(VALU_DEP_3)
	v_dual_add_f32 v0, v0, v56 :: v_dual_add_f32 v1, v1, v59
	v_fma_f32 v54, v24, v52, -v58
	s_delay_alu instid0(VALU_DEP_1) | instskip(NEXT) | instid1(VALU_DEP_3)
	v_dual_fmac_f32 v53, v25, v52 :: v_dual_add_f32 v0, v0, v54
	v_add_f32_e32 v1, v1, v57
	s_delay_alu instid0(VALU_DEP_1) | instskip(NEXT) | instid1(VALU_DEP_1)
	v_add_f32_e32 v1, v1, v55
	v_add_f32_e32 v1, v1, v53
	s_branch .LBB295_18
.LBB295_27:
	s_or_b32 exec_lo, exec_lo, s33
.LBB295_28:
	s_delay_alu instid0(SALU_CYCLE_1) | instskip(SKIP_1) | instid1(SALU_CYCLE_1)
	s_or_b32 exec_lo, exec_lo, s31
	s_sub_i32 s0, s7, s30
	s_cmp_lt_i32 s0, 1
	s_cbranch_scc1 .LBB295_46
; %bb.29:
	v_cmp_gt_i32_e32 vcc_lo, s7, v63
	v_dual_mov_b32 v10, 0 :: v_dual_mov_b32 v11, 0
	v_or_b32_e32 v18, 1, v63
	v_dual_mov_b32 v12, 0 :: v_dual_mov_b32 v13, 0
	v_dual_mov_b32 v14, 0 :: v_dual_mov_b32 v15, 0
	;; [unrolled: 1-line block ×3, first 2 shown]
	s_and_saveexec_b32 s1, vcc_lo
	s_cbranch_execz .LBB295_37
; %bb.30:
	v_mad_u64_u32 v[10:11], null, v63, s20, 0
	v_dual_mov_b32 v17, 0 :: v_dual_mov_b32 v14, 0
	v_mov_b32_e32 v15, 0
	v_mov_b32_e32 v13, 0
	s_mov_b32 s2, exec_lo
	s_delay_alu instid0(VALU_DEP_4) | instskip(NEXT) | instid1(VALU_DEP_1)
	v_dual_mov_b32 v16, 0 :: v_dual_mov_b32 v3, v11
	v_mad_u64_u32 v[11:12], null, v63, s21, v[3:4]
	v_mov_b32_e32 v12, 0
	s_delay_alu instid0(VALU_DEP_2) | instskip(NEXT) | instid1(VALU_DEP_1)
	v_lshlrev_b64 v[10:11], 3, v[10:11]
	v_add_co_u32 v10, s0, s28, v10
	s_delay_alu instid0(VALU_DEP_1)
	v_add_co_ci_u32_e64 v11, s0, s29, v11, s0
	flat_load_b64 v[10:11], v[10:11]
	v_cmpx_gt_i32_e64 s7, v18
	s_cbranch_execz .LBB295_36
; %bb.31:
	v_mad_u64_u32 v[12:13], null, v18, s20, 0
	v_mov_b32_e32 v17, 0
	v_mov_b32_e32 v15, 0
	s_mov_b32 s3, exec_lo
	s_delay_alu instid0(VALU_DEP_3) | instskip(NEXT) | instid1(VALU_DEP_1)
	v_dual_mov_b32 v16, 0 :: v_dual_mov_b32 v3, v13
	v_mad_u64_u32 v[13:14], null, v18, s21, v[3:4]
	v_or_b32_e32 v3, 2, v63
	v_mov_b32_e32 v14, 0
	s_delay_alu instid0(VALU_DEP_3) | instskip(NEXT) | instid1(VALU_DEP_1)
	v_lshlrev_b64 v[12:13], 3, v[12:13]
	v_add_co_u32 v12, s0, s28, v12
	s_delay_alu instid0(VALU_DEP_1)
	v_add_co_ci_u32_e64 v13, s0, s29, v13, s0
	flat_load_b64 v[12:13], v[12:13]
	v_cmpx_gt_i32_e64 s7, v3
	s_cbranch_execz .LBB295_35
; %bb.32:
	v_mad_u64_u32 v[14:15], null, v3, s20, 0
	s_mov_b32 s4, exec_lo
	s_delay_alu instid0(VALU_DEP_1) | instskip(SKIP_2) | instid1(VALU_DEP_3)
	v_mad_u64_u32 v[16:17], null, v3, s21, v[15:16]
	v_or_b32_e32 v3, 3, v63
	v_mov_b32_e32 v17, 0
	v_dual_mov_b32 v15, v16 :: v_dual_mov_b32 v16, 0
	s_delay_alu instid0(VALU_DEP_1) | instskip(NEXT) | instid1(VALU_DEP_1)
	v_lshlrev_b64 v[14:15], 3, v[14:15]
	v_add_co_u32 v14, s0, s28, v14
	s_delay_alu instid0(VALU_DEP_1)
	v_add_co_ci_u32_e64 v15, s0, s29, v15, s0
	flat_load_b64 v[14:15], v[14:15]
	v_cmpx_gt_i32_e64 s7, v3
	s_cbranch_execz .LBB295_34
; %bb.33:
	v_mad_u64_u32 v[16:17], null, v3, s20, 0
	s_delay_alu instid0(VALU_DEP_1) | instskip(NEXT) | instid1(VALU_DEP_1)
	v_mad_u64_u32 v[19:20], null, v3, s21, v[17:18]
	v_mov_b32_e32 v17, v19
	s_delay_alu instid0(VALU_DEP_1) | instskip(NEXT) | instid1(VALU_DEP_1)
	v_lshlrev_b64 v[16:17], 3, v[16:17]
	v_add_co_u32 v16, s0, s28, v16
	s_delay_alu instid0(VALU_DEP_1)
	v_add_co_ci_u32_e64 v17, s0, s29, v17, s0
	flat_load_b64 v[16:17], v[16:17]
.LBB295_34:
	s_or_b32 exec_lo, exec_lo, s4
.LBB295_35:
	s_delay_alu instid0(SALU_CYCLE_1)
	s_or_b32 exec_lo, exec_lo, s3
.LBB295_36:
	s_delay_alu instid0(SALU_CYCLE_1)
	s_or_b32 exec_lo, exec_lo, s2
.LBB295_37:
	s_delay_alu instid0(SALU_CYCLE_1) | instskip(NEXT) | instid1(SALU_CYCLE_1)
	s_or_b32 exec_lo, exec_lo, s1
	s_mov_b32 s1, exec_lo
	v_cmpx_gt_i32_e64 s6, v2
	s_cbranch_execz .LBB295_45
; %bb.38:
	v_mad_u64_u32 v[19:20], null, v63, s24, 0
	v_mad_u64_u32 v[21:22], null, v18, s24, 0
	v_ashrrev_i32_e32 v3, 31, v2
	v_or_b32_e32 v31, 2, v63
	v_or_b32_e32 v32, 3, v63
	v_cndmask_b32_e32 v19, 0, v19, vcc_lo
	s_delay_alu instid0(VALU_DEP_4)
	v_lshlrev_b64 v[26:27], 3, v[2:3]
	v_mad_u64_u32 v[23:24], null, v63, s25, v[20:21]
	v_mov_b32_e32 v3, v22
	v_mad_u64_u32 v[24:25], null, v31, s24, 0
	v_mad_u64_u32 v[28:29], null, v32, s24, 0
	v_cmp_gt_i32_e64 s0, s7, v31
	v_cndmask_b32_e32 v20, 0, v23, vcc_lo
	v_mad_u64_u32 v[22:23], null, v18, s25, v[3:4]
	v_cmp_gt_i32_e32 vcc_lo, s7, v18
	v_mov_b32_e32 v3, v25
	v_dual_mov_b32 v23, v29 :: v_dual_cndmask_b32 v18, 0, v21
	v_lshlrev_b64 v[20:21], 3, v[19:20]
	v_cndmask_b32_e32 v19, 0, v22, vcc_lo
	s_delay_alu instid0(VALU_DEP_4) | instskip(NEXT) | instid1(VALU_DEP_3)
	v_mad_u64_u32 v[29:30], null, v31, s25, v[3:4]
	v_add_co_u32 v3, vcc_lo, s26, v20
	s_delay_alu instid0(VALU_DEP_4) | instskip(NEXT) | instid1(VALU_DEP_4)
	v_add_co_ci_u32_e32 v22, vcc_lo, s27, v21, vcc_lo
	v_lshlrev_b64 v[20:21], 3, v[18:19]
	s_delay_alu instid0(VALU_DEP_3) | instskip(NEXT) | instid1(VALU_DEP_3)
	v_add_co_u32 v18, vcc_lo, v3, v26
	v_add_co_ci_u32_e32 v19, vcc_lo, v22, v27, vcc_lo
	v_cndmask_b32_e64 v22, 0, v24, s0
	s_delay_alu instid0(VALU_DEP_4)
	v_add_co_u32 v3, vcc_lo, s26, v20
	v_mad_u64_u32 v[24:25], null, v32, s25, v[23:24]
	v_add_co_ci_u32_e32 v21, vcc_lo, s27, v21, vcc_lo
	v_cmp_gt_i32_e32 vcc_lo, s7, v32
	v_cndmask_b32_e64 v23, 0, v29, s0
	v_add_co_u32 v20, s0, v3, v26
	s_delay_alu instid0(VALU_DEP_1)
	v_add_co_ci_u32_e64 v21, s0, v21, v27, s0
	v_cndmask_b32_e32 v28, 0, v28, vcc_lo
	v_cndmask_b32_e32 v29, 0, v24, vcc_lo
	v_lshlrev_b64 v[22:23], 3, v[22:23]
	s_clause 0x1
	flat_load_b64 v[30:31], v[18:19]
	flat_load_b64 v[32:33], v[20:21]
	s_mov_b32 s0, exec_lo
	v_lshlrev_b64 v[24:25], 3, v[28:29]
	v_add_co_u32 v3, vcc_lo, s26, v22
	v_add_co_ci_u32_e32 v22, vcc_lo, s27, v23, vcc_lo
	s_delay_alu instid0(VALU_DEP_3) | instskip(NEXT) | instid1(VALU_DEP_4)
	v_add_co_u32 v23, vcc_lo, s26, v24
	v_add_co_ci_u32_e32 v28, vcc_lo, s27, v25, vcc_lo
	s_delay_alu instid0(VALU_DEP_4) | instskip(NEXT) | instid1(VALU_DEP_4)
	v_add_co_u32 v24, vcc_lo, v3, v26
	v_add_co_ci_u32_e32 v25, vcc_lo, v22, v27, vcc_lo
	s_delay_alu instid0(VALU_DEP_4) | instskip(NEXT) | instid1(VALU_DEP_4)
	v_add_co_u32 v22, vcc_lo, v23, v26
	v_add_co_ci_u32_e32 v23, vcc_lo, v28, v27, vcc_lo
	s_clause 0x1
	flat_load_b64 v[26:27], v[24:25]
	flat_load_b64 v[28:29], v[22:23]
	s_waitcnt vmcnt(2) lgkmcnt(2)
	v_dual_mul_f32 v3, v11, v31 :: v_dual_mul_f32 v34, v13, v33
	v_mul_f32_e32 v33, v12, v33
	s_delay_alu instid0(VALU_DEP_2) | instskip(NEXT) | instid1(VALU_DEP_1)
	v_fma_f32 v3, v10, v30, -v3
	v_dual_fmac_f32 v33, v13, v32 :: v_dual_add_f32 v8, v8, v3
	v_mul_f32_e32 v31, v10, v31
	s_delay_alu instid0(VALU_DEP_1) | instskip(SKIP_1) | instid1(VALU_DEP_2)
	v_fmac_f32_e32 v31, v11, v30
	v_fma_f32 v30, v12, v32, -v34
	v_add_f32_e32 v9, v9, v31
	s_waitcnt vmcnt(1) lgkmcnt(1)
	v_dual_mul_f32 v32, v15, v27 :: v_dual_add_nc_u32 v31, 64, v2
	s_waitcnt vmcnt(0) lgkmcnt(0)
	v_dual_mul_f32 v27, v14, v27 :: v_dual_mul_f32 v34, v17, v29
	v_mul_f32_e32 v3, v16, v29
	s_delay_alu instid0(VALU_DEP_3) | instskip(NEXT) | instid1(VALU_DEP_3)
	v_fma_f32 v29, v14, v26, -v32
	v_fmac_f32_e32 v27, v15, v26
	v_add_f32_e32 v26, v8, v30
	v_add_f32_e32 v30, v9, v33
	v_fma_f32 v8, v16, v28, -v34
	v_fmac_f32_e32 v3, v17, v28
	s_delay_alu instid0(VALU_DEP_4) | instskip(NEXT) | instid1(VALU_DEP_4)
	v_add_f32_e32 v9, v26, v29
	v_add_f32_e32 v26, v30, v27
	v_cmpx_gt_i32_e64 s6, v31
	s_cbranch_execz .LBB295_44
; %bb.39:
	s_clause 0x3
	flat_load_b64 v[27:28], v[18:19] offset:512
	flat_load_b64 v[29:30], v[20:21] offset:512
	;; [unrolled: 1-line block ×4, first 2 shown]
	s_mov_b32 s2, exec_lo
	s_waitcnt vmcnt(2) lgkmcnt(2)
	v_dual_mul_f32 v35, v11, v28 :: v_dual_mul_f32 v36, v13, v30
	v_mul_f32_e32 v28, v10, v28
	s_waitcnt vmcnt(1) lgkmcnt(1)
	v_dual_mul_f32 v30, v12, v30 :: v_dual_mul_f32 v37, v15, v32
	s_delay_alu instid0(VALU_DEP_3) | instskip(SKIP_2) | instid1(VALU_DEP_4)
	v_fma_f32 v35, v10, v27, -v35
	v_fma_f32 v36, v12, v29, -v36
	v_mul_f32_e32 v32, v14, v32
	v_fmac_f32_e32 v30, v13, v29
	v_fma_f32 v29, v14, v31, -v37
	v_add_f32_e32 v6, v6, v35
	s_waitcnt vmcnt(0) lgkmcnt(0)
	v_dual_fmac_f32 v28, v11, v27 :: v_dual_mul_f32 v27, v17, v34
	s_delay_alu instid0(VALU_DEP_1) | instskip(NEXT) | instid1(VALU_DEP_1)
	v_dual_add_f32 v28, v7, v28 :: v_dual_mul_f32 v7, v16, v34
	v_dual_fmac_f32 v32, v15, v31 :: v_dual_fmac_f32 v7, v17, v33
	s_delay_alu instid0(VALU_DEP_2) | instskip(SKIP_2) | instid1(VALU_DEP_3)
	v_dual_add_f32 v31, v6, v36 :: v_dual_add_f32 v28, v28, v30
	v_add_nc_u32_e32 v30, 0x80, v2
	v_fma_f32 v6, v16, v33, -v27
	v_dual_add_f32 v27, v31, v29 :: v_dual_add_f32 v28, v28, v32
	s_delay_alu instid0(VALU_DEP_3)
	v_cmpx_gt_i32_e64 s6, v30
	s_cbranch_execz .LBB295_43
; %bb.40:
	s_clause 0x3
	flat_load_b64 v[29:30], v[18:19] offset:1024
	flat_load_b64 v[31:32], v[20:21] offset:1024
	;; [unrolled: 1-line block ×4, first 2 shown]
	s_mov_b32 s3, exec_lo
	s_waitcnt vmcnt(2) lgkmcnt(2)
	v_dual_mul_f32 v37, v11, v30 :: v_dual_mul_f32 v38, v13, v32
	v_mul_f32_e32 v30, v10, v30
	s_waitcnt vmcnt(1) lgkmcnt(1)
	v_dual_mul_f32 v32, v12, v32 :: v_dual_mul_f32 v39, v15, v34
	v_mul_f32_e32 v34, v14, v34
	v_fma_f32 v37, v10, v29, -v37
	v_fmac_f32_e32 v30, v11, v29
	v_fma_f32 v38, v12, v31, -v38
	s_waitcnt vmcnt(0) lgkmcnt(0)
	s_delay_alu instid0(VALU_DEP_3) | instskip(NEXT) | instid1(VALU_DEP_3)
	v_dual_mul_f32 v29, v17, v36 :: v_dual_add_f32 v4, v4, v37
	v_dual_add_f32 v30, v5, v30 :: v_dual_mul_f32 v5, v16, v36
	v_fmac_f32_e32 v34, v15, v33
	v_fmac_f32_e32 v32, v13, v31
	v_fma_f32 v31, v14, v33, -v39
	s_delay_alu instid0(VALU_DEP_4) | instskip(NEXT) | instid1(VALU_DEP_3)
	v_dual_add_f32 v4, v4, v38 :: v_dual_fmac_f32 v5, v17, v35
	v_add_f32_e32 v30, v30, v32
	v_add_nc_u32_e32 v32, 0xc0, v2
	v_fma_f32 v2, v16, v35, -v29
	s_delay_alu instid0(VALU_DEP_3) | instskip(NEXT) | instid1(VALU_DEP_3)
	v_dual_add_f32 v4, v4, v31 :: v_dual_add_f32 v29, v30, v34
	v_cmpx_gt_i32_e64 s6, v32
	s_cbranch_execz .LBB295_42
; %bb.41:
	s_clause 0x3
	flat_load_b64 v[18:19], v[18:19] offset:1536
	flat_load_b64 v[20:21], v[20:21] offset:1536
	;; [unrolled: 1-line block ×4, first 2 shown]
	s_waitcnt vmcnt(2) lgkmcnt(2)
	v_dual_mul_f32 v30, v11, v19 :: v_dual_mul_f32 v31, v13, v21
	s_waitcnt vmcnt(1) lgkmcnt(1)
	v_dual_mul_f32 v19, v10, v19 :: v_dual_mul_f32 v32, v15, v25
	s_delay_alu instid0(VALU_DEP_2) | instskip(SKIP_1) | instid1(VALU_DEP_3)
	v_fma_f32 v10, v10, v18, -v30
	v_mul_f32_e32 v25, v14, v25
	v_fmac_f32_e32 v19, v11, v18
	s_delay_alu instid0(VALU_DEP_3)
	v_add_f32_e32 v0, v0, v10
	s_waitcnt vmcnt(0) lgkmcnt(0)
	v_mul_f32_e32 v10, v16, v23
	v_mul_f32_e32 v21, v12, v21
	v_fma_f32 v12, v12, v20, -v31
	v_mul_f32_e32 v11, v17, v23
	v_add_f32_e32 v1, v1, v19
	v_fmac_f32_e32 v10, v17, v22
	s_delay_alu instid0(VALU_DEP_4) | instskip(SKIP_3) | instid1(VALU_DEP_2)
	v_add_f32_e32 v0, v0, v12
	v_fmac_f32_e32 v21, v13, v20
	v_fma_f32 v13, v14, v24, -v32
	v_fma_f32 v11, v16, v22, -v11
	v_dual_add_f32 v0, v0, v13 :: v_dual_fmac_f32 v25, v15, v24
	s_delay_alu instid0(VALU_DEP_1) | instskip(NEXT) | instid1(VALU_DEP_1)
	v_dual_add_f32 v1, v1, v21 :: v_dual_add_f32 v0, v0, v11
	v_add_f32_e32 v1, v1, v25
	s_delay_alu instid0(VALU_DEP_1)
	v_add_f32_e32 v1, v1, v10
.LBB295_42:
	s_or_b32 exec_lo, exec_lo, s3
	s_delay_alu instid0(VALU_DEP_2)
	v_dual_add_f32 v4, v4, v2 :: v_dual_add_f32 v5, v29, v5
.LBB295_43:
	s_or_b32 exec_lo, exec_lo, s2
	s_delay_alu instid0(VALU_DEP_2)
	v_dual_add_f32 v6, v27, v6 :: v_dual_add_f32 v7, v28, v7
.LBB295_44:
	s_or_b32 exec_lo, exec_lo, s0
	s_delay_alu instid0(VALU_DEP_2)
	v_dual_add_f32 v8, v9, v8 :: v_dual_add_f32 v9, v26, v3
.LBB295_45:
	s_or_b32 exec_lo, exec_lo, s1
.LBB295_46:
	v_lshlrev_b32_e32 v2, 8, v62
	s_mov_b32 s0, exec_lo
	s_delay_alu instid0(VALU_DEP_1)
	v_add_lshl_u32 v2, v2, v61, 3
	ds_store_2addr_stride64_b64 v2, v[8:9], v[6:7] offset1:1
	ds_store_2addr_stride64_b64 v2, v[4:5], v[0:1] offset0:2 offset1:3
	s_waitcnt vmcnt(0) lgkmcnt(0)
	s_waitcnt_vscnt null, 0x0
	s_barrier
	buffer_gl0_inv
	v_cmpx_gt_u32_e32 0x100, v60
	s_cbranch_execz .LBB295_51
; %bb.47:
	v_lshlrev_b32_e32 v8, 3, v60
	ds_load_2addr_stride64_b64 v[0:3], v8 offset1:4
	ds_load_2addr_stride64_b64 v[4:7], v8 offset0:8 offset1:12
	s_waitcnt lgkmcnt(1)
	v_dual_add_f32 v1, v1, v3 :: v_dual_add_f32 v0, v0, v2
	s_waitcnt lgkmcnt(0)
	s_delay_alu instid0(VALU_DEP_1) | instskip(SKIP_1) | instid1(VALU_DEP_2)
	v_dual_add_f32 v1, v1, v5 :: v_dual_add_f32 v2, v0, v4
	v_or_b32_e32 v0, s23, v60
	v_dual_add_f32 v3, v1, v7 :: v_dual_add_f32 v2, v2, v6
	s_delay_alu instid0(VALU_DEP_2)
	v_cmp_gt_i32_e32 vcc_lo, s6, v0
	ds_store_b64 v8, v[2:3]
	s_and_b32 exec_lo, exec_lo, vcc_lo
	s_cbranch_execz .LBB295_51
; %bb.48:
	v_ashrrev_i32_e32 v1, 31, v0
	v_mul_lo_u32 v6, v0, s19
	v_mad_u64_u32 v[4:5], null, v0, s18, 0
	v_cmp_neq_f32_e64 s0, s12, 0
	s_delay_alu instid0(VALU_DEP_4) | instskip(SKIP_1) | instid1(VALU_DEP_1)
	v_mul_lo_u32 v1, v1, s18
	v_cmp_neq_f32_e64 s1, s13, 0
	s_or_b32 s0, s0, s1
	s_delay_alu instid0(SALU_CYCLE_1) | instskip(NEXT) | instid1(VALU_DEP_2)
	s_and_not1_b32 vcc_lo, exec_lo, s0
	v_add3_u32 v5, v5, v6, v1
	v_mul_f32_e32 v1, s16, v3
	v_mul_f32_e32 v0, s17, v3
	s_delay_alu instid0(VALU_DEP_3) | instskip(NEXT) | instid1(VALU_DEP_3)
	v_lshlrev_b64 v[3:4], 3, v[4:5]
	v_fmac_f32_e32 v1, s17, v2
	s_delay_alu instid0(VALU_DEP_3)
	v_fma_f32 v0, v2, s16, -v0
	s_cbranch_vccnz .LBB295_50
; %bb.49:
	s_delay_alu instid0(VALU_DEP_3) | instskip(NEXT) | instid1(VALU_DEP_4)
	v_add_co_u32 v5, vcc_lo, s5, v3
	v_add_co_ci_u32_e32 v6, vcc_lo, s22, v4, vcc_lo
	global_load_b64 v[5:6], v[5:6], off
	s_waitcnt vmcnt(0)
	v_mul_f32_e32 v2, s13, v6
	v_mul_f32_e32 v6, s12, v6
	s_delay_alu instid0(VALU_DEP_2) | instskip(NEXT) | instid1(VALU_DEP_2)
	v_fma_f32 v2, s12, v5, -v2
	v_fmac_f32_e32 v6, s13, v5
	s_delay_alu instid0(VALU_DEP_2) | instskip(NEXT) | instid1(VALU_DEP_2)
	v_add_f32_e32 v0, v0, v2
	v_add_f32_e32 v1, v1, v6
.LBB295_50:
	s_delay_alu instid0(VALU_DEP_3) | instskip(NEXT) | instid1(VALU_DEP_4)
	v_add_co_u32 v2, vcc_lo, s5, v3
	v_add_co_ci_u32_e32 v3, vcc_lo, s22, v4, vcc_lo
	global_store_b64 v[2:3], v[0:1], off
.LBB295_51:
	s_nop 0
	s_sendmsg sendmsg(MSG_DEALLOC_VGPRS)
	s_endpgm
	.section	.rodata,"a",@progbits
	.p2align	6, 0x0
	.amdhsa_kernel _ZL20rocblas_gemvn_kernelILi64ELi4ElPK19rocblas_complex_numIfES3_KPS1_EviiT3_lPKT2_lT1_lS9_lSA_lS6_lPT4_lSA_li
		.amdhsa_group_segment_fixed_size 8192
		.amdhsa_private_segment_fixed_size 0
		.amdhsa_kernarg_size 400
		.amdhsa_user_sgpr_count 14
		.amdhsa_user_sgpr_dispatch_ptr 0
		.amdhsa_user_sgpr_queue_ptr 0
		.amdhsa_user_sgpr_kernarg_segment_ptr 1
		.amdhsa_user_sgpr_dispatch_id 0
		.amdhsa_user_sgpr_private_segment_size 0
		.amdhsa_wavefront_size32 1
		.amdhsa_uses_dynamic_stack 0
		.amdhsa_enable_private_segment 0
		.amdhsa_system_sgpr_workgroup_id_x 1
		.amdhsa_system_sgpr_workgroup_id_y 0
		.amdhsa_system_sgpr_workgroup_id_z 1
		.amdhsa_system_sgpr_workgroup_info 0
		.amdhsa_system_vgpr_workitem_id 1
		.amdhsa_next_free_vgpr 68
		.amdhsa_next_free_sgpr 36
		.amdhsa_reserve_vcc 1
		.amdhsa_float_round_mode_32 0
		.amdhsa_float_round_mode_16_64 0
		.amdhsa_float_denorm_mode_32 3
		.amdhsa_float_denorm_mode_16_64 3
		.amdhsa_dx10_clamp 1
		.amdhsa_ieee_mode 1
		.amdhsa_fp16_overflow 0
		.amdhsa_workgroup_processor_mode 1
		.amdhsa_memory_ordered 1
		.amdhsa_forward_progress 0
		.amdhsa_shared_vgpr_count 0
		.amdhsa_exception_fp_ieee_invalid_op 0
		.amdhsa_exception_fp_denorm_src 0
		.amdhsa_exception_fp_ieee_div_zero 0
		.amdhsa_exception_fp_ieee_overflow 0
		.amdhsa_exception_fp_ieee_underflow 0
		.amdhsa_exception_fp_ieee_inexact 0
		.amdhsa_exception_int_div_zero 0
	.end_amdhsa_kernel
	.section	.text._ZL20rocblas_gemvn_kernelILi64ELi4ElPK19rocblas_complex_numIfES3_KPS1_EviiT3_lPKT2_lT1_lS9_lSA_lS6_lPT4_lSA_li,"axG",@progbits,_ZL20rocblas_gemvn_kernelILi64ELi4ElPK19rocblas_complex_numIfES3_KPS1_EviiT3_lPKT2_lT1_lS9_lSA_lS6_lPT4_lSA_li,comdat
.Lfunc_end295:
	.size	_ZL20rocblas_gemvn_kernelILi64ELi4ElPK19rocblas_complex_numIfES3_KPS1_EviiT3_lPKT2_lT1_lS9_lSA_lS6_lPT4_lSA_li, .Lfunc_end295-_ZL20rocblas_gemvn_kernelILi64ELi4ElPK19rocblas_complex_numIfES3_KPS1_EviiT3_lPKT2_lT1_lS9_lSA_lS6_lPT4_lSA_li
                                        ; -- End function
	.section	.AMDGPU.csdata,"",@progbits
; Kernel info:
; codeLenInByte = 4100
; NumSgprs: 38
; NumVgprs: 68
; ScratchSize: 0
; MemoryBound: 0
; FloatMode: 240
; IeeeMode: 1
; LDSByteSize: 8192 bytes/workgroup (compile time only)
; SGPRBlocks: 4
; VGPRBlocks: 8
; NumSGPRsForWavesPerEU: 38
; NumVGPRsForWavesPerEU: 68
; Occupancy: 16
; WaveLimiterHint : 1
; COMPUTE_PGM_RSRC2:SCRATCH_EN: 0
; COMPUTE_PGM_RSRC2:USER_SGPR: 14
; COMPUTE_PGM_RSRC2:TRAP_HANDLER: 0
; COMPUTE_PGM_RSRC2:TGID_X_EN: 1
; COMPUTE_PGM_RSRC2:TGID_Y_EN: 0
; COMPUTE_PGM_RSRC2:TGID_Z_EN: 1
; COMPUTE_PGM_RSRC2:TIDIG_COMP_CNT: 1
	.section	.text._ZL20rocblas_gemvn_kernelILi64ELi4EiPK19rocblas_complex_numIfES1_KPS1_EviiT3_lPKT2_lT1_lS9_lSA_lS6_lPT4_lSA_li,"axG",@progbits,_ZL20rocblas_gemvn_kernelILi64ELi4EiPK19rocblas_complex_numIfES1_KPS1_EviiT3_lPKT2_lT1_lS9_lSA_lS6_lPT4_lSA_li,comdat
	.globl	_ZL20rocblas_gemvn_kernelILi64ELi4EiPK19rocblas_complex_numIfES1_KPS1_EviiT3_lPKT2_lT1_lS9_lSA_lS6_lPT4_lSA_li ; -- Begin function _ZL20rocblas_gemvn_kernelILi64ELi4EiPK19rocblas_complex_numIfES1_KPS1_EviiT3_lPKT2_lT1_lS9_lSA_lS6_lPT4_lSA_li
	.p2align	8
	.type	_ZL20rocblas_gemvn_kernelILi64ELi4EiPK19rocblas_complex_numIfES1_KPS1_EviiT3_lPKT2_lT1_lS9_lSA_lS6_lPT4_lSA_li,@function
_ZL20rocblas_gemvn_kernelILi64ELi4EiPK19rocblas_complex_numIfES1_KPS1_EviiT3_lPKT2_lT1_lS9_lSA_lS6_lPT4_lSA_li: ; @_ZL20rocblas_gemvn_kernelILi64ELi4EiPK19rocblas_complex_numIfES1_KPS1_EviiT3_lPKT2_lT1_lS9_lSA_lS6_lPT4_lSA_li
; %bb.0:
	s_load_b64 s[4:5], s[0:1], 0x9c
	s_waitcnt lgkmcnt(0)
	s_lshr_b32 s3, s4, 16
	s_and_b32 s4, s4, 0xffff
	s_and_b32 s5, s5, 0xffff
	s_mul_i32 s3, s3, s4
	s_delay_alu instid0(SALU_CYCLE_1) | instskip(NEXT) | instid1(SALU_CYCLE_1)
	s_mul_i32 s3, s3, s5
	s_cmpk_lg_i32 s3, 0x100
	s_cbranch_scc1 .LBB296_53
; %bb.1:
	s_clause 0x1
	s_load_b128 s[4:7], s[0:1], 0x0
	s_load_b64 s[8:9], s[0:1], 0x58
	s_mov_b32 s2, s15
	s_waitcnt lgkmcnt(0)
	v_cmp_neq_f32_e64 s3, s6, 0
	v_cmp_neq_f32_e64 s10, s7, 0
	s_delay_alu instid0(VALU_DEP_1) | instskip(NEXT) | instid1(SALU_CYCLE_1)
	s_or_b32 s3, s3, s10
	s_and_b32 vcc_lo, exec_lo, s3
	s_mov_b32 s3, -1
	s_cbranch_vccnz .LBB296_3
; %bb.2:
	v_cmp_neq_f32_e64 s3, s8, 1.0
	v_cmp_neq_f32_e64 s10, s9, 0
	s_delay_alu instid0(VALU_DEP_1)
	s_or_b32 s3, s3, s10
.LBB296_3:
	s_delay_alu instid0(SALU_CYCLE_1)
	s_and_not1_b32 vcc_lo, exec_lo, s3
	s_cbranch_vccnz .LBB296_53
; %bb.4:
	s_or_b32 s3, s6, s7
	s_delay_alu instid0(SALU_CYCLE_1) | instskip(NEXT) | instid1(SALU_CYCLE_1)
	s_bitset0_b32 s3, 31
	s_cmp_lg_u32 s3, 0
	s_cselect_b32 s12, -1, 0
	s_cmp_eq_u32 s3, 0
	s_mov_b32 s3, 0
	s_cselect_b32 s16, -1, 0
	s_and_b32 vcc_lo, exec_lo, s12
	s_cbranch_vccnz .LBB296_6
; %bb.5:
	s_mov_b64 s[10:11], 0
	s_and_not1_b32 vcc_lo, exec_lo, s3
	s_cbranch_vccz .LBB296_7
	s_branch .LBB296_8
.LBB296_6:
	s_mov_b32 s3, -1
                                        ; implicit-def: $sgpr10_sgpr11
.LBB296_7:
	s_load_b128 s[20:23], s[0:1], 0x18
	s_mov_b32 s3, 0
	s_delay_alu instid0(SALU_CYCLE_1)
	s_lshl_b64 s[10:11], s[2:3], 3
	s_waitcnt lgkmcnt(0)
	s_add_u32 s10, s20, s10
	s_addc_u32 s11, s21, s11
	s_lshl_b64 s[18:19], s[22:23], 3
	s_load_b64 s[10:11], s[10:11], 0x0
	s_waitcnt lgkmcnt(0)
	s_add_u32 s10, s10, s18
	s_addc_u32 s11, s11, s19
.LBB296_8:
	s_and_not1_b32 vcc_lo, exec_lo, s12
	s_mov_b64 s[12:13], 0
	s_cbranch_vccnz .LBB296_10
; %bb.9:
	s_load_b128 s[20:23], s[0:1], 0x38
	s_lshl_b64 s[12:13], s[2:3], 3
	s_waitcnt lgkmcnt(0)
	s_add_u32 s12, s20, s12
	s_addc_u32 s13, s21, s13
	s_lshl_b64 s[18:19], s[22:23], 3
	s_load_b64 s[12:13], s[12:13], 0x0
	s_waitcnt lgkmcnt(0)
	s_add_u32 s12, s12, s18
	s_addc_u32 s13, s13, s19
.LBB296_10:
	s_clause 0x1
	s_load_b128 s[20:23], s[0:1], 0x68
	s_load_b32 s18, s[0:1], 0x78
	s_lshl_b64 s[2:3], s[2:3], 3
	v_and_b32_e32 v1, 0x3ff, v0
	v_bfe_u32 v53, v0, 10, 10
	s_delay_alu instid0(VALU_DEP_1)
	v_lshl_add_u32 v0, v53, 6, v1
	s_waitcnt lgkmcnt(0)
	s_add_u32 s2, s20, s2
	s_addc_u32 s3, s21, s3
	s_lshl_b64 s[22:23], s[22:23], 3
	s_load_b64 s[20:21], s[2:3], 0x0
	v_cmp_gt_u32_e64 s2, 0x100, v0
	s_mov_b32 s3, -1
	s_waitcnt lgkmcnt(0)
	s_add_u32 s15, s20, s22
	s_addc_u32 s17, s21, s23
	s_and_not1_b32 vcc_lo, exec_lo, s16
	s_cbranch_vccnz .LBB296_17
; %bb.11:
	s_and_saveexec_b32 s3, s2
	s_cbranch_execz .LBB296_16
; %bb.12:
	v_lshl_or_b32 v2, s14, 8, v0
	v_mov_b32_e32 v3, 0
	s_ashr_i32 s21, s4, 31
	s_mov_b32 s20, s4
	s_delay_alu instid0(VALU_DEP_1) | instid1(SALU_CYCLE_1)
	v_cmp_gt_i64_e32 vcc_lo, s[20:21], v[2:3]
	s_and_b32 exec_lo, exec_lo, vcc_lo
	s_cbranch_execz .LBB296_16
; %bb.13:
	v_mad_u64_u32 v[4:5], null, s18, v2, 0
	s_ashr_i32 s19, s18, 31
	v_cmp_neq_f32_e64 s2, s8, 0
	v_cmp_neq_f32_e64 s16, s9, 0
	s_delay_alu instid0(VALU_DEP_3) | instskip(NEXT) | instid1(VALU_DEP_2)
	v_mad_u64_u32 v[6:7], null, s19, v2, v[5:6]
	s_or_b32 s2, s2, s16
	s_delay_alu instid0(SALU_CYCLE_1) | instskip(NEXT) | instid1(VALU_DEP_1)
	s_and_not1_b32 vcc_lo, exec_lo, s2
	v_dual_mov_b32 v5, v6 :: v_dual_mov_b32 v6, v3
	s_delay_alu instid0(VALU_DEP_1)
	v_lshlrev_b64 v[4:5], 3, v[4:5]
	s_cbranch_vccnz .LBB296_15
; %bb.14:
	s_delay_alu instid0(VALU_DEP_1) | instskip(NEXT) | instid1(VALU_DEP_2)
	v_add_co_u32 v2, vcc_lo, s15, v4
	v_add_co_ci_u32_e32 v3, vcc_lo, s17, v5, vcc_lo
	global_load_b64 v[2:3], v[2:3], off
	s_waitcnt vmcnt(0)
	v_mul_f32_e32 v6, s8, v3
	s_delay_alu instid0(VALU_DEP_1) | instskip(NEXT) | instid1(VALU_DEP_1)
	v_dual_mul_f32 v7, s9, v3 :: v_dual_fmac_f32 v6, s9, v2
	v_fma_f32 v3, s8, v2, -v7
.LBB296_15:
	s_delay_alu instid0(VALU_DEP_1) | instskip(NEXT) | instid1(VALU_DEP_2)
	v_add_co_u32 v7, vcc_lo, s15, v4
	v_add_co_ci_u32_e32 v8, vcc_lo, s17, v5, vcc_lo
	s_delay_alu instid0(VALU_DEP_3)
	v_mov_b32_e32 v5, v3
	global_store_b64 v[7:8], v[5:6], off
.LBB296_16:
	s_or_b32 exec_lo, exec_lo, s3
	s_mov_b32 s3, 0
.LBB296_17:
	s_delay_alu instid0(SALU_CYCLE_1)
	s_and_not1_b32 vcc_lo, exec_lo, s3
	s_cbranch_vccnz .LBB296_53
; %bb.18:
	s_clause 0x1
	s_load_b32 s19, s[0:1], 0x28
	s_load_b32 s16, s[0:1], 0x48
	s_ashr_i32 s2, s5, 31
	s_lshl_b32 s14, s14, 8
	s_lshr_b32 s0, s2, 28
	v_dual_mov_b32 v2, 0 :: v_dual_lshlrev_b32 v55, 2, v53
	v_dual_mov_b32 v3, 0 :: v_dual_add_nc_u32 v54, s14, v1
	v_dual_mov_b32 v5, 0 :: v_dual_mov_b32 v4, 0
	v_dual_mov_b32 v7, 0 :: v_dual_mov_b32 v6, 0
	;; [unrolled: 1-line block ×3, first 2 shown]
	s_add_i32 s0, s5, s0
	s_mov_b32 s21, exec_lo
	s_and_b32 s20, s0, -16
	s_delay_alu instid0(SALU_CYCLE_1)
	v_cmpx_gt_i32_e64 s20, v55
	s_cbranch_execz .LBB296_30
; %bb.19:
	s_waitcnt lgkmcnt(0)
	v_mul_lo_u32 v3, s19, v55
	v_add_nc_u32_e32 v2, 64, v54
	v_cmp_gt_i32_e32 vcc_lo, s4, v54
	s_lshl_b32 s22, s19, 4
	s_lshl_b32 s24, s16, 4
	s_mov_b32 s23, 0
	s_mov_b32 s25, 0
	s_delay_alu instid0(VALU_DEP_3) | instskip(SKIP_1) | instid1(VALU_DEP_1)
	v_add3_u32 v56, v3, s19, v1
	v_mul_lo_u32 v3, v53, s19
	v_lshl_add_u32 v57, v3, 2, v1
	v_mov_b32_e32 v3, 0
	v_add_nc_u32_e32 v5, 0xc0, v54
	v_add_nc_u32_e32 v4, 0x80, v54
	v_cmp_gt_i32_e64 s0, s4, v2
	s_delay_alu instid0(VALU_DEP_4) | instskip(NEXT) | instid1(VALU_DEP_4)
	v_dual_mov_b32 v7, v3 :: v_dual_add_nc_u32 v2, 2, v55
	v_cmp_gt_i32_e64 s2, s4, v5
	v_mul_lo_u32 v5, v53, s16
	v_mov_b32_e32 v6, v3
	s_delay_alu instid0(VALU_DEP_4)
	v_mad_u64_u32 v[10:11], null, s19, v2, v[1:2]
	v_mov_b32_e32 v9, v3
	v_mul_lo_u32 v58, s16, v2
	v_mov_b32_e32 v8, v3
	v_dual_mov_b32 v5, v3 :: v_dual_lshlrev_b32 v60, 2, v5
	v_cmp_gt_i32_e64 s1, s4, v4
	v_add_nc_u32_e32 v4, 3, v55
	s_delay_alu instid0(VALU_DEP_1)
	v_mad_u64_u32 v[11:12], null, s19, v4, v[1:2]
	v_mad_u64_u32 v[12:13], null, s16, v55, s[16:17]
	v_mul_lo_u32 v59, s16, v4
	v_mov_b32_e32 v2, v3
	v_mov_b32_e32 v4, v3
	s_branch .LBB296_24
.LBB296_20:                             ;   in Loop: Header=BB296_24 Depth=1
	s_or_b32 exec_lo, exec_lo, s28
	s_waitcnt vmcnt(3) lgkmcnt(3)
	v_mul_f32_e32 v45, v26, v44
	v_mul_f32_e32 v44, v25, v44
	s_waitcnt vmcnt(1) lgkmcnt(1)
	v_dual_mul_f32 v46, v22, v42 :: v_dual_mul_f32 v47, v16, v40
	v_mul_f32_e32 v42, v21, v42
	v_fma_f32 v45, v25, v43, -v45
	v_fmac_f32_e32 v44, v26, v43
	s_waitcnt vmcnt(0) lgkmcnt(0)
	v_mul_f32_e32 v43, v14, v38
	v_mul_f32_e32 v38, v13, v38
	v_fma_f32 v46, v21, v41, -v46
	v_dual_add_f32 v4, v4, v45 :: v_dual_add_f32 v5, v5, v44
	s_delay_alu instid0(VALU_DEP_3) | instskip(SKIP_4) | instid1(VALU_DEP_3)
	v_fmac_f32_e32 v38, v14, v37
	v_fmac_f32_e32 v42, v22, v41
	v_mul_f32_e32 v40, v15, v40
	v_fma_f32 v41, v15, v39, -v47
	v_add_f32_e32 v4, v4, v46
	v_dual_add_f32 v5, v5, v42 :: v_dual_fmac_f32 v40, v16, v39
	v_fma_f32 v39, v13, v37, -v43
	s_delay_alu instid0(VALU_DEP_2) | instskip(NEXT) | instid1(VALU_DEP_1)
	v_dual_add_f32 v4, v4, v41 :: v_dual_add_f32 v5, v5, v40
	v_dual_add_f32 v4, v4, v39 :: v_dual_add_f32 v5, v5, v38
.LBB296_21:                             ;   in Loop: Header=BB296_24 Depth=1
	s_or_b32 exec_lo, exec_lo, s27
	s_waitcnt vmcnt(3) lgkmcnt(3)
	v_mul_f32_e32 v37, v26, v36
	v_mul_f32_e32 v36, v25, v36
	s_waitcnt vmcnt(1) lgkmcnt(1)
	v_dual_mul_f32 v38, v22, v34 :: v_dual_mul_f32 v39, v16, v32
	v_mul_f32_e32 v34, v21, v34
	v_mul_f32_e32 v32, v15, v32
	v_fma_f32 v37, v25, v35, -v37
	s_delay_alu instid0(VALU_DEP_4) | instskip(NEXT) | instid1(VALU_DEP_3)
	v_fma_f32 v38, v21, v33, -v38
	v_fmac_f32_e32 v32, v16, v31
	v_fmac_f32_e32 v34, v22, v33
	;; [unrolled: 1-line block ×3, first 2 shown]
	v_add_f32_e32 v6, v6, v37
	s_waitcnt vmcnt(0) lgkmcnt(0)
	v_mul_f32_e32 v35, v14, v30
	v_mul_f32_e32 v30, v13, v30
	v_fma_f32 v33, v15, v31, -v39
	v_dual_add_f32 v7, v7, v36 :: v_dual_add_f32 v6, v6, v38
	s_delay_alu instid0(VALU_DEP_4) | instskip(NEXT) | instid1(VALU_DEP_2)
	v_fma_f32 v31, v13, v29, -v35
	v_dual_fmac_f32 v30, v14, v29 :: v_dual_add_f32 v7, v7, v34
	s_delay_alu instid0(VALU_DEP_1) | instskip(NEXT) | instid1(VALU_DEP_1)
	v_dual_add_f32 v6, v6, v33 :: v_dual_add_f32 v7, v7, v32
	v_dual_add_f32 v6, v6, v31 :: v_dual_add_f32 v7, v7, v30
.LBB296_22:                             ;   in Loop: Header=BB296_24 Depth=1
	s_or_b32 exec_lo, exec_lo, s3
	s_waitcnt vmcnt(3) lgkmcnt(3)
	v_mul_f32_e32 v29, v26, v28
	v_mul_f32_e32 v28, v25, v28
	s_waitcnt vmcnt(1) lgkmcnt(1)
	v_mul_f32_e32 v31, v16, v20
	v_mul_f32_e32 v20, v15, v20
	v_fma_f32 v25, v25, v27, -v29
	v_fmac_f32_e32 v28, v26, v27
	s_waitcnt vmcnt(0) lgkmcnt(0)
	v_mul_f32_e32 v26, v14, v18
	v_mul_f32_e32 v18, v13, v18
	v_fma_f32 v15, v15, v19, -v31
	v_dual_add_f32 v8, v8, v25 :: v_dual_add_f32 v9, v9, v28
	v_fmac_f32_e32 v20, v16, v19
	s_delay_alu instid0(VALU_DEP_4) | instskip(SKIP_3) | instid1(VALU_DEP_2)
	v_fmac_f32_e32 v18, v14, v17
	v_mul_f32_e32 v30, v22, v24
	v_mul_f32_e32 v24, v21, v24
	v_fma_f32 v13, v13, v17, -v26
	v_fmac_f32_e32 v24, v22, v23
	s_delay_alu instid0(VALU_DEP_1) | instskip(NEXT) | instid1(VALU_DEP_1)
	v_add_f32_e32 v9, v9, v24
	v_add_f32_e32 v9, v9, v20
	s_delay_alu instid0(VALU_DEP_1) | instskip(SKIP_1) | instid1(VALU_DEP_1)
	v_add_f32_e32 v9, v9, v18
	v_fma_f32 v21, v21, v23, -v30
	v_add_f32_e32 v8, v8, v21
	s_delay_alu instid0(VALU_DEP_1) | instskip(NEXT) | instid1(VALU_DEP_1)
	v_add_f32_e32 v8, v8, v15
	v_add_f32_e32 v8, v8, v13
.LBB296_23:                             ;   in Loop: Header=BB296_24 Depth=1
	s_or_b32 exec_lo, exec_lo, s26
	v_add_nc_u32_e32 v55, 16, v55
	v_add_nc_u32_e32 v56, s22, v56
	v_add_nc_u32_e32 v10, s22, v10
	v_add_nc_u32_e32 v11, s22, v11
	v_add_nc_u32_e32 v57, s22, v57
	v_cmp_le_i32_e64 s3, s20, v55
	s_add_i32 s25, s25, s24
	s_delay_alu instid0(VALU_DEP_1) | instskip(NEXT) | instid1(SALU_CYCLE_1)
	s_or_b32 s23, s3, s23
	s_and_not1_b32 exec_lo, exec_lo, s23
	s_cbranch_execz .LBB296_29
.LBB296_24:                             ; =>This Inner Loop Header: Depth=1
	s_and_saveexec_b32 s26, vcc_lo
	s_cbranch_execz .LBB296_23
; %bb.25:                               ;   in Loop: Header=BB296_24 Depth=1
	v_add_nc_u32_e32 v13, s25, v60
	v_add_nc_u32_e32 v15, s25, v12
	;; [unrolled: 1-line block ×5, first 2 shown]
	v_ashrrev_i32_e32 v14, 31, v13
	v_ashrrev_i32_e32 v16, 31, v15
	;; [unrolled: 1-line block ×4, first 2 shown]
	v_add_nc_u32_e32 v23, s14, v56
	v_lshlrev_b64 v[13:14], 3, v[13:14]
	v_lshlrev_b64 v[15:16], 3, v[15:16]
	;; [unrolled: 1-line block ×3, first 2 shown]
	v_ashrrev_i32_e32 v22, 31, v21
	v_lshlrev_b64 v[19:20], 3, v[19:20]
	v_ashrrev_i32_e32 v24, 31, v23
	v_add_co_u32 v13, s3, s12, v13
	s_delay_alu instid0(VALU_DEP_1)
	v_add_co_ci_u32_e64 v14, s3, s13, v14, s3
	v_add_co_u32 v15, s3, s12, v15
	v_add_nc_u32_e32 v25, s14, v10
	v_add_co_ci_u32_e64 v16, s3, s13, v16, s3
	v_add_co_u32 v17, s3, s12, v17
	v_lshlrev_b64 v[21:22], 3, v[21:22]
	v_add_nc_u32_e32 v27, s14, v11
	v_add_co_ci_u32_e64 v18, s3, s13, v18, s3
	v_add_co_u32 v19, s3, s12, v19
	v_lshlrev_b64 v[23:24], 3, v[23:24]
	v_ashrrev_i32_e32 v26, 31, v25
	v_add_co_ci_u32_e64 v20, s3, s13, v20, s3
	v_add_co_u32 v51, s3, s10, v21
	v_ashrrev_i32_e32 v28, 31, v27
	v_add_co_ci_u32_e64 v52, s3, s11, v22, s3
	v_lshlrev_b64 v[21:22], 3, v[25:26]
	v_add_co_u32 v49, s3, s10, v23
	s_delay_alu instid0(VALU_DEP_1) | instskip(SKIP_1) | instid1(VALU_DEP_4)
	v_add_co_ci_u32_e64 v50, s3, s11, v24, s3
	v_lshlrev_b64 v[23:24], 3, v[27:28]
	v_add_co_u32 v47, s3, s10, v21
	s_delay_alu instid0(VALU_DEP_1) | instskip(NEXT) | instid1(VALU_DEP_3)
	v_add_co_ci_u32_e64 v48, s3, s11, v22, s3
	v_add_co_u32 v45, s3, s10, v23
	s_delay_alu instid0(VALU_DEP_1)
	v_add_co_ci_u32_e64 v46, s3, s11, v24, s3
	s_clause 0x3
	flat_load_b64 v[25:26], v[13:14]
	flat_load_b64 v[21:22], v[15:16]
	;; [unrolled: 1-line block ×4, first 2 shown]
	s_clause 0x3
	flat_load_b64 v[27:28], v[51:52]
	flat_load_b64 v[23:24], v[49:50]
	;; [unrolled: 1-line block ×4, first 2 shown]
	s_and_saveexec_b32 s3, s0
	s_cbranch_execz .LBB296_22
; %bb.26:                               ;   in Loop: Header=BB296_24 Depth=1
	s_clause 0x3
	flat_load_b64 v[35:36], v[51:52] offset:512
	flat_load_b64 v[33:34], v[49:50] offset:512
	flat_load_b64 v[31:32], v[47:48] offset:512
	flat_load_b64 v[29:30], v[45:46] offset:512
	s_and_saveexec_b32 s27, s1
	s_cbranch_execz .LBB296_21
; %bb.27:                               ;   in Loop: Header=BB296_24 Depth=1
	s_clause 0x3
	flat_load_b64 v[43:44], v[51:52] offset:1024
	flat_load_b64 v[41:42], v[49:50] offset:1024
	flat_load_b64 v[39:40], v[47:48] offset:1024
	flat_load_b64 v[37:38], v[45:46] offset:1024
	;; [unrolled: 8-line block ×3, first 2 shown]
	s_waitcnt vmcnt(3) lgkmcnt(3)
	v_mul_f32_e32 v61, v26, v52
	v_mul_f32_e32 v52, v25, v52
	s_waitcnt vmcnt(1) lgkmcnt(1)
	v_dual_mul_f32 v62, v22, v50 :: v_dual_mul_f32 v63, v16, v48
	v_mul_f32_e32 v50, v21, v50
	v_mul_f32_e32 v48, v15, v48
	v_fma_f32 v61, v25, v51, -v61
	s_delay_alu instid0(VALU_DEP_4) | instskip(NEXT) | instid1(VALU_DEP_4)
	v_fma_f32 v62, v21, v49, -v62
	v_fmac_f32_e32 v50, v22, v49
	v_fmac_f32_e32 v52, v26, v51
	s_waitcnt vmcnt(0) lgkmcnt(0)
	v_mul_f32_e32 v51, v14, v46
	v_mul_f32_e32 v46, v13, v46
	v_fma_f32 v49, v15, v47, -v63
	s_delay_alu instid0(VALU_DEP_2) | instskip(SKIP_2) | instid1(VALU_DEP_3)
	v_dual_add_f32 v3, v3, v52 :: v_dual_fmac_f32 v46, v14, v45
	v_fmac_f32_e32 v48, v16, v47
	v_fma_f32 v47, v13, v45, -v51
	v_dual_add_f32 v3, v3, v50 :: v_dual_add_f32 v2, v2, v61
	s_delay_alu instid0(VALU_DEP_1) | instskip(NEXT) | instid1(VALU_DEP_1)
	v_dual_add_f32 v3, v3, v48 :: v_dual_add_f32 v2, v2, v62
	v_dual_add_f32 v3, v3, v46 :: v_dual_add_f32 v2, v2, v49
	s_delay_alu instid0(VALU_DEP_1)
	v_add_f32_e32 v2, v2, v47
	s_branch .LBB296_20
.LBB296_29:
	s_or_b32 exec_lo, exec_lo, s23
.LBB296_30:
	s_delay_alu instid0(SALU_CYCLE_1) | instskip(SKIP_1) | instid1(SALU_CYCLE_1)
	s_or_b32 exec_lo, exec_lo, s21
	s_sub_i32 s0, s5, s20
	s_cmp_lt_i32 s0, 1
	s_cbranch_scc1 .LBB296_48
; %bb.31:
	v_cmp_gt_i32_e32 vcc_lo, s5, v55
	v_dual_mov_b32 v10, 0 :: v_dual_mov_b32 v11, 0
	v_or_b32_e32 v18, 1, v55
	v_dual_mov_b32 v12, 0 :: v_dual_mov_b32 v13, 0
	v_dual_mov_b32 v14, 0 :: v_dual_mov_b32 v15, 0
	;; [unrolled: 1-line block ×3, first 2 shown]
	s_and_saveexec_b32 s1, vcc_lo
	s_cbranch_execz .LBB296_39
; %bb.32:
	s_waitcnt lgkmcnt(0)
	v_mul_lo_u32 v10, v55, s16
	v_dual_mov_b32 v17, 0 :: v_dual_mov_b32 v16, 0
	v_dual_mov_b32 v15, 0 :: v_dual_mov_b32 v14, 0
	;; [unrolled: 1-line block ×3, first 2 shown]
	s_mov_b32 s2, exec_lo
	s_delay_alu instid0(VALU_DEP_4) | instskip(NEXT) | instid1(VALU_DEP_1)
	v_ashrrev_i32_e32 v11, 31, v10
	v_lshlrev_b64 v[10:11], 3, v[10:11]
	s_delay_alu instid0(VALU_DEP_1) | instskip(NEXT) | instid1(VALU_DEP_1)
	v_add_co_u32 v10, s0, s12, v10
	v_add_co_ci_u32_e64 v11, s0, s13, v11, s0
	flat_load_b64 v[10:11], v[10:11]
	v_cmpx_gt_i32_e64 s5, v18
	s_cbranch_execz .LBB296_38
; %bb.33:
	v_mul_lo_u32 v12, v18, s16
	v_or_b32_e32 v19, 2, v55
	v_dual_mov_b32 v17, 0 :: v_dual_mov_b32 v16, 0
	v_dual_mov_b32 v15, 0 :: v_dual_mov_b32 v14, 0
	s_mov_b32 s3, exec_lo
	s_delay_alu instid0(VALU_DEP_4) | instskip(NEXT) | instid1(VALU_DEP_1)
	v_ashrrev_i32_e32 v13, 31, v12
	v_lshlrev_b64 v[12:13], 3, v[12:13]
	s_delay_alu instid0(VALU_DEP_1) | instskip(NEXT) | instid1(VALU_DEP_1)
	v_add_co_u32 v12, s0, s12, v12
	v_add_co_ci_u32_e64 v13, s0, s13, v13, s0
	flat_load_b64 v[12:13], v[12:13]
	v_cmpx_gt_i32_e64 s5, v19
	s_cbranch_execz .LBB296_37
; %bb.34:
	v_mul_lo_u32 v14, v19, s16
	v_or_b32_e32 v19, 3, v55
	v_dual_mov_b32 v17, 0 :: v_dual_mov_b32 v16, 0
	s_mov_b32 s20, exec_lo
	s_delay_alu instid0(VALU_DEP_3) | instskip(NEXT) | instid1(VALU_DEP_1)
	v_ashrrev_i32_e32 v15, 31, v14
	v_lshlrev_b64 v[14:15], 3, v[14:15]
	s_delay_alu instid0(VALU_DEP_1) | instskip(NEXT) | instid1(VALU_DEP_1)
	v_add_co_u32 v14, s0, s12, v14
	v_add_co_ci_u32_e64 v15, s0, s13, v15, s0
	flat_load_b64 v[14:15], v[14:15]
	v_cmpx_gt_i32_e64 s5, v19
	s_cbranch_execz .LBB296_36
; %bb.35:
	v_mul_lo_u32 v16, v19, s16
	s_delay_alu instid0(VALU_DEP_1) | instskip(NEXT) | instid1(VALU_DEP_1)
	v_ashrrev_i32_e32 v17, 31, v16
	v_lshlrev_b64 v[16:17], 3, v[16:17]
	s_delay_alu instid0(VALU_DEP_1) | instskip(NEXT) | instid1(VALU_DEP_1)
	v_add_co_u32 v16, s0, s12, v16
	v_add_co_ci_u32_e64 v17, s0, s13, v17, s0
	flat_load_b64 v[16:17], v[16:17]
.LBB296_36:
	s_or_b32 exec_lo, exec_lo, s20
.LBB296_37:
	s_delay_alu instid0(SALU_CYCLE_1)
	s_or_b32 exec_lo, exec_lo, s3
.LBB296_38:
	s_delay_alu instid0(SALU_CYCLE_1)
	s_or_b32 exec_lo, exec_lo, s2
.LBB296_39:
	s_delay_alu instid0(SALU_CYCLE_1) | instskip(NEXT) | instid1(SALU_CYCLE_1)
	s_or_b32 exec_lo, exec_lo, s1
	s_mov_b32 s1, exec_lo
	v_cmpx_gt_i32_e64 s4, v54
	s_cbranch_execz .LBB296_47
; %bb.40:
	s_waitcnt lgkmcnt(0)
	v_mul_lo_u32 v19, v55, s19
	v_mul_lo_u32 v20, v18, s19
	v_or_b32_e32 v21, 2, v55
	v_or_b32_e32 v22, 3, v55
	s_mov_b32 s0, exec_lo
	s_delay_alu instid0(VALU_DEP_2)
	v_mul_lo_u32 v23, v21, s19
	v_cndmask_b32_e32 v19, 0, v19, vcc_lo
	v_cmp_gt_i32_e32 vcc_lo, s5, v18
	v_mul_lo_u32 v24, v22, s19
	v_cndmask_b32_e32 v20, 0, v20, vcc_lo
	v_cmp_gt_i32_e32 vcc_lo, s5, v21
	v_add_nc_u32_e32 v18, v19, v54
	s_delay_alu instid0(VALU_DEP_3) | instskip(NEXT) | instid1(VALU_DEP_2)
	v_dual_cndmask_b32 v23, 0, v23 :: v_dual_add_nc_u32 v20, v20, v54
	v_ashrrev_i32_e32 v19, 31, v18
	v_cmp_gt_i32_e32 vcc_lo, s5, v22
	s_delay_alu instid0(VALU_DEP_3) | instskip(NEXT) | instid1(VALU_DEP_3)
	v_ashrrev_i32_e32 v21, 31, v20
	v_lshlrev_b64 v[18:19], 3, v[18:19]
	v_cndmask_b32_e32 v24, 0, v24, vcc_lo
	s_delay_alu instid0(VALU_DEP_3) | instskip(NEXT) | instid1(VALU_DEP_2)
	v_lshlrev_b64 v[20:21], 3, v[20:21]
	v_add_nc_u32_e32 v26, v24, v54
	s_delay_alu instid0(VALU_DEP_4) | instskip(SKIP_1) | instid1(VALU_DEP_4)
	v_add_co_u32 v24, vcc_lo, s10, v18
	v_add_co_ci_u32_e32 v25, vcc_lo, s11, v19, vcc_lo
	v_add_co_u32 v20, vcc_lo, s10, v20
	v_add_co_ci_u32_e32 v21, vcc_lo, s11, v21, vcc_lo
	s_clause 0x1
	flat_load_b64 v[28:29], v[24:25]
	flat_load_b64 v[30:31], v[20:21]
	s_waitcnt vmcnt(0) lgkmcnt(0)
	v_dual_mul_f32 v35, v13, v31 :: v_dual_add_nc_u32 v22, v23, v54
	v_dual_mul_f32 v31, v12, v31 :: v_dual_mul_f32 v34, v11, v29
	v_mul_f32_e32 v29, v10, v29
	s_delay_alu instid0(VALU_DEP_3) | instskip(NEXT) | instid1(VALU_DEP_3)
	v_ashrrev_i32_e32 v23, 31, v22
	v_fmac_f32_e32 v31, v13, v30
	s_delay_alu instid0(VALU_DEP_4) | instskip(NEXT) | instid1(VALU_DEP_4)
	v_fma_f32 v34, v10, v28, -v34
	v_fmac_f32_e32 v29, v11, v28
	v_ashrrev_i32_e32 v27, 31, v26
	v_lshlrev_b64 v[18:19], 3, v[22:23]
	v_fma_f32 v28, v12, v30, -v35
	s_delay_alu instid0(VALU_DEP_4) | instskip(NEXT) | instid1(VALU_DEP_4)
	v_dual_add_f32 v8, v8, v34 :: v_dual_add_f32 v29, v9, v29
	v_lshlrev_b64 v[26:27], 3, v[26:27]
	s_delay_alu instid0(VALU_DEP_4) | instskip(SKIP_1) | instid1(VALU_DEP_3)
	v_add_co_u32 v22, vcc_lo, s10, v18
	v_add_co_ci_u32_e32 v23, vcc_lo, s11, v19, vcc_lo
	v_add_co_u32 v18, vcc_lo, s10, v26
	s_delay_alu instid0(VALU_DEP_4)
	v_add_co_ci_u32_e32 v19, vcc_lo, s11, v27, vcc_lo
	s_clause 0x1
	flat_load_b64 v[26:27], v[22:23]
	flat_load_b64 v[32:33], v[18:19]
	s_waitcnt vmcnt(0) lgkmcnt(0)
	v_dual_mul_f32 v30, v15, v27 :: v_dual_mul_f32 v35, v17, v33
	v_mul_f32_e32 v27, v14, v27
	v_mul_f32_e32 v9, v16, v33
	s_delay_alu instid0(VALU_DEP_3) | instskip(NEXT) | instid1(VALU_DEP_3)
	v_fma_f32 v30, v14, v26, -v30
	v_dual_fmac_f32 v27, v15, v26 :: v_dual_add_f32 v26, v8, v28
	v_dual_add_f32 v28, v29, v31 :: v_dual_add_nc_u32 v29, 64, v54
	v_fma_f32 v8, v16, v32, -v35
	s_delay_alu instid0(VALU_DEP_3) | instskip(NEXT) | instid1(VALU_DEP_3)
	v_dual_fmac_f32 v9, v17, v32 :: v_dual_add_f32 v26, v26, v30
	v_add_f32_e32 v27, v28, v27
	s_delay_alu instid0(VALU_DEP_4)
	v_cmpx_gt_i32_e64 s4, v29
	s_cbranch_execz .LBB296_46
; %bb.41:
	s_clause 0x3
	flat_load_b64 v[28:29], v[24:25] offset:512
	flat_load_b64 v[30:31], v[20:21] offset:512
	;; [unrolled: 1-line block ×4, first 2 shown]
	s_mov_b32 s2, exec_lo
	s_waitcnt vmcnt(2) lgkmcnt(2)
	v_dual_mul_f32 v36, v11, v29 :: v_dual_mul_f32 v37, v13, v31
	v_mul_f32_e32 v29, v10, v29
	s_waitcnt vmcnt(1) lgkmcnt(1)
	v_dual_mul_f32 v31, v12, v31 :: v_dual_mul_f32 v38, v15, v33
	s_delay_alu instid0(VALU_DEP_3) | instskip(SKIP_1) | instid1(VALU_DEP_3)
	v_fma_f32 v36, v10, v28, -v36
	v_fma_f32 v37, v12, v30, -v37
	v_fmac_f32_e32 v31, v13, v30
	s_delay_alu instid0(VALU_DEP_4) | instskip(NEXT) | instid1(VALU_DEP_4)
	v_fma_f32 v30, v14, v32, -v38
	v_add_f32_e32 v6, v6, v36
	v_mul_f32_e32 v33, v14, v33
	s_waitcnt vmcnt(0) lgkmcnt(0)
	v_dual_fmac_f32 v29, v11, v28 :: v_dual_mul_f32 v28, v17, v35
	s_delay_alu instid0(VALU_DEP_2) | instskip(NEXT) | instid1(VALU_DEP_2)
	v_dual_fmac_f32 v33, v15, v32 :: v_dual_add_f32 v32, v6, v37
	v_add_f32_e32 v29, v7, v29
	v_mul_f32_e32 v7, v16, v35
	s_delay_alu instid0(VALU_DEP_4) | instskip(NEXT) | instid1(VALU_DEP_3)
	v_fma_f32 v6, v16, v34, -v28
	v_dual_add_f32 v28, v32, v30 :: v_dual_add_f32 v29, v29, v31
	v_add_nc_u32_e32 v31, 0x80, v54
	s_delay_alu instid0(VALU_DEP_4) | instskip(NEXT) | instid1(VALU_DEP_3)
	v_fmac_f32_e32 v7, v17, v34
	v_add_f32_e32 v29, v29, v33
	s_delay_alu instid0(VALU_DEP_3)
	v_cmpx_gt_i32_e64 s4, v31
	s_cbranch_execz .LBB296_45
; %bb.42:
	s_clause 0x3
	flat_load_b64 v[30:31], v[24:25] offset:1024
	flat_load_b64 v[32:33], v[20:21] offset:1024
	;; [unrolled: 1-line block ×4, first 2 shown]
	s_mov_b32 s3, exec_lo
	s_waitcnt vmcnt(2) lgkmcnt(2)
	v_dual_mul_f32 v38, v11, v31 :: v_dual_mul_f32 v39, v13, v33
	v_mul_f32_e32 v31, v10, v31
	s_waitcnt vmcnt(1) lgkmcnt(1)
	v_dual_mul_f32 v33, v12, v33 :: v_dual_mul_f32 v40, v15, v35
	s_delay_alu instid0(VALU_DEP_3) | instskip(SKIP_2) | instid1(VALU_DEP_4)
	v_fma_f32 v38, v10, v30, -v38
	v_mul_f32_e32 v35, v14, v35
	v_fma_f32 v39, v12, v32, -v39
	v_fmac_f32_e32 v33, v13, v32
	v_fma_f32 v32, v14, v34, -v40
	v_add_f32_e32 v4, v4, v38
	s_waitcnt vmcnt(0) lgkmcnt(0)
	v_dual_fmac_f32 v31, v11, v30 :: v_dual_mul_f32 v30, v17, v37
	s_delay_alu instid0(VALU_DEP_2) | instskip(NEXT) | instid1(VALU_DEP_2)
	v_dual_fmac_f32 v35, v15, v34 :: v_dual_add_f32 v34, v4, v39
	v_add_f32_e32 v31, v5, v31
	v_mul_f32_e32 v5, v16, v37
	s_delay_alu instid0(VALU_DEP_4) | instskip(NEXT) | instid1(VALU_DEP_3)
	v_fma_f32 v4, v16, v36, -v30
	v_dual_add_f32 v30, v34, v32 :: v_dual_add_f32 v31, v31, v33
	v_add_nc_u32_e32 v33, 0xc0, v54
	s_delay_alu instid0(VALU_DEP_4) | instskip(NEXT) | instid1(VALU_DEP_3)
	v_fmac_f32_e32 v5, v17, v36
	v_add_f32_e32 v31, v31, v35
	s_delay_alu instid0(VALU_DEP_3)
	v_cmpx_gt_i32_e64 s4, v33
	s_cbranch_execz .LBB296_44
; %bb.43:
	s_clause 0x3
	flat_load_b64 v[24:25], v[24:25] offset:1536
	flat_load_b64 v[20:21], v[20:21] offset:1536
	;; [unrolled: 1-line block ×4, first 2 shown]
	s_waitcnt vmcnt(3) lgkmcnt(3)
	v_mul_f32_e32 v32, v11, v25
	s_waitcnt vmcnt(1) lgkmcnt(1)
	v_dual_mul_f32 v25, v10, v25 :: v_dual_mul_f32 v34, v15, v23
	v_mul_f32_e32 v23, v14, v23
	s_delay_alu instid0(VALU_DEP_3) | instskip(SKIP_1) | instid1(VALU_DEP_4)
	v_fma_f32 v10, v10, v24, -v32
	v_mul_f32_e32 v33, v13, v21
	v_fmac_f32_e32 v25, v11, v24
	s_delay_alu instid0(VALU_DEP_4) | instskip(NEXT) | instid1(VALU_DEP_4)
	v_fmac_f32_e32 v23, v15, v22
	v_add_f32_e32 v2, v2, v10
	s_waitcnt vmcnt(0) lgkmcnt(0)
	v_mul_f32_e32 v10, v16, v19
	v_mul_f32_e32 v21, v12, v21
	v_fma_f32 v12, v12, v20, -v33
	s_delay_alu instid0(VALU_DEP_3) | instskip(NEXT) | instid1(VALU_DEP_2)
	v_dual_add_f32 v3, v3, v25 :: v_dual_fmac_f32 v10, v17, v18
	v_add_f32_e32 v2, v2, v12
	s_delay_alu instid0(VALU_DEP_4) | instskip(SKIP_1) | instid1(VALU_DEP_1)
	v_fmac_f32_e32 v21, v13, v20
	v_fma_f32 v13, v14, v22, -v34
	v_dual_mul_f32 v11, v17, v19 :: v_dual_add_f32 v2, v2, v13
	s_delay_alu instid0(VALU_DEP_1) | instskip(NEXT) | instid1(VALU_DEP_1)
	v_fma_f32 v11, v16, v18, -v11
	v_dual_add_f32 v2, v2, v11 :: v_dual_add_f32 v3, v3, v21
	s_delay_alu instid0(VALU_DEP_1) | instskip(NEXT) | instid1(VALU_DEP_1)
	v_add_f32_e32 v3, v3, v23
	v_add_f32_e32 v3, v3, v10
.LBB296_44:
	s_or_b32 exec_lo, exec_lo, s3
	s_delay_alu instid0(VALU_DEP_2)
	v_dual_add_f32 v4, v30, v4 :: v_dual_add_f32 v5, v31, v5
.LBB296_45:
	s_or_b32 exec_lo, exec_lo, s2
	s_delay_alu instid0(VALU_DEP_2)
	v_dual_add_f32 v6, v28, v6 :: v_dual_add_f32 v7, v29, v7
.LBB296_46:
	s_or_b32 exec_lo, exec_lo, s0
	s_delay_alu instid0(VALU_DEP_2)
	v_dual_add_f32 v8, v26, v8 :: v_dual_add_f32 v9, v27, v9
.LBB296_47:
	s_or_b32 exec_lo, exec_lo, s1
.LBB296_48:
	s_waitcnt vmcnt(0) lgkmcnt(0)
	v_lshlrev_b32_e32 v10, 8, v53
	s_mov_b32 s0, exec_lo
	s_delay_alu instid0(VALU_DEP_1)
	v_add_lshl_u32 v1, v10, v1, 3
	ds_store_2addr_stride64_b64 v1, v[8:9], v[6:7] offset1:1
	ds_store_2addr_stride64_b64 v1, v[4:5], v[2:3] offset0:2 offset1:3
	s_waitcnt lgkmcnt(0)
	s_waitcnt_vscnt null, 0x0
	s_barrier
	buffer_gl0_inv
	v_cmpx_gt_u32_e32 0x100, v0
	s_cbranch_execz .LBB296_53
; %bb.49:
	v_lshlrev_b32_e32 v9, 3, v0
	v_or_b32_e32 v0, s14, v0
	ds_load_2addr_stride64_b64 v[1:4], v9 offset1:4
	ds_load_2addr_stride64_b64 v[5:8], v9 offset0:8 offset1:12
	v_cmp_gt_i32_e32 vcc_lo, s4, v0
	s_waitcnt lgkmcnt(1)
	v_dual_add_f32 v1, v1, v3 :: v_dual_add_f32 v2, v2, v4
	s_waitcnt lgkmcnt(0)
	s_delay_alu instid0(VALU_DEP_1) | instskip(NEXT) | instid1(VALU_DEP_1)
	v_add_f32_e32 v1, v1, v5
	v_dual_add_f32 v3, v2, v6 :: v_dual_add_f32 v2, v1, v7
	s_delay_alu instid0(VALU_DEP_1)
	v_add_f32_e32 v3, v3, v8
	ds_store_b64 v9, v[2:3]
	s_and_b32 exec_lo, exec_lo, vcc_lo
	s_cbranch_execz .LBB296_53
; %bb.50:
	v_mul_lo_u32 v4, v0, s18
	v_mul_f32_e32 v1, s6, v3
	v_mul_f32_e32 v0, s7, v3
	v_cmp_neq_f32_e64 s0, s8, 0
	v_cmp_neq_f32_e64 s1, s9, 0
	s_delay_alu instid0(VALU_DEP_4) | instskip(NEXT) | instid1(VALU_DEP_4)
	v_fmac_f32_e32 v1, s7, v2
	v_fma_f32 v0, v2, s6, -v0
	v_ashrrev_i32_e32 v5, 31, v4
	s_delay_alu instid0(VALU_DEP_4) | instskip(NEXT) | instid1(SALU_CYCLE_1)
	s_or_b32 s0, s0, s1
	s_and_not1_b32 vcc_lo, exec_lo, s0
	s_delay_alu instid0(VALU_DEP_1)
	v_lshlrev_b64 v[3:4], 3, v[4:5]
	s_cbranch_vccnz .LBB296_52
; %bb.51:
	s_delay_alu instid0(VALU_DEP_1) | instskip(NEXT) | instid1(VALU_DEP_2)
	v_add_co_u32 v5, vcc_lo, s15, v3
	v_add_co_ci_u32_e32 v6, vcc_lo, s17, v4, vcc_lo
	global_load_b64 v[5:6], v[5:6], off
	s_waitcnt vmcnt(0)
	v_mul_f32_e32 v2, s9, v6
	v_mul_f32_e32 v6, s8, v6
	s_delay_alu instid0(VALU_DEP_2) | instskip(NEXT) | instid1(VALU_DEP_2)
	v_fma_f32 v2, s8, v5, -v2
	v_fmac_f32_e32 v6, s9, v5
	s_delay_alu instid0(VALU_DEP_2) | instskip(NEXT) | instid1(VALU_DEP_2)
	v_add_f32_e32 v0, v0, v2
	v_add_f32_e32 v1, v1, v6
.LBB296_52:
	s_delay_alu instid0(VALU_DEP_1) | instskip(NEXT) | instid1(VALU_DEP_2)
	v_add_co_u32 v2, vcc_lo, s15, v3
	v_add_co_ci_u32_e32 v3, vcc_lo, s17, v4, vcc_lo
	global_store_b64 v[2:3], v[0:1], off
.LBB296_53:
	s_nop 0
	s_sendmsg sendmsg(MSG_DEALLOC_VGPRS)
	s_endpgm
	.section	.rodata,"a",@progbits
	.p2align	6, 0x0
	.amdhsa_kernel _ZL20rocblas_gemvn_kernelILi64ELi4EiPK19rocblas_complex_numIfES1_KPS1_EviiT3_lPKT2_lT1_lS9_lSA_lS6_lPT4_lSA_li
		.amdhsa_group_segment_fixed_size 8192
		.amdhsa_private_segment_fixed_size 0
		.amdhsa_kernarg_size 400
		.amdhsa_user_sgpr_count 14
		.amdhsa_user_sgpr_dispatch_ptr 0
		.amdhsa_user_sgpr_queue_ptr 0
		.amdhsa_user_sgpr_kernarg_segment_ptr 1
		.amdhsa_user_sgpr_dispatch_id 0
		.amdhsa_user_sgpr_private_segment_size 0
		.amdhsa_wavefront_size32 1
		.amdhsa_uses_dynamic_stack 0
		.amdhsa_enable_private_segment 0
		.amdhsa_system_sgpr_workgroup_id_x 1
		.amdhsa_system_sgpr_workgroup_id_y 0
		.amdhsa_system_sgpr_workgroup_id_z 1
		.amdhsa_system_sgpr_workgroup_info 0
		.amdhsa_system_vgpr_workitem_id 1
		.amdhsa_next_free_vgpr 64
		.amdhsa_next_free_sgpr 29
		.amdhsa_reserve_vcc 1
		.amdhsa_float_round_mode_32 0
		.amdhsa_float_round_mode_16_64 0
		.amdhsa_float_denorm_mode_32 3
		.amdhsa_float_denorm_mode_16_64 3
		.amdhsa_dx10_clamp 1
		.amdhsa_ieee_mode 1
		.amdhsa_fp16_overflow 0
		.amdhsa_workgroup_processor_mode 1
		.amdhsa_memory_ordered 1
		.amdhsa_forward_progress 0
		.amdhsa_shared_vgpr_count 0
		.amdhsa_exception_fp_ieee_invalid_op 0
		.amdhsa_exception_fp_denorm_src 0
		.amdhsa_exception_fp_ieee_div_zero 0
		.amdhsa_exception_fp_ieee_overflow 0
		.amdhsa_exception_fp_ieee_underflow 0
		.amdhsa_exception_fp_ieee_inexact 0
		.amdhsa_exception_int_div_zero 0
	.end_amdhsa_kernel
	.section	.text._ZL20rocblas_gemvn_kernelILi64ELi4EiPK19rocblas_complex_numIfES1_KPS1_EviiT3_lPKT2_lT1_lS9_lSA_lS6_lPT4_lSA_li,"axG",@progbits,_ZL20rocblas_gemvn_kernelILi64ELi4EiPK19rocblas_complex_numIfES1_KPS1_EviiT3_lPKT2_lT1_lS9_lSA_lS6_lPT4_lSA_li,comdat
.Lfunc_end296:
	.size	_ZL20rocblas_gemvn_kernelILi64ELi4EiPK19rocblas_complex_numIfES1_KPS1_EviiT3_lPKT2_lT1_lS9_lSA_lS6_lPT4_lSA_li, .Lfunc_end296-_ZL20rocblas_gemvn_kernelILi64ELi4EiPK19rocblas_complex_numIfES1_KPS1_EviiT3_lPKT2_lT1_lS9_lSA_lS6_lPT4_lSA_li
                                        ; -- End function
	.section	.AMDGPU.csdata,"",@progbits
; Kernel info:
; codeLenInByte = 3884
; NumSgprs: 31
; NumVgprs: 64
; ScratchSize: 0
; MemoryBound: 0
; FloatMode: 240
; IeeeMode: 1
; LDSByteSize: 8192 bytes/workgroup (compile time only)
; SGPRBlocks: 3
; VGPRBlocks: 7
; NumSGPRsForWavesPerEU: 31
; NumVGPRsForWavesPerEU: 64
; Occupancy: 16
; WaveLimiterHint : 1
; COMPUTE_PGM_RSRC2:SCRATCH_EN: 0
; COMPUTE_PGM_RSRC2:USER_SGPR: 14
; COMPUTE_PGM_RSRC2:TRAP_HANDLER: 0
; COMPUTE_PGM_RSRC2:TGID_X_EN: 1
; COMPUTE_PGM_RSRC2:TGID_Y_EN: 0
; COMPUTE_PGM_RSRC2:TGID_Z_EN: 1
; COMPUTE_PGM_RSRC2:TIDIG_COMP_CNT: 1
	.section	.text._ZL20rocblas_gemvn_kernelILi64ELi4ElPK19rocblas_complex_numIfES1_KPS1_EviiT3_lPKT2_lT1_lS9_lSA_lS6_lPT4_lSA_li,"axG",@progbits,_ZL20rocblas_gemvn_kernelILi64ELi4ElPK19rocblas_complex_numIfES1_KPS1_EviiT3_lPKT2_lT1_lS9_lSA_lS6_lPT4_lSA_li,comdat
	.globl	_ZL20rocblas_gemvn_kernelILi64ELi4ElPK19rocblas_complex_numIfES1_KPS1_EviiT3_lPKT2_lT1_lS9_lSA_lS6_lPT4_lSA_li ; -- Begin function _ZL20rocblas_gemvn_kernelILi64ELi4ElPK19rocblas_complex_numIfES1_KPS1_EviiT3_lPKT2_lT1_lS9_lSA_lS6_lPT4_lSA_li
	.p2align	8
	.type	_ZL20rocblas_gemvn_kernelILi64ELi4ElPK19rocblas_complex_numIfES1_KPS1_EviiT3_lPKT2_lT1_lS9_lSA_lS6_lPT4_lSA_li,@function
_ZL20rocblas_gemvn_kernelILi64ELi4ElPK19rocblas_complex_numIfES1_KPS1_EviiT3_lPKT2_lT1_lS9_lSA_lS6_lPT4_lSA_li: ; @_ZL20rocblas_gemvn_kernelILi64ELi4ElPK19rocblas_complex_numIfES1_KPS1_EviiT3_lPKT2_lT1_lS9_lSA_lS6_lPT4_lSA_li
; %bb.0:
	s_load_b64 s[4:5], s[0:1], 0x9c
	s_waitcnt lgkmcnt(0)
	s_lshr_b32 s3, s4, 16
	s_and_b32 s4, s4, 0xffff
	s_and_b32 s5, s5, 0xffff
	s_mul_i32 s3, s3, s4
	s_delay_alu instid0(SALU_CYCLE_1) | instskip(NEXT) | instid1(SALU_CYCLE_1)
	s_mul_i32 s3, s3, s5
	s_cmpk_lg_i32 s3, 0x100
	s_cbranch_scc1 .LBB297_53
; %bb.1:
	s_clause 0x1
	s_load_b128 s[8:11], s[0:1], 0x0
	s_load_b64 s[12:13], s[0:1], 0x58
	s_mov_b32 s2, s15
	s_waitcnt lgkmcnt(0)
	v_cmp_neq_f32_e64 s3, s10, 0
	v_cmp_neq_f32_e64 s4, s11, 0
	s_delay_alu instid0(VALU_DEP_1) | instskip(NEXT) | instid1(SALU_CYCLE_1)
	s_or_b32 s3, s3, s4
	s_and_b32 vcc_lo, exec_lo, s3
	s_mov_b32 s3, -1
	s_cbranch_vccnz .LBB297_3
; %bb.2:
	v_cmp_neq_f32_e64 s3, s12, 1.0
	v_cmp_neq_f32_e64 s4, s13, 0
	s_delay_alu instid0(VALU_DEP_1)
	s_or_b32 s3, s3, s4
.LBB297_3:
	s_delay_alu instid0(SALU_CYCLE_1)
	s_and_not1_b32 vcc_lo, exec_lo, s3
	s_cbranch_vccnz .LBB297_53
; %bb.4:
	s_clause 0x1
	s_load_b128 s[4:7], s[0:1], 0x18
	s_load_b64 s[16:17], s[0:1], 0x28
	s_or_b32 s3, s10, s11
	s_delay_alu instid0(SALU_CYCLE_1) | instskip(NEXT) | instid1(SALU_CYCLE_1)
	s_bitset0_b32 s3, 31
	s_cmp_lg_u32 s3, 0
	s_cselect_b32 s22, -1, 0
	s_cmp_eq_u32 s3, 0
	s_mov_b32 s3, 0
	s_cselect_b32 s15, -1, 0
	s_and_b32 vcc_lo, exec_lo, s22
	s_cbranch_vccnz .LBB297_6
; %bb.5:
	s_mov_b64 s[18:19], 0
	s_and_not1_b32 vcc_lo, exec_lo, s3
	s_cbranch_vccz .LBB297_7
	s_branch .LBB297_8
.LBB297_6:
	s_mov_b32 s3, -1
                                        ; implicit-def: $sgpr18_sgpr19
.LBB297_7:
	s_mov_b32 s3, 0
	s_delay_alu instid0(SALU_CYCLE_1)
	s_lshl_b64 s[18:19], s[2:3], 3
	s_waitcnt lgkmcnt(0)
	s_add_u32 s4, s4, s18
	s_addc_u32 s5, s5, s19
	s_lshl_b64 s[6:7], s[6:7], 3
	s_load_b64 s[4:5], s[4:5], 0x0
	s_waitcnt lgkmcnt(0)
	s_add_u32 s18, s4, s6
	s_addc_u32 s19, s5, s7
.LBB297_8:
	s_waitcnt lgkmcnt(0)
	s_clause 0x1
	s_load_b128 s[4:7], s[0:1], 0x38
	s_load_b64 s[20:21], s[0:1], 0x48
	s_and_not1_b32 vcc_lo, exec_lo, s22
	s_mov_b64 s[22:23], 0
	s_cbranch_vccnz .LBB297_10
; %bb.9:
	s_lshl_b64 s[22:23], s[2:3], 3
	s_waitcnt lgkmcnt(0)
	s_add_u32 s4, s4, s22
	s_addc_u32 s5, s5, s23
	s_lshl_b64 s[6:7], s[6:7], 3
	s_load_b64 s[4:5], s[4:5], 0x0
	s_waitcnt lgkmcnt(0)
	s_add_u32 s22, s4, s6
	s_addc_u32 s23, s5, s7
.LBB297_10:
	s_load_b128 s[24:27], s[0:1], 0x68
	s_waitcnt lgkmcnt(0)
	s_load_b64 s[6:7], s[0:1], 0x78
	s_lshl_b64 s[2:3], s[2:3], 3
	v_and_b32_e32 v61, 0x3ff, v0
	v_bfe_u32 v62, v0, 10, 10
	s_delay_alu instid0(VALU_DEP_1)
	v_lshl_add_u32 v60, v62, 6, v61
	s_add_u32 s0, s24, s2
	s_addc_u32 s1, s25, s3
	s_lshl_b64 s[24:25], s[26:27], 3
	s_load_b64 s[2:3], s[0:1], 0x0
	v_cmp_gt_u32_e64 s0, 0x100, v60
	s_mov_b32 s1, -1
	s_waitcnt lgkmcnt(0)
	s_add_u32 s5, s2, s24
	s_addc_u32 s28, s3, s25
	s_and_not1_b32 vcc_lo, exec_lo, s15
	s_cbranch_vccnz .LBB297_17
; %bb.11:
	s_and_saveexec_b32 s1, s0
	s_cbranch_execz .LBB297_16
; %bb.12:
	v_lshl_or_b32 v0, s14, 8, v60
	v_mov_b32_e32 v1, 0
	s_ashr_i32 s3, s8, 31
	s_mov_b32 s2, s8
	s_delay_alu instid0(VALU_DEP_1) | instid1(SALU_CYCLE_1)
	v_cmp_gt_i64_e32 vcc_lo, s[2:3], v[0:1]
	s_and_b32 exec_lo, exec_lo, vcc_lo
	s_cbranch_execz .LBB297_16
; %bb.13:
	v_mad_u64_u32 v[2:3], null, v0, s6, 0
	v_cmp_neq_f32_e64 s0, s12, 0
	v_cmp_neq_f32_e64 s2, s13, 0
	s_delay_alu instid0(VALU_DEP_1) | instskip(NEXT) | instid1(VALU_DEP_3)
	s_or_b32 s0, s0, s2
	v_mad_u64_u32 v[4:5], null, v0, s7, v[3:4]
	s_and_not1_b32 vcc_lo, exec_lo, s0
	s_delay_alu instid0(VALU_DEP_1) | instskip(NEXT) | instid1(VALU_DEP_1)
	v_dual_mov_b32 v3, v4 :: v_dual_mov_b32 v4, v1
	v_lshlrev_b64 v[2:3], 3, v[2:3]
	s_cbranch_vccnz .LBB297_15
; %bb.14:
	s_delay_alu instid0(VALU_DEP_1) | instskip(NEXT) | instid1(VALU_DEP_2)
	v_add_co_u32 v0, vcc_lo, s5, v2
	v_add_co_ci_u32_e32 v1, vcc_lo, s28, v3, vcc_lo
	global_load_b64 v[0:1], v[0:1], off
	s_waitcnt vmcnt(0)
	v_mul_f32_e32 v4, s12, v1
	s_delay_alu instid0(VALU_DEP_1) | instskip(NEXT) | instid1(VALU_DEP_1)
	v_dual_mul_f32 v5, s13, v1 :: v_dual_fmac_f32 v4, s13, v0
	v_fma_f32 v1, s12, v0, -v5
.LBB297_15:
	s_delay_alu instid0(VALU_DEP_1) | instskip(NEXT) | instid1(VALU_DEP_2)
	v_add_co_u32 v5, vcc_lo, s5, v2
	v_add_co_ci_u32_e32 v6, vcc_lo, s28, v3, vcc_lo
	s_delay_alu instid0(VALU_DEP_3)
	v_mov_b32_e32 v3, v1
	global_store_b64 v[5:6], v[3:4], off
.LBB297_16:
	s_or_b32 exec_lo, exec_lo, s1
	s_mov_b32 s1, 0
.LBB297_17:
	s_delay_alu instid0(SALU_CYCLE_1)
	s_and_not1_b32 vcc_lo, exec_lo, s1
	s_cbranch_vccnz .LBB297_53
; %bb.18:
	s_ashr_i32 s0, s9, 31
	s_lshl_b32 s29, s14, 8
	s_lshr_b32 s0, s0, 28
	v_dual_mov_b32 v0, 0 :: v_dual_lshlrev_b32 v63, 2, v62
	v_dual_mov_b32 v1, 0 :: v_dual_add_nc_u32 v2, s29, v61
	v_dual_mov_b32 v5, 0 :: v_dual_mov_b32 v4, 0
	v_dual_mov_b32 v7, 0 :: v_dual_mov_b32 v6, 0
	;; [unrolled: 1-line block ×3, first 2 shown]
	s_add_i32 s0, s9, s0
	s_mov_b32 s31, exec_lo
	s_and_b32 s30, s0, -16
	s_delay_alu instid0(SALU_CYCLE_1)
	v_cmpx_gt_i32_e64 s30, v63
	s_cbranch_execz .LBB297_30
; %bb.19:
	v_lshlrev_b32_e32 v17, 2, v62
	v_mad_u64_u32 v[0:1], null, s20, v62, 0
	v_mad_u64_u32 v[6:7], null, s16, v62, 0
	s_delay_alu instid0(VALU_DEP_3)
	v_or_b32_e32 v13, 3, v17
	v_ashrrev_i32_e32 v3, 31, v2
	v_add_nc_u32_e32 v8, 64, v2
	v_or_b32_e32 v20, 2, v17
	v_mad_u64_u32 v[10:11], null, s21, v62, v[1:2]
	v_mad_u64_u32 v[4:5], null, s16, v13, 0
	s_delay_alu instid0(VALU_DEP_3)
	v_mad_u64_u32 v[18:19], null, s16, v20, 0
	v_add_nc_u32_e32 v15, 0xc0, v2
	v_cmp_gt_i32_e32 vcc_lo, s8, v2
	v_mov_b32_e32 v1, v10
	s_lshl_b64 s[14:15], s[16:17], 7
	v_mad_u64_u32 v[11:12], null, s17, v13, v[5:6]
	v_lshlrev_b64 v[12:13], 3, v[2:3]
	v_mov_b32_e32 v3, v7
	v_cmp_gt_i32_e64 s0, s8, v8
	v_mad_u64_u32 v[8:9], null, s16, v17, s[16:17]
	v_add_nc_u32_e32 v14, 0x80, v2
	v_cmp_gt_i32_e64 s2, s8, v15
	v_mov_b32_e32 v5, v11
	s_lshl_b64 s[24:25], s[20:21], 7
	s_lshl_b64 s[26:27], s[20:21], 3
	s_mov_b32 s33, 0
	s_delay_alu instid0(VALU_DEP_4) | instskip(SKIP_3) | instid1(VALU_DEP_4)
	v_mov_b32_e32 v7, v9
	v_mov_b32_e32 v9, v19
	v_cmp_gt_i32_e64 s1, s8, v14
	v_mad_u64_u32 v[14:15], null, s17, v62, v[3:4]
	v_mad_u64_u32 v[15:16], null, s17, v17, v[7:8]
	s_delay_alu instid0(VALU_DEP_4)
	v_mad_u64_u32 v[16:17], null, s17, v20, v[9:10]
	v_lshlrev_b64 v[10:11], 3, v[4:5]
	v_lshlrev_b64 v[4:5], 5, v[0:1]
	v_mov_b32_e32 v7, v14
	v_add_co_u32 v3, s3, s18, v12
	v_mov_b32_e32 v9, v15
	v_mov_b32_e32 v19, v16
	;; [unrolled: 1-line block ×3, first 2 shown]
	v_add_co_ci_u32_e64 v64, s3, s19, v13, s3
	v_add_co_u32 v12, s3, s22, v4
	v_lshlrev_b64 v[14:15], 5, v[6:7]
	v_lshlrev_b64 v[16:17], 3, v[8:9]
	v_mov_b32_e32 v8, v1
	v_lshlrev_b64 v[18:19], 3, v[18:19]
	v_add_co_ci_u32_e64 v13, s3, s23, v5, s3
	v_mov_b32_e32 v0, v1
	v_mov_b32_e32 v5, v1
	v_mov_b32_e32 v4, v1
	v_mov_b32_e32 v7, v1
	v_mov_b32_e32 v6, v1
	v_mov_b32_e32 v9, v1
	s_branch .LBB297_24
.LBB297_20:                             ;   in Loop: Header=BB297_24 Depth=1
	s_or_b32 exec_lo, exec_lo, s35
	s_waitcnt vmcnt(2) lgkmcnt(2)
	v_dual_mul_f32 v52, v33, v51 :: v_dual_mul_f32 v53, v23, v49
	v_mul_f32_e32 v51, v32, v51
	s_waitcnt vmcnt(1) lgkmcnt(1)
	v_dual_mul_f32 v49, v22, v49 :: v_dual_mul_f32 v54, v21, v47
	s_delay_alu instid0(VALU_DEP_3)
	v_fma_f32 v52, v32, v50, -v52
	v_fma_f32 v53, v22, v48, -v53
	v_fmac_f32_e32 v51, v33, v50
	s_waitcnt vmcnt(0) lgkmcnt(0)
	v_dual_mul_f32 v47, v20, v47 :: v_dual_mul_f32 v50, v25, v45
	v_add_f32_e32 v4, v4, v52
	v_fmac_f32_e32 v49, v23, v48
	v_fma_f32 v48, v20, v46, -v54
	v_mul_f32_e32 v45, v24, v45
	s_delay_alu instid0(VALU_DEP_4) | instskip(SKIP_2) | instid1(VALU_DEP_4)
	v_dual_fmac_f32 v47, v21, v46 :: v_dual_add_f32 v4, v4, v53
	v_add_f32_e32 v5, v5, v51
	v_fma_f32 v46, v24, v44, -v50
	v_fmac_f32_e32 v45, v25, v44
	s_delay_alu instid0(VALU_DEP_3) | instskip(NEXT) | instid1(VALU_DEP_1)
	v_dual_add_f32 v4, v4, v48 :: v_dual_add_f32 v5, v5, v49
	v_dual_add_f32 v4, v4, v46 :: v_dual_add_f32 v5, v5, v47
	s_delay_alu instid0(VALU_DEP_1)
	v_add_f32_e32 v5, v5, v45
.LBB297_21:                             ;   in Loop: Header=BB297_24 Depth=1
	s_or_b32 exec_lo, exec_lo, s34
	s_waitcnt vmcnt(2) lgkmcnt(2)
	v_dual_mul_f32 v44, v33, v43 :: v_dual_mul_f32 v45, v23, v41
	v_mul_f32_e32 v43, v32, v43
	s_waitcnt vmcnt(1) lgkmcnt(1)
	v_dual_mul_f32 v41, v22, v41 :: v_dual_mul_f32 v46, v21, v39
	s_delay_alu instid0(VALU_DEP_3) | instskip(SKIP_2) | instid1(VALU_DEP_4)
	v_fma_f32 v44, v32, v42, -v44
	v_mul_f32_e32 v39, v20, v39
	v_fma_f32 v45, v22, v40, -v45
	v_fmac_f32_e32 v41, v23, v40
	v_fma_f32 v40, v20, v38, -v46
	v_dual_add_f32 v6, v6, v44 :: v_dual_fmac_f32 v43, v33, v42
	s_waitcnt vmcnt(0) lgkmcnt(0)
	v_mul_f32_e32 v42, v25, v37
	v_fmac_f32_e32 v39, v21, v38
	v_mul_f32_e32 v37, v24, v37
	v_dual_add_f32 v6, v6, v45 :: v_dual_add_f32 v7, v7, v43
	s_delay_alu instid0(VALU_DEP_4) | instskip(NEXT) | instid1(VALU_DEP_3)
	v_fma_f32 v38, v24, v36, -v42
	v_fmac_f32_e32 v37, v25, v36
	s_delay_alu instid0(VALU_DEP_3) | instskip(NEXT) | instid1(VALU_DEP_1)
	v_add_f32_e32 v6, v6, v40
	v_dual_add_f32 v6, v6, v38 :: v_dual_add_f32 v7, v7, v41
	s_delay_alu instid0(VALU_DEP_1) | instskip(NEXT) | instid1(VALU_DEP_1)
	v_add_f32_e32 v7, v7, v39
	v_add_f32_e32 v7, v7, v37
.LBB297_22:                             ;   in Loop: Header=BB297_24 Depth=1
	s_or_b32 exec_lo, exec_lo, s3
	s_waitcnt vmcnt(3) lgkmcnt(3)
	v_mul_f32_e32 v36, v33, v35
	s_waitcnt vmcnt(1) lgkmcnt(1)
	v_dual_mul_f32 v35, v32, v35 :: v_dual_mul_f32 v38, v21, v29
	v_mul_f32_e32 v29, v20, v29
	s_delay_alu instid0(VALU_DEP_3) | instskip(SKIP_1) | instid1(VALU_DEP_4)
	v_fma_f32 v32, v32, v34, -v36
	v_mul_f32_e32 v37, v23, v31
	v_fma_f32 v20, v20, v28, -v38
	s_delay_alu instid0(VALU_DEP_4) | instskip(NEXT) | instid1(VALU_DEP_4)
	v_fmac_f32_e32 v29, v21, v28
	v_dual_add_f32 v8, v8, v32 :: v_dual_mul_f32 v31, v22, v31
	s_delay_alu instid0(VALU_DEP_4) | instskip(NEXT) | instid1(VALU_DEP_1)
	v_fma_f32 v22, v22, v30, -v37
	v_add_f32_e32 v8, v8, v22
	v_fmac_f32_e32 v35, v33, v34
	s_delay_alu instid0(VALU_DEP_4) | instskip(SKIP_2) | instid1(VALU_DEP_3)
	v_fmac_f32_e32 v31, v23, v30
	s_waitcnt vmcnt(0) lgkmcnt(0)
	v_mul_f32_e32 v23, v24, v27
	v_dual_add_f32 v8, v8, v20 :: v_dual_add_f32 v9, v9, v35
	v_mul_f32_e32 v33, v25, v27
	s_delay_alu instid0(VALU_DEP_3) | instskip(NEXT) | instid1(VALU_DEP_3)
	v_fmac_f32_e32 v23, v25, v26
	v_add_f32_e32 v9, v9, v31
	s_delay_alu instid0(VALU_DEP_3) | instskip(NEXT) | instid1(VALU_DEP_2)
	v_fma_f32 v21, v24, v26, -v33
	v_add_f32_e32 v9, v9, v29
	s_delay_alu instid0(VALU_DEP_1)
	v_dual_add_f32 v8, v8, v21 :: v_dual_add_f32 v9, v9, v23
.LBB297_23:                             ;   in Loop: Header=BB297_24 Depth=1
	s_or_b32 exec_lo, exec_lo, s4
	v_add_nc_u32_e32 v63, 16, v63
	v_add_co_u32 v3, s3, v3, s14
	s_delay_alu instid0(VALU_DEP_1) | instskip(NEXT) | instid1(VALU_DEP_3)
	v_add_co_ci_u32_e64 v64, s3, s15, v64, s3
	v_cmp_le_i32_e64 s3, s30, v63
	v_add_co_u32 v12, s4, v12, s24
	s_delay_alu instid0(VALU_DEP_1) | instskip(NEXT) | instid1(VALU_DEP_3)
	v_add_co_ci_u32_e64 v13, s4, s25, v13, s4
	s_or_b32 s33, s3, s33
	s_delay_alu instid0(SALU_CYCLE_1)
	s_and_not1_b32 exec_lo, exec_lo, s33
	s_cbranch_execz .LBB297_29
.LBB297_24:                             ; =>This Inner Loop Header: Depth=1
	s_and_saveexec_b32 s4, vcc_lo
	s_cbranch_execz .LBB297_23
; %bb.25:                               ;   in Loop: Header=BB297_24 Depth=1
	v_add_co_u32 v20, s3, v12, s26
	s_delay_alu instid0(VALU_DEP_1) | instskip(NEXT) | instid1(VALU_DEP_2)
	v_add_co_ci_u32_e64 v21, s3, s27, v13, s3
	v_add_co_u32 v24, s3, v20, s26
	s_delay_alu instid0(VALU_DEP_1) | instskip(SKIP_4) | instid1(VALU_DEP_1)
	v_add_co_ci_u32_e64 v25, s3, s27, v21, s3
	s_clause 0x1
	flat_load_b64 v[22:23], v[20:21]
	flat_load_b64 v[20:21], v[24:25]
	v_add_co_u32 v24, s3, v24, s26
	v_add_co_ci_u32_e64 v25, s3, s27, v25, s3
	v_add_co_u32 v58, s3, v3, v14
	s_delay_alu instid0(VALU_DEP_1) | instskip(SKIP_1) | instid1(VALU_DEP_1)
	v_add_co_ci_u32_e64 v59, s3, v64, v15, s3
	v_add_co_u32 v56, s3, v3, v16
	v_add_co_ci_u32_e64 v57, s3, v64, v17, s3
	v_add_co_u32 v54, s3, v3, v18
	s_delay_alu instid0(VALU_DEP_1) | instskip(SKIP_1) | instid1(VALU_DEP_1)
	v_add_co_ci_u32_e64 v55, s3, v64, v19, s3
	v_add_co_u32 v52, s3, v3, v10
	v_add_co_ci_u32_e64 v53, s3, v64, v11, s3
	s_clause 0x1
	flat_load_b64 v[32:33], v[12:13]
	flat_load_b64 v[24:25], v[24:25]
	s_clause 0x3
	flat_load_b64 v[34:35], v[58:59]
	flat_load_b64 v[30:31], v[56:57]
	;; [unrolled: 1-line block ×4, first 2 shown]
	s_and_saveexec_b32 s3, s0
	s_cbranch_execz .LBB297_22
; %bb.26:                               ;   in Loop: Header=BB297_24 Depth=1
	s_clause 0x3
	flat_load_b64 v[42:43], v[58:59] offset:512
	flat_load_b64 v[40:41], v[56:57] offset:512
	flat_load_b64 v[38:39], v[54:55] offset:512
	flat_load_b64 v[36:37], v[52:53] offset:512
	s_and_saveexec_b32 s34, s1
	s_cbranch_execz .LBB297_21
; %bb.27:                               ;   in Loop: Header=BB297_24 Depth=1
	s_clause 0x3
	flat_load_b64 v[50:51], v[58:59] offset:1024
	flat_load_b64 v[48:49], v[56:57] offset:1024
	flat_load_b64 v[46:47], v[54:55] offset:1024
	flat_load_b64 v[44:45], v[52:53] offset:1024
	;; [unrolled: 8-line block ×3, first 2 shown]
	s_waitcnt vmcnt(2) lgkmcnt(2)
	v_dual_mul_f32 v65, v33, v59 :: v_dual_mul_f32 v66, v23, v57
	v_mul_f32_e32 v59, v32, v59
	s_delay_alu instid0(VALU_DEP_2)
	v_fma_f32 v65, v32, v58, -v65
	s_waitcnt vmcnt(1) lgkmcnt(1)
	v_mul_f32_e32 v67, v21, v55
	v_fma_f32 v66, v22, v56, -v66
	v_mul_f32_e32 v55, v20, v55
	v_add_f32_e32 v0, v0, v65
	v_mul_f32_e32 v57, v22, v57
	s_delay_alu instid0(VALU_DEP_3) | instskip(NEXT) | instid1(VALU_DEP_2)
	v_fmac_f32_e32 v55, v21, v54
	v_dual_add_f32 v0, v0, v66 :: v_dual_fmac_f32 v57, v23, v56
	v_fma_f32 v56, v20, v54, -v67
	v_fmac_f32_e32 v59, v33, v58
	s_waitcnt vmcnt(0) lgkmcnt(0)
	v_mul_f32_e32 v58, v25, v53
	v_mul_f32_e32 v53, v24, v53
	s_delay_alu instid0(VALU_DEP_3) | instskip(NEXT) | instid1(VALU_DEP_3)
	v_dual_add_f32 v0, v0, v56 :: v_dual_add_f32 v1, v1, v59
	v_fma_f32 v54, v24, v52, -v58
	s_delay_alu instid0(VALU_DEP_1) | instskip(NEXT) | instid1(VALU_DEP_3)
	v_dual_fmac_f32 v53, v25, v52 :: v_dual_add_f32 v0, v0, v54
	v_add_f32_e32 v1, v1, v57
	s_delay_alu instid0(VALU_DEP_1) | instskip(NEXT) | instid1(VALU_DEP_1)
	v_add_f32_e32 v1, v1, v55
	v_add_f32_e32 v1, v1, v53
	s_branch .LBB297_20
.LBB297_29:
	s_or_b32 exec_lo, exec_lo, s33
.LBB297_30:
	s_delay_alu instid0(SALU_CYCLE_1) | instskip(SKIP_1) | instid1(SALU_CYCLE_1)
	s_or_b32 exec_lo, exec_lo, s31
	s_sub_i32 s0, s9, s30
	s_cmp_lt_i32 s0, 1
	s_cbranch_scc1 .LBB297_48
; %bb.31:
	v_cmp_gt_i32_e32 vcc_lo, s9, v63
	v_dual_mov_b32 v10, 0 :: v_dual_mov_b32 v11, 0
	v_or_b32_e32 v18, 1, v63
	v_dual_mov_b32 v12, 0 :: v_dual_mov_b32 v13, 0
	v_dual_mov_b32 v14, 0 :: v_dual_mov_b32 v15, 0
	;; [unrolled: 1-line block ×3, first 2 shown]
	s_and_saveexec_b32 s1, vcc_lo
	s_cbranch_execz .LBB297_39
; %bb.32:
	v_mad_u64_u32 v[10:11], null, v63, s20, 0
	v_dual_mov_b32 v17, 0 :: v_dual_mov_b32 v14, 0
	v_mov_b32_e32 v15, 0
	v_mov_b32_e32 v13, 0
	s_mov_b32 s2, exec_lo
	s_delay_alu instid0(VALU_DEP_4) | instskip(NEXT) | instid1(VALU_DEP_1)
	v_dual_mov_b32 v16, 0 :: v_dual_mov_b32 v3, v11
	v_mad_u64_u32 v[11:12], null, v63, s21, v[3:4]
	v_mov_b32_e32 v12, 0
	s_delay_alu instid0(VALU_DEP_2) | instskip(NEXT) | instid1(VALU_DEP_1)
	v_lshlrev_b64 v[10:11], 3, v[10:11]
	v_add_co_u32 v10, s0, s22, v10
	s_delay_alu instid0(VALU_DEP_1)
	v_add_co_ci_u32_e64 v11, s0, s23, v11, s0
	flat_load_b64 v[10:11], v[10:11]
	v_cmpx_gt_i32_e64 s9, v18
	s_cbranch_execz .LBB297_38
; %bb.33:
	v_mad_u64_u32 v[12:13], null, v18, s20, 0
	v_mov_b32_e32 v17, 0
	v_mov_b32_e32 v15, 0
	s_mov_b32 s3, exec_lo
	s_delay_alu instid0(VALU_DEP_3) | instskip(NEXT) | instid1(VALU_DEP_1)
	v_dual_mov_b32 v16, 0 :: v_dual_mov_b32 v3, v13
	v_mad_u64_u32 v[13:14], null, v18, s21, v[3:4]
	v_or_b32_e32 v3, 2, v63
	v_mov_b32_e32 v14, 0
	s_delay_alu instid0(VALU_DEP_3) | instskip(NEXT) | instid1(VALU_DEP_1)
	v_lshlrev_b64 v[12:13], 3, v[12:13]
	v_add_co_u32 v12, s0, s22, v12
	s_delay_alu instid0(VALU_DEP_1)
	v_add_co_ci_u32_e64 v13, s0, s23, v13, s0
	flat_load_b64 v[12:13], v[12:13]
	v_cmpx_gt_i32_e64 s9, v3
	s_cbranch_execz .LBB297_37
; %bb.34:
	v_mad_u64_u32 v[14:15], null, v3, s20, 0
	s_mov_b32 s4, exec_lo
	s_delay_alu instid0(VALU_DEP_1) | instskip(SKIP_2) | instid1(VALU_DEP_3)
	v_mad_u64_u32 v[16:17], null, v3, s21, v[15:16]
	v_or_b32_e32 v3, 3, v63
	v_mov_b32_e32 v17, 0
	v_dual_mov_b32 v15, v16 :: v_dual_mov_b32 v16, 0
	s_delay_alu instid0(VALU_DEP_1) | instskip(NEXT) | instid1(VALU_DEP_1)
	v_lshlrev_b64 v[14:15], 3, v[14:15]
	v_add_co_u32 v14, s0, s22, v14
	s_delay_alu instid0(VALU_DEP_1)
	v_add_co_ci_u32_e64 v15, s0, s23, v15, s0
	flat_load_b64 v[14:15], v[14:15]
	v_cmpx_gt_i32_e64 s9, v3
	s_cbranch_execz .LBB297_36
; %bb.35:
	v_mad_u64_u32 v[16:17], null, v3, s20, 0
	s_delay_alu instid0(VALU_DEP_1) | instskip(NEXT) | instid1(VALU_DEP_1)
	v_mad_u64_u32 v[19:20], null, v3, s21, v[17:18]
	v_mov_b32_e32 v17, v19
	s_delay_alu instid0(VALU_DEP_1) | instskip(NEXT) | instid1(VALU_DEP_1)
	v_lshlrev_b64 v[16:17], 3, v[16:17]
	v_add_co_u32 v16, s0, s22, v16
	s_delay_alu instid0(VALU_DEP_1)
	v_add_co_ci_u32_e64 v17, s0, s23, v17, s0
	flat_load_b64 v[16:17], v[16:17]
.LBB297_36:
	s_or_b32 exec_lo, exec_lo, s4
.LBB297_37:
	s_delay_alu instid0(SALU_CYCLE_1)
	s_or_b32 exec_lo, exec_lo, s3
.LBB297_38:
	s_delay_alu instid0(SALU_CYCLE_1)
	s_or_b32 exec_lo, exec_lo, s2
.LBB297_39:
	s_delay_alu instid0(SALU_CYCLE_1) | instskip(NEXT) | instid1(SALU_CYCLE_1)
	s_or_b32 exec_lo, exec_lo, s1
	s_mov_b32 s1, exec_lo
	v_cmpx_gt_i32_e64 s8, v2
	s_cbranch_execz .LBB297_47
; %bb.40:
	v_mad_u64_u32 v[19:20], null, v63, s16, 0
	v_mad_u64_u32 v[21:22], null, v18, s16, 0
	v_ashrrev_i32_e32 v3, 31, v2
	v_or_b32_e32 v31, 2, v63
	v_or_b32_e32 v32, 3, v63
	v_cndmask_b32_e32 v19, 0, v19, vcc_lo
	s_delay_alu instid0(VALU_DEP_4)
	v_lshlrev_b64 v[26:27], 3, v[2:3]
	v_mad_u64_u32 v[23:24], null, v63, s17, v[20:21]
	v_mov_b32_e32 v3, v22
	v_mad_u64_u32 v[24:25], null, v31, s16, 0
	v_mad_u64_u32 v[28:29], null, v32, s16, 0
	v_cmp_gt_i32_e64 s0, s9, v31
	v_cndmask_b32_e32 v20, 0, v23, vcc_lo
	v_mad_u64_u32 v[22:23], null, v18, s17, v[3:4]
	v_cmp_gt_i32_e32 vcc_lo, s9, v18
	v_mov_b32_e32 v3, v25
	v_dual_mov_b32 v23, v29 :: v_dual_cndmask_b32 v18, 0, v21
	v_lshlrev_b64 v[20:21], 3, v[19:20]
	v_cndmask_b32_e32 v19, 0, v22, vcc_lo
	s_delay_alu instid0(VALU_DEP_4) | instskip(NEXT) | instid1(VALU_DEP_3)
	v_mad_u64_u32 v[29:30], null, v31, s17, v[3:4]
	v_add_co_u32 v3, vcc_lo, s18, v20
	s_delay_alu instid0(VALU_DEP_4) | instskip(NEXT) | instid1(VALU_DEP_4)
	v_add_co_ci_u32_e32 v22, vcc_lo, s19, v21, vcc_lo
	v_lshlrev_b64 v[20:21], 3, v[18:19]
	s_delay_alu instid0(VALU_DEP_3) | instskip(NEXT) | instid1(VALU_DEP_3)
	v_add_co_u32 v18, vcc_lo, v3, v26
	v_add_co_ci_u32_e32 v19, vcc_lo, v22, v27, vcc_lo
	v_cndmask_b32_e64 v22, 0, v24, s0
	s_delay_alu instid0(VALU_DEP_4)
	v_add_co_u32 v3, vcc_lo, s18, v20
	v_mad_u64_u32 v[24:25], null, v32, s17, v[23:24]
	v_add_co_ci_u32_e32 v21, vcc_lo, s19, v21, vcc_lo
	v_cmp_gt_i32_e32 vcc_lo, s9, v32
	v_cndmask_b32_e64 v23, 0, v29, s0
	v_add_co_u32 v20, s0, v3, v26
	s_delay_alu instid0(VALU_DEP_1)
	v_add_co_ci_u32_e64 v21, s0, v21, v27, s0
	v_cndmask_b32_e32 v28, 0, v28, vcc_lo
	v_cndmask_b32_e32 v29, 0, v24, vcc_lo
	v_lshlrev_b64 v[22:23], 3, v[22:23]
	s_clause 0x1
	flat_load_b64 v[30:31], v[18:19]
	flat_load_b64 v[32:33], v[20:21]
	s_mov_b32 s0, exec_lo
	v_lshlrev_b64 v[24:25], 3, v[28:29]
	v_add_co_u32 v3, vcc_lo, s18, v22
	v_add_co_ci_u32_e32 v22, vcc_lo, s19, v23, vcc_lo
	s_delay_alu instid0(VALU_DEP_3) | instskip(NEXT) | instid1(VALU_DEP_4)
	v_add_co_u32 v23, vcc_lo, s18, v24
	v_add_co_ci_u32_e32 v28, vcc_lo, s19, v25, vcc_lo
	s_delay_alu instid0(VALU_DEP_4) | instskip(NEXT) | instid1(VALU_DEP_4)
	v_add_co_u32 v24, vcc_lo, v3, v26
	v_add_co_ci_u32_e32 v25, vcc_lo, v22, v27, vcc_lo
	s_delay_alu instid0(VALU_DEP_4) | instskip(NEXT) | instid1(VALU_DEP_4)
	v_add_co_u32 v22, vcc_lo, v23, v26
	v_add_co_ci_u32_e32 v23, vcc_lo, v28, v27, vcc_lo
	s_clause 0x1
	flat_load_b64 v[26:27], v[24:25]
	flat_load_b64 v[28:29], v[22:23]
	s_waitcnt vmcnt(2) lgkmcnt(2)
	v_dual_mul_f32 v3, v11, v31 :: v_dual_mul_f32 v34, v13, v33
	v_mul_f32_e32 v33, v12, v33
	s_delay_alu instid0(VALU_DEP_2) | instskip(NEXT) | instid1(VALU_DEP_1)
	v_fma_f32 v3, v10, v30, -v3
	v_dual_fmac_f32 v33, v13, v32 :: v_dual_add_f32 v8, v8, v3
	v_mul_f32_e32 v31, v10, v31
	s_delay_alu instid0(VALU_DEP_1) | instskip(SKIP_1) | instid1(VALU_DEP_2)
	v_fmac_f32_e32 v31, v11, v30
	v_fma_f32 v30, v12, v32, -v34
	v_add_f32_e32 v9, v9, v31
	s_waitcnt vmcnt(1) lgkmcnt(1)
	v_dual_mul_f32 v32, v15, v27 :: v_dual_add_nc_u32 v31, 64, v2
	s_waitcnt vmcnt(0) lgkmcnt(0)
	v_dual_mul_f32 v27, v14, v27 :: v_dual_mul_f32 v34, v17, v29
	v_mul_f32_e32 v3, v16, v29
	s_delay_alu instid0(VALU_DEP_3) | instskip(NEXT) | instid1(VALU_DEP_3)
	v_fma_f32 v29, v14, v26, -v32
	v_fmac_f32_e32 v27, v15, v26
	v_add_f32_e32 v26, v8, v30
	v_add_f32_e32 v30, v9, v33
	v_fma_f32 v8, v16, v28, -v34
	v_fmac_f32_e32 v3, v17, v28
	s_delay_alu instid0(VALU_DEP_4) | instskip(NEXT) | instid1(VALU_DEP_4)
	v_add_f32_e32 v9, v26, v29
	v_add_f32_e32 v26, v30, v27
	v_cmpx_gt_i32_e64 s8, v31
	s_cbranch_execz .LBB297_46
; %bb.41:
	s_clause 0x3
	flat_load_b64 v[27:28], v[18:19] offset:512
	flat_load_b64 v[29:30], v[20:21] offset:512
	;; [unrolled: 1-line block ×4, first 2 shown]
	s_mov_b32 s2, exec_lo
	s_waitcnt vmcnt(2) lgkmcnt(2)
	v_dual_mul_f32 v35, v11, v28 :: v_dual_mul_f32 v36, v13, v30
	v_mul_f32_e32 v28, v10, v28
	s_waitcnt vmcnt(1) lgkmcnt(1)
	v_dual_mul_f32 v30, v12, v30 :: v_dual_mul_f32 v37, v15, v32
	s_delay_alu instid0(VALU_DEP_3) | instskip(SKIP_2) | instid1(VALU_DEP_4)
	v_fma_f32 v35, v10, v27, -v35
	v_fma_f32 v36, v12, v29, -v36
	v_mul_f32_e32 v32, v14, v32
	v_fmac_f32_e32 v30, v13, v29
	v_fma_f32 v29, v14, v31, -v37
	v_add_f32_e32 v6, v6, v35
	s_waitcnt vmcnt(0) lgkmcnt(0)
	v_dual_fmac_f32 v28, v11, v27 :: v_dual_mul_f32 v27, v17, v34
	s_delay_alu instid0(VALU_DEP_1) | instskip(NEXT) | instid1(VALU_DEP_1)
	v_dual_add_f32 v28, v7, v28 :: v_dual_mul_f32 v7, v16, v34
	v_dual_fmac_f32 v32, v15, v31 :: v_dual_fmac_f32 v7, v17, v33
	s_delay_alu instid0(VALU_DEP_2) | instskip(SKIP_2) | instid1(VALU_DEP_3)
	v_dual_add_f32 v31, v6, v36 :: v_dual_add_f32 v28, v28, v30
	v_add_nc_u32_e32 v30, 0x80, v2
	v_fma_f32 v6, v16, v33, -v27
	v_dual_add_f32 v27, v31, v29 :: v_dual_add_f32 v28, v28, v32
	s_delay_alu instid0(VALU_DEP_3)
	v_cmpx_gt_i32_e64 s8, v30
	s_cbranch_execz .LBB297_45
; %bb.42:
	s_clause 0x3
	flat_load_b64 v[29:30], v[18:19] offset:1024
	flat_load_b64 v[31:32], v[20:21] offset:1024
	;; [unrolled: 1-line block ×4, first 2 shown]
	s_mov_b32 s3, exec_lo
	s_waitcnt vmcnt(2) lgkmcnt(2)
	v_dual_mul_f32 v37, v11, v30 :: v_dual_mul_f32 v38, v13, v32
	v_mul_f32_e32 v30, v10, v30
	s_waitcnt vmcnt(1) lgkmcnt(1)
	v_dual_mul_f32 v32, v12, v32 :: v_dual_mul_f32 v39, v15, v34
	v_mul_f32_e32 v34, v14, v34
	v_fma_f32 v37, v10, v29, -v37
	v_fmac_f32_e32 v30, v11, v29
	v_fma_f32 v38, v12, v31, -v38
	s_waitcnt vmcnt(0) lgkmcnt(0)
	s_delay_alu instid0(VALU_DEP_3) | instskip(NEXT) | instid1(VALU_DEP_3)
	v_dual_mul_f32 v29, v17, v36 :: v_dual_add_f32 v4, v4, v37
	v_dual_add_f32 v30, v5, v30 :: v_dual_mul_f32 v5, v16, v36
	v_fmac_f32_e32 v34, v15, v33
	v_fmac_f32_e32 v32, v13, v31
	v_fma_f32 v31, v14, v33, -v39
	s_delay_alu instid0(VALU_DEP_4) | instskip(NEXT) | instid1(VALU_DEP_3)
	v_dual_add_f32 v4, v4, v38 :: v_dual_fmac_f32 v5, v17, v35
	v_add_f32_e32 v30, v30, v32
	v_add_nc_u32_e32 v32, 0xc0, v2
	v_fma_f32 v2, v16, v35, -v29
	s_delay_alu instid0(VALU_DEP_3) | instskip(NEXT) | instid1(VALU_DEP_3)
	v_dual_add_f32 v4, v4, v31 :: v_dual_add_f32 v29, v30, v34
	v_cmpx_gt_i32_e64 s8, v32
	s_cbranch_execz .LBB297_44
; %bb.43:
	s_clause 0x3
	flat_load_b64 v[18:19], v[18:19] offset:1536
	flat_load_b64 v[20:21], v[20:21] offset:1536
	;; [unrolled: 1-line block ×4, first 2 shown]
	s_waitcnt vmcnt(2) lgkmcnt(2)
	v_dual_mul_f32 v30, v11, v19 :: v_dual_mul_f32 v31, v13, v21
	s_waitcnt vmcnt(1) lgkmcnt(1)
	v_dual_mul_f32 v19, v10, v19 :: v_dual_mul_f32 v32, v15, v25
	s_delay_alu instid0(VALU_DEP_2) | instskip(SKIP_1) | instid1(VALU_DEP_3)
	v_fma_f32 v10, v10, v18, -v30
	v_mul_f32_e32 v25, v14, v25
	v_fmac_f32_e32 v19, v11, v18
	s_delay_alu instid0(VALU_DEP_3)
	v_add_f32_e32 v0, v0, v10
	s_waitcnt vmcnt(0) lgkmcnt(0)
	v_mul_f32_e32 v10, v16, v23
	v_mul_f32_e32 v21, v12, v21
	v_fma_f32 v12, v12, v20, -v31
	v_mul_f32_e32 v11, v17, v23
	v_add_f32_e32 v1, v1, v19
	v_fmac_f32_e32 v10, v17, v22
	s_delay_alu instid0(VALU_DEP_4) | instskip(SKIP_3) | instid1(VALU_DEP_2)
	v_add_f32_e32 v0, v0, v12
	v_fmac_f32_e32 v21, v13, v20
	v_fma_f32 v13, v14, v24, -v32
	v_fma_f32 v11, v16, v22, -v11
	v_dual_add_f32 v0, v0, v13 :: v_dual_fmac_f32 v25, v15, v24
	s_delay_alu instid0(VALU_DEP_1) | instskip(NEXT) | instid1(VALU_DEP_1)
	v_dual_add_f32 v1, v1, v21 :: v_dual_add_f32 v0, v0, v11
	v_add_f32_e32 v1, v1, v25
	s_delay_alu instid0(VALU_DEP_1)
	v_add_f32_e32 v1, v1, v10
.LBB297_44:
	s_or_b32 exec_lo, exec_lo, s3
	s_delay_alu instid0(VALU_DEP_2)
	v_dual_add_f32 v4, v4, v2 :: v_dual_add_f32 v5, v29, v5
.LBB297_45:
	s_or_b32 exec_lo, exec_lo, s2
	s_delay_alu instid0(VALU_DEP_2)
	v_dual_add_f32 v6, v27, v6 :: v_dual_add_f32 v7, v28, v7
.LBB297_46:
	s_or_b32 exec_lo, exec_lo, s0
	s_delay_alu instid0(VALU_DEP_2)
	v_dual_add_f32 v8, v9, v8 :: v_dual_add_f32 v9, v26, v3
.LBB297_47:
	s_or_b32 exec_lo, exec_lo, s1
.LBB297_48:
	v_lshlrev_b32_e32 v2, 8, v62
	s_mov_b32 s0, exec_lo
	s_delay_alu instid0(VALU_DEP_1)
	v_add_lshl_u32 v2, v2, v61, 3
	ds_store_2addr_stride64_b64 v2, v[8:9], v[6:7] offset1:1
	ds_store_2addr_stride64_b64 v2, v[4:5], v[0:1] offset0:2 offset1:3
	s_waitcnt vmcnt(0) lgkmcnt(0)
	s_waitcnt_vscnt null, 0x0
	s_barrier
	buffer_gl0_inv
	v_cmpx_gt_u32_e32 0x100, v60
	s_cbranch_execz .LBB297_53
; %bb.49:
	v_lshlrev_b32_e32 v8, 3, v60
	ds_load_2addr_stride64_b64 v[0:3], v8 offset1:4
	ds_load_2addr_stride64_b64 v[4:7], v8 offset0:8 offset1:12
	s_waitcnt lgkmcnt(1)
	v_dual_add_f32 v1, v1, v3 :: v_dual_add_f32 v0, v0, v2
	s_waitcnt lgkmcnt(0)
	s_delay_alu instid0(VALU_DEP_1) | instskip(SKIP_1) | instid1(VALU_DEP_2)
	v_dual_add_f32 v1, v1, v5 :: v_dual_add_f32 v2, v0, v4
	v_or_b32_e32 v0, s29, v60
	v_dual_add_f32 v3, v1, v7 :: v_dual_add_f32 v2, v2, v6
	s_delay_alu instid0(VALU_DEP_2)
	v_cmp_gt_i32_e32 vcc_lo, s8, v0
	ds_store_b64 v8, v[2:3]
	s_and_b32 exec_lo, exec_lo, vcc_lo
	s_cbranch_execz .LBB297_53
; %bb.50:
	v_ashrrev_i32_e32 v1, 31, v0
	v_mul_lo_u32 v6, v0, s7
	v_mad_u64_u32 v[4:5], null, v0, s6, 0
	v_cmp_neq_f32_e64 s0, s12, 0
	s_delay_alu instid0(VALU_DEP_4) | instskip(SKIP_1) | instid1(VALU_DEP_1)
	v_mul_lo_u32 v1, v1, s6
	v_cmp_neq_f32_e64 s1, s13, 0
	s_or_b32 s0, s0, s1
	s_delay_alu instid0(SALU_CYCLE_1) | instskip(NEXT) | instid1(VALU_DEP_2)
	s_and_not1_b32 vcc_lo, exec_lo, s0
	v_add3_u32 v5, v5, v6, v1
	v_mul_f32_e32 v1, s10, v3
	v_mul_f32_e32 v0, s11, v3
	s_delay_alu instid0(VALU_DEP_3) | instskip(NEXT) | instid1(VALU_DEP_3)
	v_lshlrev_b64 v[3:4], 3, v[4:5]
	v_fmac_f32_e32 v1, s11, v2
	s_delay_alu instid0(VALU_DEP_3)
	v_fma_f32 v0, v2, s10, -v0
	s_cbranch_vccnz .LBB297_52
; %bb.51:
	s_delay_alu instid0(VALU_DEP_3) | instskip(NEXT) | instid1(VALU_DEP_4)
	v_add_co_u32 v5, vcc_lo, s5, v3
	v_add_co_ci_u32_e32 v6, vcc_lo, s28, v4, vcc_lo
	global_load_b64 v[5:6], v[5:6], off
	s_waitcnt vmcnt(0)
	v_mul_f32_e32 v2, s13, v6
	v_mul_f32_e32 v6, s12, v6
	s_delay_alu instid0(VALU_DEP_2) | instskip(NEXT) | instid1(VALU_DEP_2)
	v_fma_f32 v2, s12, v5, -v2
	v_fmac_f32_e32 v6, s13, v5
	s_delay_alu instid0(VALU_DEP_2) | instskip(NEXT) | instid1(VALU_DEP_2)
	v_add_f32_e32 v0, v0, v2
	v_add_f32_e32 v1, v1, v6
.LBB297_52:
	s_delay_alu instid0(VALU_DEP_3) | instskip(NEXT) | instid1(VALU_DEP_4)
	v_add_co_u32 v2, vcc_lo, s5, v3
	v_add_co_ci_u32_e32 v3, vcc_lo, s28, v4, vcc_lo
	global_store_b64 v[2:3], v[0:1], off
.LBB297_53:
	s_nop 0
	s_sendmsg sendmsg(MSG_DEALLOC_VGPRS)
	s_endpgm
	.section	.rodata,"a",@progbits
	.p2align	6, 0x0
	.amdhsa_kernel _ZL20rocblas_gemvn_kernelILi64ELi4ElPK19rocblas_complex_numIfES1_KPS1_EviiT3_lPKT2_lT1_lS9_lSA_lS6_lPT4_lSA_li
		.amdhsa_group_segment_fixed_size 8192
		.amdhsa_private_segment_fixed_size 0
		.amdhsa_kernarg_size 400
		.amdhsa_user_sgpr_count 14
		.amdhsa_user_sgpr_dispatch_ptr 0
		.amdhsa_user_sgpr_queue_ptr 0
		.amdhsa_user_sgpr_kernarg_segment_ptr 1
		.amdhsa_user_sgpr_dispatch_id 0
		.amdhsa_user_sgpr_private_segment_size 0
		.amdhsa_wavefront_size32 1
		.amdhsa_uses_dynamic_stack 0
		.amdhsa_enable_private_segment 0
		.amdhsa_system_sgpr_workgroup_id_x 1
		.amdhsa_system_sgpr_workgroup_id_y 0
		.amdhsa_system_sgpr_workgroup_id_z 1
		.amdhsa_system_sgpr_workgroup_info 0
		.amdhsa_system_vgpr_workitem_id 1
		.amdhsa_next_free_vgpr 68
		.amdhsa_next_free_sgpr 36
		.amdhsa_reserve_vcc 1
		.amdhsa_float_round_mode_32 0
		.amdhsa_float_round_mode_16_64 0
		.amdhsa_float_denorm_mode_32 3
		.amdhsa_float_denorm_mode_16_64 3
		.amdhsa_dx10_clamp 1
		.amdhsa_ieee_mode 1
		.amdhsa_fp16_overflow 0
		.amdhsa_workgroup_processor_mode 1
		.amdhsa_memory_ordered 1
		.amdhsa_forward_progress 0
		.amdhsa_shared_vgpr_count 0
		.amdhsa_exception_fp_ieee_invalid_op 0
		.amdhsa_exception_fp_denorm_src 0
		.amdhsa_exception_fp_ieee_div_zero 0
		.amdhsa_exception_fp_ieee_overflow 0
		.amdhsa_exception_fp_ieee_underflow 0
		.amdhsa_exception_fp_ieee_inexact 0
		.amdhsa_exception_int_div_zero 0
	.end_amdhsa_kernel
	.section	.text._ZL20rocblas_gemvn_kernelILi64ELi4ElPK19rocblas_complex_numIfES1_KPS1_EviiT3_lPKT2_lT1_lS9_lSA_lS6_lPT4_lSA_li,"axG",@progbits,_ZL20rocblas_gemvn_kernelILi64ELi4ElPK19rocblas_complex_numIfES1_KPS1_EviiT3_lPKT2_lT1_lS9_lSA_lS6_lPT4_lSA_li,comdat
.Lfunc_end297:
	.size	_ZL20rocblas_gemvn_kernelILi64ELi4ElPK19rocblas_complex_numIfES1_KPS1_EviiT3_lPKT2_lT1_lS9_lSA_lS6_lPT4_lSA_li, .Lfunc_end297-_ZL20rocblas_gemvn_kernelILi64ELi4ElPK19rocblas_complex_numIfES1_KPS1_EviiT3_lPKT2_lT1_lS9_lSA_lS6_lPT4_lSA_li
                                        ; -- End function
	.section	.AMDGPU.csdata,"",@progbits
; Kernel info:
; codeLenInByte = 4052
; NumSgprs: 38
; NumVgprs: 68
; ScratchSize: 0
; MemoryBound: 0
; FloatMode: 240
; IeeeMode: 1
; LDSByteSize: 8192 bytes/workgroup (compile time only)
; SGPRBlocks: 4
; VGPRBlocks: 8
; NumSGPRsForWavesPerEU: 38
; NumVGPRsForWavesPerEU: 68
; Occupancy: 16
; WaveLimiterHint : 1
; COMPUTE_PGM_RSRC2:SCRATCH_EN: 0
; COMPUTE_PGM_RSRC2:USER_SGPR: 14
; COMPUTE_PGM_RSRC2:TRAP_HANDLER: 0
; COMPUTE_PGM_RSRC2:TGID_X_EN: 1
; COMPUTE_PGM_RSRC2:TGID_Y_EN: 0
; COMPUTE_PGM_RSRC2:TGID_Z_EN: 1
; COMPUTE_PGM_RSRC2:TIDIG_COMP_CNT: 1
	.section	.text._ZL20rocblas_gemvn_kernelILi32ELi16EiPK19rocblas_complex_numIfES3_KPS1_EviiT3_lPKT2_lT1_lS9_lSA_lS6_lPT4_lSA_li,"axG",@progbits,_ZL20rocblas_gemvn_kernelILi32ELi16EiPK19rocblas_complex_numIfES3_KPS1_EviiT3_lPKT2_lT1_lS9_lSA_lS6_lPT4_lSA_li,comdat
	.globl	_ZL20rocblas_gemvn_kernelILi32ELi16EiPK19rocblas_complex_numIfES3_KPS1_EviiT3_lPKT2_lT1_lS9_lSA_lS6_lPT4_lSA_li ; -- Begin function _ZL20rocblas_gemvn_kernelILi32ELi16EiPK19rocblas_complex_numIfES3_KPS1_EviiT3_lPKT2_lT1_lS9_lSA_lS6_lPT4_lSA_li
	.p2align	8
	.type	_ZL20rocblas_gemvn_kernelILi32ELi16EiPK19rocblas_complex_numIfES3_KPS1_EviiT3_lPKT2_lT1_lS9_lSA_lS6_lPT4_lSA_li,@function
_ZL20rocblas_gemvn_kernelILi32ELi16EiPK19rocblas_complex_numIfES3_KPS1_EviiT3_lPKT2_lT1_lS9_lSA_lS6_lPT4_lSA_li: ; @_ZL20rocblas_gemvn_kernelILi32ELi16EiPK19rocblas_complex_numIfES3_KPS1_EviiT3_lPKT2_lT1_lS9_lSA_lS6_lPT4_lSA_li
; %bb.0:
	s_load_b64 s[4:5], s[0:1], 0x9c
	s_waitcnt lgkmcnt(0)
	s_lshr_b32 s3, s4, 16
	s_and_b32 s4, s4, 0xffff
	s_and_b32 s5, s5, 0xffff
	s_mul_i32 s3, s3, s4
	s_delay_alu instid0(SALU_CYCLE_1) | instskip(NEXT) | instid1(SALU_CYCLE_1)
	s_mul_i32 s3, s3, s5
	s_cmpk_lg_i32 s3, 0x200
	s_cbranch_scc1 .LBB298_51
; %bb.1:
	s_clause 0x1
	s_load_b256 s[16:23], s[0:1], 0x8
	s_load_b256 s[4:11], s[0:1], 0x58
	s_mov_b32 s2, s15
	s_waitcnt lgkmcnt(0)
	s_mul_i32 s3, s15, s19
	s_mul_hi_u32 s13, s15, s18
	s_mul_i32 s12, s15, s18
	s_add_i32 s13, s13, s3
	s_mul_i32 s3, s15, s7
	s_lshl_b64 s[12:13], s[12:13], 3
	s_mul_hi_u32 s7, s15, s6
	s_add_u32 s12, s16, s12
	s_addc_u32 s13, s17, s13
	s_mul_i32 s6, s15, s6
	s_load_b64 s[12:13], s[12:13], 0x0
	s_add_i32 s7, s7, s3
	s_delay_alu instid0(SALU_CYCLE_1) | instskip(NEXT) | instid1(SALU_CYCLE_1)
	s_lshl_b64 s[6:7], s[6:7], 3
	s_add_u32 s4, s4, s6
	s_addc_u32 s5, s5, s7
	s_load_b64 s[4:5], s[4:5], 0x0
	s_waitcnt lgkmcnt(0)
	v_cmp_neq_f32_e64 s3, s12, 0
	v_cmp_neq_f32_e64 s6, s13, 0
	s_delay_alu instid0(VALU_DEP_1)
	s_or_b32 s6, s3, s6
	s_mov_b32 s3, 0
	s_and_b32 vcc_lo, exec_lo, s6
	s_mov_b32 s6, -1
	s_cbranch_vccnz .LBB298_3
; %bb.2:
	v_cmp_neq_f32_e64 s6, s4, 1.0
	v_cmp_neq_f32_e64 s7, s5, 0
	s_delay_alu instid0(VALU_DEP_1)
	s_or_b32 s6, s6, s7
.LBB298_3:
	s_delay_alu instid0(SALU_CYCLE_1)
	s_and_not1_b32 vcc_lo, exec_lo, s6
	s_cbranch_vccnz .LBB298_51
; %bb.4:
	s_or_b32 s6, s12, s13
	s_mov_b64 s[18:19], 0
	s_and_b32 s7, s6, 0x7fffffff
	s_mov_b64 s[16:17], 0
	s_cmp_lg_u32 s7, 0
	s_cselect_b32 s6, -1, 0
	s_cmp_eq_u32 s7, 0
	s_cselect_b32 s24, -1, 0
	s_delay_alu instid0(SALU_CYCLE_1)
	s_and_b32 vcc_lo, exec_lo, s24
	s_cbranch_vccnz .LBB298_6
; %bb.5:
	s_lshl_b64 s[16:17], s[2:3], 3
	s_delay_alu instid0(SALU_CYCLE_1)
	s_add_u32 s16, s20, s16
	s_addc_u32 s17, s21, s17
	s_lshl_b64 s[20:21], s[22:23], 3
	s_load_b64 s[16:17], s[16:17], 0x0
	s_waitcnt lgkmcnt(0)
	s_add_u32 s16, s16, s20
	s_addc_u32 s17, s17, s21
.LBB298_6:
	s_and_not1_b32 vcc_lo, exec_lo, s6
	s_cbranch_vccnz .LBB298_8
; %bb.7:
	s_load_b128 s[20:23], s[0:1], 0x38
	s_lshl_b64 s[6:7], s[2:3], 3
	s_waitcnt lgkmcnt(0)
	s_add_u32 s6, s20, s6
	s_addc_u32 s7, s21, s7
	s_lshl_b64 s[18:19], s[22:23], 3
	s_load_b64 s[6:7], s[6:7], 0x0
	s_waitcnt lgkmcnt(0)
	s_add_u32 s18, s6, s18
	s_addc_u32 s19, s7, s19
.LBB298_8:
	s_lshl_b64 s[2:3], s[2:3], 3
	v_and_b32_e32 v1, 0x3ff, v0
	s_add_u32 s2, s8, s2
	s_addc_u32 s3, s9, s3
	v_bfe_u32 v53, v0, 10, 10
	s_load_b64 s[20:21], s[2:3], 0x0
	s_clause 0x1
	s_load_b64 s[6:7], s[0:1], 0x0
	s_load_b32 s15, s[0:1], 0x78
	s_lshl_b64 s[10:11], s[10:11], 3
	s_mov_b32 s3, -1
	v_lshl_add_u32 v0, v53, 5, v1
	s_delay_alu instid0(VALU_DEP_1)
	v_cmp_gt_u32_e64 s2, 0x80, v0
	s_waitcnt lgkmcnt(0)
	s_add_u32 s9, s20, s10
	s_addc_u32 s10, s21, s11
	s_and_not1_b32 vcc_lo, exec_lo, s24
	s_cbranch_vccnz .LBB298_15
; %bb.9:
	s_and_saveexec_b32 s3, s2
	s_cbranch_execz .LBB298_14
; %bb.10:
	v_lshl_or_b32 v2, s14, 7, v0
	v_mov_b32_e32 v3, 0
	s_ashr_i32 s21, s6, 31
	s_mov_b32 s20, s6
	s_delay_alu instid0(VALU_DEP_1) | instid1(SALU_CYCLE_1)
	v_cmp_gt_i64_e32 vcc_lo, s[20:21], v[2:3]
	s_and_b32 exec_lo, exec_lo, vcc_lo
	s_cbranch_execz .LBB298_14
; %bb.11:
	v_mad_u64_u32 v[4:5], null, s15, v2, 0
	s_ashr_i32 s11, s15, 31
	v_cmp_neq_f32_e64 s2, s4, 0
	v_cmp_neq_f32_e64 s8, s5, 0
	s_delay_alu instid0(VALU_DEP_3) | instskip(NEXT) | instid1(VALU_DEP_2)
	v_mad_u64_u32 v[6:7], null, s11, v2, v[5:6]
	s_or_b32 s2, s2, s8
	s_delay_alu instid0(SALU_CYCLE_1) | instskip(NEXT) | instid1(VALU_DEP_1)
	s_and_not1_b32 vcc_lo, exec_lo, s2
	v_dual_mov_b32 v5, v6 :: v_dual_mov_b32 v6, v3
	s_delay_alu instid0(VALU_DEP_1)
	v_lshlrev_b64 v[4:5], 3, v[4:5]
	s_cbranch_vccnz .LBB298_13
; %bb.12:
	s_delay_alu instid0(VALU_DEP_1) | instskip(NEXT) | instid1(VALU_DEP_2)
	v_add_co_u32 v2, vcc_lo, s9, v4
	v_add_co_ci_u32_e32 v3, vcc_lo, s10, v5, vcc_lo
	global_load_b64 v[2:3], v[2:3], off
	s_waitcnt vmcnt(0)
	v_mul_f32_e32 v6, s4, v3
	s_delay_alu instid0(VALU_DEP_1) | instskip(NEXT) | instid1(VALU_DEP_1)
	v_dual_mul_f32 v7, s5, v3 :: v_dual_fmac_f32 v6, s5, v2
	v_fma_f32 v3, s4, v2, -v7
.LBB298_13:
	s_delay_alu instid0(VALU_DEP_1) | instskip(NEXT) | instid1(VALU_DEP_2)
	v_add_co_u32 v7, vcc_lo, s9, v4
	v_add_co_ci_u32_e32 v8, vcc_lo, s10, v5, vcc_lo
	s_delay_alu instid0(VALU_DEP_3)
	v_mov_b32_e32 v5, v3
	global_store_b64 v[7:8], v[5:6], off
.LBB298_14:
	s_or_b32 exec_lo, exec_lo, s3
	s_mov_b32 s3, 0
.LBB298_15:
	s_delay_alu instid0(SALU_CYCLE_1)
	s_and_not1_b32 vcc_lo, exec_lo, s3
	s_cbranch_vccnz .LBB298_51
; %bb.16:
	s_clause 0x1
	s_load_b32 s20, s[0:1], 0x28
	s_load_b32 s8, s[0:1], 0x48
	s_ashr_i32 s2, s7, 31
	s_lshl_b32 s11, s14, 7
	s_lshr_b32 s0, s2, 26
	v_dual_mov_b32 v2, 0 :: v_dual_lshlrev_b32 v55, 2, v53
	v_dual_mov_b32 v3, 0 :: v_dual_add_nc_u32 v54, s11, v1
	v_dual_mov_b32 v5, 0 :: v_dual_mov_b32 v4, 0
	v_dual_mov_b32 v7, 0 :: v_dual_mov_b32 v6, 0
	;; [unrolled: 1-line block ×3, first 2 shown]
	s_add_i32 s0, s7, s0
	s_mov_b32 s21, exec_lo
	s_and_b32 s14, s0, 0xffffffc0
	s_delay_alu instid0(SALU_CYCLE_1)
	v_cmpx_gt_i32_e64 s14, v55
	s_cbranch_execz .LBB298_28
; %bb.17:
	s_waitcnt lgkmcnt(0)
	v_mul_lo_u32 v3, s20, v55
	v_add_nc_u32_e32 v2, 32, v54
	v_cmp_gt_i32_e32 vcc_lo, s6, v54
	s_lshl_b32 s22, s20, 6
	s_lshl_b32 s24, s8, 6
	s_mov_b32 s23, 0
	s_mov_b32 s25, 0
	s_delay_alu instid0(VALU_DEP_3) | instskip(SKIP_1) | instid1(VALU_DEP_1)
	v_add3_u32 v56, v3, s20, v1
	v_mul_lo_u32 v3, v53, s20
	v_lshl_add_u32 v57, v3, 2, v1
	v_mov_b32_e32 v3, 0
	v_add_nc_u32_e32 v5, 0x60, v54
	v_add_nc_u32_e32 v4, 64, v54
	v_cmp_gt_i32_e64 s0, s6, v2
	s_delay_alu instid0(VALU_DEP_4) | instskip(NEXT) | instid1(VALU_DEP_4)
	v_dual_mov_b32 v7, v3 :: v_dual_add_nc_u32 v2, 2, v55
	v_cmp_gt_i32_e64 s2, s6, v5
	v_mul_lo_u32 v5, v53, s8
	v_mov_b32_e32 v6, v3
	s_delay_alu instid0(VALU_DEP_4)
	v_mad_u64_u32 v[10:11], null, s20, v2, v[1:2]
	v_mov_b32_e32 v9, v3
	v_mul_lo_u32 v58, s8, v2
	v_mov_b32_e32 v8, v3
	v_dual_mov_b32 v5, v3 :: v_dual_lshlrev_b32 v60, 2, v5
	v_cmp_gt_i32_e64 s1, s6, v4
	v_add_nc_u32_e32 v4, 3, v55
	s_delay_alu instid0(VALU_DEP_1)
	v_mad_u64_u32 v[11:12], null, s20, v4, v[1:2]
	v_mad_u64_u32 v[12:13], null, s8, v55, s[8:9]
	v_mul_lo_u32 v59, s8, v4
	v_mov_b32_e32 v2, v3
	v_mov_b32_e32 v4, v3
	s_branch .LBB298_22
.LBB298_18:                             ;   in Loop: Header=BB298_22 Depth=1
	s_or_b32 exec_lo, exec_lo, s28
	s_waitcnt vmcnt(3) lgkmcnt(3)
	v_mul_f32_e32 v45, v26, v44
	v_mul_f32_e32 v44, v25, v44
	s_waitcnt vmcnt(1) lgkmcnt(1)
	v_dual_mul_f32 v46, v22, v42 :: v_dual_mul_f32 v47, v16, v40
	v_mul_f32_e32 v42, v21, v42
	v_fma_f32 v45, v25, v43, -v45
	v_fmac_f32_e32 v44, v26, v43
	s_waitcnt vmcnt(0) lgkmcnt(0)
	v_mul_f32_e32 v43, v14, v38
	v_mul_f32_e32 v38, v13, v38
	v_fma_f32 v46, v21, v41, -v46
	v_dual_add_f32 v4, v4, v45 :: v_dual_add_f32 v5, v5, v44
	s_delay_alu instid0(VALU_DEP_3) | instskip(SKIP_4) | instid1(VALU_DEP_3)
	v_fmac_f32_e32 v38, v14, v37
	v_fmac_f32_e32 v42, v22, v41
	v_mul_f32_e32 v40, v15, v40
	v_fma_f32 v41, v15, v39, -v47
	v_add_f32_e32 v4, v4, v46
	v_dual_add_f32 v5, v5, v42 :: v_dual_fmac_f32 v40, v16, v39
	v_fma_f32 v39, v13, v37, -v43
	s_delay_alu instid0(VALU_DEP_2) | instskip(NEXT) | instid1(VALU_DEP_1)
	v_dual_add_f32 v4, v4, v41 :: v_dual_add_f32 v5, v5, v40
	v_dual_add_f32 v4, v4, v39 :: v_dual_add_f32 v5, v5, v38
.LBB298_19:                             ;   in Loop: Header=BB298_22 Depth=1
	s_or_b32 exec_lo, exec_lo, s27
	s_waitcnt vmcnt(3) lgkmcnt(3)
	v_mul_f32_e32 v37, v26, v36
	v_mul_f32_e32 v36, v25, v36
	s_waitcnt vmcnt(1) lgkmcnt(1)
	v_dual_mul_f32 v38, v22, v34 :: v_dual_mul_f32 v39, v16, v32
	v_mul_f32_e32 v34, v21, v34
	v_mul_f32_e32 v32, v15, v32
	v_fma_f32 v37, v25, v35, -v37
	s_delay_alu instid0(VALU_DEP_4) | instskip(NEXT) | instid1(VALU_DEP_3)
	v_fma_f32 v38, v21, v33, -v38
	v_fmac_f32_e32 v32, v16, v31
	v_fmac_f32_e32 v34, v22, v33
	;; [unrolled: 1-line block ×3, first 2 shown]
	v_add_f32_e32 v6, v6, v37
	s_waitcnt vmcnt(0) lgkmcnt(0)
	v_mul_f32_e32 v35, v14, v30
	v_mul_f32_e32 v30, v13, v30
	v_fma_f32 v33, v15, v31, -v39
	v_dual_add_f32 v7, v7, v36 :: v_dual_add_f32 v6, v6, v38
	s_delay_alu instid0(VALU_DEP_4) | instskip(NEXT) | instid1(VALU_DEP_2)
	v_fma_f32 v31, v13, v29, -v35
	v_dual_fmac_f32 v30, v14, v29 :: v_dual_add_f32 v7, v7, v34
	s_delay_alu instid0(VALU_DEP_1) | instskip(NEXT) | instid1(VALU_DEP_1)
	v_dual_add_f32 v6, v6, v33 :: v_dual_add_f32 v7, v7, v32
	v_dual_add_f32 v6, v6, v31 :: v_dual_add_f32 v7, v7, v30
.LBB298_20:                             ;   in Loop: Header=BB298_22 Depth=1
	s_or_b32 exec_lo, exec_lo, s3
	s_waitcnt vmcnt(3) lgkmcnt(3)
	v_mul_f32_e32 v29, v26, v28
	v_mul_f32_e32 v28, v25, v28
	s_waitcnt vmcnt(1) lgkmcnt(1)
	v_mul_f32_e32 v31, v16, v20
	v_mul_f32_e32 v20, v15, v20
	v_fma_f32 v25, v25, v27, -v29
	v_fmac_f32_e32 v28, v26, v27
	s_waitcnt vmcnt(0) lgkmcnt(0)
	v_mul_f32_e32 v26, v14, v18
	v_mul_f32_e32 v18, v13, v18
	v_fma_f32 v15, v15, v19, -v31
	v_dual_add_f32 v8, v8, v25 :: v_dual_add_f32 v9, v9, v28
	v_fmac_f32_e32 v20, v16, v19
	s_delay_alu instid0(VALU_DEP_4) | instskip(SKIP_3) | instid1(VALU_DEP_2)
	v_fmac_f32_e32 v18, v14, v17
	v_mul_f32_e32 v30, v22, v24
	v_mul_f32_e32 v24, v21, v24
	v_fma_f32 v13, v13, v17, -v26
	v_fmac_f32_e32 v24, v22, v23
	s_delay_alu instid0(VALU_DEP_1) | instskip(NEXT) | instid1(VALU_DEP_1)
	v_add_f32_e32 v9, v9, v24
	v_add_f32_e32 v9, v9, v20
	s_delay_alu instid0(VALU_DEP_1) | instskip(SKIP_1) | instid1(VALU_DEP_1)
	v_add_f32_e32 v9, v9, v18
	v_fma_f32 v21, v21, v23, -v30
	v_add_f32_e32 v8, v8, v21
	s_delay_alu instid0(VALU_DEP_1) | instskip(NEXT) | instid1(VALU_DEP_1)
	v_add_f32_e32 v8, v8, v15
	v_add_f32_e32 v8, v8, v13
.LBB298_21:                             ;   in Loop: Header=BB298_22 Depth=1
	s_or_b32 exec_lo, exec_lo, s26
	v_add_nc_u32_e32 v55, 64, v55
	v_add_nc_u32_e32 v56, s22, v56
	;; [unrolled: 1-line block ×5, first 2 shown]
	v_cmp_le_i32_e64 s3, s14, v55
	s_add_i32 s25, s25, s24
	s_delay_alu instid0(VALU_DEP_1) | instskip(NEXT) | instid1(SALU_CYCLE_1)
	s_or_b32 s23, s3, s23
	s_and_not1_b32 exec_lo, exec_lo, s23
	s_cbranch_execz .LBB298_27
.LBB298_22:                             ; =>This Inner Loop Header: Depth=1
	s_and_saveexec_b32 s26, vcc_lo
	s_cbranch_execz .LBB298_21
; %bb.23:                               ;   in Loop: Header=BB298_22 Depth=1
	v_add_nc_u32_e32 v13, s25, v60
	v_add_nc_u32_e32 v15, s25, v12
	;; [unrolled: 1-line block ×5, first 2 shown]
	v_ashrrev_i32_e32 v14, 31, v13
	v_ashrrev_i32_e32 v16, 31, v15
	;; [unrolled: 1-line block ×4, first 2 shown]
	v_add_nc_u32_e32 v23, s11, v56
	v_lshlrev_b64 v[13:14], 3, v[13:14]
	v_lshlrev_b64 v[15:16], 3, v[15:16]
	;; [unrolled: 1-line block ×3, first 2 shown]
	v_ashrrev_i32_e32 v22, 31, v21
	v_lshlrev_b64 v[19:20], 3, v[19:20]
	v_ashrrev_i32_e32 v24, 31, v23
	v_add_co_u32 v13, s3, s18, v13
	s_delay_alu instid0(VALU_DEP_1)
	v_add_co_ci_u32_e64 v14, s3, s19, v14, s3
	v_add_co_u32 v15, s3, s18, v15
	v_add_nc_u32_e32 v25, s11, v10
	v_add_co_ci_u32_e64 v16, s3, s19, v16, s3
	v_add_co_u32 v17, s3, s18, v17
	v_lshlrev_b64 v[21:22], 3, v[21:22]
	v_add_nc_u32_e32 v27, s11, v11
	v_add_co_ci_u32_e64 v18, s3, s19, v18, s3
	v_add_co_u32 v19, s3, s18, v19
	v_lshlrev_b64 v[23:24], 3, v[23:24]
	v_ashrrev_i32_e32 v26, 31, v25
	v_add_co_ci_u32_e64 v20, s3, s19, v20, s3
	v_add_co_u32 v51, s3, s16, v21
	v_ashrrev_i32_e32 v28, 31, v27
	v_add_co_ci_u32_e64 v52, s3, s17, v22, s3
	v_lshlrev_b64 v[21:22], 3, v[25:26]
	v_add_co_u32 v49, s3, s16, v23
	s_delay_alu instid0(VALU_DEP_1) | instskip(SKIP_1) | instid1(VALU_DEP_4)
	v_add_co_ci_u32_e64 v50, s3, s17, v24, s3
	v_lshlrev_b64 v[23:24], 3, v[27:28]
	v_add_co_u32 v47, s3, s16, v21
	s_delay_alu instid0(VALU_DEP_1) | instskip(NEXT) | instid1(VALU_DEP_3)
	v_add_co_ci_u32_e64 v48, s3, s17, v22, s3
	v_add_co_u32 v45, s3, s16, v23
	s_delay_alu instid0(VALU_DEP_1)
	v_add_co_ci_u32_e64 v46, s3, s17, v24, s3
	s_clause 0x3
	flat_load_b64 v[25:26], v[13:14]
	flat_load_b64 v[21:22], v[15:16]
	flat_load_b64 v[15:16], v[17:18]
	flat_load_b64 v[13:14], v[19:20]
	s_clause 0x3
	flat_load_b64 v[27:28], v[51:52]
	flat_load_b64 v[23:24], v[49:50]
	;; [unrolled: 1-line block ×4, first 2 shown]
	s_and_saveexec_b32 s3, s0
	s_cbranch_execz .LBB298_20
; %bb.24:                               ;   in Loop: Header=BB298_22 Depth=1
	s_clause 0x3
	flat_load_b64 v[35:36], v[51:52] offset:256
	flat_load_b64 v[33:34], v[49:50] offset:256
	flat_load_b64 v[31:32], v[47:48] offset:256
	flat_load_b64 v[29:30], v[45:46] offset:256
	s_and_saveexec_b32 s27, s1
	s_cbranch_execz .LBB298_19
; %bb.25:                               ;   in Loop: Header=BB298_22 Depth=1
	s_clause 0x3
	flat_load_b64 v[43:44], v[51:52] offset:512
	flat_load_b64 v[41:42], v[49:50] offset:512
	flat_load_b64 v[39:40], v[47:48] offset:512
	flat_load_b64 v[37:38], v[45:46] offset:512
	;; [unrolled: 8-line block ×3, first 2 shown]
	s_waitcnt vmcnt(3) lgkmcnt(3)
	v_mul_f32_e32 v61, v26, v52
	v_mul_f32_e32 v52, v25, v52
	s_waitcnt vmcnt(1) lgkmcnt(1)
	v_dual_mul_f32 v62, v22, v50 :: v_dual_mul_f32 v63, v16, v48
	v_mul_f32_e32 v50, v21, v50
	v_mul_f32_e32 v48, v15, v48
	v_fma_f32 v61, v25, v51, -v61
	s_delay_alu instid0(VALU_DEP_4) | instskip(NEXT) | instid1(VALU_DEP_4)
	v_fma_f32 v62, v21, v49, -v62
	v_fmac_f32_e32 v50, v22, v49
	v_fmac_f32_e32 v52, v26, v51
	s_waitcnt vmcnt(0) lgkmcnt(0)
	v_mul_f32_e32 v51, v14, v46
	v_mul_f32_e32 v46, v13, v46
	v_fma_f32 v49, v15, v47, -v63
	s_delay_alu instid0(VALU_DEP_2) | instskip(SKIP_2) | instid1(VALU_DEP_3)
	v_dual_add_f32 v3, v3, v52 :: v_dual_fmac_f32 v46, v14, v45
	v_fmac_f32_e32 v48, v16, v47
	v_fma_f32 v47, v13, v45, -v51
	v_dual_add_f32 v3, v3, v50 :: v_dual_add_f32 v2, v2, v61
	s_delay_alu instid0(VALU_DEP_1) | instskip(NEXT) | instid1(VALU_DEP_1)
	v_dual_add_f32 v3, v3, v48 :: v_dual_add_f32 v2, v2, v62
	v_dual_add_f32 v3, v3, v46 :: v_dual_add_f32 v2, v2, v49
	s_delay_alu instid0(VALU_DEP_1)
	v_add_f32_e32 v2, v2, v47
	s_branch .LBB298_18
.LBB298_27:
	s_or_b32 exec_lo, exec_lo, s23
.LBB298_28:
	s_delay_alu instid0(SALU_CYCLE_1) | instskip(SKIP_1) | instid1(SALU_CYCLE_1)
	s_or_b32 exec_lo, exec_lo, s21
	s_sub_i32 s0, s7, s14
	s_cmp_lt_i32 s0, 1
	s_cbranch_scc1 .LBB298_46
; %bb.29:
	v_cmp_gt_i32_e32 vcc_lo, s7, v55
	v_dual_mov_b32 v10, 0 :: v_dual_mov_b32 v11, 0
	v_or_b32_e32 v18, 1, v55
	v_dual_mov_b32 v12, 0 :: v_dual_mov_b32 v13, 0
	v_dual_mov_b32 v14, 0 :: v_dual_mov_b32 v15, 0
	;; [unrolled: 1-line block ×3, first 2 shown]
	s_and_saveexec_b32 s1, vcc_lo
	s_cbranch_execz .LBB298_37
; %bb.30:
	s_waitcnt lgkmcnt(0)
	v_mul_lo_u32 v10, v55, s8
	v_dual_mov_b32 v17, 0 :: v_dual_mov_b32 v16, 0
	v_dual_mov_b32 v15, 0 :: v_dual_mov_b32 v14, 0
	;; [unrolled: 1-line block ×3, first 2 shown]
	s_mov_b32 s2, exec_lo
	s_delay_alu instid0(VALU_DEP_4) | instskip(NEXT) | instid1(VALU_DEP_1)
	v_ashrrev_i32_e32 v11, 31, v10
	v_lshlrev_b64 v[10:11], 3, v[10:11]
	s_delay_alu instid0(VALU_DEP_1) | instskip(NEXT) | instid1(VALU_DEP_1)
	v_add_co_u32 v10, s0, s18, v10
	v_add_co_ci_u32_e64 v11, s0, s19, v11, s0
	flat_load_b64 v[10:11], v[10:11]
	v_cmpx_gt_i32_e64 s7, v18
	s_cbranch_execz .LBB298_36
; %bb.31:
	v_mul_lo_u32 v12, v18, s8
	v_or_b32_e32 v19, 2, v55
	v_dual_mov_b32 v17, 0 :: v_dual_mov_b32 v16, 0
	v_dual_mov_b32 v15, 0 :: v_dual_mov_b32 v14, 0
	s_mov_b32 s3, exec_lo
	s_delay_alu instid0(VALU_DEP_4) | instskip(NEXT) | instid1(VALU_DEP_1)
	v_ashrrev_i32_e32 v13, 31, v12
	v_lshlrev_b64 v[12:13], 3, v[12:13]
	s_delay_alu instid0(VALU_DEP_1) | instskip(NEXT) | instid1(VALU_DEP_1)
	v_add_co_u32 v12, s0, s18, v12
	v_add_co_ci_u32_e64 v13, s0, s19, v13, s0
	flat_load_b64 v[12:13], v[12:13]
	v_cmpx_gt_i32_e64 s7, v19
	s_cbranch_execz .LBB298_35
; %bb.32:
	v_mul_lo_u32 v14, v19, s8
	v_or_b32_e32 v19, 3, v55
	v_dual_mov_b32 v17, 0 :: v_dual_mov_b32 v16, 0
	s_mov_b32 s14, exec_lo
	s_delay_alu instid0(VALU_DEP_3) | instskip(NEXT) | instid1(VALU_DEP_1)
	v_ashrrev_i32_e32 v15, 31, v14
	v_lshlrev_b64 v[14:15], 3, v[14:15]
	s_delay_alu instid0(VALU_DEP_1) | instskip(NEXT) | instid1(VALU_DEP_1)
	v_add_co_u32 v14, s0, s18, v14
	v_add_co_ci_u32_e64 v15, s0, s19, v15, s0
	flat_load_b64 v[14:15], v[14:15]
	v_cmpx_gt_i32_e64 s7, v19
	s_cbranch_execz .LBB298_34
; %bb.33:
	v_mul_lo_u32 v16, v19, s8
	s_delay_alu instid0(VALU_DEP_1) | instskip(NEXT) | instid1(VALU_DEP_1)
	v_ashrrev_i32_e32 v17, 31, v16
	v_lshlrev_b64 v[16:17], 3, v[16:17]
	s_delay_alu instid0(VALU_DEP_1) | instskip(NEXT) | instid1(VALU_DEP_1)
	v_add_co_u32 v16, s0, s18, v16
	v_add_co_ci_u32_e64 v17, s0, s19, v17, s0
	flat_load_b64 v[16:17], v[16:17]
.LBB298_34:
	s_or_b32 exec_lo, exec_lo, s14
.LBB298_35:
	s_delay_alu instid0(SALU_CYCLE_1)
	s_or_b32 exec_lo, exec_lo, s3
.LBB298_36:
	s_delay_alu instid0(SALU_CYCLE_1)
	s_or_b32 exec_lo, exec_lo, s2
.LBB298_37:
	s_delay_alu instid0(SALU_CYCLE_1) | instskip(NEXT) | instid1(SALU_CYCLE_1)
	s_or_b32 exec_lo, exec_lo, s1
	s_mov_b32 s1, exec_lo
	v_cmpx_gt_i32_e64 s6, v54
	s_cbranch_execz .LBB298_45
; %bb.38:
	s_waitcnt lgkmcnt(0)
	v_mul_lo_u32 v19, v55, s20
	v_mul_lo_u32 v20, v18, s20
	v_or_b32_e32 v21, 2, v55
	v_or_b32_e32 v22, 3, v55
	s_mov_b32 s0, exec_lo
	s_delay_alu instid0(VALU_DEP_2)
	v_mul_lo_u32 v23, v21, s20
	v_cndmask_b32_e32 v19, 0, v19, vcc_lo
	v_cmp_gt_i32_e32 vcc_lo, s7, v18
	v_mul_lo_u32 v24, v22, s20
	v_cndmask_b32_e32 v20, 0, v20, vcc_lo
	v_cmp_gt_i32_e32 vcc_lo, s7, v21
	v_add_nc_u32_e32 v18, v19, v54
	s_delay_alu instid0(VALU_DEP_3) | instskip(NEXT) | instid1(VALU_DEP_2)
	v_dual_cndmask_b32 v23, 0, v23 :: v_dual_add_nc_u32 v20, v20, v54
	v_ashrrev_i32_e32 v19, 31, v18
	v_cmp_gt_i32_e32 vcc_lo, s7, v22
	s_delay_alu instid0(VALU_DEP_3) | instskip(NEXT) | instid1(VALU_DEP_3)
	v_ashrrev_i32_e32 v21, 31, v20
	v_lshlrev_b64 v[18:19], 3, v[18:19]
	v_cndmask_b32_e32 v24, 0, v24, vcc_lo
	s_delay_alu instid0(VALU_DEP_3) | instskip(NEXT) | instid1(VALU_DEP_2)
	v_lshlrev_b64 v[20:21], 3, v[20:21]
	v_add_nc_u32_e32 v26, v24, v54
	s_delay_alu instid0(VALU_DEP_4) | instskip(SKIP_1) | instid1(VALU_DEP_4)
	v_add_co_u32 v24, vcc_lo, s16, v18
	v_add_co_ci_u32_e32 v25, vcc_lo, s17, v19, vcc_lo
	v_add_co_u32 v20, vcc_lo, s16, v20
	v_add_co_ci_u32_e32 v21, vcc_lo, s17, v21, vcc_lo
	s_clause 0x1
	flat_load_b64 v[28:29], v[24:25]
	flat_load_b64 v[30:31], v[20:21]
	s_waitcnt vmcnt(0) lgkmcnt(0)
	v_dual_mul_f32 v35, v13, v31 :: v_dual_add_nc_u32 v22, v23, v54
	v_dual_mul_f32 v31, v12, v31 :: v_dual_mul_f32 v34, v11, v29
	v_mul_f32_e32 v29, v10, v29
	s_delay_alu instid0(VALU_DEP_3) | instskip(NEXT) | instid1(VALU_DEP_3)
	v_ashrrev_i32_e32 v23, 31, v22
	v_fmac_f32_e32 v31, v13, v30
	s_delay_alu instid0(VALU_DEP_4) | instskip(NEXT) | instid1(VALU_DEP_4)
	v_fma_f32 v34, v10, v28, -v34
	v_fmac_f32_e32 v29, v11, v28
	v_ashrrev_i32_e32 v27, 31, v26
	v_lshlrev_b64 v[18:19], 3, v[22:23]
	v_fma_f32 v28, v12, v30, -v35
	s_delay_alu instid0(VALU_DEP_4) | instskip(NEXT) | instid1(VALU_DEP_4)
	v_dual_add_f32 v8, v8, v34 :: v_dual_add_f32 v29, v9, v29
	v_lshlrev_b64 v[26:27], 3, v[26:27]
	s_delay_alu instid0(VALU_DEP_4) | instskip(SKIP_1) | instid1(VALU_DEP_3)
	v_add_co_u32 v22, vcc_lo, s16, v18
	v_add_co_ci_u32_e32 v23, vcc_lo, s17, v19, vcc_lo
	v_add_co_u32 v18, vcc_lo, s16, v26
	s_delay_alu instid0(VALU_DEP_4)
	v_add_co_ci_u32_e32 v19, vcc_lo, s17, v27, vcc_lo
	s_clause 0x1
	flat_load_b64 v[26:27], v[22:23]
	flat_load_b64 v[32:33], v[18:19]
	s_waitcnt vmcnt(0) lgkmcnt(0)
	v_dual_mul_f32 v30, v15, v27 :: v_dual_mul_f32 v35, v17, v33
	v_mul_f32_e32 v27, v14, v27
	v_mul_f32_e32 v9, v16, v33
	s_delay_alu instid0(VALU_DEP_3) | instskip(NEXT) | instid1(VALU_DEP_3)
	v_fma_f32 v30, v14, v26, -v30
	v_dual_fmac_f32 v27, v15, v26 :: v_dual_add_f32 v26, v8, v28
	v_dual_add_f32 v28, v29, v31 :: v_dual_add_nc_u32 v29, 32, v54
	v_fma_f32 v8, v16, v32, -v35
	s_delay_alu instid0(VALU_DEP_3) | instskip(NEXT) | instid1(VALU_DEP_3)
	v_dual_fmac_f32 v9, v17, v32 :: v_dual_add_f32 v26, v26, v30
	v_add_f32_e32 v27, v28, v27
	s_delay_alu instid0(VALU_DEP_4)
	v_cmpx_gt_i32_e64 s6, v29
	s_cbranch_execz .LBB298_44
; %bb.39:
	s_clause 0x3
	flat_load_b64 v[28:29], v[24:25] offset:256
	flat_load_b64 v[30:31], v[20:21] offset:256
	;; [unrolled: 1-line block ×4, first 2 shown]
	s_mov_b32 s2, exec_lo
	s_waitcnt vmcnt(2) lgkmcnt(2)
	v_dual_mul_f32 v36, v11, v29 :: v_dual_mul_f32 v37, v13, v31
	v_mul_f32_e32 v29, v10, v29
	s_waitcnt vmcnt(1) lgkmcnt(1)
	v_dual_mul_f32 v31, v12, v31 :: v_dual_mul_f32 v38, v15, v33
	s_delay_alu instid0(VALU_DEP_3) | instskip(SKIP_1) | instid1(VALU_DEP_3)
	v_fma_f32 v36, v10, v28, -v36
	v_fma_f32 v37, v12, v30, -v37
	v_fmac_f32_e32 v31, v13, v30
	s_delay_alu instid0(VALU_DEP_4) | instskip(NEXT) | instid1(VALU_DEP_4)
	v_fma_f32 v30, v14, v32, -v38
	v_add_f32_e32 v6, v6, v36
	v_mul_f32_e32 v33, v14, v33
	s_waitcnt vmcnt(0) lgkmcnt(0)
	v_dual_fmac_f32 v29, v11, v28 :: v_dual_mul_f32 v28, v17, v35
	s_delay_alu instid0(VALU_DEP_2) | instskip(NEXT) | instid1(VALU_DEP_2)
	v_dual_fmac_f32 v33, v15, v32 :: v_dual_add_f32 v32, v6, v37
	v_add_f32_e32 v29, v7, v29
	v_mul_f32_e32 v7, v16, v35
	s_delay_alu instid0(VALU_DEP_4) | instskip(NEXT) | instid1(VALU_DEP_3)
	v_fma_f32 v6, v16, v34, -v28
	v_dual_add_f32 v28, v32, v30 :: v_dual_add_f32 v29, v29, v31
	v_add_nc_u32_e32 v31, 64, v54
	s_delay_alu instid0(VALU_DEP_4) | instskip(NEXT) | instid1(VALU_DEP_3)
	v_fmac_f32_e32 v7, v17, v34
	v_add_f32_e32 v29, v29, v33
	s_delay_alu instid0(VALU_DEP_3)
	v_cmpx_gt_i32_e64 s6, v31
	s_cbranch_execz .LBB298_43
; %bb.40:
	s_clause 0x3
	flat_load_b64 v[30:31], v[24:25] offset:512
	flat_load_b64 v[32:33], v[20:21] offset:512
	;; [unrolled: 1-line block ×4, first 2 shown]
	s_mov_b32 s3, exec_lo
	s_waitcnt vmcnt(2) lgkmcnt(2)
	v_dual_mul_f32 v38, v11, v31 :: v_dual_mul_f32 v39, v13, v33
	v_mul_f32_e32 v31, v10, v31
	s_waitcnt vmcnt(1) lgkmcnt(1)
	v_dual_mul_f32 v33, v12, v33 :: v_dual_mul_f32 v40, v15, v35
	s_delay_alu instid0(VALU_DEP_3) | instskip(SKIP_2) | instid1(VALU_DEP_4)
	v_fma_f32 v38, v10, v30, -v38
	v_mul_f32_e32 v35, v14, v35
	v_fma_f32 v39, v12, v32, -v39
	v_fmac_f32_e32 v33, v13, v32
	v_fma_f32 v32, v14, v34, -v40
	v_add_f32_e32 v4, v4, v38
	s_waitcnt vmcnt(0) lgkmcnt(0)
	v_dual_fmac_f32 v31, v11, v30 :: v_dual_mul_f32 v30, v17, v37
	s_delay_alu instid0(VALU_DEP_2) | instskip(NEXT) | instid1(VALU_DEP_2)
	v_dual_fmac_f32 v35, v15, v34 :: v_dual_add_f32 v34, v4, v39
	v_add_f32_e32 v31, v5, v31
	v_mul_f32_e32 v5, v16, v37
	s_delay_alu instid0(VALU_DEP_4) | instskip(NEXT) | instid1(VALU_DEP_3)
	v_fma_f32 v4, v16, v36, -v30
	v_dual_add_f32 v30, v34, v32 :: v_dual_add_f32 v31, v31, v33
	v_add_nc_u32_e32 v33, 0x60, v54
	s_delay_alu instid0(VALU_DEP_4) | instskip(NEXT) | instid1(VALU_DEP_3)
	v_fmac_f32_e32 v5, v17, v36
	v_add_f32_e32 v31, v31, v35
	s_delay_alu instid0(VALU_DEP_3)
	v_cmpx_gt_i32_e64 s6, v33
	s_cbranch_execz .LBB298_42
; %bb.41:
	s_clause 0x3
	flat_load_b64 v[24:25], v[24:25] offset:768
	flat_load_b64 v[20:21], v[20:21] offset:768
	;; [unrolled: 1-line block ×4, first 2 shown]
	s_waitcnt vmcnt(3) lgkmcnt(3)
	v_mul_f32_e32 v32, v11, v25
	s_waitcnt vmcnt(1) lgkmcnt(1)
	v_dual_mul_f32 v25, v10, v25 :: v_dual_mul_f32 v34, v15, v23
	v_mul_f32_e32 v23, v14, v23
	s_delay_alu instid0(VALU_DEP_3) | instskip(SKIP_1) | instid1(VALU_DEP_4)
	v_fma_f32 v10, v10, v24, -v32
	v_mul_f32_e32 v33, v13, v21
	v_fmac_f32_e32 v25, v11, v24
	s_delay_alu instid0(VALU_DEP_4) | instskip(NEXT) | instid1(VALU_DEP_4)
	v_fmac_f32_e32 v23, v15, v22
	v_add_f32_e32 v2, v2, v10
	s_waitcnt vmcnt(0) lgkmcnt(0)
	v_mul_f32_e32 v10, v16, v19
	v_mul_f32_e32 v21, v12, v21
	v_fma_f32 v12, v12, v20, -v33
	s_delay_alu instid0(VALU_DEP_3) | instskip(NEXT) | instid1(VALU_DEP_2)
	v_dual_add_f32 v3, v3, v25 :: v_dual_fmac_f32 v10, v17, v18
	v_add_f32_e32 v2, v2, v12
	s_delay_alu instid0(VALU_DEP_4) | instskip(SKIP_1) | instid1(VALU_DEP_1)
	v_fmac_f32_e32 v21, v13, v20
	v_fma_f32 v13, v14, v22, -v34
	v_dual_mul_f32 v11, v17, v19 :: v_dual_add_f32 v2, v2, v13
	s_delay_alu instid0(VALU_DEP_1) | instskip(NEXT) | instid1(VALU_DEP_1)
	v_fma_f32 v11, v16, v18, -v11
	v_dual_add_f32 v2, v2, v11 :: v_dual_add_f32 v3, v3, v21
	s_delay_alu instid0(VALU_DEP_1) | instskip(NEXT) | instid1(VALU_DEP_1)
	v_add_f32_e32 v3, v3, v23
	v_add_f32_e32 v3, v3, v10
.LBB298_42:
	s_or_b32 exec_lo, exec_lo, s3
	s_delay_alu instid0(VALU_DEP_2)
	v_dual_add_f32 v4, v30, v4 :: v_dual_add_f32 v5, v31, v5
.LBB298_43:
	s_or_b32 exec_lo, exec_lo, s2
	s_delay_alu instid0(VALU_DEP_2)
	v_dual_add_f32 v6, v28, v6 :: v_dual_add_f32 v7, v29, v7
.LBB298_44:
	s_or_b32 exec_lo, exec_lo, s0
	s_delay_alu instid0(VALU_DEP_2)
	v_dual_add_f32 v8, v26, v8 :: v_dual_add_f32 v9, v27, v9
.LBB298_45:
	s_or_b32 exec_lo, exec_lo, s1
.LBB298_46:
	s_waitcnt vmcnt(0) lgkmcnt(0)
	v_lshlrev_b32_e32 v10, 7, v53
	s_mov_b32 s0, exec_lo
	s_delay_alu instid0(VALU_DEP_1)
	v_add_lshl_u32 v1, v10, v1, 3
	ds_store_2addr_b64 v1, v[8:9], v[6:7] offset1:32
	ds_store_2addr_b64 v1, v[4:5], v[2:3] offset0:64 offset1:96
	s_waitcnt lgkmcnt(0)
	s_waitcnt_vscnt null, 0x0
	s_barrier
	buffer_gl0_inv
	v_cmpx_gt_u32_e32 0x80, v0
	s_cbranch_execz .LBB298_51
; %bb.47:
	v_lshlrev_b32_e32 v13, 3, v0
	v_or_b32_e32 v0, s11, v0
	ds_load_2addr_stride64_b64 v[1:4], v13 offset1:2
	ds_load_2addr_stride64_b64 v[5:8], v13 offset0:4 offset1:6
	ds_load_2addr_stride64_b64 v[9:12], v13 offset0:8 offset1:10
	v_cmp_gt_i32_e32 vcc_lo, s6, v0
	s_waitcnt lgkmcnt(2)
	v_add_f32_e32 v14, v1, v3
	s_waitcnt lgkmcnt(1)
	s_delay_alu instid0(VALU_DEP_1) | instskip(SKIP_4) | instid1(VALU_DEP_1)
	v_add_f32_e32 v5, v14, v5
	v_add_f32_e32 v15, v2, v4
	ds_load_2addr_stride64_b64 v[1:4], v13 offset0:12 offset1:14
	v_add_f32_e32 v14, v5, v7
	s_waitcnt lgkmcnt(1)
	v_dual_add_f32 v6, v15, v6 :: v_dual_add_f32 v9, v14, v9
	s_delay_alu instid0(VALU_DEP_1) | instskip(SKIP_3) | instid1(VALU_DEP_1)
	v_add_f32_e32 v15, v6, v8
	ds_load_2addr_stride64_b64 v[5:8], v13 offset0:16 offset1:18
	v_add_f32_e32 v14, v9, v11
	s_waitcnt lgkmcnt(1)
	v_dual_add_f32 v10, v15, v10 :: v_dual_add_f32 v1, v14, v1
	s_delay_alu instid0(VALU_DEP_1) | instskip(SKIP_3) | instid1(VALU_DEP_1)
	;; [unrolled: 6-line block ×3, first 2 shown]
	v_add_f32_e32 v15, v2, v4
	ds_load_2addr_stride64_b64 v[1:4], v13 offset0:24 offset1:26
	v_add_f32_e32 v14, v5, v7
	v_add_f32_e32 v6, v15, v6
	;; [unrolled: 1-line block ×3, first 2 shown]
	ds_load_2addr_stride64_b64 v[5:8], v13 offset0:28 offset1:30
	s_waitcnt lgkmcnt(2)
	v_dual_add_f32 v9, v14, v9 :: v_dual_add_f32 v10, v15, v10
	s_delay_alu instid0(VALU_DEP_1) | instskip(SKIP_1) | instid1(VALU_DEP_1)
	v_dual_add_f32 v9, v9, v11 :: v_dual_add_f32 v10, v10, v12
	s_waitcnt lgkmcnt(1)
	v_dual_add_f32 v1, v9, v1 :: v_dual_add_f32 v2, v10, v2
	s_delay_alu instid0(VALU_DEP_1) | instskip(SKIP_1) | instid1(VALU_DEP_1)
	v_dual_add_f32 v1, v1, v3 :: v_dual_add_f32 v2, v2, v4
	s_waitcnt lgkmcnt(0)
	v_add_f32_e32 v1, v1, v5
	s_delay_alu instid0(VALU_DEP_1) | instskip(NEXT) | instid1(VALU_DEP_1)
	v_dual_add_f32 v3, v2, v6 :: v_dual_add_f32 v2, v1, v7
	v_add_f32_e32 v3, v3, v8
	ds_store_b64 v13, v[2:3]
	s_and_b32 exec_lo, exec_lo, vcc_lo
	s_cbranch_execz .LBB298_51
; %bb.48:
	v_mul_lo_u32 v4, v0, s15
	v_mul_f32_e32 v1, s12, v3
	v_mul_f32_e32 v0, s13, v3
	v_cmp_neq_f32_e64 s0, s4, 0
	v_cmp_neq_f32_e64 s1, s5, 0
	s_delay_alu instid0(VALU_DEP_4) | instskip(NEXT) | instid1(VALU_DEP_4)
	v_fmac_f32_e32 v1, s13, v2
	v_fma_f32 v0, v2, s12, -v0
	v_ashrrev_i32_e32 v5, 31, v4
	s_delay_alu instid0(VALU_DEP_4) | instskip(NEXT) | instid1(SALU_CYCLE_1)
	s_or_b32 s0, s0, s1
	s_and_not1_b32 vcc_lo, exec_lo, s0
	s_delay_alu instid0(VALU_DEP_1)
	v_lshlrev_b64 v[3:4], 3, v[4:5]
	s_cbranch_vccnz .LBB298_50
; %bb.49:
	s_delay_alu instid0(VALU_DEP_1) | instskip(NEXT) | instid1(VALU_DEP_2)
	v_add_co_u32 v5, vcc_lo, s9, v3
	v_add_co_ci_u32_e32 v6, vcc_lo, s10, v4, vcc_lo
	global_load_b64 v[5:6], v[5:6], off
	s_waitcnt vmcnt(0)
	v_mul_f32_e32 v2, s5, v6
	v_mul_f32_e32 v6, s4, v6
	s_delay_alu instid0(VALU_DEP_2) | instskip(NEXT) | instid1(VALU_DEP_2)
	v_fma_f32 v2, s4, v5, -v2
	v_fmac_f32_e32 v6, s5, v5
	s_delay_alu instid0(VALU_DEP_2) | instskip(NEXT) | instid1(VALU_DEP_2)
	v_add_f32_e32 v0, v0, v2
	v_add_f32_e32 v1, v1, v6
.LBB298_50:
	s_delay_alu instid0(VALU_DEP_1) | instskip(NEXT) | instid1(VALU_DEP_2)
	v_add_co_u32 v2, vcc_lo, s9, v3
	v_add_co_ci_u32_e32 v3, vcc_lo, s10, v4, vcc_lo
	global_store_b64 v[2:3], v[0:1], off
.LBB298_51:
	s_nop 0
	s_sendmsg sendmsg(MSG_DEALLOC_VGPRS)
	s_endpgm
	.section	.rodata,"a",@progbits
	.p2align	6, 0x0
	.amdhsa_kernel _ZL20rocblas_gemvn_kernelILi32ELi16EiPK19rocblas_complex_numIfES3_KPS1_EviiT3_lPKT2_lT1_lS9_lSA_lS6_lPT4_lSA_li
		.amdhsa_group_segment_fixed_size 16384
		.amdhsa_private_segment_fixed_size 0
		.amdhsa_kernarg_size 400
		.amdhsa_user_sgpr_count 14
		.amdhsa_user_sgpr_dispatch_ptr 0
		.amdhsa_user_sgpr_queue_ptr 0
		.amdhsa_user_sgpr_kernarg_segment_ptr 1
		.amdhsa_user_sgpr_dispatch_id 0
		.amdhsa_user_sgpr_private_segment_size 0
		.amdhsa_wavefront_size32 1
		.amdhsa_uses_dynamic_stack 0
		.amdhsa_enable_private_segment 0
		.amdhsa_system_sgpr_workgroup_id_x 1
		.amdhsa_system_sgpr_workgroup_id_y 0
		.amdhsa_system_sgpr_workgroup_id_z 1
		.amdhsa_system_sgpr_workgroup_info 0
		.amdhsa_system_vgpr_workitem_id 1
		.amdhsa_next_free_vgpr 64
		.amdhsa_next_free_sgpr 29
		.amdhsa_reserve_vcc 1
		.amdhsa_float_round_mode_32 0
		.amdhsa_float_round_mode_16_64 0
		.amdhsa_float_denorm_mode_32 3
		.amdhsa_float_denorm_mode_16_64 3
		.amdhsa_dx10_clamp 1
		.amdhsa_ieee_mode 1
		.amdhsa_fp16_overflow 0
		.amdhsa_workgroup_processor_mode 1
		.amdhsa_memory_ordered 1
		.amdhsa_forward_progress 0
		.amdhsa_shared_vgpr_count 0
		.amdhsa_exception_fp_ieee_invalid_op 0
		.amdhsa_exception_fp_denorm_src 0
		.amdhsa_exception_fp_ieee_div_zero 0
		.amdhsa_exception_fp_ieee_overflow 0
		.amdhsa_exception_fp_ieee_underflow 0
		.amdhsa_exception_fp_ieee_inexact 0
		.amdhsa_exception_int_div_zero 0
	.end_amdhsa_kernel
	.section	.text._ZL20rocblas_gemvn_kernelILi32ELi16EiPK19rocblas_complex_numIfES3_KPS1_EviiT3_lPKT2_lT1_lS9_lSA_lS6_lPT4_lSA_li,"axG",@progbits,_ZL20rocblas_gemvn_kernelILi32ELi16EiPK19rocblas_complex_numIfES3_KPS1_EviiT3_lPKT2_lT1_lS9_lSA_lS6_lPT4_lSA_li,comdat
.Lfunc_end298:
	.size	_ZL20rocblas_gemvn_kernelILi32ELi16EiPK19rocblas_complex_numIfES3_KPS1_EviiT3_lPKT2_lT1_lS9_lSA_lS6_lPT4_lSA_li, .Lfunc_end298-_ZL20rocblas_gemvn_kernelILi32ELi16EiPK19rocblas_complex_numIfES3_KPS1_EviiT3_lPKT2_lT1_lS9_lSA_lS6_lPT4_lSA_li
                                        ; -- End function
	.section	.AMDGPU.csdata,"",@progbits
; Kernel info:
; codeLenInByte = 4116
; NumSgprs: 31
; NumVgprs: 64
; ScratchSize: 0
; MemoryBound: 0
; FloatMode: 240
; IeeeMode: 1
; LDSByteSize: 16384 bytes/workgroup (compile time only)
; SGPRBlocks: 3
; VGPRBlocks: 7
; NumSGPRsForWavesPerEU: 31
; NumVGPRsForWavesPerEU: 64
; Occupancy: 16
; WaveLimiterHint : 1
; COMPUTE_PGM_RSRC2:SCRATCH_EN: 0
; COMPUTE_PGM_RSRC2:USER_SGPR: 14
; COMPUTE_PGM_RSRC2:TRAP_HANDLER: 0
; COMPUTE_PGM_RSRC2:TGID_X_EN: 1
; COMPUTE_PGM_RSRC2:TGID_Y_EN: 0
; COMPUTE_PGM_RSRC2:TGID_Z_EN: 1
; COMPUTE_PGM_RSRC2:TIDIG_COMP_CNT: 1
	.section	.text._ZL20rocblas_gemvn_kernelILi32ELi16ElPK19rocblas_complex_numIfES3_KPS1_EviiT3_lPKT2_lT1_lS9_lSA_lS6_lPT4_lSA_li,"axG",@progbits,_ZL20rocblas_gemvn_kernelILi32ELi16ElPK19rocblas_complex_numIfES3_KPS1_EviiT3_lPKT2_lT1_lS9_lSA_lS6_lPT4_lSA_li,comdat
	.globl	_ZL20rocblas_gemvn_kernelILi32ELi16ElPK19rocblas_complex_numIfES3_KPS1_EviiT3_lPKT2_lT1_lS9_lSA_lS6_lPT4_lSA_li ; -- Begin function _ZL20rocblas_gemvn_kernelILi32ELi16ElPK19rocblas_complex_numIfES3_KPS1_EviiT3_lPKT2_lT1_lS9_lSA_lS6_lPT4_lSA_li
	.p2align	8
	.type	_ZL20rocblas_gemvn_kernelILi32ELi16ElPK19rocblas_complex_numIfES3_KPS1_EviiT3_lPKT2_lT1_lS9_lSA_lS6_lPT4_lSA_li,@function
_ZL20rocblas_gemvn_kernelILi32ELi16ElPK19rocblas_complex_numIfES3_KPS1_EviiT3_lPKT2_lT1_lS9_lSA_lS6_lPT4_lSA_li: ; @_ZL20rocblas_gemvn_kernelILi32ELi16ElPK19rocblas_complex_numIfES3_KPS1_EviiT3_lPKT2_lT1_lS9_lSA_lS6_lPT4_lSA_li
; %bb.0:
	s_load_b64 s[4:5], s[0:1], 0x9c
	s_waitcnt lgkmcnt(0)
	s_lshr_b32 s3, s4, 16
	s_and_b32 s4, s4, 0xffff
	s_and_b32 s5, s5, 0xffff
	s_mul_i32 s3, s3, s4
	s_delay_alu instid0(SALU_CYCLE_1) | instskip(NEXT) | instid1(SALU_CYCLE_1)
	s_mul_i32 s3, s3, s5
	s_cmpk_lg_i32 s3, 0x200
	s_cbranch_scc1 .LBB299_51
; %bb.1:
	s_clause 0x1
	s_load_b256 s[16:23], s[0:1], 0x8
	s_load_b256 s[4:11], s[0:1], 0x58
	s_mov_b32 s2, s15
	s_waitcnt lgkmcnt(0)
	s_mul_i32 s3, s15, s19
	s_mul_hi_u32 s13, s15, s18
	s_mul_i32 s12, s15, s18
	s_add_i32 s13, s13, s3
	s_mul_i32 s3, s15, s7
	s_lshl_b64 s[12:13], s[12:13], 3
	s_mul_hi_u32 s7, s15, s6
	s_add_u32 s12, s16, s12
	s_addc_u32 s13, s17, s13
	s_mul_i32 s6, s15, s6
	s_load_b64 s[16:17], s[12:13], 0x0
	s_add_i32 s7, s7, s3
	s_delay_alu instid0(SALU_CYCLE_1) | instskip(NEXT) | instid1(SALU_CYCLE_1)
	s_lshl_b64 s[6:7], s[6:7], 3
	s_add_u32 s4, s4, s6
	s_addc_u32 s5, s5, s7
	s_load_b64 s[12:13], s[4:5], 0x0
	s_waitcnt lgkmcnt(0)
	v_cmp_neq_f32_e64 s3, s16, 0
	v_cmp_neq_f32_e64 s4, s17, 0
	s_delay_alu instid0(VALU_DEP_1)
	s_or_b32 s4, s3, s4
	s_mov_b32 s3, 0
	s_and_b32 vcc_lo, exec_lo, s4
	s_mov_b32 s4, -1
	s_cbranch_vccnz .LBB299_3
; %bb.2:
	v_cmp_neq_f32_e64 s4, s12, 1.0
	v_cmp_neq_f32_e64 s5, s13, 0
	s_delay_alu instid0(VALU_DEP_1)
	s_or_b32 s4, s4, s5
.LBB299_3:
	s_delay_alu instid0(SALU_CYCLE_1)
	s_and_not1_b32 vcc_lo, exec_lo, s4
	s_cbranch_vccnz .LBB299_51
; %bb.4:
	s_clause 0x1
	s_load_b64 s[24:25], s[0:1], 0x28
	s_load_b64 s[18:19], s[0:1], 0x78
	s_or_b32 s4, s16, s17
	s_mov_b64 s[28:29], 0
	s_bitset0_b32 s4, 31
	s_mov_b64 s[26:27], 0
	s_cmp_lg_u32 s4, 0
	s_cselect_b32 s30, -1, 0
	s_cmp_eq_u32 s4, 0
	s_cselect_b32 s15, -1, 0
	s_delay_alu instid0(SALU_CYCLE_1)
	s_and_b32 vcc_lo, exec_lo, s15
	s_cbranch_vccnz .LBB299_6
; %bb.5:
	s_lshl_b64 s[4:5], s[2:3], 3
	s_delay_alu instid0(SALU_CYCLE_1)
	s_add_u32 s4, s20, s4
	s_addc_u32 s5, s21, s5
	s_lshl_b64 s[6:7], s[22:23], 3
	s_load_b64 s[4:5], s[4:5], 0x0
	s_waitcnt lgkmcnt(0)
	s_add_u32 s26, s4, s6
	s_addc_u32 s27, s5, s7
.LBB299_6:
	s_clause 0x1
	s_load_b128 s[4:7], s[0:1], 0x38
	s_load_b64 s[20:21], s[0:1], 0x48
	s_and_not1_b32 vcc_lo, exec_lo, s30
	s_cbranch_vccnz .LBB299_8
; %bb.7:
	s_lshl_b64 s[22:23], s[2:3], 3
	s_waitcnt lgkmcnt(0)
	s_add_u32 s4, s4, s22
	s_addc_u32 s5, s5, s23
	s_lshl_b64 s[6:7], s[6:7], 3
	s_load_b64 s[4:5], s[4:5], 0x0
	s_waitcnt lgkmcnt(0)
	s_add_u32 s28, s4, s6
	s_addc_u32 s29, s5, s7
.LBB299_8:
	s_lshl_b64 s[2:3], s[2:3], 3
	v_and_b32_e32 v61, 0x3ff, v0
	s_add_u32 s2, s8, s2
	s_addc_u32 s3, s9, s3
	v_bfe_u32 v62, v0, 10, 10
	s_load_b64 s[2:3], s[2:3], 0x0
	s_waitcnt lgkmcnt(0)
	s_load_b64 s[6:7], s[0:1], 0x0
	s_lshl_b64 s[8:9], s[10:11], 3
	s_mov_b32 s1, -1
	v_lshl_add_u32 v60, v62, 5, v61
	s_delay_alu instid0(VALU_DEP_1)
	v_cmp_gt_u32_e64 s0, 0x80, v60
	s_add_u32 s5, s2, s8
	s_addc_u32 s22, s3, s9
	s_and_not1_b32 vcc_lo, exec_lo, s15
	s_cbranch_vccnz .LBB299_15
; %bb.9:
	s_and_saveexec_b32 s1, s0
	s_cbranch_execz .LBB299_14
; %bb.10:
	v_lshl_or_b32 v0, s14, 7, v60
	v_mov_b32_e32 v1, 0
	s_waitcnt lgkmcnt(0)
	s_ashr_i32 s3, s6, 31
	s_mov_b32 s2, s6
	s_delay_alu instid0(VALU_DEP_1) | instid1(SALU_CYCLE_1)
	v_cmp_gt_i64_e32 vcc_lo, s[2:3], v[0:1]
	s_and_b32 exec_lo, exec_lo, vcc_lo
	s_cbranch_execz .LBB299_14
; %bb.11:
	v_mad_u64_u32 v[2:3], null, v0, s18, 0
	v_cmp_neq_f32_e64 s0, s12, 0
	v_cmp_neq_f32_e64 s2, s13, 0
	s_delay_alu instid0(VALU_DEP_1) | instskip(NEXT) | instid1(VALU_DEP_3)
	s_or_b32 s0, s0, s2
	v_mad_u64_u32 v[4:5], null, v0, s19, v[3:4]
	s_and_not1_b32 vcc_lo, exec_lo, s0
	s_delay_alu instid0(VALU_DEP_1) | instskip(NEXT) | instid1(VALU_DEP_1)
	v_dual_mov_b32 v3, v4 :: v_dual_mov_b32 v4, v1
	v_lshlrev_b64 v[2:3], 3, v[2:3]
	s_cbranch_vccnz .LBB299_13
; %bb.12:
	s_delay_alu instid0(VALU_DEP_1) | instskip(NEXT) | instid1(VALU_DEP_2)
	v_add_co_u32 v0, vcc_lo, s5, v2
	v_add_co_ci_u32_e32 v1, vcc_lo, s22, v3, vcc_lo
	global_load_b64 v[0:1], v[0:1], off
	s_waitcnt vmcnt(0)
	v_mul_f32_e32 v4, s12, v1
	s_delay_alu instid0(VALU_DEP_1) | instskip(NEXT) | instid1(VALU_DEP_1)
	v_dual_mul_f32 v5, s13, v1 :: v_dual_fmac_f32 v4, s13, v0
	v_fma_f32 v1, s12, v0, -v5
.LBB299_13:
	s_delay_alu instid0(VALU_DEP_1) | instskip(NEXT) | instid1(VALU_DEP_2)
	v_add_co_u32 v5, vcc_lo, s5, v2
	v_add_co_ci_u32_e32 v6, vcc_lo, s22, v3, vcc_lo
	s_delay_alu instid0(VALU_DEP_3)
	v_mov_b32_e32 v3, v1
	global_store_b64 v[5:6], v[3:4], off
.LBB299_14:
	s_or_b32 exec_lo, exec_lo, s1
	s_mov_b32 s1, 0
.LBB299_15:
	s_delay_alu instid0(SALU_CYCLE_1)
	s_and_not1_b32 vcc_lo, exec_lo, s1
	s_cbranch_vccnz .LBB299_51
; %bb.16:
	s_waitcnt lgkmcnt(0)
	s_ashr_i32 s0, s7, 31
	s_lshl_b32 s23, s14, 7
	s_lshr_b32 s0, s0, 26
	v_dual_mov_b32 v0, 0 :: v_dual_lshlrev_b32 v63, 2, v62
	v_dual_mov_b32 v1, 0 :: v_dual_add_nc_u32 v2, s23, v61
	v_dual_mov_b32 v5, 0 :: v_dual_mov_b32 v4, 0
	v_dual_mov_b32 v7, 0 :: v_dual_mov_b32 v6, 0
	;; [unrolled: 1-line block ×3, first 2 shown]
	s_add_i32 s30, s7, s0
	s_mov_b32 s31, exec_lo
	s_and_not1_b32 s30, s30, 63
	s_delay_alu instid0(SALU_CYCLE_1)
	v_cmpx_gt_i32_e64 s30, v63
	s_cbranch_execz .LBB299_28
; %bb.17:
	v_lshlrev_b32_e32 v17, 2, v62
	v_mad_u64_u32 v[0:1], null, s20, v62, 0
	v_mad_u64_u32 v[6:7], null, s24, v62, 0
	s_delay_alu instid0(VALU_DEP_3)
	v_or_b32_e32 v13, 3, v17
	v_ashrrev_i32_e32 v3, 31, v2
	v_add_nc_u32_e32 v8, 32, v2
	v_or_b32_e32 v20, 2, v17
	v_mad_u64_u32 v[10:11], null, s21, v62, v[1:2]
	v_mad_u64_u32 v[4:5], null, s24, v13, 0
	s_delay_alu instid0(VALU_DEP_3)
	v_mad_u64_u32 v[18:19], null, s24, v20, 0
	v_add_nc_u32_e32 v15, 0x60, v2
	v_cmp_gt_i32_e32 vcc_lo, s6, v2
	v_mov_b32_e32 v1, v10
	s_lshl_b64 s[8:9], s[24:25], 9
	v_mad_u64_u32 v[11:12], null, s25, v13, v[5:6]
	v_lshlrev_b64 v[12:13], 3, v[2:3]
	v_mov_b32_e32 v3, v7
	v_cmp_gt_i32_e64 s0, s6, v8
	v_mad_u64_u32 v[8:9], null, s24, v17, s[24:25]
	v_add_nc_u32_e32 v14, 64, v2
	v_cmp_gt_i32_e64 s2, s6, v15
	v_mov_b32_e32 v5, v11
	s_lshl_b64 s[10:11], s[20:21], 9
	s_lshl_b64 s[14:15], s[20:21], 3
	s_mov_b32 s33, 0
	s_delay_alu instid0(VALU_DEP_4) | instskip(SKIP_3) | instid1(VALU_DEP_4)
	v_mov_b32_e32 v7, v9
	v_mov_b32_e32 v9, v19
	v_cmp_gt_i32_e64 s1, s6, v14
	v_mad_u64_u32 v[14:15], null, s25, v62, v[3:4]
	v_mad_u64_u32 v[15:16], null, s25, v17, v[7:8]
	s_delay_alu instid0(VALU_DEP_4)
	v_mad_u64_u32 v[16:17], null, s25, v20, v[9:10]
	v_lshlrev_b64 v[10:11], 3, v[4:5]
	v_lshlrev_b64 v[4:5], 5, v[0:1]
	v_mov_b32_e32 v7, v14
	v_add_co_u32 v3, s3, s26, v12
	v_mov_b32_e32 v9, v15
	v_mov_b32_e32 v19, v16
	;; [unrolled: 1-line block ×3, first 2 shown]
	v_add_co_ci_u32_e64 v64, s3, s27, v13, s3
	v_add_co_u32 v12, s3, s28, v4
	v_lshlrev_b64 v[14:15], 5, v[6:7]
	v_lshlrev_b64 v[16:17], 3, v[8:9]
	v_mov_b32_e32 v8, v1
	v_lshlrev_b64 v[18:19], 3, v[18:19]
	v_add_co_ci_u32_e64 v13, s3, s29, v5, s3
	v_mov_b32_e32 v0, v1
	v_mov_b32_e32 v5, v1
	;; [unrolled: 1-line block ×6, first 2 shown]
	s_branch .LBB299_22
.LBB299_18:                             ;   in Loop: Header=BB299_22 Depth=1
	s_or_b32 exec_lo, exec_lo, s35
	s_waitcnt vmcnt(2) lgkmcnt(2)
	v_dual_mul_f32 v52, v33, v51 :: v_dual_mul_f32 v53, v23, v49
	v_mul_f32_e32 v51, v32, v51
	s_waitcnt vmcnt(1) lgkmcnt(1)
	v_dual_mul_f32 v49, v22, v49 :: v_dual_mul_f32 v54, v21, v47
	s_delay_alu instid0(VALU_DEP_3)
	v_fma_f32 v52, v32, v50, -v52
	v_fma_f32 v53, v22, v48, -v53
	v_fmac_f32_e32 v51, v33, v50
	s_waitcnt vmcnt(0) lgkmcnt(0)
	v_dual_mul_f32 v47, v20, v47 :: v_dual_mul_f32 v50, v25, v45
	v_add_f32_e32 v4, v4, v52
	v_fmac_f32_e32 v49, v23, v48
	v_fma_f32 v48, v20, v46, -v54
	v_mul_f32_e32 v45, v24, v45
	s_delay_alu instid0(VALU_DEP_4) | instskip(SKIP_2) | instid1(VALU_DEP_4)
	v_dual_fmac_f32 v47, v21, v46 :: v_dual_add_f32 v4, v4, v53
	v_add_f32_e32 v5, v5, v51
	v_fma_f32 v46, v24, v44, -v50
	v_fmac_f32_e32 v45, v25, v44
	s_delay_alu instid0(VALU_DEP_3) | instskip(NEXT) | instid1(VALU_DEP_1)
	v_dual_add_f32 v4, v4, v48 :: v_dual_add_f32 v5, v5, v49
	v_dual_add_f32 v4, v4, v46 :: v_dual_add_f32 v5, v5, v47
	s_delay_alu instid0(VALU_DEP_1)
	v_add_f32_e32 v5, v5, v45
.LBB299_19:                             ;   in Loop: Header=BB299_22 Depth=1
	s_or_b32 exec_lo, exec_lo, s34
	s_waitcnt vmcnt(2) lgkmcnt(2)
	v_dual_mul_f32 v44, v33, v43 :: v_dual_mul_f32 v45, v23, v41
	v_mul_f32_e32 v43, v32, v43
	s_waitcnt vmcnt(1) lgkmcnt(1)
	v_dual_mul_f32 v41, v22, v41 :: v_dual_mul_f32 v46, v21, v39
	s_delay_alu instid0(VALU_DEP_3) | instskip(SKIP_2) | instid1(VALU_DEP_4)
	v_fma_f32 v44, v32, v42, -v44
	v_mul_f32_e32 v39, v20, v39
	v_fma_f32 v45, v22, v40, -v45
	v_fmac_f32_e32 v41, v23, v40
	v_fma_f32 v40, v20, v38, -v46
	v_dual_add_f32 v6, v6, v44 :: v_dual_fmac_f32 v43, v33, v42
	s_waitcnt vmcnt(0) lgkmcnt(0)
	v_mul_f32_e32 v42, v25, v37
	v_fmac_f32_e32 v39, v21, v38
	v_mul_f32_e32 v37, v24, v37
	v_dual_add_f32 v6, v6, v45 :: v_dual_add_f32 v7, v7, v43
	s_delay_alu instid0(VALU_DEP_4) | instskip(NEXT) | instid1(VALU_DEP_3)
	v_fma_f32 v38, v24, v36, -v42
	v_fmac_f32_e32 v37, v25, v36
	s_delay_alu instid0(VALU_DEP_3) | instskip(NEXT) | instid1(VALU_DEP_1)
	v_add_f32_e32 v6, v6, v40
	v_dual_add_f32 v6, v6, v38 :: v_dual_add_f32 v7, v7, v41
	s_delay_alu instid0(VALU_DEP_1) | instskip(NEXT) | instid1(VALU_DEP_1)
	v_add_f32_e32 v7, v7, v39
	v_add_f32_e32 v7, v7, v37
.LBB299_20:                             ;   in Loop: Header=BB299_22 Depth=1
	s_or_b32 exec_lo, exec_lo, s3
	s_waitcnt vmcnt(3) lgkmcnt(3)
	v_mul_f32_e32 v36, v33, v35
	s_waitcnt vmcnt(1) lgkmcnt(1)
	v_dual_mul_f32 v35, v32, v35 :: v_dual_mul_f32 v38, v21, v29
	v_mul_f32_e32 v29, v20, v29
	s_delay_alu instid0(VALU_DEP_3) | instskip(SKIP_1) | instid1(VALU_DEP_4)
	v_fma_f32 v32, v32, v34, -v36
	v_mul_f32_e32 v37, v23, v31
	v_fma_f32 v20, v20, v28, -v38
	s_delay_alu instid0(VALU_DEP_4) | instskip(NEXT) | instid1(VALU_DEP_4)
	v_fmac_f32_e32 v29, v21, v28
	v_dual_add_f32 v8, v8, v32 :: v_dual_mul_f32 v31, v22, v31
	s_delay_alu instid0(VALU_DEP_4) | instskip(NEXT) | instid1(VALU_DEP_1)
	v_fma_f32 v22, v22, v30, -v37
	v_add_f32_e32 v8, v8, v22
	v_fmac_f32_e32 v35, v33, v34
	s_delay_alu instid0(VALU_DEP_4) | instskip(SKIP_2) | instid1(VALU_DEP_3)
	v_fmac_f32_e32 v31, v23, v30
	s_waitcnt vmcnt(0) lgkmcnt(0)
	v_mul_f32_e32 v23, v24, v27
	v_dual_add_f32 v8, v8, v20 :: v_dual_add_f32 v9, v9, v35
	v_mul_f32_e32 v33, v25, v27
	s_delay_alu instid0(VALU_DEP_3) | instskip(NEXT) | instid1(VALU_DEP_3)
	v_fmac_f32_e32 v23, v25, v26
	v_add_f32_e32 v9, v9, v31
	s_delay_alu instid0(VALU_DEP_3) | instskip(NEXT) | instid1(VALU_DEP_2)
	v_fma_f32 v21, v24, v26, -v33
	v_add_f32_e32 v9, v9, v29
	s_delay_alu instid0(VALU_DEP_1)
	v_dual_add_f32 v8, v8, v21 :: v_dual_add_f32 v9, v9, v23
.LBB299_21:                             ;   in Loop: Header=BB299_22 Depth=1
	s_or_b32 exec_lo, exec_lo, s4
	v_add_nc_u32_e32 v63, 64, v63
	v_add_co_u32 v3, s3, v3, s8
	s_delay_alu instid0(VALU_DEP_1) | instskip(NEXT) | instid1(VALU_DEP_3)
	v_add_co_ci_u32_e64 v64, s3, s9, v64, s3
	v_cmp_le_i32_e64 s3, s30, v63
	v_add_co_u32 v12, s4, v12, s10
	s_delay_alu instid0(VALU_DEP_1) | instskip(NEXT) | instid1(VALU_DEP_3)
	v_add_co_ci_u32_e64 v13, s4, s11, v13, s4
	s_or_b32 s33, s3, s33
	s_delay_alu instid0(SALU_CYCLE_1)
	s_and_not1_b32 exec_lo, exec_lo, s33
	s_cbranch_execz .LBB299_27
.LBB299_22:                             ; =>This Inner Loop Header: Depth=1
	s_and_saveexec_b32 s4, vcc_lo
	s_cbranch_execz .LBB299_21
; %bb.23:                               ;   in Loop: Header=BB299_22 Depth=1
	v_add_co_u32 v20, s3, v12, s14
	s_delay_alu instid0(VALU_DEP_1) | instskip(NEXT) | instid1(VALU_DEP_2)
	v_add_co_ci_u32_e64 v21, s3, s15, v13, s3
	v_add_co_u32 v24, s3, v20, s14
	s_delay_alu instid0(VALU_DEP_1) | instskip(SKIP_4) | instid1(VALU_DEP_1)
	v_add_co_ci_u32_e64 v25, s3, s15, v21, s3
	s_clause 0x1
	flat_load_b64 v[22:23], v[20:21]
	flat_load_b64 v[20:21], v[24:25]
	v_add_co_u32 v24, s3, v24, s14
	v_add_co_ci_u32_e64 v25, s3, s15, v25, s3
	v_add_co_u32 v58, s3, v3, v14
	s_delay_alu instid0(VALU_DEP_1) | instskip(SKIP_1) | instid1(VALU_DEP_1)
	v_add_co_ci_u32_e64 v59, s3, v64, v15, s3
	v_add_co_u32 v56, s3, v3, v16
	v_add_co_ci_u32_e64 v57, s3, v64, v17, s3
	v_add_co_u32 v54, s3, v3, v18
	s_delay_alu instid0(VALU_DEP_1) | instskip(SKIP_1) | instid1(VALU_DEP_1)
	v_add_co_ci_u32_e64 v55, s3, v64, v19, s3
	v_add_co_u32 v52, s3, v3, v10
	v_add_co_ci_u32_e64 v53, s3, v64, v11, s3
	s_clause 0x1
	flat_load_b64 v[32:33], v[12:13]
	flat_load_b64 v[24:25], v[24:25]
	s_clause 0x3
	flat_load_b64 v[34:35], v[58:59]
	flat_load_b64 v[30:31], v[56:57]
	;; [unrolled: 1-line block ×4, first 2 shown]
	s_and_saveexec_b32 s3, s0
	s_cbranch_execz .LBB299_20
; %bb.24:                               ;   in Loop: Header=BB299_22 Depth=1
	s_clause 0x3
	flat_load_b64 v[42:43], v[58:59] offset:256
	flat_load_b64 v[40:41], v[56:57] offset:256
	flat_load_b64 v[38:39], v[54:55] offset:256
	flat_load_b64 v[36:37], v[52:53] offset:256
	s_and_saveexec_b32 s34, s1
	s_cbranch_execz .LBB299_19
; %bb.25:                               ;   in Loop: Header=BB299_22 Depth=1
	s_clause 0x3
	flat_load_b64 v[50:51], v[58:59] offset:512
	flat_load_b64 v[48:49], v[56:57] offset:512
	flat_load_b64 v[46:47], v[54:55] offset:512
	flat_load_b64 v[44:45], v[52:53] offset:512
	;; [unrolled: 8-line block ×3, first 2 shown]
	s_waitcnt vmcnt(2) lgkmcnt(2)
	v_dual_mul_f32 v65, v33, v59 :: v_dual_mul_f32 v66, v23, v57
	v_mul_f32_e32 v59, v32, v59
	s_delay_alu instid0(VALU_DEP_2)
	v_fma_f32 v65, v32, v58, -v65
	s_waitcnt vmcnt(1) lgkmcnt(1)
	v_mul_f32_e32 v67, v21, v55
	v_fma_f32 v66, v22, v56, -v66
	v_mul_f32_e32 v55, v20, v55
	v_add_f32_e32 v0, v0, v65
	v_mul_f32_e32 v57, v22, v57
	s_delay_alu instid0(VALU_DEP_3) | instskip(NEXT) | instid1(VALU_DEP_2)
	v_fmac_f32_e32 v55, v21, v54
	v_dual_add_f32 v0, v0, v66 :: v_dual_fmac_f32 v57, v23, v56
	v_fma_f32 v56, v20, v54, -v67
	v_fmac_f32_e32 v59, v33, v58
	s_waitcnt vmcnt(0) lgkmcnt(0)
	v_mul_f32_e32 v58, v25, v53
	v_mul_f32_e32 v53, v24, v53
	s_delay_alu instid0(VALU_DEP_3) | instskip(NEXT) | instid1(VALU_DEP_3)
	v_dual_add_f32 v0, v0, v56 :: v_dual_add_f32 v1, v1, v59
	v_fma_f32 v54, v24, v52, -v58
	s_delay_alu instid0(VALU_DEP_1) | instskip(NEXT) | instid1(VALU_DEP_3)
	v_dual_fmac_f32 v53, v25, v52 :: v_dual_add_f32 v0, v0, v54
	v_add_f32_e32 v1, v1, v57
	s_delay_alu instid0(VALU_DEP_1) | instskip(NEXT) | instid1(VALU_DEP_1)
	v_add_f32_e32 v1, v1, v55
	v_add_f32_e32 v1, v1, v53
	s_branch .LBB299_18
.LBB299_27:
	s_or_b32 exec_lo, exec_lo, s33
.LBB299_28:
	s_delay_alu instid0(SALU_CYCLE_1) | instskip(SKIP_1) | instid1(SALU_CYCLE_1)
	s_or_b32 exec_lo, exec_lo, s31
	s_sub_i32 s0, s7, s30
	s_cmp_lt_i32 s0, 1
	s_cbranch_scc1 .LBB299_46
; %bb.29:
	v_cmp_gt_i32_e32 vcc_lo, s7, v63
	v_dual_mov_b32 v10, 0 :: v_dual_mov_b32 v11, 0
	v_or_b32_e32 v18, 1, v63
	v_dual_mov_b32 v12, 0 :: v_dual_mov_b32 v13, 0
	v_dual_mov_b32 v14, 0 :: v_dual_mov_b32 v15, 0
	v_dual_mov_b32 v16, 0 :: v_dual_mov_b32 v17, 0
	s_and_saveexec_b32 s1, vcc_lo
	s_cbranch_execz .LBB299_37
; %bb.30:
	v_mad_u64_u32 v[10:11], null, v63, s20, 0
	v_dual_mov_b32 v17, 0 :: v_dual_mov_b32 v14, 0
	v_mov_b32_e32 v15, 0
	v_mov_b32_e32 v13, 0
	s_mov_b32 s2, exec_lo
	s_delay_alu instid0(VALU_DEP_4) | instskip(NEXT) | instid1(VALU_DEP_1)
	v_dual_mov_b32 v16, 0 :: v_dual_mov_b32 v3, v11
	v_mad_u64_u32 v[11:12], null, v63, s21, v[3:4]
	v_mov_b32_e32 v12, 0
	s_delay_alu instid0(VALU_DEP_2) | instskip(NEXT) | instid1(VALU_DEP_1)
	v_lshlrev_b64 v[10:11], 3, v[10:11]
	v_add_co_u32 v10, s0, s28, v10
	s_delay_alu instid0(VALU_DEP_1)
	v_add_co_ci_u32_e64 v11, s0, s29, v11, s0
	flat_load_b64 v[10:11], v[10:11]
	v_cmpx_gt_i32_e64 s7, v18
	s_cbranch_execz .LBB299_36
; %bb.31:
	v_mad_u64_u32 v[12:13], null, v18, s20, 0
	v_mov_b32_e32 v17, 0
	v_mov_b32_e32 v15, 0
	s_mov_b32 s3, exec_lo
	s_delay_alu instid0(VALU_DEP_3) | instskip(NEXT) | instid1(VALU_DEP_1)
	v_dual_mov_b32 v16, 0 :: v_dual_mov_b32 v3, v13
	v_mad_u64_u32 v[13:14], null, v18, s21, v[3:4]
	v_or_b32_e32 v3, 2, v63
	v_mov_b32_e32 v14, 0
	s_delay_alu instid0(VALU_DEP_3) | instskip(NEXT) | instid1(VALU_DEP_1)
	v_lshlrev_b64 v[12:13], 3, v[12:13]
	v_add_co_u32 v12, s0, s28, v12
	s_delay_alu instid0(VALU_DEP_1)
	v_add_co_ci_u32_e64 v13, s0, s29, v13, s0
	flat_load_b64 v[12:13], v[12:13]
	v_cmpx_gt_i32_e64 s7, v3
	s_cbranch_execz .LBB299_35
; %bb.32:
	v_mad_u64_u32 v[14:15], null, v3, s20, 0
	s_mov_b32 s4, exec_lo
	s_delay_alu instid0(VALU_DEP_1) | instskip(SKIP_2) | instid1(VALU_DEP_3)
	v_mad_u64_u32 v[16:17], null, v3, s21, v[15:16]
	v_or_b32_e32 v3, 3, v63
	v_mov_b32_e32 v17, 0
	v_dual_mov_b32 v15, v16 :: v_dual_mov_b32 v16, 0
	s_delay_alu instid0(VALU_DEP_1) | instskip(NEXT) | instid1(VALU_DEP_1)
	v_lshlrev_b64 v[14:15], 3, v[14:15]
	v_add_co_u32 v14, s0, s28, v14
	s_delay_alu instid0(VALU_DEP_1)
	v_add_co_ci_u32_e64 v15, s0, s29, v15, s0
	flat_load_b64 v[14:15], v[14:15]
	v_cmpx_gt_i32_e64 s7, v3
	s_cbranch_execz .LBB299_34
; %bb.33:
	v_mad_u64_u32 v[16:17], null, v3, s20, 0
	s_delay_alu instid0(VALU_DEP_1) | instskip(NEXT) | instid1(VALU_DEP_1)
	v_mad_u64_u32 v[19:20], null, v3, s21, v[17:18]
	v_mov_b32_e32 v17, v19
	s_delay_alu instid0(VALU_DEP_1) | instskip(NEXT) | instid1(VALU_DEP_1)
	v_lshlrev_b64 v[16:17], 3, v[16:17]
	v_add_co_u32 v16, s0, s28, v16
	s_delay_alu instid0(VALU_DEP_1)
	v_add_co_ci_u32_e64 v17, s0, s29, v17, s0
	flat_load_b64 v[16:17], v[16:17]
.LBB299_34:
	s_or_b32 exec_lo, exec_lo, s4
.LBB299_35:
	s_delay_alu instid0(SALU_CYCLE_1)
	s_or_b32 exec_lo, exec_lo, s3
.LBB299_36:
	s_delay_alu instid0(SALU_CYCLE_1)
	s_or_b32 exec_lo, exec_lo, s2
.LBB299_37:
	s_delay_alu instid0(SALU_CYCLE_1) | instskip(NEXT) | instid1(SALU_CYCLE_1)
	s_or_b32 exec_lo, exec_lo, s1
	s_mov_b32 s1, exec_lo
	v_cmpx_gt_i32_e64 s6, v2
	s_cbranch_execz .LBB299_45
; %bb.38:
	v_mad_u64_u32 v[19:20], null, v63, s24, 0
	v_mad_u64_u32 v[21:22], null, v18, s24, 0
	v_ashrrev_i32_e32 v3, 31, v2
	v_or_b32_e32 v31, 2, v63
	v_or_b32_e32 v32, 3, v63
	v_cndmask_b32_e32 v19, 0, v19, vcc_lo
	s_delay_alu instid0(VALU_DEP_4)
	v_lshlrev_b64 v[26:27], 3, v[2:3]
	v_mad_u64_u32 v[23:24], null, v63, s25, v[20:21]
	v_mov_b32_e32 v3, v22
	v_mad_u64_u32 v[24:25], null, v31, s24, 0
	v_mad_u64_u32 v[28:29], null, v32, s24, 0
	v_cmp_gt_i32_e64 s0, s7, v31
	v_cndmask_b32_e32 v20, 0, v23, vcc_lo
	v_mad_u64_u32 v[22:23], null, v18, s25, v[3:4]
	v_cmp_gt_i32_e32 vcc_lo, s7, v18
	v_mov_b32_e32 v3, v25
	v_dual_mov_b32 v23, v29 :: v_dual_cndmask_b32 v18, 0, v21
	v_lshlrev_b64 v[20:21], 3, v[19:20]
	v_cndmask_b32_e32 v19, 0, v22, vcc_lo
	s_delay_alu instid0(VALU_DEP_4) | instskip(NEXT) | instid1(VALU_DEP_3)
	v_mad_u64_u32 v[29:30], null, v31, s25, v[3:4]
	v_add_co_u32 v3, vcc_lo, s26, v20
	s_delay_alu instid0(VALU_DEP_4) | instskip(NEXT) | instid1(VALU_DEP_4)
	v_add_co_ci_u32_e32 v22, vcc_lo, s27, v21, vcc_lo
	v_lshlrev_b64 v[20:21], 3, v[18:19]
	s_delay_alu instid0(VALU_DEP_3) | instskip(NEXT) | instid1(VALU_DEP_3)
	v_add_co_u32 v18, vcc_lo, v3, v26
	v_add_co_ci_u32_e32 v19, vcc_lo, v22, v27, vcc_lo
	v_cndmask_b32_e64 v22, 0, v24, s0
	s_delay_alu instid0(VALU_DEP_4)
	v_add_co_u32 v3, vcc_lo, s26, v20
	v_mad_u64_u32 v[24:25], null, v32, s25, v[23:24]
	v_add_co_ci_u32_e32 v21, vcc_lo, s27, v21, vcc_lo
	v_cmp_gt_i32_e32 vcc_lo, s7, v32
	v_cndmask_b32_e64 v23, 0, v29, s0
	v_add_co_u32 v20, s0, v3, v26
	s_delay_alu instid0(VALU_DEP_1)
	v_add_co_ci_u32_e64 v21, s0, v21, v27, s0
	v_cndmask_b32_e32 v28, 0, v28, vcc_lo
	v_cndmask_b32_e32 v29, 0, v24, vcc_lo
	v_lshlrev_b64 v[22:23], 3, v[22:23]
	s_clause 0x1
	flat_load_b64 v[30:31], v[18:19]
	flat_load_b64 v[32:33], v[20:21]
	s_mov_b32 s0, exec_lo
	v_lshlrev_b64 v[24:25], 3, v[28:29]
	v_add_co_u32 v3, vcc_lo, s26, v22
	v_add_co_ci_u32_e32 v22, vcc_lo, s27, v23, vcc_lo
	s_delay_alu instid0(VALU_DEP_3) | instskip(NEXT) | instid1(VALU_DEP_4)
	v_add_co_u32 v23, vcc_lo, s26, v24
	v_add_co_ci_u32_e32 v28, vcc_lo, s27, v25, vcc_lo
	s_delay_alu instid0(VALU_DEP_4) | instskip(NEXT) | instid1(VALU_DEP_4)
	v_add_co_u32 v24, vcc_lo, v3, v26
	v_add_co_ci_u32_e32 v25, vcc_lo, v22, v27, vcc_lo
	s_delay_alu instid0(VALU_DEP_4) | instskip(NEXT) | instid1(VALU_DEP_4)
	v_add_co_u32 v22, vcc_lo, v23, v26
	v_add_co_ci_u32_e32 v23, vcc_lo, v28, v27, vcc_lo
	s_clause 0x1
	flat_load_b64 v[26:27], v[24:25]
	flat_load_b64 v[28:29], v[22:23]
	s_waitcnt vmcnt(2) lgkmcnt(2)
	v_dual_mul_f32 v3, v11, v31 :: v_dual_mul_f32 v34, v13, v33
	v_mul_f32_e32 v33, v12, v33
	s_delay_alu instid0(VALU_DEP_2) | instskip(NEXT) | instid1(VALU_DEP_1)
	v_fma_f32 v3, v10, v30, -v3
	v_dual_fmac_f32 v33, v13, v32 :: v_dual_add_f32 v8, v8, v3
	v_mul_f32_e32 v31, v10, v31
	s_delay_alu instid0(VALU_DEP_1) | instskip(SKIP_1) | instid1(VALU_DEP_2)
	v_fmac_f32_e32 v31, v11, v30
	v_fma_f32 v30, v12, v32, -v34
	v_add_f32_e32 v9, v9, v31
	s_waitcnt vmcnt(1) lgkmcnt(1)
	v_dual_mul_f32 v32, v15, v27 :: v_dual_add_nc_u32 v31, 32, v2
	s_waitcnt vmcnt(0) lgkmcnt(0)
	v_dual_mul_f32 v27, v14, v27 :: v_dual_mul_f32 v34, v17, v29
	v_mul_f32_e32 v3, v16, v29
	s_delay_alu instid0(VALU_DEP_3) | instskip(NEXT) | instid1(VALU_DEP_3)
	v_fma_f32 v29, v14, v26, -v32
	v_fmac_f32_e32 v27, v15, v26
	v_add_f32_e32 v26, v8, v30
	v_add_f32_e32 v30, v9, v33
	v_fma_f32 v8, v16, v28, -v34
	v_fmac_f32_e32 v3, v17, v28
	s_delay_alu instid0(VALU_DEP_4) | instskip(NEXT) | instid1(VALU_DEP_4)
	v_add_f32_e32 v9, v26, v29
	v_add_f32_e32 v26, v30, v27
	v_cmpx_gt_i32_e64 s6, v31
	s_cbranch_execz .LBB299_44
; %bb.39:
	s_clause 0x3
	flat_load_b64 v[27:28], v[18:19] offset:256
	flat_load_b64 v[29:30], v[20:21] offset:256
	flat_load_b64 v[31:32], v[24:25] offset:256
	flat_load_b64 v[33:34], v[22:23] offset:256
	s_mov_b32 s2, exec_lo
	s_waitcnt vmcnt(2) lgkmcnt(2)
	v_dual_mul_f32 v35, v11, v28 :: v_dual_mul_f32 v36, v13, v30
	v_mul_f32_e32 v28, v10, v28
	s_waitcnt vmcnt(1) lgkmcnt(1)
	v_dual_mul_f32 v30, v12, v30 :: v_dual_mul_f32 v37, v15, v32
	s_delay_alu instid0(VALU_DEP_3) | instskip(SKIP_2) | instid1(VALU_DEP_4)
	v_fma_f32 v35, v10, v27, -v35
	v_fma_f32 v36, v12, v29, -v36
	v_mul_f32_e32 v32, v14, v32
	v_fmac_f32_e32 v30, v13, v29
	v_fma_f32 v29, v14, v31, -v37
	v_add_f32_e32 v6, v6, v35
	s_waitcnt vmcnt(0) lgkmcnt(0)
	v_dual_fmac_f32 v28, v11, v27 :: v_dual_mul_f32 v27, v17, v34
	s_delay_alu instid0(VALU_DEP_1) | instskip(NEXT) | instid1(VALU_DEP_1)
	v_dual_add_f32 v28, v7, v28 :: v_dual_mul_f32 v7, v16, v34
	v_dual_fmac_f32 v32, v15, v31 :: v_dual_fmac_f32 v7, v17, v33
	s_delay_alu instid0(VALU_DEP_2) | instskip(SKIP_2) | instid1(VALU_DEP_3)
	v_dual_add_f32 v31, v6, v36 :: v_dual_add_f32 v28, v28, v30
	v_add_nc_u32_e32 v30, 64, v2
	v_fma_f32 v6, v16, v33, -v27
	v_dual_add_f32 v27, v31, v29 :: v_dual_add_f32 v28, v28, v32
	s_delay_alu instid0(VALU_DEP_3)
	v_cmpx_gt_i32_e64 s6, v30
	s_cbranch_execz .LBB299_43
; %bb.40:
	s_clause 0x3
	flat_load_b64 v[29:30], v[18:19] offset:512
	flat_load_b64 v[31:32], v[20:21] offset:512
	;; [unrolled: 1-line block ×4, first 2 shown]
	s_mov_b32 s3, exec_lo
	s_waitcnt vmcnt(2) lgkmcnt(2)
	v_dual_mul_f32 v37, v11, v30 :: v_dual_mul_f32 v38, v13, v32
	v_mul_f32_e32 v30, v10, v30
	s_waitcnt vmcnt(1) lgkmcnt(1)
	v_dual_mul_f32 v32, v12, v32 :: v_dual_mul_f32 v39, v15, v34
	v_mul_f32_e32 v34, v14, v34
	v_fma_f32 v37, v10, v29, -v37
	v_fmac_f32_e32 v30, v11, v29
	v_fma_f32 v38, v12, v31, -v38
	s_waitcnt vmcnt(0) lgkmcnt(0)
	s_delay_alu instid0(VALU_DEP_3) | instskip(NEXT) | instid1(VALU_DEP_3)
	v_dual_mul_f32 v29, v17, v36 :: v_dual_add_f32 v4, v4, v37
	v_dual_add_f32 v30, v5, v30 :: v_dual_mul_f32 v5, v16, v36
	v_fmac_f32_e32 v34, v15, v33
	v_fmac_f32_e32 v32, v13, v31
	v_fma_f32 v31, v14, v33, -v39
	s_delay_alu instid0(VALU_DEP_4) | instskip(NEXT) | instid1(VALU_DEP_3)
	v_dual_add_f32 v4, v4, v38 :: v_dual_fmac_f32 v5, v17, v35
	v_add_f32_e32 v30, v30, v32
	v_add_nc_u32_e32 v32, 0x60, v2
	v_fma_f32 v2, v16, v35, -v29
	s_delay_alu instid0(VALU_DEP_3) | instskip(NEXT) | instid1(VALU_DEP_3)
	v_dual_add_f32 v4, v4, v31 :: v_dual_add_f32 v29, v30, v34
	v_cmpx_gt_i32_e64 s6, v32
	s_cbranch_execz .LBB299_42
; %bb.41:
	s_clause 0x3
	flat_load_b64 v[18:19], v[18:19] offset:768
	flat_load_b64 v[20:21], v[20:21] offset:768
	;; [unrolled: 1-line block ×4, first 2 shown]
	s_waitcnt vmcnt(2) lgkmcnt(2)
	v_dual_mul_f32 v30, v11, v19 :: v_dual_mul_f32 v31, v13, v21
	s_waitcnt vmcnt(1) lgkmcnt(1)
	v_dual_mul_f32 v19, v10, v19 :: v_dual_mul_f32 v32, v15, v25
	s_delay_alu instid0(VALU_DEP_2) | instskip(SKIP_1) | instid1(VALU_DEP_3)
	v_fma_f32 v10, v10, v18, -v30
	v_mul_f32_e32 v25, v14, v25
	v_fmac_f32_e32 v19, v11, v18
	s_delay_alu instid0(VALU_DEP_3)
	v_add_f32_e32 v0, v0, v10
	s_waitcnt vmcnt(0) lgkmcnt(0)
	v_mul_f32_e32 v10, v16, v23
	v_mul_f32_e32 v21, v12, v21
	v_fma_f32 v12, v12, v20, -v31
	v_mul_f32_e32 v11, v17, v23
	v_add_f32_e32 v1, v1, v19
	v_fmac_f32_e32 v10, v17, v22
	s_delay_alu instid0(VALU_DEP_4) | instskip(SKIP_3) | instid1(VALU_DEP_2)
	v_add_f32_e32 v0, v0, v12
	v_fmac_f32_e32 v21, v13, v20
	v_fma_f32 v13, v14, v24, -v32
	v_fma_f32 v11, v16, v22, -v11
	v_dual_add_f32 v0, v0, v13 :: v_dual_fmac_f32 v25, v15, v24
	s_delay_alu instid0(VALU_DEP_1) | instskip(NEXT) | instid1(VALU_DEP_1)
	v_dual_add_f32 v1, v1, v21 :: v_dual_add_f32 v0, v0, v11
	v_add_f32_e32 v1, v1, v25
	s_delay_alu instid0(VALU_DEP_1)
	v_add_f32_e32 v1, v1, v10
.LBB299_42:
	s_or_b32 exec_lo, exec_lo, s3
	s_delay_alu instid0(VALU_DEP_2)
	v_dual_add_f32 v4, v4, v2 :: v_dual_add_f32 v5, v29, v5
.LBB299_43:
	s_or_b32 exec_lo, exec_lo, s2
	s_delay_alu instid0(VALU_DEP_2)
	v_dual_add_f32 v6, v27, v6 :: v_dual_add_f32 v7, v28, v7
.LBB299_44:
	s_or_b32 exec_lo, exec_lo, s0
	s_delay_alu instid0(VALU_DEP_2)
	v_dual_add_f32 v8, v9, v8 :: v_dual_add_f32 v9, v26, v3
.LBB299_45:
	s_or_b32 exec_lo, exec_lo, s1
.LBB299_46:
	v_lshlrev_b32_e32 v2, 7, v62
	s_mov_b32 s0, exec_lo
	s_delay_alu instid0(VALU_DEP_1)
	v_add_lshl_u32 v2, v2, v61, 3
	ds_store_2addr_b64 v2, v[8:9], v[6:7] offset1:32
	ds_store_2addr_b64 v2, v[4:5], v[0:1] offset0:64 offset1:96
	s_waitcnt vmcnt(0) lgkmcnt(0)
	s_waitcnt_vscnt null, 0x0
	s_barrier
	buffer_gl0_inv
	v_cmpx_gt_u32_e32 0x80, v60
	s_cbranch_execz .LBB299_51
; %bb.47:
	v_lshlrev_b32_e32 v12, 3, v60
	ds_load_2addr_stride64_b64 v[0:3], v12 offset1:2
	ds_load_2addr_stride64_b64 v[4:7], v12 offset0:4 offset1:6
	ds_load_2addr_stride64_b64 v[8:11], v12 offset0:8 offset1:10
	s_waitcnt lgkmcnt(2)
	v_add_f32_e32 v13, v0, v2
	s_waitcnt lgkmcnt(1)
	s_delay_alu instid0(VALU_DEP_1) | instskip(SKIP_4) | instid1(VALU_DEP_1)
	v_add_f32_e32 v4, v13, v4
	v_add_f32_e32 v14, v1, v3
	ds_load_2addr_stride64_b64 v[0:3], v12 offset0:12 offset1:14
	v_add_f32_e32 v13, v4, v6
	s_waitcnt lgkmcnt(1)
	v_dual_add_f32 v5, v14, v5 :: v_dual_add_f32 v8, v13, v8
	s_delay_alu instid0(VALU_DEP_1) | instskip(SKIP_3) | instid1(VALU_DEP_1)
	v_add_f32_e32 v14, v5, v7
	ds_load_2addr_stride64_b64 v[4:7], v12 offset0:16 offset1:18
	v_add_f32_e32 v13, v8, v10
	s_waitcnt lgkmcnt(1)
	v_dual_add_f32 v9, v14, v9 :: v_dual_add_f32 v0, v13, v0
	s_delay_alu instid0(VALU_DEP_1) | instskip(SKIP_3) | instid1(VALU_DEP_1)
	;; [unrolled: 6-line block ×3, first 2 shown]
	v_add_f32_e32 v14, v1, v3
	ds_load_2addr_stride64_b64 v[0:3], v12 offset0:24 offset1:26
	v_add_f32_e32 v13, v4, v6
	v_add_f32_e32 v5, v14, v5
	;; [unrolled: 1-line block ×3, first 2 shown]
	ds_load_2addr_stride64_b64 v[4:7], v12 offset0:28 offset1:30
	s_waitcnt lgkmcnt(2)
	v_dual_add_f32 v8, v13, v8 :: v_dual_add_f32 v9, v14, v9
	s_delay_alu instid0(VALU_DEP_1) | instskip(SKIP_1) | instid1(VALU_DEP_1)
	v_dual_add_f32 v8, v8, v10 :: v_dual_add_f32 v9, v9, v11
	s_waitcnt lgkmcnt(1)
	v_dual_add_f32 v0, v8, v0 :: v_dual_add_f32 v1, v9, v1
	s_delay_alu instid0(VALU_DEP_1) | instskip(SKIP_1) | instid1(VALU_DEP_1)
	v_dual_add_f32 v0, v0, v2 :: v_dual_add_f32 v1, v1, v3
	s_waitcnt lgkmcnt(0)
	v_add_f32_e32 v2, v0, v4
	v_or_b32_e32 v0, s23, v60
	s_delay_alu instid0(VALU_DEP_2) | instskip(NEXT) | instid1(VALU_DEP_2)
	v_dual_add_f32 v1, v1, v5 :: v_dual_add_f32 v2, v2, v6
	v_cmp_gt_i32_e32 vcc_lo, s6, v0
	s_delay_alu instid0(VALU_DEP_2)
	v_add_f32_e32 v3, v1, v7
	ds_store_b64 v12, v[2:3]
	s_and_b32 exec_lo, exec_lo, vcc_lo
	s_cbranch_execz .LBB299_51
; %bb.48:
	v_ashrrev_i32_e32 v1, 31, v0
	v_mul_lo_u32 v6, v0, s19
	v_mad_u64_u32 v[4:5], null, v0, s18, 0
	v_cmp_neq_f32_e64 s0, s12, 0
	s_delay_alu instid0(VALU_DEP_4) | instskip(SKIP_1) | instid1(VALU_DEP_1)
	v_mul_lo_u32 v1, v1, s18
	v_cmp_neq_f32_e64 s1, s13, 0
	s_or_b32 s0, s0, s1
	s_delay_alu instid0(SALU_CYCLE_1) | instskip(NEXT) | instid1(VALU_DEP_2)
	s_and_not1_b32 vcc_lo, exec_lo, s0
	v_add3_u32 v5, v5, v6, v1
	v_mul_f32_e32 v1, s16, v3
	v_mul_f32_e32 v0, s17, v3
	s_delay_alu instid0(VALU_DEP_3) | instskip(NEXT) | instid1(VALU_DEP_3)
	v_lshlrev_b64 v[3:4], 3, v[4:5]
	v_fmac_f32_e32 v1, s17, v2
	s_delay_alu instid0(VALU_DEP_3)
	v_fma_f32 v0, v2, s16, -v0
	s_cbranch_vccnz .LBB299_50
; %bb.49:
	s_delay_alu instid0(VALU_DEP_3) | instskip(NEXT) | instid1(VALU_DEP_4)
	v_add_co_u32 v5, vcc_lo, s5, v3
	v_add_co_ci_u32_e32 v6, vcc_lo, s22, v4, vcc_lo
	global_load_b64 v[5:6], v[5:6], off
	s_waitcnt vmcnt(0)
	v_mul_f32_e32 v2, s13, v6
	v_mul_f32_e32 v6, s12, v6
	s_delay_alu instid0(VALU_DEP_2) | instskip(NEXT) | instid1(VALU_DEP_2)
	v_fma_f32 v2, s12, v5, -v2
	v_fmac_f32_e32 v6, s13, v5
	s_delay_alu instid0(VALU_DEP_2) | instskip(NEXT) | instid1(VALU_DEP_2)
	v_add_f32_e32 v0, v0, v2
	v_add_f32_e32 v1, v1, v6
.LBB299_50:
	s_delay_alu instid0(VALU_DEP_3) | instskip(NEXT) | instid1(VALU_DEP_4)
	v_add_co_u32 v2, vcc_lo, s5, v3
	v_add_co_ci_u32_e32 v3, vcc_lo, s22, v4, vcc_lo
	global_store_b64 v[2:3], v[0:1], off
.LBB299_51:
	s_nop 0
	s_sendmsg sendmsg(MSG_DEALLOC_VGPRS)
	s_endpgm
	.section	.rodata,"a",@progbits
	.p2align	6, 0x0
	.amdhsa_kernel _ZL20rocblas_gemvn_kernelILi32ELi16ElPK19rocblas_complex_numIfES3_KPS1_EviiT3_lPKT2_lT1_lS9_lSA_lS6_lPT4_lSA_li
		.amdhsa_group_segment_fixed_size 16384
		.amdhsa_private_segment_fixed_size 0
		.amdhsa_kernarg_size 400
		.amdhsa_user_sgpr_count 14
		.amdhsa_user_sgpr_dispatch_ptr 0
		.amdhsa_user_sgpr_queue_ptr 0
		.amdhsa_user_sgpr_kernarg_segment_ptr 1
		.amdhsa_user_sgpr_dispatch_id 0
		.amdhsa_user_sgpr_private_segment_size 0
		.amdhsa_wavefront_size32 1
		.amdhsa_uses_dynamic_stack 0
		.amdhsa_enable_private_segment 0
		.amdhsa_system_sgpr_workgroup_id_x 1
		.amdhsa_system_sgpr_workgroup_id_y 0
		.amdhsa_system_sgpr_workgroup_id_z 1
		.amdhsa_system_sgpr_workgroup_info 0
		.amdhsa_system_vgpr_workitem_id 1
		.amdhsa_next_free_vgpr 68
		.amdhsa_next_free_sgpr 36
		.amdhsa_reserve_vcc 1
		.amdhsa_float_round_mode_32 0
		.amdhsa_float_round_mode_16_64 0
		.amdhsa_float_denorm_mode_32 3
		.amdhsa_float_denorm_mode_16_64 3
		.amdhsa_dx10_clamp 1
		.amdhsa_ieee_mode 1
		.amdhsa_fp16_overflow 0
		.amdhsa_workgroup_processor_mode 1
		.amdhsa_memory_ordered 1
		.amdhsa_forward_progress 0
		.amdhsa_shared_vgpr_count 0
		.amdhsa_exception_fp_ieee_invalid_op 0
		.amdhsa_exception_fp_denorm_src 0
		.amdhsa_exception_fp_ieee_div_zero 0
		.amdhsa_exception_fp_ieee_overflow 0
		.amdhsa_exception_fp_ieee_underflow 0
		.amdhsa_exception_fp_ieee_inexact 0
		.amdhsa_exception_int_div_zero 0
	.end_amdhsa_kernel
	.section	.text._ZL20rocblas_gemvn_kernelILi32ELi16ElPK19rocblas_complex_numIfES3_KPS1_EviiT3_lPKT2_lT1_lS9_lSA_lS6_lPT4_lSA_li,"axG",@progbits,_ZL20rocblas_gemvn_kernelILi32ELi16ElPK19rocblas_complex_numIfES3_KPS1_EviiT3_lPKT2_lT1_lS9_lSA_lS6_lPT4_lSA_li,comdat
.Lfunc_end299:
	.size	_ZL20rocblas_gemvn_kernelILi32ELi16ElPK19rocblas_complex_numIfES3_KPS1_EviiT3_lPKT2_lT1_lS9_lSA_lS6_lPT4_lSA_li, .Lfunc_end299-_ZL20rocblas_gemvn_kernelILi32ELi16ElPK19rocblas_complex_numIfES3_KPS1_EviiT3_lPKT2_lT1_lS9_lSA_lS6_lPT4_lSA_li
                                        ; -- End function
	.section	.AMDGPU.csdata,"",@progbits
; Kernel info:
; codeLenInByte = 4284
; NumSgprs: 38
; NumVgprs: 68
; ScratchSize: 0
; MemoryBound: 0
; FloatMode: 240
; IeeeMode: 1
; LDSByteSize: 16384 bytes/workgroup (compile time only)
; SGPRBlocks: 4
; VGPRBlocks: 8
; NumSGPRsForWavesPerEU: 38
; NumVGPRsForWavesPerEU: 68
; Occupancy: 16
; WaveLimiterHint : 1
; COMPUTE_PGM_RSRC2:SCRATCH_EN: 0
; COMPUTE_PGM_RSRC2:USER_SGPR: 14
; COMPUTE_PGM_RSRC2:TRAP_HANDLER: 0
; COMPUTE_PGM_RSRC2:TGID_X_EN: 1
; COMPUTE_PGM_RSRC2:TGID_Y_EN: 0
; COMPUTE_PGM_RSRC2:TGID_Z_EN: 1
; COMPUTE_PGM_RSRC2:TIDIG_COMP_CNT: 1
	.section	.text._ZL20rocblas_gemvn_kernelILi32ELi16EiPK19rocblas_complex_numIfES1_KPS1_EviiT3_lPKT2_lT1_lS9_lSA_lS6_lPT4_lSA_li,"axG",@progbits,_ZL20rocblas_gemvn_kernelILi32ELi16EiPK19rocblas_complex_numIfES1_KPS1_EviiT3_lPKT2_lT1_lS9_lSA_lS6_lPT4_lSA_li,comdat
	.globl	_ZL20rocblas_gemvn_kernelILi32ELi16EiPK19rocblas_complex_numIfES1_KPS1_EviiT3_lPKT2_lT1_lS9_lSA_lS6_lPT4_lSA_li ; -- Begin function _ZL20rocblas_gemvn_kernelILi32ELi16EiPK19rocblas_complex_numIfES1_KPS1_EviiT3_lPKT2_lT1_lS9_lSA_lS6_lPT4_lSA_li
	.p2align	8
	.type	_ZL20rocblas_gemvn_kernelILi32ELi16EiPK19rocblas_complex_numIfES1_KPS1_EviiT3_lPKT2_lT1_lS9_lSA_lS6_lPT4_lSA_li,@function
_ZL20rocblas_gemvn_kernelILi32ELi16EiPK19rocblas_complex_numIfES1_KPS1_EviiT3_lPKT2_lT1_lS9_lSA_lS6_lPT4_lSA_li: ; @_ZL20rocblas_gemvn_kernelILi32ELi16EiPK19rocblas_complex_numIfES1_KPS1_EviiT3_lPKT2_lT1_lS9_lSA_lS6_lPT4_lSA_li
; %bb.0:
	s_load_b64 s[4:5], s[0:1], 0x9c
	s_waitcnt lgkmcnt(0)
	s_lshr_b32 s3, s4, 16
	s_and_b32 s4, s4, 0xffff
	s_and_b32 s5, s5, 0xffff
	s_mul_i32 s3, s3, s4
	s_delay_alu instid0(SALU_CYCLE_1) | instskip(NEXT) | instid1(SALU_CYCLE_1)
	s_mul_i32 s3, s3, s5
	s_cmpk_lg_i32 s3, 0x200
	s_cbranch_scc1 .LBB300_53
; %bb.1:
	s_clause 0x1
	s_load_b128 s[4:7], s[0:1], 0x0
	s_load_b64 s[8:9], s[0:1], 0x58
	s_mov_b32 s2, s15
	s_waitcnt lgkmcnt(0)
	v_cmp_neq_f32_e64 s3, s6, 0
	v_cmp_neq_f32_e64 s10, s7, 0
	s_delay_alu instid0(VALU_DEP_1) | instskip(NEXT) | instid1(SALU_CYCLE_1)
	s_or_b32 s3, s3, s10
	s_and_b32 vcc_lo, exec_lo, s3
	s_mov_b32 s3, -1
	s_cbranch_vccnz .LBB300_3
; %bb.2:
	v_cmp_neq_f32_e64 s3, s8, 1.0
	v_cmp_neq_f32_e64 s10, s9, 0
	s_delay_alu instid0(VALU_DEP_1)
	s_or_b32 s3, s3, s10
.LBB300_3:
	s_delay_alu instid0(SALU_CYCLE_1)
	s_and_not1_b32 vcc_lo, exec_lo, s3
	s_cbranch_vccnz .LBB300_53
; %bb.4:
	s_or_b32 s3, s6, s7
	s_delay_alu instid0(SALU_CYCLE_1) | instskip(NEXT) | instid1(SALU_CYCLE_1)
	s_bitset0_b32 s3, 31
	s_cmp_lg_u32 s3, 0
	s_cselect_b32 s12, -1, 0
	s_cmp_eq_u32 s3, 0
	s_mov_b32 s3, 0
	s_cselect_b32 s16, -1, 0
	s_and_b32 vcc_lo, exec_lo, s12
	s_cbranch_vccnz .LBB300_6
; %bb.5:
	s_mov_b64 s[10:11], 0
	s_and_not1_b32 vcc_lo, exec_lo, s3
	s_cbranch_vccz .LBB300_7
	s_branch .LBB300_8
.LBB300_6:
	s_mov_b32 s3, -1
                                        ; implicit-def: $sgpr10_sgpr11
.LBB300_7:
	s_load_b128 s[20:23], s[0:1], 0x18
	s_mov_b32 s3, 0
	s_delay_alu instid0(SALU_CYCLE_1)
	s_lshl_b64 s[10:11], s[2:3], 3
	s_waitcnt lgkmcnt(0)
	s_add_u32 s10, s20, s10
	s_addc_u32 s11, s21, s11
	s_lshl_b64 s[18:19], s[22:23], 3
	s_load_b64 s[10:11], s[10:11], 0x0
	s_waitcnt lgkmcnt(0)
	s_add_u32 s10, s10, s18
	s_addc_u32 s11, s11, s19
.LBB300_8:
	s_and_not1_b32 vcc_lo, exec_lo, s12
	s_mov_b64 s[12:13], 0
	s_cbranch_vccnz .LBB300_10
; %bb.9:
	s_load_b128 s[20:23], s[0:1], 0x38
	s_lshl_b64 s[12:13], s[2:3], 3
	s_waitcnt lgkmcnt(0)
	s_add_u32 s12, s20, s12
	s_addc_u32 s13, s21, s13
	s_lshl_b64 s[18:19], s[22:23], 3
	s_load_b64 s[12:13], s[12:13], 0x0
	s_waitcnt lgkmcnt(0)
	s_add_u32 s12, s12, s18
	s_addc_u32 s13, s13, s19
.LBB300_10:
	s_clause 0x1
	s_load_b128 s[20:23], s[0:1], 0x68
	s_load_b32 s18, s[0:1], 0x78
	s_lshl_b64 s[2:3], s[2:3], 3
	v_and_b32_e32 v1, 0x3ff, v0
	v_bfe_u32 v53, v0, 10, 10
	s_delay_alu instid0(VALU_DEP_1)
	v_lshl_add_u32 v0, v53, 5, v1
	s_waitcnt lgkmcnt(0)
	s_add_u32 s2, s20, s2
	s_addc_u32 s3, s21, s3
	s_lshl_b64 s[22:23], s[22:23], 3
	s_load_b64 s[20:21], s[2:3], 0x0
	v_cmp_gt_u32_e64 s2, 0x80, v0
	s_mov_b32 s3, -1
	s_waitcnt lgkmcnt(0)
	s_add_u32 s15, s20, s22
	s_addc_u32 s17, s21, s23
	s_and_not1_b32 vcc_lo, exec_lo, s16
	s_cbranch_vccnz .LBB300_17
; %bb.11:
	s_and_saveexec_b32 s3, s2
	s_cbranch_execz .LBB300_16
; %bb.12:
	v_lshl_or_b32 v2, s14, 7, v0
	v_mov_b32_e32 v3, 0
	s_ashr_i32 s21, s4, 31
	s_mov_b32 s20, s4
	s_delay_alu instid0(VALU_DEP_1) | instid1(SALU_CYCLE_1)
	v_cmp_gt_i64_e32 vcc_lo, s[20:21], v[2:3]
	s_and_b32 exec_lo, exec_lo, vcc_lo
	s_cbranch_execz .LBB300_16
; %bb.13:
	v_mad_u64_u32 v[4:5], null, s18, v2, 0
	s_ashr_i32 s19, s18, 31
	v_cmp_neq_f32_e64 s2, s8, 0
	v_cmp_neq_f32_e64 s16, s9, 0
	s_delay_alu instid0(VALU_DEP_3) | instskip(NEXT) | instid1(VALU_DEP_2)
	v_mad_u64_u32 v[6:7], null, s19, v2, v[5:6]
	s_or_b32 s2, s2, s16
	s_delay_alu instid0(SALU_CYCLE_1) | instskip(NEXT) | instid1(VALU_DEP_1)
	s_and_not1_b32 vcc_lo, exec_lo, s2
	v_dual_mov_b32 v5, v6 :: v_dual_mov_b32 v6, v3
	s_delay_alu instid0(VALU_DEP_1)
	v_lshlrev_b64 v[4:5], 3, v[4:5]
	s_cbranch_vccnz .LBB300_15
; %bb.14:
	s_delay_alu instid0(VALU_DEP_1) | instskip(NEXT) | instid1(VALU_DEP_2)
	v_add_co_u32 v2, vcc_lo, s15, v4
	v_add_co_ci_u32_e32 v3, vcc_lo, s17, v5, vcc_lo
	global_load_b64 v[2:3], v[2:3], off
	s_waitcnt vmcnt(0)
	v_mul_f32_e32 v6, s8, v3
	s_delay_alu instid0(VALU_DEP_1) | instskip(NEXT) | instid1(VALU_DEP_1)
	v_dual_mul_f32 v7, s9, v3 :: v_dual_fmac_f32 v6, s9, v2
	v_fma_f32 v3, s8, v2, -v7
.LBB300_15:
	s_delay_alu instid0(VALU_DEP_1) | instskip(NEXT) | instid1(VALU_DEP_2)
	v_add_co_u32 v7, vcc_lo, s15, v4
	v_add_co_ci_u32_e32 v8, vcc_lo, s17, v5, vcc_lo
	s_delay_alu instid0(VALU_DEP_3)
	v_mov_b32_e32 v5, v3
	global_store_b64 v[7:8], v[5:6], off
.LBB300_16:
	s_or_b32 exec_lo, exec_lo, s3
	s_mov_b32 s3, 0
.LBB300_17:
	s_delay_alu instid0(SALU_CYCLE_1)
	s_and_not1_b32 vcc_lo, exec_lo, s3
	s_cbranch_vccnz .LBB300_53
; %bb.18:
	s_clause 0x1
	s_load_b32 s19, s[0:1], 0x28
	s_load_b32 s16, s[0:1], 0x48
	s_ashr_i32 s2, s5, 31
	s_lshl_b32 s14, s14, 7
	s_lshr_b32 s0, s2, 26
	v_dual_mov_b32 v2, 0 :: v_dual_lshlrev_b32 v55, 2, v53
	v_dual_mov_b32 v3, 0 :: v_dual_add_nc_u32 v54, s14, v1
	v_dual_mov_b32 v5, 0 :: v_dual_mov_b32 v4, 0
	v_dual_mov_b32 v7, 0 :: v_dual_mov_b32 v6, 0
	;; [unrolled: 1-line block ×3, first 2 shown]
	s_add_i32 s20, s5, s0
	s_mov_b32 s21, exec_lo
	s_and_not1_b32 s20, s20, 63
	s_delay_alu instid0(SALU_CYCLE_1)
	v_cmpx_gt_i32_e64 s20, v55
	s_cbranch_execz .LBB300_30
; %bb.19:
	s_waitcnt lgkmcnt(0)
	v_mul_lo_u32 v3, s19, v55
	v_add_nc_u32_e32 v2, 32, v54
	v_cmp_gt_i32_e32 vcc_lo, s4, v54
	s_lshl_b32 s22, s19, 6
	s_lshl_b32 s24, s16, 6
	s_mov_b32 s23, 0
	s_mov_b32 s25, 0
	s_delay_alu instid0(VALU_DEP_3) | instskip(SKIP_1) | instid1(VALU_DEP_1)
	v_add3_u32 v56, v3, s19, v1
	v_mul_lo_u32 v3, v53, s19
	v_lshl_add_u32 v57, v3, 2, v1
	v_mov_b32_e32 v3, 0
	v_add_nc_u32_e32 v5, 0x60, v54
	v_add_nc_u32_e32 v4, 64, v54
	v_cmp_gt_i32_e64 s0, s4, v2
	s_delay_alu instid0(VALU_DEP_4) | instskip(NEXT) | instid1(VALU_DEP_4)
	v_dual_mov_b32 v7, v3 :: v_dual_add_nc_u32 v2, 2, v55
	v_cmp_gt_i32_e64 s2, s4, v5
	v_mul_lo_u32 v5, v53, s16
	v_mov_b32_e32 v6, v3
	s_delay_alu instid0(VALU_DEP_4)
	v_mad_u64_u32 v[10:11], null, s19, v2, v[1:2]
	v_mov_b32_e32 v9, v3
	v_mul_lo_u32 v58, s16, v2
	v_mov_b32_e32 v8, v3
	v_dual_mov_b32 v5, v3 :: v_dual_lshlrev_b32 v60, 2, v5
	v_cmp_gt_i32_e64 s1, s4, v4
	v_add_nc_u32_e32 v4, 3, v55
	s_delay_alu instid0(VALU_DEP_1)
	v_mad_u64_u32 v[11:12], null, s19, v4, v[1:2]
	v_mad_u64_u32 v[12:13], null, s16, v55, s[16:17]
	v_mul_lo_u32 v59, s16, v4
	v_mov_b32_e32 v2, v3
	v_mov_b32_e32 v4, v3
	s_branch .LBB300_24
.LBB300_20:                             ;   in Loop: Header=BB300_24 Depth=1
	s_or_b32 exec_lo, exec_lo, s28
	s_waitcnt vmcnt(3) lgkmcnt(3)
	v_mul_f32_e32 v45, v26, v44
	v_mul_f32_e32 v44, v25, v44
	s_waitcnt vmcnt(1) lgkmcnt(1)
	v_dual_mul_f32 v46, v22, v42 :: v_dual_mul_f32 v47, v16, v40
	v_mul_f32_e32 v42, v21, v42
	v_fma_f32 v45, v25, v43, -v45
	v_fmac_f32_e32 v44, v26, v43
	s_waitcnt vmcnt(0) lgkmcnt(0)
	v_mul_f32_e32 v43, v14, v38
	v_mul_f32_e32 v38, v13, v38
	v_fma_f32 v46, v21, v41, -v46
	v_dual_add_f32 v4, v4, v45 :: v_dual_add_f32 v5, v5, v44
	s_delay_alu instid0(VALU_DEP_3) | instskip(SKIP_4) | instid1(VALU_DEP_3)
	v_fmac_f32_e32 v38, v14, v37
	v_fmac_f32_e32 v42, v22, v41
	v_mul_f32_e32 v40, v15, v40
	v_fma_f32 v41, v15, v39, -v47
	v_add_f32_e32 v4, v4, v46
	v_dual_add_f32 v5, v5, v42 :: v_dual_fmac_f32 v40, v16, v39
	v_fma_f32 v39, v13, v37, -v43
	s_delay_alu instid0(VALU_DEP_2) | instskip(NEXT) | instid1(VALU_DEP_1)
	v_dual_add_f32 v4, v4, v41 :: v_dual_add_f32 v5, v5, v40
	v_dual_add_f32 v4, v4, v39 :: v_dual_add_f32 v5, v5, v38
.LBB300_21:                             ;   in Loop: Header=BB300_24 Depth=1
	s_or_b32 exec_lo, exec_lo, s27
	s_waitcnt vmcnt(3) lgkmcnt(3)
	v_mul_f32_e32 v37, v26, v36
	v_mul_f32_e32 v36, v25, v36
	s_waitcnt vmcnt(1) lgkmcnt(1)
	v_dual_mul_f32 v38, v22, v34 :: v_dual_mul_f32 v39, v16, v32
	v_mul_f32_e32 v34, v21, v34
	v_mul_f32_e32 v32, v15, v32
	v_fma_f32 v37, v25, v35, -v37
	s_delay_alu instid0(VALU_DEP_4) | instskip(NEXT) | instid1(VALU_DEP_3)
	v_fma_f32 v38, v21, v33, -v38
	v_fmac_f32_e32 v32, v16, v31
	v_fmac_f32_e32 v34, v22, v33
	v_fmac_f32_e32 v36, v26, v35
	v_add_f32_e32 v6, v6, v37
	s_waitcnt vmcnt(0) lgkmcnt(0)
	v_mul_f32_e32 v35, v14, v30
	v_mul_f32_e32 v30, v13, v30
	v_fma_f32 v33, v15, v31, -v39
	v_dual_add_f32 v7, v7, v36 :: v_dual_add_f32 v6, v6, v38
	s_delay_alu instid0(VALU_DEP_4) | instskip(NEXT) | instid1(VALU_DEP_2)
	v_fma_f32 v31, v13, v29, -v35
	v_dual_fmac_f32 v30, v14, v29 :: v_dual_add_f32 v7, v7, v34
	s_delay_alu instid0(VALU_DEP_1) | instskip(NEXT) | instid1(VALU_DEP_1)
	v_dual_add_f32 v6, v6, v33 :: v_dual_add_f32 v7, v7, v32
	v_dual_add_f32 v6, v6, v31 :: v_dual_add_f32 v7, v7, v30
.LBB300_22:                             ;   in Loop: Header=BB300_24 Depth=1
	s_or_b32 exec_lo, exec_lo, s3
	s_waitcnt vmcnt(3) lgkmcnt(3)
	v_mul_f32_e32 v29, v26, v28
	v_mul_f32_e32 v28, v25, v28
	s_waitcnt vmcnt(1) lgkmcnt(1)
	v_mul_f32_e32 v31, v16, v20
	v_mul_f32_e32 v20, v15, v20
	v_fma_f32 v25, v25, v27, -v29
	v_fmac_f32_e32 v28, v26, v27
	s_waitcnt vmcnt(0) lgkmcnt(0)
	v_mul_f32_e32 v26, v14, v18
	v_mul_f32_e32 v18, v13, v18
	v_fma_f32 v15, v15, v19, -v31
	v_dual_add_f32 v8, v8, v25 :: v_dual_add_f32 v9, v9, v28
	v_fmac_f32_e32 v20, v16, v19
	s_delay_alu instid0(VALU_DEP_4) | instskip(SKIP_3) | instid1(VALU_DEP_2)
	v_fmac_f32_e32 v18, v14, v17
	v_mul_f32_e32 v30, v22, v24
	v_mul_f32_e32 v24, v21, v24
	v_fma_f32 v13, v13, v17, -v26
	v_fmac_f32_e32 v24, v22, v23
	s_delay_alu instid0(VALU_DEP_1) | instskip(NEXT) | instid1(VALU_DEP_1)
	v_add_f32_e32 v9, v9, v24
	v_add_f32_e32 v9, v9, v20
	s_delay_alu instid0(VALU_DEP_1) | instskip(SKIP_1) | instid1(VALU_DEP_1)
	v_add_f32_e32 v9, v9, v18
	v_fma_f32 v21, v21, v23, -v30
	v_add_f32_e32 v8, v8, v21
	s_delay_alu instid0(VALU_DEP_1) | instskip(NEXT) | instid1(VALU_DEP_1)
	v_add_f32_e32 v8, v8, v15
	v_add_f32_e32 v8, v8, v13
.LBB300_23:                             ;   in Loop: Header=BB300_24 Depth=1
	s_or_b32 exec_lo, exec_lo, s26
	v_add_nc_u32_e32 v55, 64, v55
	v_add_nc_u32_e32 v56, s22, v56
	;; [unrolled: 1-line block ×5, first 2 shown]
	v_cmp_le_i32_e64 s3, s20, v55
	s_add_i32 s25, s25, s24
	s_delay_alu instid0(VALU_DEP_1) | instskip(NEXT) | instid1(SALU_CYCLE_1)
	s_or_b32 s23, s3, s23
	s_and_not1_b32 exec_lo, exec_lo, s23
	s_cbranch_execz .LBB300_29
.LBB300_24:                             ; =>This Inner Loop Header: Depth=1
	s_and_saveexec_b32 s26, vcc_lo
	s_cbranch_execz .LBB300_23
; %bb.25:                               ;   in Loop: Header=BB300_24 Depth=1
	v_add_nc_u32_e32 v13, s25, v60
	v_add_nc_u32_e32 v15, s25, v12
	;; [unrolled: 1-line block ×5, first 2 shown]
	v_ashrrev_i32_e32 v14, 31, v13
	v_ashrrev_i32_e32 v16, 31, v15
	;; [unrolled: 1-line block ×4, first 2 shown]
	v_add_nc_u32_e32 v23, s14, v56
	v_lshlrev_b64 v[13:14], 3, v[13:14]
	v_lshlrev_b64 v[15:16], 3, v[15:16]
	;; [unrolled: 1-line block ×3, first 2 shown]
	v_ashrrev_i32_e32 v22, 31, v21
	v_lshlrev_b64 v[19:20], 3, v[19:20]
	v_ashrrev_i32_e32 v24, 31, v23
	v_add_co_u32 v13, s3, s12, v13
	s_delay_alu instid0(VALU_DEP_1)
	v_add_co_ci_u32_e64 v14, s3, s13, v14, s3
	v_add_co_u32 v15, s3, s12, v15
	v_add_nc_u32_e32 v25, s14, v10
	v_add_co_ci_u32_e64 v16, s3, s13, v16, s3
	v_add_co_u32 v17, s3, s12, v17
	v_lshlrev_b64 v[21:22], 3, v[21:22]
	v_add_nc_u32_e32 v27, s14, v11
	v_add_co_ci_u32_e64 v18, s3, s13, v18, s3
	v_add_co_u32 v19, s3, s12, v19
	v_lshlrev_b64 v[23:24], 3, v[23:24]
	v_ashrrev_i32_e32 v26, 31, v25
	v_add_co_ci_u32_e64 v20, s3, s13, v20, s3
	v_add_co_u32 v51, s3, s10, v21
	v_ashrrev_i32_e32 v28, 31, v27
	v_add_co_ci_u32_e64 v52, s3, s11, v22, s3
	v_lshlrev_b64 v[21:22], 3, v[25:26]
	v_add_co_u32 v49, s3, s10, v23
	s_delay_alu instid0(VALU_DEP_1) | instskip(SKIP_1) | instid1(VALU_DEP_4)
	v_add_co_ci_u32_e64 v50, s3, s11, v24, s3
	v_lshlrev_b64 v[23:24], 3, v[27:28]
	v_add_co_u32 v47, s3, s10, v21
	s_delay_alu instid0(VALU_DEP_1) | instskip(NEXT) | instid1(VALU_DEP_3)
	v_add_co_ci_u32_e64 v48, s3, s11, v22, s3
	v_add_co_u32 v45, s3, s10, v23
	s_delay_alu instid0(VALU_DEP_1)
	v_add_co_ci_u32_e64 v46, s3, s11, v24, s3
	s_clause 0x3
	flat_load_b64 v[25:26], v[13:14]
	flat_load_b64 v[21:22], v[15:16]
	;; [unrolled: 1-line block ×4, first 2 shown]
	s_clause 0x3
	flat_load_b64 v[27:28], v[51:52]
	flat_load_b64 v[23:24], v[49:50]
	;; [unrolled: 1-line block ×4, first 2 shown]
	s_and_saveexec_b32 s3, s0
	s_cbranch_execz .LBB300_22
; %bb.26:                               ;   in Loop: Header=BB300_24 Depth=1
	s_clause 0x3
	flat_load_b64 v[35:36], v[51:52] offset:256
	flat_load_b64 v[33:34], v[49:50] offset:256
	flat_load_b64 v[31:32], v[47:48] offset:256
	flat_load_b64 v[29:30], v[45:46] offset:256
	s_and_saveexec_b32 s27, s1
	s_cbranch_execz .LBB300_21
; %bb.27:                               ;   in Loop: Header=BB300_24 Depth=1
	s_clause 0x3
	flat_load_b64 v[43:44], v[51:52] offset:512
	flat_load_b64 v[41:42], v[49:50] offset:512
	flat_load_b64 v[39:40], v[47:48] offset:512
	flat_load_b64 v[37:38], v[45:46] offset:512
	;; [unrolled: 8-line block ×3, first 2 shown]
	s_waitcnt vmcnt(3) lgkmcnt(3)
	v_mul_f32_e32 v61, v26, v52
	v_mul_f32_e32 v52, v25, v52
	s_waitcnt vmcnt(1) lgkmcnt(1)
	v_dual_mul_f32 v62, v22, v50 :: v_dual_mul_f32 v63, v16, v48
	v_mul_f32_e32 v50, v21, v50
	v_mul_f32_e32 v48, v15, v48
	v_fma_f32 v61, v25, v51, -v61
	s_delay_alu instid0(VALU_DEP_4) | instskip(NEXT) | instid1(VALU_DEP_4)
	v_fma_f32 v62, v21, v49, -v62
	v_fmac_f32_e32 v50, v22, v49
	v_fmac_f32_e32 v52, v26, v51
	s_waitcnt vmcnt(0) lgkmcnt(0)
	v_mul_f32_e32 v51, v14, v46
	v_mul_f32_e32 v46, v13, v46
	v_fma_f32 v49, v15, v47, -v63
	s_delay_alu instid0(VALU_DEP_2) | instskip(SKIP_2) | instid1(VALU_DEP_3)
	v_dual_add_f32 v3, v3, v52 :: v_dual_fmac_f32 v46, v14, v45
	v_fmac_f32_e32 v48, v16, v47
	v_fma_f32 v47, v13, v45, -v51
	v_dual_add_f32 v3, v3, v50 :: v_dual_add_f32 v2, v2, v61
	s_delay_alu instid0(VALU_DEP_1) | instskip(NEXT) | instid1(VALU_DEP_1)
	v_dual_add_f32 v3, v3, v48 :: v_dual_add_f32 v2, v2, v62
	v_dual_add_f32 v3, v3, v46 :: v_dual_add_f32 v2, v2, v49
	s_delay_alu instid0(VALU_DEP_1)
	v_add_f32_e32 v2, v2, v47
	s_branch .LBB300_20
.LBB300_29:
	s_or_b32 exec_lo, exec_lo, s23
.LBB300_30:
	s_delay_alu instid0(SALU_CYCLE_1) | instskip(SKIP_1) | instid1(SALU_CYCLE_1)
	s_or_b32 exec_lo, exec_lo, s21
	s_sub_i32 s0, s5, s20
	s_cmp_lt_i32 s0, 1
	s_cbranch_scc1 .LBB300_48
; %bb.31:
	v_cmp_gt_i32_e32 vcc_lo, s5, v55
	v_dual_mov_b32 v10, 0 :: v_dual_mov_b32 v11, 0
	v_or_b32_e32 v18, 1, v55
	v_dual_mov_b32 v12, 0 :: v_dual_mov_b32 v13, 0
	v_dual_mov_b32 v14, 0 :: v_dual_mov_b32 v15, 0
	;; [unrolled: 1-line block ×3, first 2 shown]
	s_and_saveexec_b32 s1, vcc_lo
	s_cbranch_execz .LBB300_39
; %bb.32:
	s_waitcnt lgkmcnt(0)
	v_mul_lo_u32 v10, v55, s16
	v_dual_mov_b32 v17, 0 :: v_dual_mov_b32 v16, 0
	v_dual_mov_b32 v15, 0 :: v_dual_mov_b32 v14, 0
	;; [unrolled: 1-line block ×3, first 2 shown]
	s_mov_b32 s2, exec_lo
	s_delay_alu instid0(VALU_DEP_4) | instskip(NEXT) | instid1(VALU_DEP_1)
	v_ashrrev_i32_e32 v11, 31, v10
	v_lshlrev_b64 v[10:11], 3, v[10:11]
	s_delay_alu instid0(VALU_DEP_1) | instskip(NEXT) | instid1(VALU_DEP_1)
	v_add_co_u32 v10, s0, s12, v10
	v_add_co_ci_u32_e64 v11, s0, s13, v11, s0
	flat_load_b64 v[10:11], v[10:11]
	v_cmpx_gt_i32_e64 s5, v18
	s_cbranch_execz .LBB300_38
; %bb.33:
	v_mul_lo_u32 v12, v18, s16
	v_or_b32_e32 v19, 2, v55
	v_dual_mov_b32 v17, 0 :: v_dual_mov_b32 v16, 0
	v_dual_mov_b32 v15, 0 :: v_dual_mov_b32 v14, 0
	s_mov_b32 s3, exec_lo
	s_delay_alu instid0(VALU_DEP_4) | instskip(NEXT) | instid1(VALU_DEP_1)
	v_ashrrev_i32_e32 v13, 31, v12
	v_lshlrev_b64 v[12:13], 3, v[12:13]
	s_delay_alu instid0(VALU_DEP_1) | instskip(NEXT) | instid1(VALU_DEP_1)
	v_add_co_u32 v12, s0, s12, v12
	v_add_co_ci_u32_e64 v13, s0, s13, v13, s0
	flat_load_b64 v[12:13], v[12:13]
	v_cmpx_gt_i32_e64 s5, v19
	s_cbranch_execz .LBB300_37
; %bb.34:
	v_mul_lo_u32 v14, v19, s16
	v_or_b32_e32 v19, 3, v55
	v_dual_mov_b32 v17, 0 :: v_dual_mov_b32 v16, 0
	s_mov_b32 s20, exec_lo
	s_delay_alu instid0(VALU_DEP_3) | instskip(NEXT) | instid1(VALU_DEP_1)
	v_ashrrev_i32_e32 v15, 31, v14
	v_lshlrev_b64 v[14:15], 3, v[14:15]
	s_delay_alu instid0(VALU_DEP_1) | instskip(NEXT) | instid1(VALU_DEP_1)
	v_add_co_u32 v14, s0, s12, v14
	v_add_co_ci_u32_e64 v15, s0, s13, v15, s0
	flat_load_b64 v[14:15], v[14:15]
	v_cmpx_gt_i32_e64 s5, v19
	s_cbranch_execz .LBB300_36
; %bb.35:
	v_mul_lo_u32 v16, v19, s16
	s_delay_alu instid0(VALU_DEP_1) | instskip(NEXT) | instid1(VALU_DEP_1)
	v_ashrrev_i32_e32 v17, 31, v16
	v_lshlrev_b64 v[16:17], 3, v[16:17]
	s_delay_alu instid0(VALU_DEP_1) | instskip(NEXT) | instid1(VALU_DEP_1)
	v_add_co_u32 v16, s0, s12, v16
	v_add_co_ci_u32_e64 v17, s0, s13, v17, s0
	flat_load_b64 v[16:17], v[16:17]
.LBB300_36:
	s_or_b32 exec_lo, exec_lo, s20
.LBB300_37:
	s_delay_alu instid0(SALU_CYCLE_1)
	s_or_b32 exec_lo, exec_lo, s3
.LBB300_38:
	s_delay_alu instid0(SALU_CYCLE_1)
	s_or_b32 exec_lo, exec_lo, s2
.LBB300_39:
	s_delay_alu instid0(SALU_CYCLE_1) | instskip(NEXT) | instid1(SALU_CYCLE_1)
	s_or_b32 exec_lo, exec_lo, s1
	s_mov_b32 s1, exec_lo
	v_cmpx_gt_i32_e64 s4, v54
	s_cbranch_execz .LBB300_47
; %bb.40:
	s_waitcnt lgkmcnt(0)
	v_mul_lo_u32 v19, v55, s19
	v_mul_lo_u32 v20, v18, s19
	v_or_b32_e32 v21, 2, v55
	v_or_b32_e32 v22, 3, v55
	s_mov_b32 s0, exec_lo
	s_delay_alu instid0(VALU_DEP_2)
	v_mul_lo_u32 v23, v21, s19
	v_cndmask_b32_e32 v19, 0, v19, vcc_lo
	v_cmp_gt_i32_e32 vcc_lo, s5, v18
	v_mul_lo_u32 v24, v22, s19
	v_cndmask_b32_e32 v20, 0, v20, vcc_lo
	v_cmp_gt_i32_e32 vcc_lo, s5, v21
	v_add_nc_u32_e32 v18, v19, v54
	s_delay_alu instid0(VALU_DEP_3) | instskip(NEXT) | instid1(VALU_DEP_2)
	v_dual_cndmask_b32 v23, 0, v23 :: v_dual_add_nc_u32 v20, v20, v54
	v_ashrrev_i32_e32 v19, 31, v18
	v_cmp_gt_i32_e32 vcc_lo, s5, v22
	s_delay_alu instid0(VALU_DEP_3) | instskip(NEXT) | instid1(VALU_DEP_3)
	v_ashrrev_i32_e32 v21, 31, v20
	v_lshlrev_b64 v[18:19], 3, v[18:19]
	v_cndmask_b32_e32 v24, 0, v24, vcc_lo
	s_delay_alu instid0(VALU_DEP_3) | instskip(NEXT) | instid1(VALU_DEP_2)
	v_lshlrev_b64 v[20:21], 3, v[20:21]
	v_add_nc_u32_e32 v26, v24, v54
	s_delay_alu instid0(VALU_DEP_4) | instskip(SKIP_1) | instid1(VALU_DEP_4)
	v_add_co_u32 v24, vcc_lo, s10, v18
	v_add_co_ci_u32_e32 v25, vcc_lo, s11, v19, vcc_lo
	v_add_co_u32 v20, vcc_lo, s10, v20
	v_add_co_ci_u32_e32 v21, vcc_lo, s11, v21, vcc_lo
	s_clause 0x1
	flat_load_b64 v[28:29], v[24:25]
	flat_load_b64 v[30:31], v[20:21]
	s_waitcnt vmcnt(0) lgkmcnt(0)
	v_dual_mul_f32 v35, v13, v31 :: v_dual_add_nc_u32 v22, v23, v54
	v_dual_mul_f32 v31, v12, v31 :: v_dual_mul_f32 v34, v11, v29
	v_mul_f32_e32 v29, v10, v29
	s_delay_alu instid0(VALU_DEP_3) | instskip(NEXT) | instid1(VALU_DEP_3)
	v_ashrrev_i32_e32 v23, 31, v22
	v_fmac_f32_e32 v31, v13, v30
	s_delay_alu instid0(VALU_DEP_4) | instskip(NEXT) | instid1(VALU_DEP_4)
	v_fma_f32 v34, v10, v28, -v34
	v_fmac_f32_e32 v29, v11, v28
	v_ashrrev_i32_e32 v27, 31, v26
	v_lshlrev_b64 v[18:19], 3, v[22:23]
	v_fma_f32 v28, v12, v30, -v35
	s_delay_alu instid0(VALU_DEP_4) | instskip(NEXT) | instid1(VALU_DEP_4)
	v_dual_add_f32 v8, v8, v34 :: v_dual_add_f32 v29, v9, v29
	v_lshlrev_b64 v[26:27], 3, v[26:27]
	s_delay_alu instid0(VALU_DEP_4) | instskip(SKIP_1) | instid1(VALU_DEP_3)
	v_add_co_u32 v22, vcc_lo, s10, v18
	v_add_co_ci_u32_e32 v23, vcc_lo, s11, v19, vcc_lo
	v_add_co_u32 v18, vcc_lo, s10, v26
	s_delay_alu instid0(VALU_DEP_4)
	v_add_co_ci_u32_e32 v19, vcc_lo, s11, v27, vcc_lo
	s_clause 0x1
	flat_load_b64 v[26:27], v[22:23]
	flat_load_b64 v[32:33], v[18:19]
	s_waitcnt vmcnt(0) lgkmcnt(0)
	v_dual_mul_f32 v30, v15, v27 :: v_dual_mul_f32 v35, v17, v33
	v_mul_f32_e32 v27, v14, v27
	v_mul_f32_e32 v9, v16, v33
	s_delay_alu instid0(VALU_DEP_3) | instskip(NEXT) | instid1(VALU_DEP_3)
	v_fma_f32 v30, v14, v26, -v30
	v_dual_fmac_f32 v27, v15, v26 :: v_dual_add_f32 v26, v8, v28
	v_dual_add_f32 v28, v29, v31 :: v_dual_add_nc_u32 v29, 32, v54
	v_fma_f32 v8, v16, v32, -v35
	s_delay_alu instid0(VALU_DEP_3) | instskip(NEXT) | instid1(VALU_DEP_3)
	v_dual_fmac_f32 v9, v17, v32 :: v_dual_add_f32 v26, v26, v30
	v_add_f32_e32 v27, v28, v27
	s_delay_alu instid0(VALU_DEP_4)
	v_cmpx_gt_i32_e64 s4, v29
	s_cbranch_execz .LBB300_46
; %bb.41:
	s_clause 0x3
	flat_load_b64 v[28:29], v[24:25] offset:256
	flat_load_b64 v[30:31], v[20:21] offset:256
	;; [unrolled: 1-line block ×4, first 2 shown]
	s_mov_b32 s2, exec_lo
	s_waitcnt vmcnt(2) lgkmcnt(2)
	v_dual_mul_f32 v36, v11, v29 :: v_dual_mul_f32 v37, v13, v31
	v_mul_f32_e32 v29, v10, v29
	s_waitcnt vmcnt(1) lgkmcnt(1)
	v_dual_mul_f32 v31, v12, v31 :: v_dual_mul_f32 v38, v15, v33
	s_delay_alu instid0(VALU_DEP_3) | instskip(SKIP_1) | instid1(VALU_DEP_3)
	v_fma_f32 v36, v10, v28, -v36
	v_fma_f32 v37, v12, v30, -v37
	v_fmac_f32_e32 v31, v13, v30
	s_delay_alu instid0(VALU_DEP_4) | instskip(NEXT) | instid1(VALU_DEP_4)
	v_fma_f32 v30, v14, v32, -v38
	v_add_f32_e32 v6, v6, v36
	v_mul_f32_e32 v33, v14, v33
	s_waitcnt vmcnt(0) lgkmcnt(0)
	v_dual_fmac_f32 v29, v11, v28 :: v_dual_mul_f32 v28, v17, v35
	s_delay_alu instid0(VALU_DEP_2) | instskip(NEXT) | instid1(VALU_DEP_2)
	v_dual_fmac_f32 v33, v15, v32 :: v_dual_add_f32 v32, v6, v37
	v_add_f32_e32 v29, v7, v29
	v_mul_f32_e32 v7, v16, v35
	s_delay_alu instid0(VALU_DEP_4) | instskip(NEXT) | instid1(VALU_DEP_3)
	v_fma_f32 v6, v16, v34, -v28
	v_dual_add_f32 v28, v32, v30 :: v_dual_add_f32 v29, v29, v31
	v_add_nc_u32_e32 v31, 64, v54
	s_delay_alu instid0(VALU_DEP_4) | instskip(NEXT) | instid1(VALU_DEP_3)
	v_fmac_f32_e32 v7, v17, v34
	v_add_f32_e32 v29, v29, v33
	s_delay_alu instid0(VALU_DEP_3)
	v_cmpx_gt_i32_e64 s4, v31
	s_cbranch_execz .LBB300_45
; %bb.42:
	s_clause 0x3
	flat_load_b64 v[30:31], v[24:25] offset:512
	flat_load_b64 v[32:33], v[20:21] offset:512
	;; [unrolled: 1-line block ×4, first 2 shown]
	s_mov_b32 s3, exec_lo
	s_waitcnt vmcnt(2) lgkmcnt(2)
	v_dual_mul_f32 v38, v11, v31 :: v_dual_mul_f32 v39, v13, v33
	v_mul_f32_e32 v31, v10, v31
	s_waitcnt vmcnt(1) lgkmcnt(1)
	v_dual_mul_f32 v33, v12, v33 :: v_dual_mul_f32 v40, v15, v35
	s_delay_alu instid0(VALU_DEP_3) | instskip(SKIP_2) | instid1(VALU_DEP_4)
	v_fma_f32 v38, v10, v30, -v38
	v_mul_f32_e32 v35, v14, v35
	v_fma_f32 v39, v12, v32, -v39
	v_fmac_f32_e32 v33, v13, v32
	v_fma_f32 v32, v14, v34, -v40
	v_add_f32_e32 v4, v4, v38
	s_waitcnt vmcnt(0) lgkmcnt(0)
	v_dual_fmac_f32 v31, v11, v30 :: v_dual_mul_f32 v30, v17, v37
	s_delay_alu instid0(VALU_DEP_2) | instskip(NEXT) | instid1(VALU_DEP_2)
	v_dual_fmac_f32 v35, v15, v34 :: v_dual_add_f32 v34, v4, v39
	v_add_f32_e32 v31, v5, v31
	v_mul_f32_e32 v5, v16, v37
	s_delay_alu instid0(VALU_DEP_4) | instskip(NEXT) | instid1(VALU_DEP_3)
	v_fma_f32 v4, v16, v36, -v30
	v_dual_add_f32 v30, v34, v32 :: v_dual_add_f32 v31, v31, v33
	v_add_nc_u32_e32 v33, 0x60, v54
	s_delay_alu instid0(VALU_DEP_4) | instskip(NEXT) | instid1(VALU_DEP_3)
	v_fmac_f32_e32 v5, v17, v36
	v_add_f32_e32 v31, v31, v35
	s_delay_alu instid0(VALU_DEP_3)
	v_cmpx_gt_i32_e64 s4, v33
	s_cbranch_execz .LBB300_44
; %bb.43:
	s_clause 0x3
	flat_load_b64 v[24:25], v[24:25] offset:768
	flat_load_b64 v[20:21], v[20:21] offset:768
	;; [unrolled: 1-line block ×4, first 2 shown]
	s_waitcnt vmcnt(3) lgkmcnt(3)
	v_mul_f32_e32 v32, v11, v25
	s_waitcnt vmcnt(1) lgkmcnt(1)
	v_dual_mul_f32 v25, v10, v25 :: v_dual_mul_f32 v34, v15, v23
	v_mul_f32_e32 v23, v14, v23
	s_delay_alu instid0(VALU_DEP_3) | instskip(SKIP_1) | instid1(VALU_DEP_4)
	v_fma_f32 v10, v10, v24, -v32
	v_mul_f32_e32 v33, v13, v21
	v_fmac_f32_e32 v25, v11, v24
	s_delay_alu instid0(VALU_DEP_4) | instskip(NEXT) | instid1(VALU_DEP_4)
	v_fmac_f32_e32 v23, v15, v22
	v_add_f32_e32 v2, v2, v10
	s_waitcnt vmcnt(0) lgkmcnt(0)
	v_mul_f32_e32 v10, v16, v19
	v_mul_f32_e32 v21, v12, v21
	v_fma_f32 v12, v12, v20, -v33
	s_delay_alu instid0(VALU_DEP_3) | instskip(NEXT) | instid1(VALU_DEP_2)
	v_dual_add_f32 v3, v3, v25 :: v_dual_fmac_f32 v10, v17, v18
	v_add_f32_e32 v2, v2, v12
	s_delay_alu instid0(VALU_DEP_4) | instskip(SKIP_1) | instid1(VALU_DEP_1)
	v_fmac_f32_e32 v21, v13, v20
	v_fma_f32 v13, v14, v22, -v34
	v_dual_mul_f32 v11, v17, v19 :: v_dual_add_f32 v2, v2, v13
	s_delay_alu instid0(VALU_DEP_1) | instskip(NEXT) | instid1(VALU_DEP_1)
	v_fma_f32 v11, v16, v18, -v11
	v_dual_add_f32 v2, v2, v11 :: v_dual_add_f32 v3, v3, v21
	s_delay_alu instid0(VALU_DEP_1) | instskip(NEXT) | instid1(VALU_DEP_1)
	v_add_f32_e32 v3, v3, v23
	v_add_f32_e32 v3, v3, v10
.LBB300_44:
	s_or_b32 exec_lo, exec_lo, s3
	s_delay_alu instid0(VALU_DEP_2)
	v_dual_add_f32 v4, v30, v4 :: v_dual_add_f32 v5, v31, v5
.LBB300_45:
	s_or_b32 exec_lo, exec_lo, s2
	s_delay_alu instid0(VALU_DEP_2)
	v_dual_add_f32 v6, v28, v6 :: v_dual_add_f32 v7, v29, v7
.LBB300_46:
	s_or_b32 exec_lo, exec_lo, s0
	s_delay_alu instid0(VALU_DEP_2)
	v_dual_add_f32 v8, v26, v8 :: v_dual_add_f32 v9, v27, v9
.LBB300_47:
	s_or_b32 exec_lo, exec_lo, s1
.LBB300_48:
	s_waitcnt vmcnt(0) lgkmcnt(0)
	v_lshlrev_b32_e32 v10, 7, v53
	s_mov_b32 s0, exec_lo
	s_delay_alu instid0(VALU_DEP_1)
	v_add_lshl_u32 v1, v10, v1, 3
	ds_store_2addr_b64 v1, v[8:9], v[6:7] offset1:32
	ds_store_2addr_b64 v1, v[4:5], v[2:3] offset0:64 offset1:96
	s_waitcnt lgkmcnt(0)
	s_waitcnt_vscnt null, 0x0
	s_barrier
	buffer_gl0_inv
	v_cmpx_gt_u32_e32 0x80, v0
	s_cbranch_execz .LBB300_53
; %bb.49:
	v_lshlrev_b32_e32 v13, 3, v0
	v_or_b32_e32 v0, s14, v0
	ds_load_2addr_stride64_b64 v[1:4], v13 offset1:2
	ds_load_2addr_stride64_b64 v[5:8], v13 offset0:4 offset1:6
	ds_load_2addr_stride64_b64 v[9:12], v13 offset0:8 offset1:10
	v_cmp_gt_i32_e32 vcc_lo, s4, v0
	s_waitcnt lgkmcnt(2)
	v_add_f32_e32 v14, v1, v3
	s_waitcnt lgkmcnt(1)
	s_delay_alu instid0(VALU_DEP_1) | instskip(SKIP_4) | instid1(VALU_DEP_1)
	v_add_f32_e32 v5, v14, v5
	v_add_f32_e32 v15, v2, v4
	ds_load_2addr_stride64_b64 v[1:4], v13 offset0:12 offset1:14
	v_add_f32_e32 v14, v5, v7
	s_waitcnt lgkmcnt(1)
	v_dual_add_f32 v6, v15, v6 :: v_dual_add_f32 v9, v14, v9
	s_delay_alu instid0(VALU_DEP_1) | instskip(SKIP_3) | instid1(VALU_DEP_1)
	v_add_f32_e32 v15, v6, v8
	ds_load_2addr_stride64_b64 v[5:8], v13 offset0:16 offset1:18
	v_add_f32_e32 v14, v9, v11
	s_waitcnt lgkmcnt(1)
	v_dual_add_f32 v10, v15, v10 :: v_dual_add_f32 v1, v14, v1
	s_delay_alu instid0(VALU_DEP_1) | instskip(SKIP_3) | instid1(VALU_DEP_1)
	;; [unrolled: 6-line block ×3, first 2 shown]
	v_add_f32_e32 v15, v2, v4
	ds_load_2addr_stride64_b64 v[1:4], v13 offset0:24 offset1:26
	v_add_f32_e32 v14, v5, v7
	v_add_f32_e32 v6, v15, v6
	;; [unrolled: 1-line block ×3, first 2 shown]
	ds_load_2addr_stride64_b64 v[5:8], v13 offset0:28 offset1:30
	s_waitcnt lgkmcnt(2)
	v_dual_add_f32 v9, v14, v9 :: v_dual_add_f32 v10, v15, v10
	s_delay_alu instid0(VALU_DEP_1) | instskip(SKIP_1) | instid1(VALU_DEP_1)
	v_dual_add_f32 v9, v9, v11 :: v_dual_add_f32 v10, v10, v12
	s_waitcnt lgkmcnt(1)
	v_dual_add_f32 v1, v9, v1 :: v_dual_add_f32 v2, v10, v2
	s_delay_alu instid0(VALU_DEP_1) | instskip(SKIP_1) | instid1(VALU_DEP_1)
	v_dual_add_f32 v1, v1, v3 :: v_dual_add_f32 v2, v2, v4
	s_waitcnt lgkmcnt(0)
	v_add_f32_e32 v1, v1, v5
	s_delay_alu instid0(VALU_DEP_1) | instskip(NEXT) | instid1(VALU_DEP_1)
	v_dual_add_f32 v3, v2, v6 :: v_dual_add_f32 v2, v1, v7
	v_add_f32_e32 v3, v3, v8
	ds_store_b64 v13, v[2:3]
	s_and_b32 exec_lo, exec_lo, vcc_lo
	s_cbranch_execz .LBB300_53
; %bb.50:
	v_mul_lo_u32 v4, v0, s18
	v_mul_f32_e32 v1, s6, v3
	v_mul_f32_e32 v0, s7, v3
	v_cmp_neq_f32_e64 s0, s8, 0
	v_cmp_neq_f32_e64 s1, s9, 0
	s_delay_alu instid0(VALU_DEP_4) | instskip(NEXT) | instid1(VALU_DEP_4)
	v_fmac_f32_e32 v1, s7, v2
	v_fma_f32 v0, v2, s6, -v0
	v_ashrrev_i32_e32 v5, 31, v4
	s_delay_alu instid0(VALU_DEP_4) | instskip(NEXT) | instid1(SALU_CYCLE_1)
	s_or_b32 s0, s0, s1
	s_and_not1_b32 vcc_lo, exec_lo, s0
	s_delay_alu instid0(VALU_DEP_1)
	v_lshlrev_b64 v[3:4], 3, v[4:5]
	s_cbranch_vccnz .LBB300_52
; %bb.51:
	s_delay_alu instid0(VALU_DEP_1) | instskip(NEXT) | instid1(VALU_DEP_2)
	v_add_co_u32 v5, vcc_lo, s15, v3
	v_add_co_ci_u32_e32 v6, vcc_lo, s17, v4, vcc_lo
	global_load_b64 v[5:6], v[5:6], off
	s_waitcnt vmcnt(0)
	v_mul_f32_e32 v2, s9, v6
	v_mul_f32_e32 v6, s8, v6
	s_delay_alu instid0(VALU_DEP_2) | instskip(NEXT) | instid1(VALU_DEP_2)
	v_fma_f32 v2, s8, v5, -v2
	v_fmac_f32_e32 v6, s9, v5
	s_delay_alu instid0(VALU_DEP_2) | instskip(NEXT) | instid1(VALU_DEP_2)
	v_add_f32_e32 v0, v0, v2
	v_add_f32_e32 v1, v1, v6
.LBB300_52:
	s_delay_alu instid0(VALU_DEP_1) | instskip(NEXT) | instid1(VALU_DEP_2)
	v_add_co_u32 v2, vcc_lo, s15, v3
	v_add_co_ci_u32_e32 v3, vcc_lo, s17, v4, vcc_lo
	global_store_b64 v[2:3], v[0:1], off
.LBB300_53:
	s_nop 0
	s_sendmsg sendmsg(MSG_DEALLOC_VGPRS)
	s_endpgm
	.section	.rodata,"a",@progbits
	.p2align	6, 0x0
	.amdhsa_kernel _ZL20rocblas_gemvn_kernelILi32ELi16EiPK19rocblas_complex_numIfES1_KPS1_EviiT3_lPKT2_lT1_lS9_lSA_lS6_lPT4_lSA_li
		.amdhsa_group_segment_fixed_size 16384
		.amdhsa_private_segment_fixed_size 0
		.amdhsa_kernarg_size 400
		.amdhsa_user_sgpr_count 14
		.amdhsa_user_sgpr_dispatch_ptr 0
		.amdhsa_user_sgpr_queue_ptr 0
		.amdhsa_user_sgpr_kernarg_segment_ptr 1
		.amdhsa_user_sgpr_dispatch_id 0
		.amdhsa_user_sgpr_private_segment_size 0
		.amdhsa_wavefront_size32 1
		.amdhsa_uses_dynamic_stack 0
		.amdhsa_enable_private_segment 0
		.amdhsa_system_sgpr_workgroup_id_x 1
		.amdhsa_system_sgpr_workgroup_id_y 0
		.amdhsa_system_sgpr_workgroup_id_z 1
		.amdhsa_system_sgpr_workgroup_info 0
		.amdhsa_system_vgpr_workitem_id 1
		.amdhsa_next_free_vgpr 64
		.amdhsa_next_free_sgpr 29
		.amdhsa_reserve_vcc 1
		.amdhsa_float_round_mode_32 0
		.amdhsa_float_round_mode_16_64 0
		.amdhsa_float_denorm_mode_32 3
		.amdhsa_float_denorm_mode_16_64 3
		.amdhsa_dx10_clamp 1
		.amdhsa_ieee_mode 1
		.amdhsa_fp16_overflow 0
		.amdhsa_workgroup_processor_mode 1
		.amdhsa_memory_ordered 1
		.amdhsa_forward_progress 0
		.amdhsa_shared_vgpr_count 0
		.amdhsa_exception_fp_ieee_invalid_op 0
		.amdhsa_exception_fp_denorm_src 0
		.amdhsa_exception_fp_ieee_div_zero 0
		.amdhsa_exception_fp_ieee_overflow 0
		.amdhsa_exception_fp_ieee_underflow 0
		.amdhsa_exception_fp_ieee_inexact 0
		.amdhsa_exception_int_div_zero 0
	.end_amdhsa_kernel
	.section	.text._ZL20rocblas_gemvn_kernelILi32ELi16EiPK19rocblas_complex_numIfES1_KPS1_EviiT3_lPKT2_lT1_lS9_lSA_lS6_lPT4_lSA_li,"axG",@progbits,_ZL20rocblas_gemvn_kernelILi32ELi16EiPK19rocblas_complex_numIfES1_KPS1_EviiT3_lPKT2_lT1_lS9_lSA_lS6_lPT4_lSA_li,comdat
.Lfunc_end300:
	.size	_ZL20rocblas_gemvn_kernelILi32ELi16EiPK19rocblas_complex_numIfES1_KPS1_EviiT3_lPKT2_lT1_lS9_lSA_lS6_lPT4_lSA_li, .Lfunc_end300-_ZL20rocblas_gemvn_kernelILi32ELi16EiPK19rocblas_complex_numIfES1_KPS1_EviiT3_lPKT2_lT1_lS9_lSA_lS6_lPT4_lSA_li
                                        ; -- End function
	.section	.AMDGPU.csdata,"",@progbits
; Kernel info:
; codeLenInByte = 4064
; NumSgprs: 31
; NumVgprs: 64
; ScratchSize: 0
; MemoryBound: 0
; FloatMode: 240
; IeeeMode: 1
; LDSByteSize: 16384 bytes/workgroup (compile time only)
; SGPRBlocks: 3
; VGPRBlocks: 7
; NumSGPRsForWavesPerEU: 31
; NumVGPRsForWavesPerEU: 64
; Occupancy: 16
; WaveLimiterHint : 1
; COMPUTE_PGM_RSRC2:SCRATCH_EN: 0
; COMPUTE_PGM_RSRC2:USER_SGPR: 14
; COMPUTE_PGM_RSRC2:TRAP_HANDLER: 0
; COMPUTE_PGM_RSRC2:TGID_X_EN: 1
; COMPUTE_PGM_RSRC2:TGID_Y_EN: 0
; COMPUTE_PGM_RSRC2:TGID_Z_EN: 1
; COMPUTE_PGM_RSRC2:TIDIG_COMP_CNT: 1
	.section	.text._ZL20rocblas_gemvn_kernelILi32ELi16ElPK19rocblas_complex_numIfES1_KPS1_EviiT3_lPKT2_lT1_lS9_lSA_lS6_lPT4_lSA_li,"axG",@progbits,_ZL20rocblas_gemvn_kernelILi32ELi16ElPK19rocblas_complex_numIfES1_KPS1_EviiT3_lPKT2_lT1_lS9_lSA_lS6_lPT4_lSA_li,comdat
	.globl	_ZL20rocblas_gemvn_kernelILi32ELi16ElPK19rocblas_complex_numIfES1_KPS1_EviiT3_lPKT2_lT1_lS9_lSA_lS6_lPT4_lSA_li ; -- Begin function _ZL20rocblas_gemvn_kernelILi32ELi16ElPK19rocblas_complex_numIfES1_KPS1_EviiT3_lPKT2_lT1_lS9_lSA_lS6_lPT4_lSA_li
	.p2align	8
	.type	_ZL20rocblas_gemvn_kernelILi32ELi16ElPK19rocblas_complex_numIfES1_KPS1_EviiT3_lPKT2_lT1_lS9_lSA_lS6_lPT4_lSA_li,@function
_ZL20rocblas_gemvn_kernelILi32ELi16ElPK19rocblas_complex_numIfES1_KPS1_EviiT3_lPKT2_lT1_lS9_lSA_lS6_lPT4_lSA_li: ; @_ZL20rocblas_gemvn_kernelILi32ELi16ElPK19rocblas_complex_numIfES1_KPS1_EviiT3_lPKT2_lT1_lS9_lSA_lS6_lPT4_lSA_li
; %bb.0:
	s_load_b64 s[4:5], s[0:1], 0x9c
	s_waitcnt lgkmcnt(0)
	s_lshr_b32 s3, s4, 16
	s_and_b32 s4, s4, 0xffff
	s_and_b32 s5, s5, 0xffff
	s_mul_i32 s3, s3, s4
	s_delay_alu instid0(SALU_CYCLE_1) | instskip(NEXT) | instid1(SALU_CYCLE_1)
	s_mul_i32 s3, s3, s5
	s_cmpk_lg_i32 s3, 0x200
	s_cbranch_scc1 .LBB301_53
; %bb.1:
	s_clause 0x1
	s_load_b128 s[8:11], s[0:1], 0x0
	s_load_b64 s[12:13], s[0:1], 0x58
	s_mov_b32 s2, s15
	s_waitcnt lgkmcnt(0)
	v_cmp_neq_f32_e64 s3, s10, 0
	v_cmp_neq_f32_e64 s4, s11, 0
	s_delay_alu instid0(VALU_DEP_1) | instskip(NEXT) | instid1(SALU_CYCLE_1)
	s_or_b32 s3, s3, s4
	s_and_b32 vcc_lo, exec_lo, s3
	s_mov_b32 s3, -1
	s_cbranch_vccnz .LBB301_3
; %bb.2:
	v_cmp_neq_f32_e64 s3, s12, 1.0
	v_cmp_neq_f32_e64 s4, s13, 0
	s_delay_alu instid0(VALU_DEP_1)
	s_or_b32 s3, s3, s4
.LBB301_3:
	s_delay_alu instid0(SALU_CYCLE_1)
	s_and_not1_b32 vcc_lo, exec_lo, s3
	s_cbranch_vccnz .LBB301_53
; %bb.4:
	s_clause 0x1
	s_load_b128 s[4:7], s[0:1], 0x18
	s_load_b64 s[16:17], s[0:1], 0x28
	s_or_b32 s3, s10, s11
	s_delay_alu instid0(SALU_CYCLE_1) | instskip(NEXT) | instid1(SALU_CYCLE_1)
	s_bitset0_b32 s3, 31
	s_cmp_lg_u32 s3, 0
	s_cselect_b32 s22, -1, 0
	s_cmp_eq_u32 s3, 0
	s_mov_b32 s3, 0
	s_cselect_b32 s15, -1, 0
	s_and_b32 vcc_lo, exec_lo, s22
	s_cbranch_vccnz .LBB301_6
; %bb.5:
	s_mov_b64 s[18:19], 0
	s_and_not1_b32 vcc_lo, exec_lo, s3
	s_cbranch_vccz .LBB301_7
	s_branch .LBB301_8
.LBB301_6:
	s_mov_b32 s3, -1
                                        ; implicit-def: $sgpr18_sgpr19
.LBB301_7:
	s_mov_b32 s3, 0
	s_delay_alu instid0(SALU_CYCLE_1)
	s_lshl_b64 s[18:19], s[2:3], 3
	s_waitcnt lgkmcnt(0)
	s_add_u32 s4, s4, s18
	s_addc_u32 s5, s5, s19
	s_lshl_b64 s[6:7], s[6:7], 3
	s_load_b64 s[4:5], s[4:5], 0x0
	s_waitcnt lgkmcnt(0)
	s_add_u32 s18, s4, s6
	s_addc_u32 s19, s5, s7
.LBB301_8:
	s_waitcnt lgkmcnt(0)
	s_clause 0x1
	s_load_b128 s[4:7], s[0:1], 0x38
	s_load_b64 s[20:21], s[0:1], 0x48
	s_and_not1_b32 vcc_lo, exec_lo, s22
	s_mov_b64 s[22:23], 0
	s_cbranch_vccnz .LBB301_10
; %bb.9:
	s_lshl_b64 s[22:23], s[2:3], 3
	s_waitcnt lgkmcnt(0)
	s_add_u32 s4, s4, s22
	s_addc_u32 s5, s5, s23
	s_lshl_b64 s[6:7], s[6:7], 3
	s_load_b64 s[4:5], s[4:5], 0x0
	s_waitcnt lgkmcnt(0)
	s_add_u32 s22, s4, s6
	s_addc_u32 s23, s5, s7
.LBB301_10:
	s_load_b128 s[24:27], s[0:1], 0x68
	s_waitcnt lgkmcnt(0)
	s_load_b64 s[6:7], s[0:1], 0x78
	s_lshl_b64 s[2:3], s[2:3], 3
	v_and_b32_e32 v61, 0x3ff, v0
	v_bfe_u32 v62, v0, 10, 10
	s_delay_alu instid0(VALU_DEP_1)
	v_lshl_add_u32 v60, v62, 5, v61
	s_add_u32 s0, s24, s2
	s_addc_u32 s1, s25, s3
	s_lshl_b64 s[24:25], s[26:27], 3
	s_load_b64 s[2:3], s[0:1], 0x0
	v_cmp_gt_u32_e64 s0, 0x80, v60
	s_mov_b32 s1, -1
	s_waitcnt lgkmcnt(0)
	s_add_u32 s5, s2, s24
	s_addc_u32 s28, s3, s25
	s_and_not1_b32 vcc_lo, exec_lo, s15
	s_cbranch_vccnz .LBB301_17
; %bb.11:
	s_and_saveexec_b32 s1, s0
	s_cbranch_execz .LBB301_16
; %bb.12:
	v_lshl_or_b32 v0, s14, 7, v60
	v_mov_b32_e32 v1, 0
	s_ashr_i32 s3, s8, 31
	s_mov_b32 s2, s8
	s_delay_alu instid0(VALU_DEP_1) | instid1(SALU_CYCLE_1)
	v_cmp_gt_i64_e32 vcc_lo, s[2:3], v[0:1]
	s_and_b32 exec_lo, exec_lo, vcc_lo
	s_cbranch_execz .LBB301_16
; %bb.13:
	v_mad_u64_u32 v[2:3], null, v0, s6, 0
	v_cmp_neq_f32_e64 s0, s12, 0
	v_cmp_neq_f32_e64 s2, s13, 0
	s_delay_alu instid0(VALU_DEP_1) | instskip(NEXT) | instid1(VALU_DEP_3)
	s_or_b32 s0, s0, s2
	v_mad_u64_u32 v[4:5], null, v0, s7, v[3:4]
	s_and_not1_b32 vcc_lo, exec_lo, s0
	s_delay_alu instid0(VALU_DEP_1) | instskip(NEXT) | instid1(VALU_DEP_1)
	v_dual_mov_b32 v3, v4 :: v_dual_mov_b32 v4, v1
	v_lshlrev_b64 v[2:3], 3, v[2:3]
	s_cbranch_vccnz .LBB301_15
; %bb.14:
	s_delay_alu instid0(VALU_DEP_1) | instskip(NEXT) | instid1(VALU_DEP_2)
	v_add_co_u32 v0, vcc_lo, s5, v2
	v_add_co_ci_u32_e32 v1, vcc_lo, s28, v3, vcc_lo
	global_load_b64 v[0:1], v[0:1], off
	s_waitcnt vmcnt(0)
	v_mul_f32_e32 v4, s12, v1
	s_delay_alu instid0(VALU_DEP_1) | instskip(NEXT) | instid1(VALU_DEP_1)
	v_dual_mul_f32 v5, s13, v1 :: v_dual_fmac_f32 v4, s13, v0
	v_fma_f32 v1, s12, v0, -v5
.LBB301_15:
	s_delay_alu instid0(VALU_DEP_1) | instskip(NEXT) | instid1(VALU_DEP_2)
	v_add_co_u32 v5, vcc_lo, s5, v2
	v_add_co_ci_u32_e32 v6, vcc_lo, s28, v3, vcc_lo
	s_delay_alu instid0(VALU_DEP_3)
	v_mov_b32_e32 v3, v1
	global_store_b64 v[5:6], v[3:4], off
.LBB301_16:
	s_or_b32 exec_lo, exec_lo, s1
	s_mov_b32 s1, 0
.LBB301_17:
	s_delay_alu instid0(SALU_CYCLE_1)
	s_and_not1_b32 vcc_lo, exec_lo, s1
	s_cbranch_vccnz .LBB301_53
; %bb.18:
	s_ashr_i32 s0, s9, 31
	s_lshl_b32 s29, s14, 7
	s_lshr_b32 s0, s0, 26
	v_dual_mov_b32 v0, 0 :: v_dual_lshlrev_b32 v63, 2, v62
	v_dual_mov_b32 v1, 0 :: v_dual_add_nc_u32 v2, s29, v61
	v_dual_mov_b32 v5, 0 :: v_dual_mov_b32 v4, 0
	v_dual_mov_b32 v7, 0 :: v_dual_mov_b32 v6, 0
	;; [unrolled: 1-line block ×3, first 2 shown]
	s_add_i32 s30, s9, s0
	s_mov_b32 s31, exec_lo
	s_and_not1_b32 s30, s30, 63
	s_delay_alu instid0(SALU_CYCLE_1)
	v_cmpx_gt_i32_e64 s30, v63
	s_cbranch_execz .LBB301_30
; %bb.19:
	v_lshlrev_b32_e32 v17, 2, v62
	v_mad_u64_u32 v[0:1], null, s20, v62, 0
	v_mad_u64_u32 v[6:7], null, s16, v62, 0
	s_delay_alu instid0(VALU_DEP_3)
	v_or_b32_e32 v13, 3, v17
	v_ashrrev_i32_e32 v3, 31, v2
	v_add_nc_u32_e32 v8, 32, v2
	v_or_b32_e32 v20, 2, v17
	v_mad_u64_u32 v[10:11], null, s21, v62, v[1:2]
	v_mad_u64_u32 v[4:5], null, s16, v13, 0
	s_delay_alu instid0(VALU_DEP_3)
	v_mad_u64_u32 v[18:19], null, s16, v20, 0
	v_add_nc_u32_e32 v15, 0x60, v2
	v_cmp_gt_i32_e32 vcc_lo, s8, v2
	v_mov_b32_e32 v1, v10
	s_lshl_b64 s[14:15], s[16:17], 9
	v_mad_u64_u32 v[11:12], null, s17, v13, v[5:6]
	v_lshlrev_b64 v[12:13], 3, v[2:3]
	v_mov_b32_e32 v3, v7
	v_cmp_gt_i32_e64 s0, s8, v8
	v_mad_u64_u32 v[8:9], null, s16, v17, s[16:17]
	v_add_nc_u32_e32 v14, 64, v2
	v_cmp_gt_i32_e64 s2, s8, v15
	v_mov_b32_e32 v5, v11
	s_lshl_b64 s[24:25], s[20:21], 9
	s_lshl_b64 s[26:27], s[20:21], 3
	s_mov_b32 s33, 0
	s_delay_alu instid0(VALU_DEP_4) | instskip(SKIP_3) | instid1(VALU_DEP_4)
	v_mov_b32_e32 v7, v9
	v_mov_b32_e32 v9, v19
	v_cmp_gt_i32_e64 s1, s8, v14
	v_mad_u64_u32 v[14:15], null, s17, v62, v[3:4]
	v_mad_u64_u32 v[15:16], null, s17, v17, v[7:8]
	s_delay_alu instid0(VALU_DEP_4)
	v_mad_u64_u32 v[16:17], null, s17, v20, v[9:10]
	v_lshlrev_b64 v[10:11], 3, v[4:5]
	v_lshlrev_b64 v[4:5], 5, v[0:1]
	v_mov_b32_e32 v7, v14
	v_add_co_u32 v3, s3, s18, v12
	v_mov_b32_e32 v9, v15
	v_mov_b32_e32 v19, v16
	;; [unrolled: 1-line block ×3, first 2 shown]
	v_add_co_ci_u32_e64 v64, s3, s19, v13, s3
	v_add_co_u32 v12, s3, s22, v4
	v_lshlrev_b64 v[14:15], 5, v[6:7]
	v_lshlrev_b64 v[16:17], 3, v[8:9]
	v_mov_b32_e32 v8, v1
	v_lshlrev_b64 v[18:19], 3, v[18:19]
	v_add_co_ci_u32_e64 v13, s3, s23, v5, s3
	v_mov_b32_e32 v0, v1
	v_mov_b32_e32 v5, v1
	;; [unrolled: 1-line block ×6, first 2 shown]
	s_branch .LBB301_24
.LBB301_20:                             ;   in Loop: Header=BB301_24 Depth=1
	s_or_b32 exec_lo, exec_lo, s35
	s_waitcnt vmcnt(2) lgkmcnt(2)
	v_dual_mul_f32 v52, v33, v51 :: v_dual_mul_f32 v53, v23, v49
	v_mul_f32_e32 v51, v32, v51
	s_waitcnt vmcnt(1) lgkmcnt(1)
	v_dual_mul_f32 v49, v22, v49 :: v_dual_mul_f32 v54, v21, v47
	s_delay_alu instid0(VALU_DEP_3)
	v_fma_f32 v52, v32, v50, -v52
	v_fma_f32 v53, v22, v48, -v53
	v_fmac_f32_e32 v51, v33, v50
	s_waitcnt vmcnt(0) lgkmcnt(0)
	v_dual_mul_f32 v47, v20, v47 :: v_dual_mul_f32 v50, v25, v45
	v_add_f32_e32 v4, v4, v52
	v_fmac_f32_e32 v49, v23, v48
	v_fma_f32 v48, v20, v46, -v54
	v_mul_f32_e32 v45, v24, v45
	s_delay_alu instid0(VALU_DEP_4) | instskip(SKIP_2) | instid1(VALU_DEP_4)
	v_dual_fmac_f32 v47, v21, v46 :: v_dual_add_f32 v4, v4, v53
	v_add_f32_e32 v5, v5, v51
	v_fma_f32 v46, v24, v44, -v50
	v_fmac_f32_e32 v45, v25, v44
	s_delay_alu instid0(VALU_DEP_3) | instskip(NEXT) | instid1(VALU_DEP_1)
	v_dual_add_f32 v4, v4, v48 :: v_dual_add_f32 v5, v5, v49
	v_dual_add_f32 v4, v4, v46 :: v_dual_add_f32 v5, v5, v47
	s_delay_alu instid0(VALU_DEP_1)
	v_add_f32_e32 v5, v5, v45
.LBB301_21:                             ;   in Loop: Header=BB301_24 Depth=1
	s_or_b32 exec_lo, exec_lo, s34
	s_waitcnt vmcnt(2) lgkmcnt(2)
	v_dual_mul_f32 v44, v33, v43 :: v_dual_mul_f32 v45, v23, v41
	v_mul_f32_e32 v43, v32, v43
	s_waitcnt vmcnt(1) lgkmcnt(1)
	v_dual_mul_f32 v41, v22, v41 :: v_dual_mul_f32 v46, v21, v39
	s_delay_alu instid0(VALU_DEP_3) | instskip(SKIP_2) | instid1(VALU_DEP_4)
	v_fma_f32 v44, v32, v42, -v44
	v_mul_f32_e32 v39, v20, v39
	v_fma_f32 v45, v22, v40, -v45
	v_fmac_f32_e32 v41, v23, v40
	v_fma_f32 v40, v20, v38, -v46
	v_dual_add_f32 v6, v6, v44 :: v_dual_fmac_f32 v43, v33, v42
	s_waitcnt vmcnt(0) lgkmcnt(0)
	v_mul_f32_e32 v42, v25, v37
	v_fmac_f32_e32 v39, v21, v38
	v_mul_f32_e32 v37, v24, v37
	v_dual_add_f32 v6, v6, v45 :: v_dual_add_f32 v7, v7, v43
	s_delay_alu instid0(VALU_DEP_4) | instskip(NEXT) | instid1(VALU_DEP_3)
	v_fma_f32 v38, v24, v36, -v42
	v_fmac_f32_e32 v37, v25, v36
	s_delay_alu instid0(VALU_DEP_3) | instskip(NEXT) | instid1(VALU_DEP_1)
	v_add_f32_e32 v6, v6, v40
	v_dual_add_f32 v6, v6, v38 :: v_dual_add_f32 v7, v7, v41
	s_delay_alu instid0(VALU_DEP_1) | instskip(NEXT) | instid1(VALU_DEP_1)
	v_add_f32_e32 v7, v7, v39
	v_add_f32_e32 v7, v7, v37
.LBB301_22:                             ;   in Loop: Header=BB301_24 Depth=1
	s_or_b32 exec_lo, exec_lo, s3
	s_waitcnt vmcnt(3) lgkmcnt(3)
	v_mul_f32_e32 v36, v33, v35
	s_waitcnt vmcnt(1) lgkmcnt(1)
	v_dual_mul_f32 v35, v32, v35 :: v_dual_mul_f32 v38, v21, v29
	v_mul_f32_e32 v29, v20, v29
	s_delay_alu instid0(VALU_DEP_3) | instskip(SKIP_1) | instid1(VALU_DEP_4)
	v_fma_f32 v32, v32, v34, -v36
	v_mul_f32_e32 v37, v23, v31
	v_fma_f32 v20, v20, v28, -v38
	s_delay_alu instid0(VALU_DEP_4) | instskip(NEXT) | instid1(VALU_DEP_4)
	v_fmac_f32_e32 v29, v21, v28
	v_dual_add_f32 v8, v8, v32 :: v_dual_mul_f32 v31, v22, v31
	s_delay_alu instid0(VALU_DEP_4) | instskip(NEXT) | instid1(VALU_DEP_1)
	v_fma_f32 v22, v22, v30, -v37
	v_add_f32_e32 v8, v8, v22
	v_fmac_f32_e32 v35, v33, v34
	s_delay_alu instid0(VALU_DEP_4) | instskip(SKIP_2) | instid1(VALU_DEP_3)
	v_fmac_f32_e32 v31, v23, v30
	s_waitcnt vmcnt(0) lgkmcnt(0)
	v_mul_f32_e32 v23, v24, v27
	v_dual_add_f32 v8, v8, v20 :: v_dual_add_f32 v9, v9, v35
	v_mul_f32_e32 v33, v25, v27
	s_delay_alu instid0(VALU_DEP_3) | instskip(NEXT) | instid1(VALU_DEP_3)
	v_fmac_f32_e32 v23, v25, v26
	v_add_f32_e32 v9, v9, v31
	s_delay_alu instid0(VALU_DEP_3) | instskip(NEXT) | instid1(VALU_DEP_2)
	v_fma_f32 v21, v24, v26, -v33
	v_add_f32_e32 v9, v9, v29
	s_delay_alu instid0(VALU_DEP_1)
	v_dual_add_f32 v8, v8, v21 :: v_dual_add_f32 v9, v9, v23
.LBB301_23:                             ;   in Loop: Header=BB301_24 Depth=1
	s_or_b32 exec_lo, exec_lo, s4
	v_add_nc_u32_e32 v63, 64, v63
	v_add_co_u32 v3, s3, v3, s14
	s_delay_alu instid0(VALU_DEP_1) | instskip(NEXT) | instid1(VALU_DEP_3)
	v_add_co_ci_u32_e64 v64, s3, s15, v64, s3
	v_cmp_le_i32_e64 s3, s30, v63
	v_add_co_u32 v12, s4, v12, s24
	s_delay_alu instid0(VALU_DEP_1) | instskip(NEXT) | instid1(VALU_DEP_3)
	v_add_co_ci_u32_e64 v13, s4, s25, v13, s4
	s_or_b32 s33, s3, s33
	s_delay_alu instid0(SALU_CYCLE_1)
	s_and_not1_b32 exec_lo, exec_lo, s33
	s_cbranch_execz .LBB301_29
.LBB301_24:                             ; =>This Inner Loop Header: Depth=1
	s_and_saveexec_b32 s4, vcc_lo
	s_cbranch_execz .LBB301_23
; %bb.25:                               ;   in Loop: Header=BB301_24 Depth=1
	v_add_co_u32 v20, s3, v12, s26
	s_delay_alu instid0(VALU_DEP_1) | instskip(NEXT) | instid1(VALU_DEP_2)
	v_add_co_ci_u32_e64 v21, s3, s27, v13, s3
	v_add_co_u32 v24, s3, v20, s26
	s_delay_alu instid0(VALU_DEP_1) | instskip(SKIP_4) | instid1(VALU_DEP_1)
	v_add_co_ci_u32_e64 v25, s3, s27, v21, s3
	s_clause 0x1
	flat_load_b64 v[22:23], v[20:21]
	flat_load_b64 v[20:21], v[24:25]
	v_add_co_u32 v24, s3, v24, s26
	v_add_co_ci_u32_e64 v25, s3, s27, v25, s3
	v_add_co_u32 v58, s3, v3, v14
	s_delay_alu instid0(VALU_DEP_1) | instskip(SKIP_1) | instid1(VALU_DEP_1)
	v_add_co_ci_u32_e64 v59, s3, v64, v15, s3
	v_add_co_u32 v56, s3, v3, v16
	v_add_co_ci_u32_e64 v57, s3, v64, v17, s3
	v_add_co_u32 v54, s3, v3, v18
	s_delay_alu instid0(VALU_DEP_1) | instskip(SKIP_1) | instid1(VALU_DEP_1)
	v_add_co_ci_u32_e64 v55, s3, v64, v19, s3
	v_add_co_u32 v52, s3, v3, v10
	v_add_co_ci_u32_e64 v53, s3, v64, v11, s3
	s_clause 0x1
	flat_load_b64 v[32:33], v[12:13]
	flat_load_b64 v[24:25], v[24:25]
	s_clause 0x3
	flat_load_b64 v[34:35], v[58:59]
	flat_load_b64 v[30:31], v[56:57]
	;; [unrolled: 1-line block ×4, first 2 shown]
	s_and_saveexec_b32 s3, s0
	s_cbranch_execz .LBB301_22
; %bb.26:                               ;   in Loop: Header=BB301_24 Depth=1
	s_clause 0x3
	flat_load_b64 v[42:43], v[58:59] offset:256
	flat_load_b64 v[40:41], v[56:57] offset:256
	flat_load_b64 v[38:39], v[54:55] offset:256
	flat_load_b64 v[36:37], v[52:53] offset:256
	s_and_saveexec_b32 s34, s1
	s_cbranch_execz .LBB301_21
; %bb.27:                               ;   in Loop: Header=BB301_24 Depth=1
	s_clause 0x3
	flat_load_b64 v[50:51], v[58:59] offset:512
	flat_load_b64 v[48:49], v[56:57] offset:512
	flat_load_b64 v[46:47], v[54:55] offset:512
	flat_load_b64 v[44:45], v[52:53] offset:512
	;; [unrolled: 8-line block ×3, first 2 shown]
	s_waitcnt vmcnt(2) lgkmcnt(2)
	v_dual_mul_f32 v65, v33, v59 :: v_dual_mul_f32 v66, v23, v57
	v_mul_f32_e32 v59, v32, v59
	s_delay_alu instid0(VALU_DEP_2)
	v_fma_f32 v65, v32, v58, -v65
	s_waitcnt vmcnt(1) lgkmcnt(1)
	v_mul_f32_e32 v67, v21, v55
	v_fma_f32 v66, v22, v56, -v66
	v_mul_f32_e32 v55, v20, v55
	v_add_f32_e32 v0, v0, v65
	v_mul_f32_e32 v57, v22, v57
	s_delay_alu instid0(VALU_DEP_3) | instskip(NEXT) | instid1(VALU_DEP_2)
	v_fmac_f32_e32 v55, v21, v54
	v_dual_add_f32 v0, v0, v66 :: v_dual_fmac_f32 v57, v23, v56
	v_fma_f32 v56, v20, v54, -v67
	v_fmac_f32_e32 v59, v33, v58
	s_waitcnt vmcnt(0) lgkmcnt(0)
	v_mul_f32_e32 v58, v25, v53
	v_mul_f32_e32 v53, v24, v53
	s_delay_alu instid0(VALU_DEP_3) | instskip(NEXT) | instid1(VALU_DEP_3)
	v_dual_add_f32 v0, v0, v56 :: v_dual_add_f32 v1, v1, v59
	v_fma_f32 v54, v24, v52, -v58
	s_delay_alu instid0(VALU_DEP_1) | instskip(NEXT) | instid1(VALU_DEP_3)
	v_dual_fmac_f32 v53, v25, v52 :: v_dual_add_f32 v0, v0, v54
	v_add_f32_e32 v1, v1, v57
	s_delay_alu instid0(VALU_DEP_1) | instskip(NEXT) | instid1(VALU_DEP_1)
	v_add_f32_e32 v1, v1, v55
	v_add_f32_e32 v1, v1, v53
	s_branch .LBB301_20
.LBB301_29:
	s_or_b32 exec_lo, exec_lo, s33
.LBB301_30:
	s_delay_alu instid0(SALU_CYCLE_1) | instskip(SKIP_1) | instid1(SALU_CYCLE_1)
	s_or_b32 exec_lo, exec_lo, s31
	s_sub_i32 s0, s9, s30
	s_cmp_lt_i32 s0, 1
	s_cbranch_scc1 .LBB301_48
; %bb.31:
	v_cmp_gt_i32_e32 vcc_lo, s9, v63
	v_dual_mov_b32 v10, 0 :: v_dual_mov_b32 v11, 0
	v_or_b32_e32 v18, 1, v63
	v_dual_mov_b32 v12, 0 :: v_dual_mov_b32 v13, 0
	v_dual_mov_b32 v14, 0 :: v_dual_mov_b32 v15, 0
	;; [unrolled: 1-line block ×3, first 2 shown]
	s_and_saveexec_b32 s1, vcc_lo
	s_cbranch_execz .LBB301_39
; %bb.32:
	v_mad_u64_u32 v[10:11], null, v63, s20, 0
	v_dual_mov_b32 v17, 0 :: v_dual_mov_b32 v14, 0
	v_mov_b32_e32 v15, 0
	v_mov_b32_e32 v13, 0
	s_mov_b32 s2, exec_lo
	s_delay_alu instid0(VALU_DEP_4) | instskip(NEXT) | instid1(VALU_DEP_1)
	v_dual_mov_b32 v16, 0 :: v_dual_mov_b32 v3, v11
	v_mad_u64_u32 v[11:12], null, v63, s21, v[3:4]
	v_mov_b32_e32 v12, 0
	s_delay_alu instid0(VALU_DEP_2) | instskip(NEXT) | instid1(VALU_DEP_1)
	v_lshlrev_b64 v[10:11], 3, v[10:11]
	v_add_co_u32 v10, s0, s22, v10
	s_delay_alu instid0(VALU_DEP_1)
	v_add_co_ci_u32_e64 v11, s0, s23, v11, s0
	flat_load_b64 v[10:11], v[10:11]
	v_cmpx_gt_i32_e64 s9, v18
	s_cbranch_execz .LBB301_38
; %bb.33:
	v_mad_u64_u32 v[12:13], null, v18, s20, 0
	v_mov_b32_e32 v17, 0
	v_mov_b32_e32 v15, 0
	s_mov_b32 s3, exec_lo
	s_delay_alu instid0(VALU_DEP_3) | instskip(NEXT) | instid1(VALU_DEP_1)
	v_dual_mov_b32 v16, 0 :: v_dual_mov_b32 v3, v13
	v_mad_u64_u32 v[13:14], null, v18, s21, v[3:4]
	v_or_b32_e32 v3, 2, v63
	v_mov_b32_e32 v14, 0
	s_delay_alu instid0(VALU_DEP_3) | instskip(NEXT) | instid1(VALU_DEP_1)
	v_lshlrev_b64 v[12:13], 3, v[12:13]
	v_add_co_u32 v12, s0, s22, v12
	s_delay_alu instid0(VALU_DEP_1)
	v_add_co_ci_u32_e64 v13, s0, s23, v13, s0
	flat_load_b64 v[12:13], v[12:13]
	v_cmpx_gt_i32_e64 s9, v3
	s_cbranch_execz .LBB301_37
; %bb.34:
	v_mad_u64_u32 v[14:15], null, v3, s20, 0
	s_mov_b32 s4, exec_lo
	s_delay_alu instid0(VALU_DEP_1) | instskip(SKIP_2) | instid1(VALU_DEP_3)
	v_mad_u64_u32 v[16:17], null, v3, s21, v[15:16]
	v_or_b32_e32 v3, 3, v63
	v_mov_b32_e32 v17, 0
	v_dual_mov_b32 v15, v16 :: v_dual_mov_b32 v16, 0
	s_delay_alu instid0(VALU_DEP_1) | instskip(NEXT) | instid1(VALU_DEP_1)
	v_lshlrev_b64 v[14:15], 3, v[14:15]
	v_add_co_u32 v14, s0, s22, v14
	s_delay_alu instid0(VALU_DEP_1)
	v_add_co_ci_u32_e64 v15, s0, s23, v15, s0
	flat_load_b64 v[14:15], v[14:15]
	v_cmpx_gt_i32_e64 s9, v3
	s_cbranch_execz .LBB301_36
; %bb.35:
	v_mad_u64_u32 v[16:17], null, v3, s20, 0
	s_delay_alu instid0(VALU_DEP_1) | instskip(NEXT) | instid1(VALU_DEP_1)
	v_mad_u64_u32 v[19:20], null, v3, s21, v[17:18]
	v_mov_b32_e32 v17, v19
	s_delay_alu instid0(VALU_DEP_1) | instskip(NEXT) | instid1(VALU_DEP_1)
	v_lshlrev_b64 v[16:17], 3, v[16:17]
	v_add_co_u32 v16, s0, s22, v16
	s_delay_alu instid0(VALU_DEP_1)
	v_add_co_ci_u32_e64 v17, s0, s23, v17, s0
	flat_load_b64 v[16:17], v[16:17]
.LBB301_36:
	s_or_b32 exec_lo, exec_lo, s4
.LBB301_37:
	s_delay_alu instid0(SALU_CYCLE_1)
	s_or_b32 exec_lo, exec_lo, s3
.LBB301_38:
	s_delay_alu instid0(SALU_CYCLE_1)
	s_or_b32 exec_lo, exec_lo, s2
.LBB301_39:
	s_delay_alu instid0(SALU_CYCLE_1) | instskip(NEXT) | instid1(SALU_CYCLE_1)
	s_or_b32 exec_lo, exec_lo, s1
	s_mov_b32 s1, exec_lo
	v_cmpx_gt_i32_e64 s8, v2
	s_cbranch_execz .LBB301_47
; %bb.40:
	v_mad_u64_u32 v[19:20], null, v63, s16, 0
	v_mad_u64_u32 v[21:22], null, v18, s16, 0
	v_ashrrev_i32_e32 v3, 31, v2
	v_or_b32_e32 v31, 2, v63
	v_or_b32_e32 v32, 3, v63
	v_cndmask_b32_e32 v19, 0, v19, vcc_lo
	s_delay_alu instid0(VALU_DEP_4)
	v_lshlrev_b64 v[26:27], 3, v[2:3]
	v_mad_u64_u32 v[23:24], null, v63, s17, v[20:21]
	v_mov_b32_e32 v3, v22
	v_mad_u64_u32 v[24:25], null, v31, s16, 0
	v_mad_u64_u32 v[28:29], null, v32, s16, 0
	v_cmp_gt_i32_e64 s0, s9, v31
	v_cndmask_b32_e32 v20, 0, v23, vcc_lo
	v_mad_u64_u32 v[22:23], null, v18, s17, v[3:4]
	v_cmp_gt_i32_e32 vcc_lo, s9, v18
	v_mov_b32_e32 v3, v25
	v_dual_mov_b32 v23, v29 :: v_dual_cndmask_b32 v18, 0, v21
	v_lshlrev_b64 v[20:21], 3, v[19:20]
	v_cndmask_b32_e32 v19, 0, v22, vcc_lo
	s_delay_alu instid0(VALU_DEP_4) | instskip(NEXT) | instid1(VALU_DEP_3)
	v_mad_u64_u32 v[29:30], null, v31, s17, v[3:4]
	v_add_co_u32 v3, vcc_lo, s18, v20
	s_delay_alu instid0(VALU_DEP_4) | instskip(NEXT) | instid1(VALU_DEP_4)
	v_add_co_ci_u32_e32 v22, vcc_lo, s19, v21, vcc_lo
	v_lshlrev_b64 v[20:21], 3, v[18:19]
	s_delay_alu instid0(VALU_DEP_3) | instskip(NEXT) | instid1(VALU_DEP_3)
	v_add_co_u32 v18, vcc_lo, v3, v26
	v_add_co_ci_u32_e32 v19, vcc_lo, v22, v27, vcc_lo
	v_cndmask_b32_e64 v22, 0, v24, s0
	s_delay_alu instid0(VALU_DEP_4)
	v_add_co_u32 v3, vcc_lo, s18, v20
	v_mad_u64_u32 v[24:25], null, v32, s17, v[23:24]
	v_add_co_ci_u32_e32 v21, vcc_lo, s19, v21, vcc_lo
	v_cmp_gt_i32_e32 vcc_lo, s9, v32
	v_cndmask_b32_e64 v23, 0, v29, s0
	v_add_co_u32 v20, s0, v3, v26
	s_delay_alu instid0(VALU_DEP_1)
	v_add_co_ci_u32_e64 v21, s0, v21, v27, s0
	v_cndmask_b32_e32 v28, 0, v28, vcc_lo
	v_cndmask_b32_e32 v29, 0, v24, vcc_lo
	v_lshlrev_b64 v[22:23], 3, v[22:23]
	s_clause 0x1
	flat_load_b64 v[30:31], v[18:19]
	flat_load_b64 v[32:33], v[20:21]
	s_mov_b32 s0, exec_lo
	v_lshlrev_b64 v[24:25], 3, v[28:29]
	v_add_co_u32 v3, vcc_lo, s18, v22
	v_add_co_ci_u32_e32 v22, vcc_lo, s19, v23, vcc_lo
	s_delay_alu instid0(VALU_DEP_3) | instskip(NEXT) | instid1(VALU_DEP_4)
	v_add_co_u32 v23, vcc_lo, s18, v24
	v_add_co_ci_u32_e32 v28, vcc_lo, s19, v25, vcc_lo
	s_delay_alu instid0(VALU_DEP_4) | instskip(NEXT) | instid1(VALU_DEP_4)
	v_add_co_u32 v24, vcc_lo, v3, v26
	v_add_co_ci_u32_e32 v25, vcc_lo, v22, v27, vcc_lo
	s_delay_alu instid0(VALU_DEP_4) | instskip(NEXT) | instid1(VALU_DEP_4)
	v_add_co_u32 v22, vcc_lo, v23, v26
	v_add_co_ci_u32_e32 v23, vcc_lo, v28, v27, vcc_lo
	s_clause 0x1
	flat_load_b64 v[26:27], v[24:25]
	flat_load_b64 v[28:29], v[22:23]
	s_waitcnt vmcnt(2) lgkmcnt(2)
	v_dual_mul_f32 v3, v11, v31 :: v_dual_mul_f32 v34, v13, v33
	v_mul_f32_e32 v33, v12, v33
	s_delay_alu instid0(VALU_DEP_2) | instskip(NEXT) | instid1(VALU_DEP_1)
	v_fma_f32 v3, v10, v30, -v3
	v_dual_fmac_f32 v33, v13, v32 :: v_dual_add_f32 v8, v8, v3
	v_mul_f32_e32 v31, v10, v31
	s_delay_alu instid0(VALU_DEP_1) | instskip(SKIP_1) | instid1(VALU_DEP_2)
	v_fmac_f32_e32 v31, v11, v30
	v_fma_f32 v30, v12, v32, -v34
	v_add_f32_e32 v9, v9, v31
	s_waitcnt vmcnt(1) lgkmcnt(1)
	v_dual_mul_f32 v32, v15, v27 :: v_dual_add_nc_u32 v31, 32, v2
	s_waitcnt vmcnt(0) lgkmcnt(0)
	v_dual_mul_f32 v27, v14, v27 :: v_dual_mul_f32 v34, v17, v29
	v_mul_f32_e32 v3, v16, v29
	s_delay_alu instid0(VALU_DEP_3) | instskip(NEXT) | instid1(VALU_DEP_3)
	v_fma_f32 v29, v14, v26, -v32
	v_fmac_f32_e32 v27, v15, v26
	v_add_f32_e32 v26, v8, v30
	v_add_f32_e32 v30, v9, v33
	v_fma_f32 v8, v16, v28, -v34
	v_fmac_f32_e32 v3, v17, v28
	s_delay_alu instid0(VALU_DEP_4) | instskip(NEXT) | instid1(VALU_DEP_4)
	v_add_f32_e32 v9, v26, v29
	v_add_f32_e32 v26, v30, v27
	v_cmpx_gt_i32_e64 s8, v31
	s_cbranch_execz .LBB301_46
; %bb.41:
	s_clause 0x3
	flat_load_b64 v[27:28], v[18:19] offset:256
	flat_load_b64 v[29:30], v[20:21] offset:256
	;; [unrolled: 1-line block ×4, first 2 shown]
	s_mov_b32 s2, exec_lo
	s_waitcnt vmcnt(2) lgkmcnt(2)
	v_dual_mul_f32 v35, v11, v28 :: v_dual_mul_f32 v36, v13, v30
	v_mul_f32_e32 v28, v10, v28
	s_waitcnt vmcnt(1) lgkmcnt(1)
	v_dual_mul_f32 v30, v12, v30 :: v_dual_mul_f32 v37, v15, v32
	s_delay_alu instid0(VALU_DEP_3) | instskip(SKIP_2) | instid1(VALU_DEP_4)
	v_fma_f32 v35, v10, v27, -v35
	v_fma_f32 v36, v12, v29, -v36
	v_mul_f32_e32 v32, v14, v32
	v_fmac_f32_e32 v30, v13, v29
	v_fma_f32 v29, v14, v31, -v37
	v_add_f32_e32 v6, v6, v35
	s_waitcnt vmcnt(0) lgkmcnt(0)
	v_dual_fmac_f32 v28, v11, v27 :: v_dual_mul_f32 v27, v17, v34
	s_delay_alu instid0(VALU_DEP_1) | instskip(NEXT) | instid1(VALU_DEP_1)
	v_dual_add_f32 v28, v7, v28 :: v_dual_mul_f32 v7, v16, v34
	v_dual_fmac_f32 v32, v15, v31 :: v_dual_fmac_f32 v7, v17, v33
	s_delay_alu instid0(VALU_DEP_2) | instskip(SKIP_2) | instid1(VALU_DEP_3)
	v_dual_add_f32 v31, v6, v36 :: v_dual_add_f32 v28, v28, v30
	v_add_nc_u32_e32 v30, 64, v2
	v_fma_f32 v6, v16, v33, -v27
	v_dual_add_f32 v27, v31, v29 :: v_dual_add_f32 v28, v28, v32
	s_delay_alu instid0(VALU_DEP_3)
	v_cmpx_gt_i32_e64 s8, v30
	s_cbranch_execz .LBB301_45
; %bb.42:
	s_clause 0x3
	flat_load_b64 v[29:30], v[18:19] offset:512
	flat_load_b64 v[31:32], v[20:21] offset:512
	flat_load_b64 v[33:34], v[24:25] offset:512
	flat_load_b64 v[35:36], v[22:23] offset:512
	s_mov_b32 s3, exec_lo
	s_waitcnt vmcnt(2) lgkmcnt(2)
	v_dual_mul_f32 v37, v11, v30 :: v_dual_mul_f32 v38, v13, v32
	v_mul_f32_e32 v30, v10, v30
	s_waitcnt vmcnt(1) lgkmcnt(1)
	v_dual_mul_f32 v32, v12, v32 :: v_dual_mul_f32 v39, v15, v34
	v_mul_f32_e32 v34, v14, v34
	v_fma_f32 v37, v10, v29, -v37
	v_fmac_f32_e32 v30, v11, v29
	v_fma_f32 v38, v12, v31, -v38
	s_waitcnt vmcnt(0) lgkmcnt(0)
	s_delay_alu instid0(VALU_DEP_3) | instskip(NEXT) | instid1(VALU_DEP_3)
	v_dual_mul_f32 v29, v17, v36 :: v_dual_add_f32 v4, v4, v37
	v_dual_add_f32 v30, v5, v30 :: v_dual_mul_f32 v5, v16, v36
	v_fmac_f32_e32 v34, v15, v33
	v_fmac_f32_e32 v32, v13, v31
	v_fma_f32 v31, v14, v33, -v39
	s_delay_alu instid0(VALU_DEP_4) | instskip(NEXT) | instid1(VALU_DEP_3)
	v_dual_add_f32 v4, v4, v38 :: v_dual_fmac_f32 v5, v17, v35
	v_add_f32_e32 v30, v30, v32
	v_add_nc_u32_e32 v32, 0x60, v2
	v_fma_f32 v2, v16, v35, -v29
	s_delay_alu instid0(VALU_DEP_3) | instskip(NEXT) | instid1(VALU_DEP_3)
	v_dual_add_f32 v4, v4, v31 :: v_dual_add_f32 v29, v30, v34
	v_cmpx_gt_i32_e64 s8, v32
	s_cbranch_execz .LBB301_44
; %bb.43:
	s_clause 0x3
	flat_load_b64 v[18:19], v[18:19] offset:768
	flat_load_b64 v[20:21], v[20:21] offset:768
	;; [unrolled: 1-line block ×4, first 2 shown]
	s_waitcnt vmcnt(2) lgkmcnt(2)
	v_dual_mul_f32 v30, v11, v19 :: v_dual_mul_f32 v31, v13, v21
	s_waitcnt vmcnt(1) lgkmcnt(1)
	v_dual_mul_f32 v19, v10, v19 :: v_dual_mul_f32 v32, v15, v25
	s_delay_alu instid0(VALU_DEP_2) | instskip(SKIP_1) | instid1(VALU_DEP_3)
	v_fma_f32 v10, v10, v18, -v30
	v_mul_f32_e32 v25, v14, v25
	v_fmac_f32_e32 v19, v11, v18
	s_delay_alu instid0(VALU_DEP_3)
	v_add_f32_e32 v0, v0, v10
	s_waitcnt vmcnt(0) lgkmcnt(0)
	v_mul_f32_e32 v10, v16, v23
	v_mul_f32_e32 v21, v12, v21
	v_fma_f32 v12, v12, v20, -v31
	v_mul_f32_e32 v11, v17, v23
	v_add_f32_e32 v1, v1, v19
	v_fmac_f32_e32 v10, v17, v22
	s_delay_alu instid0(VALU_DEP_4) | instskip(SKIP_3) | instid1(VALU_DEP_2)
	v_add_f32_e32 v0, v0, v12
	v_fmac_f32_e32 v21, v13, v20
	v_fma_f32 v13, v14, v24, -v32
	v_fma_f32 v11, v16, v22, -v11
	v_dual_add_f32 v0, v0, v13 :: v_dual_fmac_f32 v25, v15, v24
	s_delay_alu instid0(VALU_DEP_1) | instskip(NEXT) | instid1(VALU_DEP_1)
	v_dual_add_f32 v1, v1, v21 :: v_dual_add_f32 v0, v0, v11
	v_add_f32_e32 v1, v1, v25
	s_delay_alu instid0(VALU_DEP_1)
	v_add_f32_e32 v1, v1, v10
.LBB301_44:
	s_or_b32 exec_lo, exec_lo, s3
	s_delay_alu instid0(VALU_DEP_2)
	v_dual_add_f32 v4, v4, v2 :: v_dual_add_f32 v5, v29, v5
.LBB301_45:
	s_or_b32 exec_lo, exec_lo, s2
	s_delay_alu instid0(VALU_DEP_2)
	v_dual_add_f32 v6, v27, v6 :: v_dual_add_f32 v7, v28, v7
.LBB301_46:
	s_or_b32 exec_lo, exec_lo, s0
	s_delay_alu instid0(VALU_DEP_2)
	v_dual_add_f32 v8, v9, v8 :: v_dual_add_f32 v9, v26, v3
.LBB301_47:
	s_or_b32 exec_lo, exec_lo, s1
.LBB301_48:
	v_lshlrev_b32_e32 v2, 7, v62
	s_mov_b32 s0, exec_lo
	s_delay_alu instid0(VALU_DEP_1)
	v_add_lshl_u32 v2, v2, v61, 3
	ds_store_2addr_b64 v2, v[8:9], v[6:7] offset1:32
	ds_store_2addr_b64 v2, v[4:5], v[0:1] offset0:64 offset1:96
	s_waitcnt vmcnt(0) lgkmcnt(0)
	s_waitcnt_vscnt null, 0x0
	s_barrier
	buffer_gl0_inv
	v_cmpx_gt_u32_e32 0x80, v60
	s_cbranch_execz .LBB301_53
; %bb.49:
	v_lshlrev_b32_e32 v12, 3, v60
	ds_load_2addr_stride64_b64 v[0:3], v12 offset1:2
	ds_load_2addr_stride64_b64 v[4:7], v12 offset0:4 offset1:6
	ds_load_2addr_stride64_b64 v[8:11], v12 offset0:8 offset1:10
	s_waitcnt lgkmcnt(2)
	v_add_f32_e32 v13, v0, v2
	s_waitcnt lgkmcnt(1)
	s_delay_alu instid0(VALU_DEP_1) | instskip(SKIP_4) | instid1(VALU_DEP_1)
	v_add_f32_e32 v4, v13, v4
	v_add_f32_e32 v14, v1, v3
	ds_load_2addr_stride64_b64 v[0:3], v12 offset0:12 offset1:14
	v_add_f32_e32 v13, v4, v6
	s_waitcnt lgkmcnt(1)
	v_dual_add_f32 v5, v14, v5 :: v_dual_add_f32 v8, v13, v8
	s_delay_alu instid0(VALU_DEP_1) | instskip(SKIP_3) | instid1(VALU_DEP_1)
	v_add_f32_e32 v14, v5, v7
	ds_load_2addr_stride64_b64 v[4:7], v12 offset0:16 offset1:18
	v_add_f32_e32 v13, v8, v10
	s_waitcnt lgkmcnt(1)
	v_dual_add_f32 v9, v14, v9 :: v_dual_add_f32 v0, v13, v0
	s_delay_alu instid0(VALU_DEP_1) | instskip(SKIP_3) | instid1(VALU_DEP_1)
	;; [unrolled: 6-line block ×3, first 2 shown]
	v_add_f32_e32 v14, v1, v3
	ds_load_2addr_stride64_b64 v[0:3], v12 offset0:24 offset1:26
	v_add_f32_e32 v13, v4, v6
	v_add_f32_e32 v5, v14, v5
	;; [unrolled: 1-line block ×3, first 2 shown]
	ds_load_2addr_stride64_b64 v[4:7], v12 offset0:28 offset1:30
	s_waitcnt lgkmcnt(2)
	v_dual_add_f32 v8, v13, v8 :: v_dual_add_f32 v9, v14, v9
	s_delay_alu instid0(VALU_DEP_1) | instskip(SKIP_1) | instid1(VALU_DEP_1)
	v_dual_add_f32 v8, v8, v10 :: v_dual_add_f32 v9, v9, v11
	s_waitcnt lgkmcnt(1)
	v_dual_add_f32 v0, v8, v0 :: v_dual_add_f32 v1, v9, v1
	s_delay_alu instid0(VALU_DEP_1) | instskip(SKIP_1) | instid1(VALU_DEP_1)
	v_dual_add_f32 v0, v0, v2 :: v_dual_add_f32 v1, v1, v3
	s_waitcnt lgkmcnt(0)
	v_add_f32_e32 v2, v0, v4
	v_or_b32_e32 v0, s29, v60
	s_delay_alu instid0(VALU_DEP_2) | instskip(NEXT) | instid1(VALU_DEP_2)
	v_dual_add_f32 v1, v1, v5 :: v_dual_add_f32 v2, v2, v6
	v_cmp_gt_i32_e32 vcc_lo, s8, v0
	s_delay_alu instid0(VALU_DEP_2)
	v_add_f32_e32 v3, v1, v7
	ds_store_b64 v12, v[2:3]
	s_and_b32 exec_lo, exec_lo, vcc_lo
	s_cbranch_execz .LBB301_53
; %bb.50:
	v_ashrrev_i32_e32 v1, 31, v0
	v_mul_lo_u32 v6, v0, s7
	v_mad_u64_u32 v[4:5], null, v0, s6, 0
	v_cmp_neq_f32_e64 s0, s12, 0
	s_delay_alu instid0(VALU_DEP_4) | instskip(SKIP_1) | instid1(VALU_DEP_1)
	v_mul_lo_u32 v1, v1, s6
	v_cmp_neq_f32_e64 s1, s13, 0
	s_or_b32 s0, s0, s1
	s_delay_alu instid0(SALU_CYCLE_1) | instskip(NEXT) | instid1(VALU_DEP_2)
	s_and_not1_b32 vcc_lo, exec_lo, s0
	v_add3_u32 v5, v5, v6, v1
	v_mul_f32_e32 v1, s10, v3
	v_mul_f32_e32 v0, s11, v3
	s_delay_alu instid0(VALU_DEP_3) | instskip(NEXT) | instid1(VALU_DEP_3)
	v_lshlrev_b64 v[3:4], 3, v[4:5]
	v_fmac_f32_e32 v1, s11, v2
	s_delay_alu instid0(VALU_DEP_3)
	v_fma_f32 v0, v2, s10, -v0
	s_cbranch_vccnz .LBB301_52
; %bb.51:
	s_delay_alu instid0(VALU_DEP_3) | instskip(NEXT) | instid1(VALU_DEP_4)
	v_add_co_u32 v5, vcc_lo, s5, v3
	v_add_co_ci_u32_e32 v6, vcc_lo, s28, v4, vcc_lo
	global_load_b64 v[5:6], v[5:6], off
	s_waitcnt vmcnt(0)
	v_mul_f32_e32 v2, s13, v6
	v_mul_f32_e32 v6, s12, v6
	s_delay_alu instid0(VALU_DEP_2) | instskip(NEXT) | instid1(VALU_DEP_2)
	v_fma_f32 v2, s12, v5, -v2
	v_fmac_f32_e32 v6, s13, v5
	s_delay_alu instid0(VALU_DEP_2) | instskip(NEXT) | instid1(VALU_DEP_2)
	v_add_f32_e32 v0, v0, v2
	v_add_f32_e32 v1, v1, v6
.LBB301_52:
	s_delay_alu instid0(VALU_DEP_3) | instskip(NEXT) | instid1(VALU_DEP_4)
	v_add_co_u32 v2, vcc_lo, s5, v3
	v_add_co_ci_u32_e32 v3, vcc_lo, s28, v4, vcc_lo
	global_store_b64 v[2:3], v[0:1], off
.LBB301_53:
	s_nop 0
	s_sendmsg sendmsg(MSG_DEALLOC_VGPRS)
	s_endpgm
	.section	.rodata,"a",@progbits
	.p2align	6, 0x0
	.amdhsa_kernel _ZL20rocblas_gemvn_kernelILi32ELi16ElPK19rocblas_complex_numIfES1_KPS1_EviiT3_lPKT2_lT1_lS9_lSA_lS6_lPT4_lSA_li
		.amdhsa_group_segment_fixed_size 16384
		.amdhsa_private_segment_fixed_size 0
		.amdhsa_kernarg_size 400
		.amdhsa_user_sgpr_count 14
		.amdhsa_user_sgpr_dispatch_ptr 0
		.amdhsa_user_sgpr_queue_ptr 0
		.amdhsa_user_sgpr_kernarg_segment_ptr 1
		.amdhsa_user_sgpr_dispatch_id 0
		.amdhsa_user_sgpr_private_segment_size 0
		.amdhsa_wavefront_size32 1
		.amdhsa_uses_dynamic_stack 0
		.amdhsa_enable_private_segment 0
		.amdhsa_system_sgpr_workgroup_id_x 1
		.amdhsa_system_sgpr_workgroup_id_y 0
		.amdhsa_system_sgpr_workgroup_id_z 1
		.amdhsa_system_sgpr_workgroup_info 0
		.amdhsa_system_vgpr_workitem_id 1
		.amdhsa_next_free_vgpr 68
		.amdhsa_next_free_sgpr 36
		.amdhsa_reserve_vcc 1
		.amdhsa_float_round_mode_32 0
		.amdhsa_float_round_mode_16_64 0
		.amdhsa_float_denorm_mode_32 3
		.amdhsa_float_denorm_mode_16_64 3
		.amdhsa_dx10_clamp 1
		.amdhsa_ieee_mode 1
		.amdhsa_fp16_overflow 0
		.amdhsa_workgroup_processor_mode 1
		.amdhsa_memory_ordered 1
		.amdhsa_forward_progress 0
		.amdhsa_shared_vgpr_count 0
		.amdhsa_exception_fp_ieee_invalid_op 0
		.amdhsa_exception_fp_denorm_src 0
		.amdhsa_exception_fp_ieee_div_zero 0
		.amdhsa_exception_fp_ieee_overflow 0
		.amdhsa_exception_fp_ieee_underflow 0
		.amdhsa_exception_fp_ieee_inexact 0
		.amdhsa_exception_int_div_zero 0
	.end_amdhsa_kernel
	.section	.text._ZL20rocblas_gemvn_kernelILi32ELi16ElPK19rocblas_complex_numIfES1_KPS1_EviiT3_lPKT2_lT1_lS9_lSA_lS6_lPT4_lSA_li,"axG",@progbits,_ZL20rocblas_gemvn_kernelILi32ELi16ElPK19rocblas_complex_numIfES1_KPS1_EviiT3_lPKT2_lT1_lS9_lSA_lS6_lPT4_lSA_li,comdat
.Lfunc_end301:
	.size	_ZL20rocblas_gemvn_kernelILi32ELi16ElPK19rocblas_complex_numIfES1_KPS1_EviiT3_lPKT2_lT1_lS9_lSA_lS6_lPT4_lSA_li, .Lfunc_end301-_ZL20rocblas_gemvn_kernelILi32ELi16ElPK19rocblas_complex_numIfES1_KPS1_EviiT3_lPKT2_lT1_lS9_lSA_lS6_lPT4_lSA_li
                                        ; -- End function
	.section	.AMDGPU.csdata,"",@progbits
; Kernel info:
; codeLenInByte = 4236
; NumSgprs: 38
; NumVgprs: 68
; ScratchSize: 0
; MemoryBound: 0
; FloatMode: 240
; IeeeMode: 1
; LDSByteSize: 16384 bytes/workgroup (compile time only)
; SGPRBlocks: 4
; VGPRBlocks: 8
; NumSGPRsForWavesPerEU: 38
; NumVGPRsForWavesPerEU: 68
; Occupancy: 16
; WaveLimiterHint : 1
; COMPUTE_PGM_RSRC2:SCRATCH_EN: 0
; COMPUTE_PGM_RSRC2:USER_SGPR: 14
; COMPUTE_PGM_RSRC2:TRAP_HANDLER: 0
; COMPUTE_PGM_RSRC2:TGID_X_EN: 1
; COMPUTE_PGM_RSRC2:TGID_Y_EN: 0
; COMPUTE_PGM_RSRC2:TGID_Z_EN: 1
; COMPUTE_PGM_RSRC2:TIDIG_COMP_CNT: 1
	.section	.text._ZL20rocblas_gemvn_kernelILi64ELi16EiPK19rocblas_complex_numIfES3_KPS1_EviiT3_lPKT2_lT1_lS9_lSA_lS6_lPT4_lSA_li,"axG",@progbits,_ZL20rocblas_gemvn_kernelILi64ELi16EiPK19rocblas_complex_numIfES3_KPS1_EviiT3_lPKT2_lT1_lS9_lSA_lS6_lPT4_lSA_li,comdat
	.globl	_ZL20rocblas_gemvn_kernelILi64ELi16EiPK19rocblas_complex_numIfES3_KPS1_EviiT3_lPKT2_lT1_lS9_lSA_lS6_lPT4_lSA_li ; -- Begin function _ZL20rocblas_gemvn_kernelILi64ELi16EiPK19rocblas_complex_numIfES3_KPS1_EviiT3_lPKT2_lT1_lS9_lSA_lS6_lPT4_lSA_li
	.p2align	8
	.type	_ZL20rocblas_gemvn_kernelILi64ELi16EiPK19rocblas_complex_numIfES3_KPS1_EviiT3_lPKT2_lT1_lS9_lSA_lS6_lPT4_lSA_li,@function
_ZL20rocblas_gemvn_kernelILi64ELi16EiPK19rocblas_complex_numIfES3_KPS1_EviiT3_lPKT2_lT1_lS9_lSA_lS6_lPT4_lSA_li: ; @_ZL20rocblas_gemvn_kernelILi64ELi16EiPK19rocblas_complex_numIfES3_KPS1_EviiT3_lPKT2_lT1_lS9_lSA_lS6_lPT4_lSA_li
; %bb.0:
	s_load_b64 s[4:5], s[0:1], 0x9c
	s_waitcnt lgkmcnt(0)
	s_lshr_b32 s3, s4, 16
	s_and_b32 s4, s4, 0xffff
	s_and_b32 s5, s5, 0xffff
	s_mul_i32 s3, s3, s4
	s_delay_alu instid0(SALU_CYCLE_1) | instskip(NEXT) | instid1(SALU_CYCLE_1)
	s_mul_i32 s3, s3, s5
	s_cmpk_lg_i32 s3, 0x400
	s_cbranch_scc1 .LBB302_51
; %bb.1:
	s_clause 0x1
	s_load_b256 s[16:23], s[0:1], 0x8
	s_load_b256 s[4:11], s[0:1], 0x58
	s_mov_b32 s2, s15
	s_waitcnt lgkmcnt(0)
	s_mul_i32 s3, s15, s19
	s_mul_hi_u32 s13, s15, s18
	s_mul_i32 s12, s15, s18
	s_add_i32 s13, s13, s3
	s_mul_i32 s3, s15, s7
	s_lshl_b64 s[12:13], s[12:13], 3
	s_mul_hi_u32 s7, s15, s6
	s_add_u32 s12, s16, s12
	s_addc_u32 s13, s17, s13
	s_mul_i32 s6, s15, s6
	s_load_b64 s[12:13], s[12:13], 0x0
	s_add_i32 s7, s7, s3
	s_delay_alu instid0(SALU_CYCLE_1) | instskip(NEXT) | instid1(SALU_CYCLE_1)
	s_lshl_b64 s[6:7], s[6:7], 3
	s_add_u32 s4, s4, s6
	s_addc_u32 s5, s5, s7
	s_load_b64 s[4:5], s[4:5], 0x0
	s_waitcnt lgkmcnt(0)
	v_cmp_neq_f32_e64 s3, s12, 0
	v_cmp_neq_f32_e64 s6, s13, 0
	s_delay_alu instid0(VALU_DEP_1)
	s_or_b32 s6, s3, s6
	s_mov_b32 s3, 0
	s_and_b32 vcc_lo, exec_lo, s6
	s_mov_b32 s6, -1
	s_cbranch_vccnz .LBB302_3
; %bb.2:
	v_cmp_neq_f32_e64 s6, s4, 1.0
	v_cmp_neq_f32_e64 s7, s5, 0
	s_delay_alu instid0(VALU_DEP_1)
	s_or_b32 s6, s6, s7
.LBB302_3:
	s_delay_alu instid0(SALU_CYCLE_1)
	s_and_not1_b32 vcc_lo, exec_lo, s6
	s_cbranch_vccnz .LBB302_51
; %bb.4:
	s_or_b32 s6, s12, s13
	s_mov_b64 s[18:19], 0
	s_and_b32 s7, s6, 0x7fffffff
	s_mov_b64 s[16:17], 0
	s_cmp_lg_u32 s7, 0
	s_cselect_b32 s6, -1, 0
	s_cmp_eq_u32 s7, 0
	s_cselect_b32 s24, -1, 0
	s_delay_alu instid0(SALU_CYCLE_1)
	s_and_b32 vcc_lo, exec_lo, s24
	s_cbranch_vccnz .LBB302_6
; %bb.5:
	s_lshl_b64 s[16:17], s[2:3], 3
	s_delay_alu instid0(SALU_CYCLE_1)
	s_add_u32 s16, s20, s16
	s_addc_u32 s17, s21, s17
	s_lshl_b64 s[20:21], s[22:23], 3
	s_load_b64 s[16:17], s[16:17], 0x0
	s_waitcnt lgkmcnt(0)
	s_add_u32 s16, s16, s20
	s_addc_u32 s17, s17, s21
.LBB302_6:
	s_and_not1_b32 vcc_lo, exec_lo, s6
	s_cbranch_vccnz .LBB302_8
; %bb.7:
	s_load_b128 s[20:23], s[0:1], 0x38
	s_lshl_b64 s[6:7], s[2:3], 3
	s_waitcnt lgkmcnt(0)
	s_add_u32 s6, s20, s6
	s_addc_u32 s7, s21, s7
	s_lshl_b64 s[18:19], s[22:23], 3
	s_load_b64 s[6:7], s[6:7], 0x0
	s_waitcnt lgkmcnt(0)
	s_add_u32 s18, s6, s18
	s_addc_u32 s19, s7, s19
.LBB302_8:
	s_lshl_b64 s[2:3], s[2:3], 3
	v_and_b32_e32 v1, 0x3ff, v0
	s_add_u32 s2, s8, s2
	s_addc_u32 s3, s9, s3
	v_bfe_u32 v53, v0, 10, 10
	s_load_b64 s[20:21], s[2:3], 0x0
	s_clause 0x1
	s_load_b64 s[6:7], s[0:1], 0x0
	s_load_b32 s15, s[0:1], 0x78
	s_lshl_b64 s[10:11], s[10:11], 3
	s_mov_b32 s3, -1
	v_lshl_add_u32 v0, v53, 6, v1
	s_delay_alu instid0(VALU_DEP_1)
	v_cmp_gt_u32_e64 s2, 0x100, v0
	s_waitcnt lgkmcnt(0)
	s_add_u32 s9, s20, s10
	s_addc_u32 s10, s21, s11
	s_and_not1_b32 vcc_lo, exec_lo, s24
	s_cbranch_vccnz .LBB302_15
; %bb.9:
	s_and_saveexec_b32 s3, s2
	s_cbranch_execz .LBB302_14
; %bb.10:
	v_lshl_or_b32 v2, s14, 8, v0
	v_mov_b32_e32 v3, 0
	s_ashr_i32 s21, s6, 31
	s_mov_b32 s20, s6
	s_delay_alu instid0(VALU_DEP_1) | instid1(SALU_CYCLE_1)
	v_cmp_gt_i64_e32 vcc_lo, s[20:21], v[2:3]
	s_and_b32 exec_lo, exec_lo, vcc_lo
	s_cbranch_execz .LBB302_14
; %bb.11:
	v_mad_u64_u32 v[4:5], null, s15, v2, 0
	s_ashr_i32 s11, s15, 31
	v_cmp_neq_f32_e64 s2, s4, 0
	v_cmp_neq_f32_e64 s8, s5, 0
	s_delay_alu instid0(VALU_DEP_3) | instskip(NEXT) | instid1(VALU_DEP_2)
	v_mad_u64_u32 v[6:7], null, s11, v2, v[5:6]
	s_or_b32 s2, s2, s8
	s_delay_alu instid0(SALU_CYCLE_1) | instskip(NEXT) | instid1(VALU_DEP_1)
	s_and_not1_b32 vcc_lo, exec_lo, s2
	v_dual_mov_b32 v5, v6 :: v_dual_mov_b32 v6, v3
	s_delay_alu instid0(VALU_DEP_1)
	v_lshlrev_b64 v[4:5], 3, v[4:5]
	s_cbranch_vccnz .LBB302_13
; %bb.12:
	s_delay_alu instid0(VALU_DEP_1) | instskip(NEXT) | instid1(VALU_DEP_2)
	v_add_co_u32 v2, vcc_lo, s9, v4
	v_add_co_ci_u32_e32 v3, vcc_lo, s10, v5, vcc_lo
	global_load_b64 v[2:3], v[2:3], off
	s_waitcnt vmcnt(0)
	v_mul_f32_e32 v6, s4, v3
	s_delay_alu instid0(VALU_DEP_1) | instskip(NEXT) | instid1(VALU_DEP_1)
	v_dual_mul_f32 v7, s5, v3 :: v_dual_fmac_f32 v6, s5, v2
	v_fma_f32 v3, s4, v2, -v7
.LBB302_13:
	s_delay_alu instid0(VALU_DEP_1) | instskip(NEXT) | instid1(VALU_DEP_2)
	v_add_co_u32 v7, vcc_lo, s9, v4
	v_add_co_ci_u32_e32 v8, vcc_lo, s10, v5, vcc_lo
	s_delay_alu instid0(VALU_DEP_3)
	v_mov_b32_e32 v5, v3
	global_store_b64 v[7:8], v[5:6], off
.LBB302_14:
	s_or_b32 exec_lo, exec_lo, s3
	s_mov_b32 s3, 0
.LBB302_15:
	s_delay_alu instid0(SALU_CYCLE_1)
	s_and_not1_b32 vcc_lo, exec_lo, s3
	s_cbranch_vccnz .LBB302_51
; %bb.16:
	s_clause 0x1
	s_load_b32 s20, s[0:1], 0x28
	s_load_b32 s8, s[0:1], 0x48
	s_ashr_i32 s2, s7, 31
	s_lshl_b32 s11, s14, 8
	s_lshr_b32 s0, s2, 26
	v_dual_mov_b32 v2, 0 :: v_dual_lshlrev_b32 v55, 2, v53
	v_dual_mov_b32 v3, 0 :: v_dual_add_nc_u32 v54, s11, v1
	v_dual_mov_b32 v5, 0 :: v_dual_mov_b32 v4, 0
	v_dual_mov_b32 v7, 0 :: v_dual_mov_b32 v6, 0
	;; [unrolled: 1-line block ×3, first 2 shown]
	s_add_i32 s0, s7, s0
	s_mov_b32 s21, exec_lo
	s_and_b32 s14, s0, 0xffffffc0
	s_delay_alu instid0(SALU_CYCLE_1)
	v_cmpx_gt_i32_e64 s14, v55
	s_cbranch_execz .LBB302_28
; %bb.17:
	s_waitcnt lgkmcnt(0)
	v_mul_lo_u32 v3, s20, v55
	v_add_nc_u32_e32 v2, 64, v54
	v_cmp_gt_i32_e32 vcc_lo, s6, v54
	s_lshl_b32 s22, s20, 6
	s_lshl_b32 s24, s8, 6
	s_mov_b32 s23, 0
	s_mov_b32 s25, 0
	s_delay_alu instid0(VALU_DEP_3) | instskip(SKIP_1) | instid1(VALU_DEP_1)
	v_add3_u32 v56, v3, s20, v1
	v_mul_lo_u32 v3, v53, s20
	v_lshl_add_u32 v57, v3, 2, v1
	v_mov_b32_e32 v3, 0
	v_add_nc_u32_e32 v5, 0xc0, v54
	v_add_nc_u32_e32 v4, 0x80, v54
	v_cmp_gt_i32_e64 s0, s6, v2
	s_delay_alu instid0(VALU_DEP_4) | instskip(NEXT) | instid1(VALU_DEP_4)
	v_dual_mov_b32 v7, v3 :: v_dual_add_nc_u32 v2, 2, v55
	v_cmp_gt_i32_e64 s2, s6, v5
	v_mul_lo_u32 v5, v53, s8
	v_mov_b32_e32 v6, v3
	s_delay_alu instid0(VALU_DEP_4)
	v_mad_u64_u32 v[10:11], null, s20, v2, v[1:2]
	v_mov_b32_e32 v9, v3
	v_mul_lo_u32 v58, s8, v2
	v_mov_b32_e32 v8, v3
	v_dual_mov_b32 v5, v3 :: v_dual_lshlrev_b32 v60, 2, v5
	v_cmp_gt_i32_e64 s1, s6, v4
	v_add_nc_u32_e32 v4, 3, v55
	s_delay_alu instid0(VALU_DEP_1)
	v_mad_u64_u32 v[11:12], null, s20, v4, v[1:2]
	v_mad_u64_u32 v[12:13], null, s8, v55, s[8:9]
	v_mul_lo_u32 v59, s8, v4
	v_mov_b32_e32 v2, v3
	v_mov_b32_e32 v4, v3
	s_branch .LBB302_22
.LBB302_18:                             ;   in Loop: Header=BB302_22 Depth=1
	s_or_b32 exec_lo, exec_lo, s28
	s_waitcnt vmcnt(3) lgkmcnt(3)
	v_mul_f32_e32 v45, v26, v44
	v_mul_f32_e32 v44, v25, v44
	s_waitcnt vmcnt(1) lgkmcnt(1)
	v_dual_mul_f32 v46, v22, v42 :: v_dual_mul_f32 v47, v16, v40
	v_mul_f32_e32 v42, v21, v42
	v_fma_f32 v45, v25, v43, -v45
	v_fmac_f32_e32 v44, v26, v43
	s_waitcnt vmcnt(0) lgkmcnt(0)
	v_mul_f32_e32 v43, v14, v38
	v_mul_f32_e32 v38, v13, v38
	v_fma_f32 v46, v21, v41, -v46
	v_dual_add_f32 v4, v4, v45 :: v_dual_add_f32 v5, v5, v44
	s_delay_alu instid0(VALU_DEP_3) | instskip(SKIP_4) | instid1(VALU_DEP_3)
	v_fmac_f32_e32 v38, v14, v37
	v_fmac_f32_e32 v42, v22, v41
	v_mul_f32_e32 v40, v15, v40
	v_fma_f32 v41, v15, v39, -v47
	v_add_f32_e32 v4, v4, v46
	v_dual_add_f32 v5, v5, v42 :: v_dual_fmac_f32 v40, v16, v39
	v_fma_f32 v39, v13, v37, -v43
	s_delay_alu instid0(VALU_DEP_2) | instskip(NEXT) | instid1(VALU_DEP_1)
	v_dual_add_f32 v4, v4, v41 :: v_dual_add_f32 v5, v5, v40
	v_dual_add_f32 v4, v4, v39 :: v_dual_add_f32 v5, v5, v38
.LBB302_19:                             ;   in Loop: Header=BB302_22 Depth=1
	s_or_b32 exec_lo, exec_lo, s27
	s_waitcnt vmcnt(3) lgkmcnt(3)
	v_mul_f32_e32 v37, v26, v36
	v_mul_f32_e32 v36, v25, v36
	s_waitcnt vmcnt(1) lgkmcnt(1)
	v_dual_mul_f32 v38, v22, v34 :: v_dual_mul_f32 v39, v16, v32
	v_mul_f32_e32 v34, v21, v34
	v_mul_f32_e32 v32, v15, v32
	v_fma_f32 v37, v25, v35, -v37
	s_delay_alu instid0(VALU_DEP_4) | instskip(NEXT) | instid1(VALU_DEP_3)
	v_fma_f32 v38, v21, v33, -v38
	v_fmac_f32_e32 v32, v16, v31
	v_fmac_f32_e32 v34, v22, v33
	;; [unrolled: 1-line block ×3, first 2 shown]
	v_add_f32_e32 v6, v6, v37
	s_waitcnt vmcnt(0) lgkmcnt(0)
	v_mul_f32_e32 v35, v14, v30
	v_mul_f32_e32 v30, v13, v30
	v_fma_f32 v33, v15, v31, -v39
	v_dual_add_f32 v7, v7, v36 :: v_dual_add_f32 v6, v6, v38
	s_delay_alu instid0(VALU_DEP_4) | instskip(NEXT) | instid1(VALU_DEP_2)
	v_fma_f32 v31, v13, v29, -v35
	v_dual_fmac_f32 v30, v14, v29 :: v_dual_add_f32 v7, v7, v34
	s_delay_alu instid0(VALU_DEP_1) | instskip(NEXT) | instid1(VALU_DEP_1)
	v_dual_add_f32 v6, v6, v33 :: v_dual_add_f32 v7, v7, v32
	v_dual_add_f32 v6, v6, v31 :: v_dual_add_f32 v7, v7, v30
.LBB302_20:                             ;   in Loop: Header=BB302_22 Depth=1
	s_or_b32 exec_lo, exec_lo, s3
	s_waitcnt vmcnt(3) lgkmcnt(3)
	v_mul_f32_e32 v29, v26, v28
	v_mul_f32_e32 v28, v25, v28
	s_waitcnt vmcnt(1) lgkmcnt(1)
	v_mul_f32_e32 v31, v16, v20
	v_mul_f32_e32 v20, v15, v20
	v_fma_f32 v25, v25, v27, -v29
	v_fmac_f32_e32 v28, v26, v27
	s_waitcnt vmcnt(0) lgkmcnt(0)
	v_mul_f32_e32 v26, v14, v18
	v_mul_f32_e32 v18, v13, v18
	v_fma_f32 v15, v15, v19, -v31
	v_dual_add_f32 v8, v8, v25 :: v_dual_add_f32 v9, v9, v28
	v_fmac_f32_e32 v20, v16, v19
	s_delay_alu instid0(VALU_DEP_4) | instskip(SKIP_3) | instid1(VALU_DEP_2)
	v_fmac_f32_e32 v18, v14, v17
	v_mul_f32_e32 v30, v22, v24
	v_mul_f32_e32 v24, v21, v24
	v_fma_f32 v13, v13, v17, -v26
	v_fmac_f32_e32 v24, v22, v23
	s_delay_alu instid0(VALU_DEP_1) | instskip(NEXT) | instid1(VALU_DEP_1)
	v_add_f32_e32 v9, v9, v24
	v_add_f32_e32 v9, v9, v20
	s_delay_alu instid0(VALU_DEP_1) | instskip(SKIP_1) | instid1(VALU_DEP_1)
	v_add_f32_e32 v9, v9, v18
	v_fma_f32 v21, v21, v23, -v30
	v_add_f32_e32 v8, v8, v21
	s_delay_alu instid0(VALU_DEP_1) | instskip(NEXT) | instid1(VALU_DEP_1)
	v_add_f32_e32 v8, v8, v15
	v_add_f32_e32 v8, v8, v13
.LBB302_21:                             ;   in Loop: Header=BB302_22 Depth=1
	s_or_b32 exec_lo, exec_lo, s26
	v_add_nc_u32_e32 v55, 64, v55
	v_add_nc_u32_e32 v56, s22, v56
	;; [unrolled: 1-line block ×5, first 2 shown]
	v_cmp_le_i32_e64 s3, s14, v55
	s_add_i32 s25, s25, s24
	s_delay_alu instid0(VALU_DEP_1) | instskip(NEXT) | instid1(SALU_CYCLE_1)
	s_or_b32 s23, s3, s23
	s_and_not1_b32 exec_lo, exec_lo, s23
	s_cbranch_execz .LBB302_27
.LBB302_22:                             ; =>This Inner Loop Header: Depth=1
	s_and_saveexec_b32 s26, vcc_lo
	s_cbranch_execz .LBB302_21
; %bb.23:                               ;   in Loop: Header=BB302_22 Depth=1
	v_add_nc_u32_e32 v13, s25, v60
	v_add_nc_u32_e32 v15, s25, v12
	;; [unrolled: 1-line block ×5, first 2 shown]
	v_ashrrev_i32_e32 v14, 31, v13
	v_ashrrev_i32_e32 v16, 31, v15
	;; [unrolled: 1-line block ×4, first 2 shown]
	v_add_nc_u32_e32 v23, s11, v56
	v_lshlrev_b64 v[13:14], 3, v[13:14]
	v_lshlrev_b64 v[15:16], 3, v[15:16]
	;; [unrolled: 1-line block ×3, first 2 shown]
	v_ashrrev_i32_e32 v22, 31, v21
	v_lshlrev_b64 v[19:20], 3, v[19:20]
	v_ashrrev_i32_e32 v24, 31, v23
	v_add_co_u32 v13, s3, s18, v13
	s_delay_alu instid0(VALU_DEP_1)
	v_add_co_ci_u32_e64 v14, s3, s19, v14, s3
	v_add_co_u32 v15, s3, s18, v15
	v_add_nc_u32_e32 v25, s11, v10
	v_add_co_ci_u32_e64 v16, s3, s19, v16, s3
	v_add_co_u32 v17, s3, s18, v17
	v_lshlrev_b64 v[21:22], 3, v[21:22]
	v_add_nc_u32_e32 v27, s11, v11
	v_add_co_ci_u32_e64 v18, s3, s19, v18, s3
	v_add_co_u32 v19, s3, s18, v19
	v_lshlrev_b64 v[23:24], 3, v[23:24]
	v_ashrrev_i32_e32 v26, 31, v25
	v_add_co_ci_u32_e64 v20, s3, s19, v20, s3
	v_add_co_u32 v51, s3, s16, v21
	v_ashrrev_i32_e32 v28, 31, v27
	v_add_co_ci_u32_e64 v52, s3, s17, v22, s3
	v_lshlrev_b64 v[21:22], 3, v[25:26]
	v_add_co_u32 v49, s3, s16, v23
	s_delay_alu instid0(VALU_DEP_1) | instskip(SKIP_1) | instid1(VALU_DEP_4)
	v_add_co_ci_u32_e64 v50, s3, s17, v24, s3
	v_lshlrev_b64 v[23:24], 3, v[27:28]
	v_add_co_u32 v47, s3, s16, v21
	s_delay_alu instid0(VALU_DEP_1) | instskip(NEXT) | instid1(VALU_DEP_3)
	v_add_co_ci_u32_e64 v48, s3, s17, v22, s3
	v_add_co_u32 v45, s3, s16, v23
	s_delay_alu instid0(VALU_DEP_1)
	v_add_co_ci_u32_e64 v46, s3, s17, v24, s3
	s_clause 0x3
	flat_load_b64 v[25:26], v[13:14]
	flat_load_b64 v[21:22], v[15:16]
	;; [unrolled: 1-line block ×4, first 2 shown]
	s_clause 0x3
	flat_load_b64 v[27:28], v[51:52]
	flat_load_b64 v[23:24], v[49:50]
	;; [unrolled: 1-line block ×4, first 2 shown]
	s_and_saveexec_b32 s3, s0
	s_cbranch_execz .LBB302_20
; %bb.24:                               ;   in Loop: Header=BB302_22 Depth=1
	s_clause 0x3
	flat_load_b64 v[35:36], v[51:52] offset:512
	flat_load_b64 v[33:34], v[49:50] offset:512
	flat_load_b64 v[31:32], v[47:48] offset:512
	flat_load_b64 v[29:30], v[45:46] offset:512
	s_and_saveexec_b32 s27, s1
	s_cbranch_execz .LBB302_19
; %bb.25:                               ;   in Loop: Header=BB302_22 Depth=1
	s_clause 0x3
	flat_load_b64 v[43:44], v[51:52] offset:1024
	flat_load_b64 v[41:42], v[49:50] offset:1024
	flat_load_b64 v[39:40], v[47:48] offset:1024
	flat_load_b64 v[37:38], v[45:46] offset:1024
	;; [unrolled: 8-line block ×3, first 2 shown]
	s_waitcnt vmcnt(3) lgkmcnt(3)
	v_mul_f32_e32 v61, v26, v52
	v_mul_f32_e32 v52, v25, v52
	s_waitcnt vmcnt(1) lgkmcnt(1)
	v_dual_mul_f32 v62, v22, v50 :: v_dual_mul_f32 v63, v16, v48
	v_mul_f32_e32 v50, v21, v50
	v_mul_f32_e32 v48, v15, v48
	v_fma_f32 v61, v25, v51, -v61
	s_delay_alu instid0(VALU_DEP_4) | instskip(NEXT) | instid1(VALU_DEP_4)
	v_fma_f32 v62, v21, v49, -v62
	v_fmac_f32_e32 v50, v22, v49
	v_fmac_f32_e32 v52, v26, v51
	s_waitcnt vmcnt(0) lgkmcnt(0)
	v_mul_f32_e32 v51, v14, v46
	v_mul_f32_e32 v46, v13, v46
	v_fma_f32 v49, v15, v47, -v63
	s_delay_alu instid0(VALU_DEP_2) | instskip(SKIP_2) | instid1(VALU_DEP_3)
	v_dual_add_f32 v3, v3, v52 :: v_dual_fmac_f32 v46, v14, v45
	v_fmac_f32_e32 v48, v16, v47
	v_fma_f32 v47, v13, v45, -v51
	v_dual_add_f32 v3, v3, v50 :: v_dual_add_f32 v2, v2, v61
	s_delay_alu instid0(VALU_DEP_1) | instskip(NEXT) | instid1(VALU_DEP_1)
	v_dual_add_f32 v3, v3, v48 :: v_dual_add_f32 v2, v2, v62
	v_dual_add_f32 v3, v3, v46 :: v_dual_add_f32 v2, v2, v49
	s_delay_alu instid0(VALU_DEP_1)
	v_add_f32_e32 v2, v2, v47
	s_branch .LBB302_18
.LBB302_27:
	s_or_b32 exec_lo, exec_lo, s23
.LBB302_28:
	s_delay_alu instid0(SALU_CYCLE_1) | instskip(SKIP_1) | instid1(SALU_CYCLE_1)
	s_or_b32 exec_lo, exec_lo, s21
	s_sub_i32 s0, s7, s14
	s_cmp_lt_i32 s0, 1
	s_cbranch_scc1 .LBB302_46
; %bb.29:
	v_cmp_gt_i32_e32 vcc_lo, s7, v55
	v_dual_mov_b32 v10, 0 :: v_dual_mov_b32 v11, 0
	v_or_b32_e32 v18, 1, v55
	v_dual_mov_b32 v12, 0 :: v_dual_mov_b32 v13, 0
	v_dual_mov_b32 v14, 0 :: v_dual_mov_b32 v15, 0
	;; [unrolled: 1-line block ×3, first 2 shown]
	s_and_saveexec_b32 s1, vcc_lo
	s_cbranch_execz .LBB302_37
; %bb.30:
	s_waitcnt lgkmcnt(0)
	v_mul_lo_u32 v10, v55, s8
	v_dual_mov_b32 v17, 0 :: v_dual_mov_b32 v16, 0
	v_dual_mov_b32 v15, 0 :: v_dual_mov_b32 v14, 0
	v_dual_mov_b32 v13, 0 :: v_dual_mov_b32 v12, 0
	s_mov_b32 s2, exec_lo
	s_delay_alu instid0(VALU_DEP_4) | instskip(NEXT) | instid1(VALU_DEP_1)
	v_ashrrev_i32_e32 v11, 31, v10
	v_lshlrev_b64 v[10:11], 3, v[10:11]
	s_delay_alu instid0(VALU_DEP_1) | instskip(NEXT) | instid1(VALU_DEP_1)
	v_add_co_u32 v10, s0, s18, v10
	v_add_co_ci_u32_e64 v11, s0, s19, v11, s0
	flat_load_b64 v[10:11], v[10:11]
	v_cmpx_gt_i32_e64 s7, v18
	s_cbranch_execz .LBB302_36
; %bb.31:
	v_mul_lo_u32 v12, v18, s8
	v_or_b32_e32 v19, 2, v55
	v_dual_mov_b32 v17, 0 :: v_dual_mov_b32 v16, 0
	v_dual_mov_b32 v15, 0 :: v_dual_mov_b32 v14, 0
	s_mov_b32 s3, exec_lo
	s_delay_alu instid0(VALU_DEP_4) | instskip(NEXT) | instid1(VALU_DEP_1)
	v_ashrrev_i32_e32 v13, 31, v12
	v_lshlrev_b64 v[12:13], 3, v[12:13]
	s_delay_alu instid0(VALU_DEP_1) | instskip(NEXT) | instid1(VALU_DEP_1)
	v_add_co_u32 v12, s0, s18, v12
	v_add_co_ci_u32_e64 v13, s0, s19, v13, s0
	flat_load_b64 v[12:13], v[12:13]
	v_cmpx_gt_i32_e64 s7, v19
	s_cbranch_execz .LBB302_35
; %bb.32:
	v_mul_lo_u32 v14, v19, s8
	v_or_b32_e32 v19, 3, v55
	v_dual_mov_b32 v17, 0 :: v_dual_mov_b32 v16, 0
	s_mov_b32 s14, exec_lo
	s_delay_alu instid0(VALU_DEP_3) | instskip(NEXT) | instid1(VALU_DEP_1)
	v_ashrrev_i32_e32 v15, 31, v14
	v_lshlrev_b64 v[14:15], 3, v[14:15]
	s_delay_alu instid0(VALU_DEP_1) | instskip(NEXT) | instid1(VALU_DEP_1)
	v_add_co_u32 v14, s0, s18, v14
	v_add_co_ci_u32_e64 v15, s0, s19, v15, s0
	flat_load_b64 v[14:15], v[14:15]
	v_cmpx_gt_i32_e64 s7, v19
	s_cbranch_execz .LBB302_34
; %bb.33:
	v_mul_lo_u32 v16, v19, s8
	s_delay_alu instid0(VALU_DEP_1) | instskip(NEXT) | instid1(VALU_DEP_1)
	v_ashrrev_i32_e32 v17, 31, v16
	v_lshlrev_b64 v[16:17], 3, v[16:17]
	s_delay_alu instid0(VALU_DEP_1) | instskip(NEXT) | instid1(VALU_DEP_1)
	v_add_co_u32 v16, s0, s18, v16
	v_add_co_ci_u32_e64 v17, s0, s19, v17, s0
	flat_load_b64 v[16:17], v[16:17]
.LBB302_34:
	s_or_b32 exec_lo, exec_lo, s14
.LBB302_35:
	s_delay_alu instid0(SALU_CYCLE_1)
	s_or_b32 exec_lo, exec_lo, s3
.LBB302_36:
	s_delay_alu instid0(SALU_CYCLE_1)
	s_or_b32 exec_lo, exec_lo, s2
.LBB302_37:
	s_delay_alu instid0(SALU_CYCLE_1) | instskip(NEXT) | instid1(SALU_CYCLE_1)
	s_or_b32 exec_lo, exec_lo, s1
	s_mov_b32 s1, exec_lo
	v_cmpx_gt_i32_e64 s6, v54
	s_cbranch_execz .LBB302_45
; %bb.38:
	s_waitcnt lgkmcnt(0)
	v_mul_lo_u32 v19, v55, s20
	v_mul_lo_u32 v20, v18, s20
	v_or_b32_e32 v21, 2, v55
	v_or_b32_e32 v22, 3, v55
	s_mov_b32 s0, exec_lo
	s_delay_alu instid0(VALU_DEP_2)
	v_mul_lo_u32 v23, v21, s20
	v_cndmask_b32_e32 v19, 0, v19, vcc_lo
	v_cmp_gt_i32_e32 vcc_lo, s7, v18
	v_mul_lo_u32 v24, v22, s20
	v_cndmask_b32_e32 v20, 0, v20, vcc_lo
	v_cmp_gt_i32_e32 vcc_lo, s7, v21
	v_add_nc_u32_e32 v18, v19, v54
	s_delay_alu instid0(VALU_DEP_3) | instskip(NEXT) | instid1(VALU_DEP_2)
	v_dual_cndmask_b32 v23, 0, v23 :: v_dual_add_nc_u32 v20, v20, v54
	v_ashrrev_i32_e32 v19, 31, v18
	v_cmp_gt_i32_e32 vcc_lo, s7, v22
	s_delay_alu instid0(VALU_DEP_3) | instskip(NEXT) | instid1(VALU_DEP_3)
	v_ashrrev_i32_e32 v21, 31, v20
	v_lshlrev_b64 v[18:19], 3, v[18:19]
	v_cndmask_b32_e32 v24, 0, v24, vcc_lo
	s_delay_alu instid0(VALU_DEP_3) | instskip(NEXT) | instid1(VALU_DEP_2)
	v_lshlrev_b64 v[20:21], 3, v[20:21]
	v_add_nc_u32_e32 v26, v24, v54
	s_delay_alu instid0(VALU_DEP_4) | instskip(SKIP_1) | instid1(VALU_DEP_4)
	v_add_co_u32 v24, vcc_lo, s16, v18
	v_add_co_ci_u32_e32 v25, vcc_lo, s17, v19, vcc_lo
	v_add_co_u32 v20, vcc_lo, s16, v20
	v_add_co_ci_u32_e32 v21, vcc_lo, s17, v21, vcc_lo
	s_clause 0x1
	flat_load_b64 v[28:29], v[24:25]
	flat_load_b64 v[30:31], v[20:21]
	s_waitcnt vmcnt(0) lgkmcnt(0)
	v_dual_mul_f32 v35, v13, v31 :: v_dual_add_nc_u32 v22, v23, v54
	v_dual_mul_f32 v31, v12, v31 :: v_dual_mul_f32 v34, v11, v29
	v_mul_f32_e32 v29, v10, v29
	s_delay_alu instid0(VALU_DEP_3) | instskip(NEXT) | instid1(VALU_DEP_3)
	v_ashrrev_i32_e32 v23, 31, v22
	v_fmac_f32_e32 v31, v13, v30
	s_delay_alu instid0(VALU_DEP_4) | instskip(NEXT) | instid1(VALU_DEP_4)
	v_fma_f32 v34, v10, v28, -v34
	v_fmac_f32_e32 v29, v11, v28
	v_ashrrev_i32_e32 v27, 31, v26
	v_lshlrev_b64 v[18:19], 3, v[22:23]
	v_fma_f32 v28, v12, v30, -v35
	s_delay_alu instid0(VALU_DEP_4) | instskip(NEXT) | instid1(VALU_DEP_4)
	v_dual_add_f32 v8, v8, v34 :: v_dual_add_f32 v29, v9, v29
	v_lshlrev_b64 v[26:27], 3, v[26:27]
	s_delay_alu instid0(VALU_DEP_4) | instskip(SKIP_1) | instid1(VALU_DEP_3)
	v_add_co_u32 v22, vcc_lo, s16, v18
	v_add_co_ci_u32_e32 v23, vcc_lo, s17, v19, vcc_lo
	v_add_co_u32 v18, vcc_lo, s16, v26
	s_delay_alu instid0(VALU_DEP_4)
	v_add_co_ci_u32_e32 v19, vcc_lo, s17, v27, vcc_lo
	s_clause 0x1
	flat_load_b64 v[26:27], v[22:23]
	flat_load_b64 v[32:33], v[18:19]
	s_waitcnt vmcnt(0) lgkmcnt(0)
	v_dual_mul_f32 v30, v15, v27 :: v_dual_mul_f32 v35, v17, v33
	v_mul_f32_e32 v27, v14, v27
	v_mul_f32_e32 v9, v16, v33
	s_delay_alu instid0(VALU_DEP_3) | instskip(NEXT) | instid1(VALU_DEP_3)
	v_fma_f32 v30, v14, v26, -v30
	v_dual_fmac_f32 v27, v15, v26 :: v_dual_add_f32 v26, v8, v28
	v_dual_add_f32 v28, v29, v31 :: v_dual_add_nc_u32 v29, 64, v54
	v_fma_f32 v8, v16, v32, -v35
	s_delay_alu instid0(VALU_DEP_3) | instskip(NEXT) | instid1(VALU_DEP_3)
	v_dual_fmac_f32 v9, v17, v32 :: v_dual_add_f32 v26, v26, v30
	v_add_f32_e32 v27, v28, v27
	s_delay_alu instid0(VALU_DEP_4)
	v_cmpx_gt_i32_e64 s6, v29
	s_cbranch_execz .LBB302_44
; %bb.39:
	s_clause 0x3
	flat_load_b64 v[28:29], v[24:25] offset:512
	flat_load_b64 v[30:31], v[20:21] offset:512
	flat_load_b64 v[32:33], v[22:23] offset:512
	flat_load_b64 v[34:35], v[18:19] offset:512
	s_mov_b32 s2, exec_lo
	s_waitcnt vmcnt(2) lgkmcnt(2)
	v_dual_mul_f32 v36, v11, v29 :: v_dual_mul_f32 v37, v13, v31
	v_mul_f32_e32 v29, v10, v29
	s_waitcnt vmcnt(1) lgkmcnt(1)
	v_dual_mul_f32 v31, v12, v31 :: v_dual_mul_f32 v38, v15, v33
	s_delay_alu instid0(VALU_DEP_3) | instskip(SKIP_1) | instid1(VALU_DEP_3)
	v_fma_f32 v36, v10, v28, -v36
	v_fma_f32 v37, v12, v30, -v37
	v_fmac_f32_e32 v31, v13, v30
	s_delay_alu instid0(VALU_DEP_4) | instskip(NEXT) | instid1(VALU_DEP_4)
	v_fma_f32 v30, v14, v32, -v38
	v_add_f32_e32 v6, v6, v36
	v_mul_f32_e32 v33, v14, v33
	s_waitcnt vmcnt(0) lgkmcnt(0)
	v_dual_fmac_f32 v29, v11, v28 :: v_dual_mul_f32 v28, v17, v35
	s_delay_alu instid0(VALU_DEP_2) | instskip(NEXT) | instid1(VALU_DEP_2)
	v_dual_fmac_f32 v33, v15, v32 :: v_dual_add_f32 v32, v6, v37
	v_add_f32_e32 v29, v7, v29
	v_mul_f32_e32 v7, v16, v35
	s_delay_alu instid0(VALU_DEP_4) | instskip(NEXT) | instid1(VALU_DEP_3)
	v_fma_f32 v6, v16, v34, -v28
	v_dual_add_f32 v28, v32, v30 :: v_dual_add_f32 v29, v29, v31
	v_add_nc_u32_e32 v31, 0x80, v54
	s_delay_alu instid0(VALU_DEP_4) | instskip(NEXT) | instid1(VALU_DEP_3)
	v_fmac_f32_e32 v7, v17, v34
	v_add_f32_e32 v29, v29, v33
	s_delay_alu instid0(VALU_DEP_3)
	v_cmpx_gt_i32_e64 s6, v31
	s_cbranch_execz .LBB302_43
; %bb.40:
	s_clause 0x3
	flat_load_b64 v[30:31], v[24:25] offset:1024
	flat_load_b64 v[32:33], v[20:21] offset:1024
	;; [unrolled: 1-line block ×4, first 2 shown]
	s_mov_b32 s3, exec_lo
	s_waitcnt vmcnt(2) lgkmcnt(2)
	v_dual_mul_f32 v38, v11, v31 :: v_dual_mul_f32 v39, v13, v33
	v_mul_f32_e32 v31, v10, v31
	s_waitcnt vmcnt(1) lgkmcnt(1)
	v_dual_mul_f32 v33, v12, v33 :: v_dual_mul_f32 v40, v15, v35
	s_delay_alu instid0(VALU_DEP_3) | instskip(SKIP_2) | instid1(VALU_DEP_4)
	v_fma_f32 v38, v10, v30, -v38
	v_mul_f32_e32 v35, v14, v35
	v_fma_f32 v39, v12, v32, -v39
	v_fmac_f32_e32 v33, v13, v32
	v_fma_f32 v32, v14, v34, -v40
	v_add_f32_e32 v4, v4, v38
	s_waitcnt vmcnt(0) lgkmcnt(0)
	v_dual_fmac_f32 v31, v11, v30 :: v_dual_mul_f32 v30, v17, v37
	s_delay_alu instid0(VALU_DEP_2) | instskip(NEXT) | instid1(VALU_DEP_2)
	v_dual_fmac_f32 v35, v15, v34 :: v_dual_add_f32 v34, v4, v39
	v_add_f32_e32 v31, v5, v31
	v_mul_f32_e32 v5, v16, v37
	s_delay_alu instid0(VALU_DEP_4) | instskip(NEXT) | instid1(VALU_DEP_3)
	v_fma_f32 v4, v16, v36, -v30
	v_dual_add_f32 v30, v34, v32 :: v_dual_add_f32 v31, v31, v33
	v_add_nc_u32_e32 v33, 0xc0, v54
	s_delay_alu instid0(VALU_DEP_4) | instskip(NEXT) | instid1(VALU_DEP_3)
	v_fmac_f32_e32 v5, v17, v36
	v_add_f32_e32 v31, v31, v35
	s_delay_alu instid0(VALU_DEP_3)
	v_cmpx_gt_i32_e64 s6, v33
	s_cbranch_execz .LBB302_42
; %bb.41:
	s_clause 0x3
	flat_load_b64 v[24:25], v[24:25] offset:1536
	flat_load_b64 v[20:21], v[20:21] offset:1536
	;; [unrolled: 1-line block ×4, first 2 shown]
	s_waitcnt vmcnt(3) lgkmcnt(3)
	v_mul_f32_e32 v32, v11, v25
	s_waitcnt vmcnt(1) lgkmcnt(1)
	v_dual_mul_f32 v25, v10, v25 :: v_dual_mul_f32 v34, v15, v23
	v_mul_f32_e32 v23, v14, v23
	s_delay_alu instid0(VALU_DEP_3) | instskip(SKIP_1) | instid1(VALU_DEP_4)
	v_fma_f32 v10, v10, v24, -v32
	v_mul_f32_e32 v33, v13, v21
	v_fmac_f32_e32 v25, v11, v24
	s_delay_alu instid0(VALU_DEP_4) | instskip(NEXT) | instid1(VALU_DEP_4)
	v_fmac_f32_e32 v23, v15, v22
	v_add_f32_e32 v2, v2, v10
	s_waitcnt vmcnt(0) lgkmcnt(0)
	v_mul_f32_e32 v10, v16, v19
	v_mul_f32_e32 v21, v12, v21
	v_fma_f32 v12, v12, v20, -v33
	s_delay_alu instid0(VALU_DEP_3) | instskip(NEXT) | instid1(VALU_DEP_2)
	v_dual_add_f32 v3, v3, v25 :: v_dual_fmac_f32 v10, v17, v18
	v_add_f32_e32 v2, v2, v12
	s_delay_alu instid0(VALU_DEP_4) | instskip(SKIP_1) | instid1(VALU_DEP_1)
	v_fmac_f32_e32 v21, v13, v20
	v_fma_f32 v13, v14, v22, -v34
	v_dual_mul_f32 v11, v17, v19 :: v_dual_add_f32 v2, v2, v13
	s_delay_alu instid0(VALU_DEP_1) | instskip(NEXT) | instid1(VALU_DEP_1)
	v_fma_f32 v11, v16, v18, -v11
	v_dual_add_f32 v2, v2, v11 :: v_dual_add_f32 v3, v3, v21
	s_delay_alu instid0(VALU_DEP_1) | instskip(NEXT) | instid1(VALU_DEP_1)
	v_add_f32_e32 v3, v3, v23
	v_add_f32_e32 v3, v3, v10
.LBB302_42:
	s_or_b32 exec_lo, exec_lo, s3
	s_delay_alu instid0(VALU_DEP_2)
	v_dual_add_f32 v4, v30, v4 :: v_dual_add_f32 v5, v31, v5
.LBB302_43:
	s_or_b32 exec_lo, exec_lo, s2
	s_delay_alu instid0(VALU_DEP_2)
	v_dual_add_f32 v6, v28, v6 :: v_dual_add_f32 v7, v29, v7
.LBB302_44:
	s_or_b32 exec_lo, exec_lo, s0
	s_delay_alu instid0(VALU_DEP_2)
	v_dual_add_f32 v8, v26, v8 :: v_dual_add_f32 v9, v27, v9
.LBB302_45:
	s_or_b32 exec_lo, exec_lo, s1
.LBB302_46:
	s_waitcnt vmcnt(0) lgkmcnt(0)
	v_lshlrev_b32_e32 v10, 8, v53
	s_mov_b32 s0, exec_lo
	s_delay_alu instid0(VALU_DEP_1)
	v_add_lshl_u32 v1, v10, v1, 3
	ds_store_2addr_stride64_b64 v1, v[8:9], v[6:7] offset1:1
	ds_store_2addr_stride64_b64 v1, v[4:5], v[2:3] offset0:2 offset1:3
	s_waitcnt lgkmcnt(0)
	s_waitcnt_vscnt null, 0x0
	s_barrier
	buffer_gl0_inv
	v_cmpx_gt_u32_e32 0x100, v0
	s_cbranch_execz .LBB302_51
; %bb.47:
	v_lshlrev_b32_e32 v13, 3, v0
	v_or_b32_e32 v0, s11, v0
	ds_load_2addr_stride64_b64 v[1:4], v13 offset1:4
	ds_load_2addr_stride64_b64 v[5:8], v13 offset0:8 offset1:12
	ds_load_2addr_stride64_b64 v[9:12], v13 offset0:16 offset1:20
	v_cmp_gt_i32_e32 vcc_lo, s6, v0
	s_waitcnt lgkmcnt(2)
	v_add_f32_e32 v14, v1, v3
	s_waitcnt lgkmcnt(1)
	s_delay_alu instid0(VALU_DEP_1) | instskip(SKIP_4) | instid1(VALU_DEP_1)
	v_add_f32_e32 v5, v14, v5
	v_add_f32_e32 v15, v2, v4
	ds_load_2addr_stride64_b64 v[1:4], v13 offset0:24 offset1:28
	v_add_f32_e32 v14, v5, v7
	s_waitcnt lgkmcnt(1)
	v_dual_add_f32 v6, v15, v6 :: v_dual_add_f32 v9, v14, v9
	s_delay_alu instid0(VALU_DEP_1) | instskip(SKIP_3) | instid1(VALU_DEP_1)
	v_add_f32_e32 v15, v6, v8
	ds_load_2addr_stride64_b64 v[5:8], v13 offset0:32 offset1:36
	v_add_f32_e32 v14, v9, v11
	s_waitcnt lgkmcnt(1)
	v_dual_add_f32 v10, v15, v10 :: v_dual_add_f32 v1, v14, v1
	s_delay_alu instid0(VALU_DEP_1) | instskip(SKIP_3) | instid1(VALU_DEP_1)
	;; [unrolled: 6-line block ×3, first 2 shown]
	v_add_f32_e32 v15, v2, v4
	ds_load_2addr_stride64_b64 v[1:4], v13 offset0:48 offset1:52
	v_add_f32_e32 v14, v5, v7
	v_add_f32_e32 v6, v15, v6
	;; [unrolled: 1-line block ×3, first 2 shown]
	ds_load_2addr_stride64_b64 v[5:8], v13 offset0:56 offset1:60
	s_waitcnt lgkmcnt(2)
	v_dual_add_f32 v9, v14, v9 :: v_dual_add_f32 v10, v15, v10
	s_delay_alu instid0(VALU_DEP_1) | instskip(SKIP_1) | instid1(VALU_DEP_1)
	v_dual_add_f32 v9, v9, v11 :: v_dual_add_f32 v10, v10, v12
	s_waitcnt lgkmcnt(1)
	v_dual_add_f32 v1, v9, v1 :: v_dual_add_f32 v2, v10, v2
	s_delay_alu instid0(VALU_DEP_1) | instskip(SKIP_1) | instid1(VALU_DEP_1)
	v_dual_add_f32 v1, v1, v3 :: v_dual_add_f32 v2, v2, v4
	s_waitcnt lgkmcnt(0)
	v_add_f32_e32 v1, v1, v5
	s_delay_alu instid0(VALU_DEP_1) | instskip(NEXT) | instid1(VALU_DEP_1)
	v_dual_add_f32 v3, v2, v6 :: v_dual_add_f32 v2, v1, v7
	v_add_f32_e32 v3, v3, v8
	ds_store_b64 v13, v[2:3]
	s_and_b32 exec_lo, exec_lo, vcc_lo
	s_cbranch_execz .LBB302_51
; %bb.48:
	v_mul_lo_u32 v4, v0, s15
	v_mul_f32_e32 v1, s12, v3
	v_mul_f32_e32 v0, s13, v3
	v_cmp_neq_f32_e64 s0, s4, 0
	v_cmp_neq_f32_e64 s1, s5, 0
	s_delay_alu instid0(VALU_DEP_4) | instskip(NEXT) | instid1(VALU_DEP_4)
	v_fmac_f32_e32 v1, s13, v2
	v_fma_f32 v0, v2, s12, -v0
	v_ashrrev_i32_e32 v5, 31, v4
	s_delay_alu instid0(VALU_DEP_4) | instskip(NEXT) | instid1(SALU_CYCLE_1)
	s_or_b32 s0, s0, s1
	s_and_not1_b32 vcc_lo, exec_lo, s0
	s_delay_alu instid0(VALU_DEP_1)
	v_lshlrev_b64 v[3:4], 3, v[4:5]
	s_cbranch_vccnz .LBB302_50
; %bb.49:
	s_delay_alu instid0(VALU_DEP_1) | instskip(NEXT) | instid1(VALU_DEP_2)
	v_add_co_u32 v5, vcc_lo, s9, v3
	v_add_co_ci_u32_e32 v6, vcc_lo, s10, v4, vcc_lo
	global_load_b64 v[5:6], v[5:6], off
	s_waitcnt vmcnt(0)
	v_mul_f32_e32 v2, s5, v6
	v_mul_f32_e32 v6, s4, v6
	s_delay_alu instid0(VALU_DEP_2) | instskip(NEXT) | instid1(VALU_DEP_2)
	v_fma_f32 v2, s4, v5, -v2
	v_fmac_f32_e32 v6, s5, v5
	s_delay_alu instid0(VALU_DEP_2) | instskip(NEXT) | instid1(VALU_DEP_2)
	v_add_f32_e32 v0, v0, v2
	v_add_f32_e32 v1, v1, v6
.LBB302_50:
	s_delay_alu instid0(VALU_DEP_1) | instskip(NEXT) | instid1(VALU_DEP_2)
	v_add_co_u32 v2, vcc_lo, s9, v3
	v_add_co_ci_u32_e32 v3, vcc_lo, s10, v4, vcc_lo
	global_store_b64 v[2:3], v[0:1], off
.LBB302_51:
	s_nop 0
	s_sendmsg sendmsg(MSG_DEALLOC_VGPRS)
	s_endpgm
	.section	.rodata,"a",@progbits
	.p2align	6, 0x0
	.amdhsa_kernel _ZL20rocblas_gemvn_kernelILi64ELi16EiPK19rocblas_complex_numIfES3_KPS1_EviiT3_lPKT2_lT1_lS9_lSA_lS6_lPT4_lSA_li
		.amdhsa_group_segment_fixed_size 32768
		.amdhsa_private_segment_fixed_size 0
		.amdhsa_kernarg_size 400
		.amdhsa_user_sgpr_count 14
		.amdhsa_user_sgpr_dispatch_ptr 0
		.amdhsa_user_sgpr_queue_ptr 0
		.amdhsa_user_sgpr_kernarg_segment_ptr 1
		.amdhsa_user_sgpr_dispatch_id 0
		.amdhsa_user_sgpr_private_segment_size 0
		.amdhsa_wavefront_size32 1
		.amdhsa_uses_dynamic_stack 0
		.amdhsa_enable_private_segment 0
		.amdhsa_system_sgpr_workgroup_id_x 1
		.amdhsa_system_sgpr_workgroup_id_y 0
		.amdhsa_system_sgpr_workgroup_id_z 1
		.amdhsa_system_sgpr_workgroup_info 0
		.amdhsa_system_vgpr_workitem_id 1
		.amdhsa_next_free_vgpr 64
		.amdhsa_next_free_sgpr 29
		.amdhsa_reserve_vcc 1
		.amdhsa_float_round_mode_32 0
		.amdhsa_float_round_mode_16_64 0
		.amdhsa_float_denorm_mode_32 3
		.amdhsa_float_denorm_mode_16_64 3
		.amdhsa_dx10_clamp 1
		.amdhsa_ieee_mode 1
		.amdhsa_fp16_overflow 0
		.amdhsa_workgroup_processor_mode 1
		.amdhsa_memory_ordered 1
		.amdhsa_forward_progress 0
		.amdhsa_shared_vgpr_count 0
		.amdhsa_exception_fp_ieee_invalid_op 0
		.amdhsa_exception_fp_denorm_src 0
		.amdhsa_exception_fp_ieee_div_zero 0
		.amdhsa_exception_fp_ieee_overflow 0
		.amdhsa_exception_fp_ieee_underflow 0
		.amdhsa_exception_fp_ieee_inexact 0
		.amdhsa_exception_int_div_zero 0
	.end_amdhsa_kernel
	.section	.text._ZL20rocblas_gemvn_kernelILi64ELi16EiPK19rocblas_complex_numIfES3_KPS1_EviiT3_lPKT2_lT1_lS9_lSA_lS6_lPT4_lSA_li,"axG",@progbits,_ZL20rocblas_gemvn_kernelILi64ELi16EiPK19rocblas_complex_numIfES3_KPS1_EviiT3_lPKT2_lT1_lS9_lSA_lS6_lPT4_lSA_li,comdat
.Lfunc_end302:
	.size	_ZL20rocblas_gemvn_kernelILi64ELi16EiPK19rocblas_complex_numIfES3_KPS1_EviiT3_lPKT2_lT1_lS9_lSA_lS6_lPT4_lSA_li, .Lfunc_end302-_ZL20rocblas_gemvn_kernelILi64ELi16EiPK19rocblas_complex_numIfES3_KPS1_EviiT3_lPKT2_lT1_lS9_lSA_lS6_lPT4_lSA_li
                                        ; -- End function
	.section	.AMDGPU.csdata,"",@progbits
; Kernel info:
; codeLenInByte = 4124
; NumSgprs: 31
; NumVgprs: 64
; ScratchSize: 0
; MemoryBound: 0
; FloatMode: 240
; IeeeMode: 1
; LDSByteSize: 32768 bytes/workgroup (compile time only)
; SGPRBlocks: 3
; VGPRBlocks: 7
; NumSGPRsForWavesPerEU: 31
; NumVGPRsForWavesPerEU: 64
; Occupancy: 16
; WaveLimiterHint : 1
; COMPUTE_PGM_RSRC2:SCRATCH_EN: 0
; COMPUTE_PGM_RSRC2:USER_SGPR: 14
; COMPUTE_PGM_RSRC2:TRAP_HANDLER: 0
; COMPUTE_PGM_RSRC2:TGID_X_EN: 1
; COMPUTE_PGM_RSRC2:TGID_Y_EN: 0
; COMPUTE_PGM_RSRC2:TGID_Z_EN: 1
; COMPUTE_PGM_RSRC2:TIDIG_COMP_CNT: 1
	.section	.text._ZL20rocblas_gemvn_kernelILi64ELi16ElPK19rocblas_complex_numIfES3_KPS1_EviiT3_lPKT2_lT1_lS9_lSA_lS6_lPT4_lSA_li,"axG",@progbits,_ZL20rocblas_gemvn_kernelILi64ELi16ElPK19rocblas_complex_numIfES3_KPS1_EviiT3_lPKT2_lT1_lS9_lSA_lS6_lPT4_lSA_li,comdat
	.globl	_ZL20rocblas_gemvn_kernelILi64ELi16ElPK19rocblas_complex_numIfES3_KPS1_EviiT3_lPKT2_lT1_lS9_lSA_lS6_lPT4_lSA_li ; -- Begin function _ZL20rocblas_gemvn_kernelILi64ELi16ElPK19rocblas_complex_numIfES3_KPS1_EviiT3_lPKT2_lT1_lS9_lSA_lS6_lPT4_lSA_li
	.p2align	8
	.type	_ZL20rocblas_gemvn_kernelILi64ELi16ElPK19rocblas_complex_numIfES3_KPS1_EviiT3_lPKT2_lT1_lS9_lSA_lS6_lPT4_lSA_li,@function
_ZL20rocblas_gemvn_kernelILi64ELi16ElPK19rocblas_complex_numIfES3_KPS1_EviiT3_lPKT2_lT1_lS9_lSA_lS6_lPT4_lSA_li: ; @_ZL20rocblas_gemvn_kernelILi64ELi16ElPK19rocblas_complex_numIfES3_KPS1_EviiT3_lPKT2_lT1_lS9_lSA_lS6_lPT4_lSA_li
; %bb.0:
	s_load_b64 s[4:5], s[0:1], 0x9c
	s_waitcnt lgkmcnt(0)
	s_lshr_b32 s3, s4, 16
	s_and_b32 s4, s4, 0xffff
	s_and_b32 s5, s5, 0xffff
	s_mul_i32 s3, s3, s4
	s_delay_alu instid0(SALU_CYCLE_1) | instskip(NEXT) | instid1(SALU_CYCLE_1)
	s_mul_i32 s3, s3, s5
	s_cmpk_lg_i32 s3, 0x400
	s_cbranch_scc1 .LBB303_51
; %bb.1:
	s_clause 0x1
	s_load_b256 s[16:23], s[0:1], 0x8
	s_load_b256 s[4:11], s[0:1], 0x58
	s_mov_b32 s2, s15
	s_waitcnt lgkmcnt(0)
	s_mul_i32 s3, s15, s19
	s_mul_hi_u32 s13, s15, s18
	s_mul_i32 s12, s15, s18
	s_add_i32 s13, s13, s3
	s_mul_i32 s3, s15, s7
	s_lshl_b64 s[12:13], s[12:13], 3
	s_mul_hi_u32 s7, s15, s6
	s_add_u32 s12, s16, s12
	s_addc_u32 s13, s17, s13
	s_mul_i32 s6, s15, s6
	s_load_b64 s[16:17], s[12:13], 0x0
	s_add_i32 s7, s7, s3
	s_delay_alu instid0(SALU_CYCLE_1) | instskip(NEXT) | instid1(SALU_CYCLE_1)
	s_lshl_b64 s[6:7], s[6:7], 3
	s_add_u32 s4, s4, s6
	s_addc_u32 s5, s5, s7
	s_load_b64 s[12:13], s[4:5], 0x0
	s_waitcnt lgkmcnt(0)
	v_cmp_neq_f32_e64 s3, s16, 0
	v_cmp_neq_f32_e64 s4, s17, 0
	s_delay_alu instid0(VALU_DEP_1)
	s_or_b32 s4, s3, s4
	s_mov_b32 s3, 0
	s_and_b32 vcc_lo, exec_lo, s4
	s_mov_b32 s4, -1
	s_cbranch_vccnz .LBB303_3
; %bb.2:
	v_cmp_neq_f32_e64 s4, s12, 1.0
	v_cmp_neq_f32_e64 s5, s13, 0
	s_delay_alu instid0(VALU_DEP_1)
	s_or_b32 s4, s4, s5
.LBB303_3:
	s_delay_alu instid0(SALU_CYCLE_1)
	s_and_not1_b32 vcc_lo, exec_lo, s4
	s_cbranch_vccnz .LBB303_51
; %bb.4:
	s_clause 0x1
	s_load_b64 s[24:25], s[0:1], 0x28
	s_load_b64 s[18:19], s[0:1], 0x78
	s_or_b32 s4, s16, s17
	s_mov_b64 s[28:29], 0
	s_bitset0_b32 s4, 31
	s_mov_b64 s[26:27], 0
	s_cmp_lg_u32 s4, 0
	s_cselect_b32 s30, -1, 0
	s_cmp_eq_u32 s4, 0
	s_cselect_b32 s15, -1, 0
	s_delay_alu instid0(SALU_CYCLE_1)
	s_and_b32 vcc_lo, exec_lo, s15
	s_cbranch_vccnz .LBB303_6
; %bb.5:
	s_lshl_b64 s[4:5], s[2:3], 3
	s_delay_alu instid0(SALU_CYCLE_1)
	s_add_u32 s4, s20, s4
	s_addc_u32 s5, s21, s5
	s_lshl_b64 s[6:7], s[22:23], 3
	s_load_b64 s[4:5], s[4:5], 0x0
	s_waitcnt lgkmcnt(0)
	s_add_u32 s26, s4, s6
	s_addc_u32 s27, s5, s7
.LBB303_6:
	s_clause 0x1
	s_load_b128 s[4:7], s[0:1], 0x38
	s_load_b64 s[20:21], s[0:1], 0x48
	s_and_not1_b32 vcc_lo, exec_lo, s30
	s_cbranch_vccnz .LBB303_8
; %bb.7:
	s_lshl_b64 s[22:23], s[2:3], 3
	s_waitcnt lgkmcnt(0)
	s_add_u32 s4, s4, s22
	s_addc_u32 s5, s5, s23
	s_lshl_b64 s[6:7], s[6:7], 3
	s_load_b64 s[4:5], s[4:5], 0x0
	s_waitcnt lgkmcnt(0)
	s_add_u32 s28, s4, s6
	s_addc_u32 s29, s5, s7
.LBB303_8:
	s_lshl_b64 s[2:3], s[2:3], 3
	v_and_b32_e32 v61, 0x3ff, v0
	s_add_u32 s2, s8, s2
	s_addc_u32 s3, s9, s3
	v_bfe_u32 v62, v0, 10, 10
	s_load_b64 s[2:3], s[2:3], 0x0
	s_waitcnt lgkmcnt(0)
	s_load_b64 s[6:7], s[0:1], 0x0
	s_lshl_b64 s[8:9], s[10:11], 3
	s_mov_b32 s1, -1
	v_lshl_add_u32 v60, v62, 6, v61
	s_delay_alu instid0(VALU_DEP_1)
	v_cmp_gt_u32_e64 s0, 0x100, v60
	s_add_u32 s5, s2, s8
	s_addc_u32 s22, s3, s9
	s_and_not1_b32 vcc_lo, exec_lo, s15
	s_cbranch_vccnz .LBB303_15
; %bb.9:
	s_and_saveexec_b32 s1, s0
	s_cbranch_execz .LBB303_14
; %bb.10:
	v_lshl_or_b32 v0, s14, 8, v60
	v_mov_b32_e32 v1, 0
	s_waitcnt lgkmcnt(0)
	s_ashr_i32 s3, s6, 31
	s_mov_b32 s2, s6
	s_delay_alu instid0(VALU_DEP_1) | instid1(SALU_CYCLE_1)
	v_cmp_gt_i64_e32 vcc_lo, s[2:3], v[0:1]
	s_and_b32 exec_lo, exec_lo, vcc_lo
	s_cbranch_execz .LBB303_14
; %bb.11:
	v_mad_u64_u32 v[2:3], null, v0, s18, 0
	v_cmp_neq_f32_e64 s0, s12, 0
	v_cmp_neq_f32_e64 s2, s13, 0
	s_delay_alu instid0(VALU_DEP_1) | instskip(NEXT) | instid1(VALU_DEP_3)
	s_or_b32 s0, s0, s2
	v_mad_u64_u32 v[4:5], null, v0, s19, v[3:4]
	s_and_not1_b32 vcc_lo, exec_lo, s0
	s_delay_alu instid0(VALU_DEP_1) | instskip(NEXT) | instid1(VALU_DEP_1)
	v_dual_mov_b32 v3, v4 :: v_dual_mov_b32 v4, v1
	v_lshlrev_b64 v[2:3], 3, v[2:3]
	s_cbranch_vccnz .LBB303_13
; %bb.12:
	s_delay_alu instid0(VALU_DEP_1) | instskip(NEXT) | instid1(VALU_DEP_2)
	v_add_co_u32 v0, vcc_lo, s5, v2
	v_add_co_ci_u32_e32 v1, vcc_lo, s22, v3, vcc_lo
	global_load_b64 v[0:1], v[0:1], off
	s_waitcnt vmcnt(0)
	v_mul_f32_e32 v4, s12, v1
	s_delay_alu instid0(VALU_DEP_1) | instskip(NEXT) | instid1(VALU_DEP_1)
	v_dual_mul_f32 v5, s13, v1 :: v_dual_fmac_f32 v4, s13, v0
	v_fma_f32 v1, s12, v0, -v5
.LBB303_13:
	s_delay_alu instid0(VALU_DEP_1) | instskip(NEXT) | instid1(VALU_DEP_2)
	v_add_co_u32 v5, vcc_lo, s5, v2
	v_add_co_ci_u32_e32 v6, vcc_lo, s22, v3, vcc_lo
	s_delay_alu instid0(VALU_DEP_3)
	v_mov_b32_e32 v3, v1
	global_store_b64 v[5:6], v[3:4], off
.LBB303_14:
	s_or_b32 exec_lo, exec_lo, s1
	s_mov_b32 s1, 0
.LBB303_15:
	s_delay_alu instid0(SALU_CYCLE_1)
	s_and_not1_b32 vcc_lo, exec_lo, s1
	s_cbranch_vccnz .LBB303_51
; %bb.16:
	s_waitcnt lgkmcnt(0)
	s_ashr_i32 s0, s7, 31
	s_lshl_b32 s23, s14, 8
	s_lshr_b32 s0, s0, 26
	v_dual_mov_b32 v0, 0 :: v_dual_lshlrev_b32 v63, 2, v62
	v_dual_mov_b32 v1, 0 :: v_dual_add_nc_u32 v2, s23, v61
	v_dual_mov_b32 v5, 0 :: v_dual_mov_b32 v4, 0
	v_dual_mov_b32 v7, 0 :: v_dual_mov_b32 v6, 0
	;; [unrolled: 1-line block ×3, first 2 shown]
	s_add_i32 s30, s7, s0
	s_mov_b32 s31, exec_lo
	s_and_not1_b32 s30, s30, 63
	s_delay_alu instid0(SALU_CYCLE_1)
	v_cmpx_gt_i32_e64 s30, v63
	s_cbranch_execz .LBB303_28
; %bb.17:
	v_lshlrev_b32_e32 v17, 2, v62
	v_mad_u64_u32 v[0:1], null, s20, v62, 0
	v_mad_u64_u32 v[6:7], null, s24, v62, 0
	s_delay_alu instid0(VALU_DEP_3)
	v_or_b32_e32 v13, 3, v17
	v_ashrrev_i32_e32 v3, 31, v2
	v_add_nc_u32_e32 v8, 64, v2
	v_or_b32_e32 v20, 2, v17
	v_mad_u64_u32 v[10:11], null, s21, v62, v[1:2]
	v_mad_u64_u32 v[4:5], null, s24, v13, 0
	s_delay_alu instid0(VALU_DEP_3)
	v_mad_u64_u32 v[18:19], null, s24, v20, 0
	v_add_nc_u32_e32 v15, 0xc0, v2
	v_cmp_gt_i32_e32 vcc_lo, s6, v2
	v_mov_b32_e32 v1, v10
	s_lshl_b64 s[8:9], s[24:25], 9
	v_mad_u64_u32 v[11:12], null, s25, v13, v[5:6]
	v_lshlrev_b64 v[12:13], 3, v[2:3]
	v_mov_b32_e32 v3, v7
	v_cmp_gt_i32_e64 s0, s6, v8
	v_mad_u64_u32 v[8:9], null, s24, v17, s[24:25]
	v_add_nc_u32_e32 v14, 0x80, v2
	v_cmp_gt_i32_e64 s2, s6, v15
	v_mov_b32_e32 v5, v11
	s_lshl_b64 s[10:11], s[20:21], 9
	s_lshl_b64 s[14:15], s[20:21], 3
	s_mov_b32 s33, 0
	s_delay_alu instid0(VALU_DEP_4) | instskip(SKIP_3) | instid1(VALU_DEP_4)
	v_mov_b32_e32 v7, v9
	v_mov_b32_e32 v9, v19
	v_cmp_gt_i32_e64 s1, s6, v14
	v_mad_u64_u32 v[14:15], null, s25, v62, v[3:4]
	v_mad_u64_u32 v[15:16], null, s25, v17, v[7:8]
	s_delay_alu instid0(VALU_DEP_4)
	v_mad_u64_u32 v[16:17], null, s25, v20, v[9:10]
	v_lshlrev_b64 v[10:11], 3, v[4:5]
	v_lshlrev_b64 v[4:5], 5, v[0:1]
	v_mov_b32_e32 v7, v14
	v_add_co_u32 v3, s3, s26, v12
	v_mov_b32_e32 v9, v15
	v_mov_b32_e32 v19, v16
	;; [unrolled: 1-line block ×3, first 2 shown]
	v_add_co_ci_u32_e64 v64, s3, s27, v13, s3
	v_add_co_u32 v12, s3, s28, v4
	v_lshlrev_b64 v[14:15], 5, v[6:7]
	v_lshlrev_b64 v[16:17], 3, v[8:9]
	v_mov_b32_e32 v8, v1
	v_lshlrev_b64 v[18:19], 3, v[18:19]
	v_add_co_ci_u32_e64 v13, s3, s29, v5, s3
	v_mov_b32_e32 v0, v1
	v_mov_b32_e32 v5, v1
	;; [unrolled: 1-line block ×6, first 2 shown]
	s_branch .LBB303_22
.LBB303_18:                             ;   in Loop: Header=BB303_22 Depth=1
	s_or_b32 exec_lo, exec_lo, s35
	s_waitcnt vmcnt(2) lgkmcnt(2)
	v_dual_mul_f32 v52, v33, v51 :: v_dual_mul_f32 v53, v23, v49
	v_mul_f32_e32 v51, v32, v51
	s_waitcnt vmcnt(1) lgkmcnt(1)
	v_dual_mul_f32 v49, v22, v49 :: v_dual_mul_f32 v54, v21, v47
	s_delay_alu instid0(VALU_DEP_3)
	v_fma_f32 v52, v32, v50, -v52
	v_fma_f32 v53, v22, v48, -v53
	v_fmac_f32_e32 v51, v33, v50
	s_waitcnt vmcnt(0) lgkmcnt(0)
	v_dual_mul_f32 v47, v20, v47 :: v_dual_mul_f32 v50, v25, v45
	v_add_f32_e32 v4, v4, v52
	v_fmac_f32_e32 v49, v23, v48
	v_fma_f32 v48, v20, v46, -v54
	v_mul_f32_e32 v45, v24, v45
	s_delay_alu instid0(VALU_DEP_4) | instskip(SKIP_2) | instid1(VALU_DEP_4)
	v_dual_fmac_f32 v47, v21, v46 :: v_dual_add_f32 v4, v4, v53
	v_add_f32_e32 v5, v5, v51
	v_fma_f32 v46, v24, v44, -v50
	v_fmac_f32_e32 v45, v25, v44
	s_delay_alu instid0(VALU_DEP_3) | instskip(NEXT) | instid1(VALU_DEP_1)
	v_dual_add_f32 v4, v4, v48 :: v_dual_add_f32 v5, v5, v49
	v_dual_add_f32 v4, v4, v46 :: v_dual_add_f32 v5, v5, v47
	s_delay_alu instid0(VALU_DEP_1)
	v_add_f32_e32 v5, v5, v45
.LBB303_19:                             ;   in Loop: Header=BB303_22 Depth=1
	s_or_b32 exec_lo, exec_lo, s34
	s_waitcnt vmcnt(2) lgkmcnt(2)
	v_dual_mul_f32 v44, v33, v43 :: v_dual_mul_f32 v45, v23, v41
	v_mul_f32_e32 v43, v32, v43
	s_waitcnt vmcnt(1) lgkmcnt(1)
	v_dual_mul_f32 v41, v22, v41 :: v_dual_mul_f32 v46, v21, v39
	s_delay_alu instid0(VALU_DEP_3) | instskip(SKIP_2) | instid1(VALU_DEP_4)
	v_fma_f32 v44, v32, v42, -v44
	v_mul_f32_e32 v39, v20, v39
	v_fma_f32 v45, v22, v40, -v45
	v_fmac_f32_e32 v41, v23, v40
	v_fma_f32 v40, v20, v38, -v46
	v_dual_add_f32 v6, v6, v44 :: v_dual_fmac_f32 v43, v33, v42
	s_waitcnt vmcnt(0) lgkmcnt(0)
	v_mul_f32_e32 v42, v25, v37
	v_fmac_f32_e32 v39, v21, v38
	v_mul_f32_e32 v37, v24, v37
	v_dual_add_f32 v6, v6, v45 :: v_dual_add_f32 v7, v7, v43
	s_delay_alu instid0(VALU_DEP_4) | instskip(NEXT) | instid1(VALU_DEP_3)
	v_fma_f32 v38, v24, v36, -v42
	v_fmac_f32_e32 v37, v25, v36
	s_delay_alu instid0(VALU_DEP_3) | instskip(NEXT) | instid1(VALU_DEP_1)
	v_add_f32_e32 v6, v6, v40
	v_dual_add_f32 v6, v6, v38 :: v_dual_add_f32 v7, v7, v41
	s_delay_alu instid0(VALU_DEP_1) | instskip(NEXT) | instid1(VALU_DEP_1)
	v_add_f32_e32 v7, v7, v39
	v_add_f32_e32 v7, v7, v37
.LBB303_20:                             ;   in Loop: Header=BB303_22 Depth=1
	s_or_b32 exec_lo, exec_lo, s3
	s_waitcnt vmcnt(3) lgkmcnt(3)
	v_mul_f32_e32 v36, v33, v35
	s_waitcnt vmcnt(1) lgkmcnt(1)
	v_dual_mul_f32 v35, v32, v35 :: v_dual_mul_f32 v38, v21, v29
	v_mul_f32_e32 v29, v20, v29
	s_delay_alu instid0(VALU_DEP_3) | instskip(SKIP_1) | instid1(VALU_DEP_4)
	v_fma_f32 v32, v32, v34, -v36
	v_mul_f32_e32 v37, v23, v31
	v_fma_f32 v20, v20, v28, -v38
	s_delay_alu instid0(VALU_DEP_4) | instskip(NEXT) | instid1(VALU_DEP_4)
	v_fmac_f32_e32 v29, v21, v28
	v_dual_add_f32 v8, v8, v32 :: v_dual_mul_f32 v31, v22, v31
	s_delay_alu instid0(VALU_DEP_4) | instskip(NEXT) | instid1(VALU_DEP_1)
	v_fma_f32 v22, v22, v30, -v37
	v_add_f32_e32 v8, v8, v22
	v_fmac_f32_e32 v35, v33, v34
	s_delay_alu instid0(VALU_DEP_4) | instskip(SKIP_2) | instid1(VALU_DEP_3)
	v_fmac_f32_e32 v31, v23, v30
	s_waitcnt vmcnt(0) lgkmcnt(0)
	v_mul_f32_e32 v23, v24, v27
	v_dual_add_f32 v8, v8, v20 :: v_dual_add_f32 v9, v9, v35
	v_mul_f32_e32 v33, v25, v27
	s_delay_alu instid0(VALU_DEP_3) | instskip(NEXT) | instid1(VALU_DEP_3)
	v_fmac_f32_e32 v23, v25, v26
	v_add_f32_e32 v9, v9, v31
	s_delay_alu instid0(VALU_DEP_3) | instskip(NEXT) | instid1(VALU_DEP_2)
	v_fma_f32 v21, v24, v26, -v33
	v_add_f32_e32 v9, v9, v29
	s_delay_alu instid0(VALU_DEP_1)
	v_dual_add_f32 v8, v8, v21 :: v_dual_add_f32 v9, v9, v23
.LBB303_21:                             ;   in Loop: Header=BB303_22 Depth=1
	s_or_b32 exec_lo, exec_lo, s4
	v_add_nc_u32_e32 v63, 64, v63
	v_add_co_u32 v3, s3, v3, s8
	s_delay_alu instid0(VALU_DEP_1) | instskip(NEXT) | instid1(VALU_DEP_3)
	v_add_co_ci_u32_e64 v64, s3, s9, v64, s3
	v_cmp_le_i32_e64 s3, s30, v63
	v_add_co_u32 v12, s4, v12, s10
	s_delay_alu instid0(VALU_DEP_1) | instskip(NEXT) | instid1(VALU_DEP_3)
	v_add_co_ci_u32_e64 v13, s4, s11, v13, s4
	s_or_b32 s33, s3, s33
	s_delay_alu instid0(SALU_CYCLE_1)
	s_and_not1_b32 exec_lo, exec_lo, s33
	s_cbranch_execz .LBB303_27
.LBB303_22:                             ; =>This Inner Loop Header: Depth=1
	s_and_saveexec_b32 s4, vcc_lo
	s_cbranch_execz .LBB303_21
; %bb.23:                               ;   in Loop: Header=BB303_22 Depth=1
	v_add_co_u32 v20, s3, v12, s14
	s_delay_alu instid0(VALU_DEP_1) | instskip(NEXT) | instid1(VALU_DEP_2)
	v_add_co_ci_u32_e64 v21, s3, s15, v13, s3
	v_add_co_u32 v24, s3, v20, s14
	s_delay_alu instid0(VALU_DEP_1) | instskip(SKIP_4) | instid1(VALU_DEP_1)
	v_add_co_ci_u32_e64 v25, s3, s15, v21, s3
	s_clause 0x1
	flat_load_b64 v[22:23], v[20:21]
	flat_load_b64 v[20:21], v[24:25]
	v_add_co_u32 v24, s3, v24, s14
	v_add_co_ci_u32_e64 v25, s3, s15, v25, s3
	v_add_co_u32 v58, s3, v3, v14
	s_delay_alu instid0(VALU_DEP_1) | instskip(SKIP_1) | instid1(VALU_DEP_1)
	v_add_co_ci_u32_e64 v59, s3, v64, v15, s3
	v_add_co_u32 v56, s3, v3, v16
	v_add_co_ci_u32_e64 v57, s3, v64, v17, s3
	v_add_co_u32 v54, s3, v3, v18
	s_delay_alu instid0(VALU_DEP_1) | instskip(SKIP_1) | instid1(VALU_DEP_1)
	v_add_co_ci_u32_e64 v55, s3, v64, v19, s3
	v_add_co_u32 v52, s3, v3, v10
	v_add_co_ci_u32_e64 v53, s3, v64, v11, s3
	s_clause 0x1
	flat_load_b64 v[32:33], v[12:13]
	flat_load_b64 v[24:25], v[24:25]
	s_clause 0x3
	flat_load_b64 v[34:35], v[58:59]
	flat_load_b64 v[30:31], v[56:57]
	flat_load_b64 v[28:29], v[54:55]
	flat_load_b64 v[26:27], v[52:53]
	s_and_saveexec_b32 s3, s0
	s_cbranch_execz .LBB303_20
; %bb.24:                               ;   in Loop: Header=BB303_22 Depth=1
	s_clause 0x3
	flat_load_b64 v[42:43], v[58:59] offset:512
	flat_load_b64 v[40:41], v[56:57] offset:512
	flat_load_b64 v[38:39], v[54:55] offset:512
	flat_load_b64 v[36:37], v[52:53] offset:512
	s_and_saveexec_b32 s34, s1
	s_cbranch_execz .LBB303_19
; %bb.25:                               ;   in Loop: Header=BB303_22 Depth=1
	s_clause 0x3
	flat_load_b64 v[50:51], v[58:59] offset:1024
	flat_load_b64 v[48:49], v[56:57] offset:1024
	flat_load_b64 v[46:47], v[54:55] offset:1024
	flat_load_b64 v[44:45], v[52:53] offset:1024
	;; [unrolled: 8-line block ×3, first 2 shown]
	s_waitcnt vmcnt(2) lgkmcnt(2)
	v_dual_mul_f32 v65, v33, v59 :: v_dual_mul_f32 v66, v23, v57
	v_mul_f32_e32 v59, v32, v59
	s_delay_alu instid0(VALU_DEP_2)
	v_fma_f32 v65, v32, v58, -v65
	s_waitcnt vmcnt(1) lgkmcnt(1)
	v_mul_f32_e32 v67, v21, v55
	v_fma_f32 v66, v22, v56, -v66
	v_mul_f32_e32 v55, v20, v55
	v_add_f32_e32 v0, v0, v65
	v_mul_f32_e32 v57, v22, v57
	s_delay_alu instid0(VALU_DEP_3) | instskip(NEXT) | instid1(VALU_DEP_2)
	v_fmac_f32_e32 v55, v21, v54
	v_dual_add_f32 v0, v0, v66 :: v_dual_fmac_f32 v57, v23, v56
	v_fma_f32 v56, v20, v54, -v67
	v_fmac_f32_e32 v59, v33, v58
	s_waitcnt vmcnt(0) lgkmcnt(0)
	v_mul_f32_e32 v58, v25, v53
	v_mul_f32_e32 v53, v24, v53
	s_delay_alu instid0(VALU_DEP_3) | instskip(NEXT) | instid1(VALU_DEP_3)
	v_dual_add_f32 v0, v0, v56 :: v_dual_add_f32 v1, v1, v59
	v_fma_f32 v54, v24, v52, -v58
	s_delay_alu instid0(VALU_DEP_1) | instskip(NEXT) | instid1(VALU_DEP_3)
	v_dual_fmac_f32 v53, v25, v52 :: v_dual_add_f32 v0, v0, v54
	v_add_f32_e32 v1, v1, v57
	s_delay_alu instid0(VALU_DEP_1) | instskip(NEXT) | instid1(VALU_DEP_1)
	v_add_f32_e32 v1, v1, v55
	v_add_f32_e32 v1, v1, v53
	s_branch .LBB303_18
.LBB303_27:
	s_or_b32 exec_lo, exec_lo, s33
.LBB303_28:
	s_delay_alu instid0(SALU_CYCLE_1) | instskip(SKIP_1) | instid1(SALU_CYCLE_1)
	s_or_b32 exec_lo, exec_lo, s31
	s_sub_i32 s0, s7, s30
	s_cmp_lt_i32 s0, 1
	s_cbranch_scc1 .LBB303_46
; %bb.29:
	v_cmp_gt_i32_e32 vcc_lo, s7, v63
	v_dual_mov_b32 v10, 0 :: v_dual_mov_b32 v11, 0
	v_or_b32_e32 v18, 1, v63
	v_dual_mov_b32 v12, 0 :: v_dual_mov_b32 v13, 0
	v_dual_mov_b32 v14, 0 :: v_dual_mov_b32 v15, 0
	;; [unrolled: 1-line block ×3, first 2 shown]
	s_and_saveexec_b32 s1, vcc_lo
	s_cbranch_execz .LBB303_37
; %bb.30:
	v_mad_u64_u32 v[10:11], null, v63, s20, 0
	v_dual_mov_b32 v17, 0 :: v_dual_mov_b32 v14, 0
	v_mov_b32_e32 v15, 0
	v_mov_b32_e32 v13, 0
	s_mov_b32 s2, exec_lo
	s_delay_alu instid0(VALU_DEP_4) | instskip(NEXT) | instid1(VALU_DEP_1)
	v_dual_mov_b32 v16, 0 :: v_dual_mov_b32 v3, v11
	v_mad_u64_u32 v[11:12], null, v63, s21, v[3:4]
	v_mov_b32_e32 v12, 0
	s_delay_alu instid0(VALU_DEP_2) | instskip(NEXT) | instid1(VALU_DEP_1)
	v_lshlrev_b64 v[10:11], 3, v[10:11]
	v_add_co_u32 v10, s0, s28, v10
	s_delay_alu instid0(VALU_DEP_1)
	v_add_co_ci_u32_e64 v11, s0, s29, v11, s0
	flat_load_b64 v[10:11], v[10:11]
	v_cmpx_gt_i32_e64 s7, v18
	s_cbranch_execz .LBB303_36
; %bb.31:
	v_mad_u64_u32 v[12:13], null, v18, s20, 0
	v_mov_b32_e32 v17, 0
	v_mov_b32_e32 v15, 0
	s_mov_b32 s3, exec_lo
	s_delay_alu instid0(VALU_DEP_3) | instskip(NEXT) | instid1(VALU_DEP_1)
	v_dual_mov_b32 v16, 0 :: v_dual_mov_b32 v3, v13
	v_mad_u64_u32 v[13:14], null, v18, s21, v[3:4]
	v_or_b32_e32 v3, 2, v63
	v_mov_b32_e32 v14, 0
	s_delay_alu instid0(VALU_DEP_3) | instskip(NEXT) | instid1(VALU_DEP_1)
	v_lshlrev_b64 v[12:13], 3, v[12:13]
	v_add_co_u32 v12, s0, s28, v12
	s_delay_alu instid0(VALU_DEP_1)
	v_add_co_ci_u32_e64 v13, s0, s29, v13, s0
	flat_load_b64 v[12:13], v[12:13]
	v_cmpx_gt_i32_e64 s7, v3
	s_cbranch_execz .LBB303_35
; %bb.32:
	v_mad_u64_u32 v[14:15], null, v3, s20, 0
	s_mov_b32 s4, exec_lo
	s_delay_alu instid0(VALU_DEP_1) | instskip(SKIP_2) | instid1(VALU_DEP_3)
	v_mad_u64_u32 v[16:17], null, v3, s21, v[15:16]
	v_or_b32_e32 v3, 3, v63
	v_mov_b32_e32 v17, 0
	v_dual_mov_b32 v15, v16 :: v_dual_mov_b32 v16, 0
	s_delay_alu instid0(VALU_DEP_1) | instskip(NEXT) | instid1(VALU_DEP_1)
	v_lshlrev_b64 v[14:15], 3, v[14:15]
	v_add_co_u32 v14, s0, s28, v14
	s_delay_alu instid0(VALU_DEP_1)
	v_add_co_ci_u32_e64 v15, s0, s29, v15, s0
	flat_load_b64 v[14:15], v[14:15]
	v_cmpx_gt_i32_e64 s7, v3
	s_cbranch_execz .LBB303_34
; %bb.33:
	v_mad_u64_u32 v[16:17], null, v3, s20, 0
	s_delay_alu instid0(VALU_DEP_1) | instskip(NEXT) | instid1(VALU_DEP_1)
	v_mad_u64_u32 v[19:20], null, v3, s21, v[17:18]
	v_mov_b32_e32 v17, v19
	s_delay_alu instid0(VALU_DEP_1) | instskip(NEXT) | instid1(VALU_DEP_1)
	v_lshlrev_b64 v[16:17], 3, v[16:17]
	v_add_co_u32 v16, s0, s28, v16
	s_delay_alu instid0(VALU_DEP_1)
	v_add_co_ci_u32_e64 v17, s0, s29, v17, s0
	flat_load_b64 v[16:17], v[16:17]
.LBB303_34:
	s_or_b32 exec_lo, exec_lo, s4
.LBB303_35:
	s_delay_alu instid0(SALU_CYCLE_1)
	s_or_b32 exec_lo, exec_lo, s3
.LBB303_36:
	s_delay_alu instid0(SALU_CYCLE_1)
	s_or_b32 exec_lo, exec_lo, s2
.LBB303_37:
	s_delay_alu instid0(SALU_CYCLE_1) | instskip(NEXT) | instid1(SALU_CYCLE_1)
	s_or_b32 exec_lo, exec_lo, s1
	s_mov_b32 s1, exec_lo
	v_cmpx_gt_i32_e64 s6, v2
	s_cbranch_execz .LBB303_45
; %bb.38:
	v_mad_u64_u32 v[19:20], null, v63, s24, 0
	v_mad_u64_u32 v[21:22], null, v18, s24, 0
	v_ashrrev_i32_e32 v3, 31, v2
	v_or_b32_e32 v31, 2, v63
	v_or_b32_e32 v32, 3, v63
	v_cndmask_b32_e32 v19, 0, v19, vcc_lo
	s_delay_alu instid0(VALU_DEP_4)
	v_lshlrev_b64 v[26:27], 3, v[2:3]
	v_mad_u64_u32 v[23:24], null, v63, s25, v[20:21]
	v_mov_b32_e32 v3, v22
	v_mad_u64_u32 v[24:25], null, v31, s24, 0
	v_mad_u64_u32 v[28:29], null, v32, s24, 0
	v_cmp_gt_i32_e64 s0, s7, v31
	v_cndmask_b32_e32 v20, 0, v23, vcc_lo
	v_mad_u64_u32 v[22:23], null, v18, s25, v[3:4]
	v_cmp_gt_i32_e32 vcc_lo, s7, v18
	v_mov_b32_e32 v3, v25
	v_dual_mov_b32 v23, v29 :: v_dual_cndmask_b32 v18, 0, v21
	v_lshlrev_b64 v[20:21], 3, v[19:20]
	v_cndmask_b32_e32 v19, 0, v22, vcc_lo
	s_delay_alu instid0(VALU_DEP_4) | instskip(NEXT) | instid1(VALU_DEP_3)
	v_mad_u64_u32 v[29:30], null, v31, s25, v[3:4]
	v_add_co_u32 v3, vcc_lo, s26, v20
	s_delay_alu instid0(VALU_DEP_4) | instskip(NEXT) | instid1(VALU_DEP_4)
	v_add_co_ci_u32_e32 v22, vcc_lo, s27, v21, vcc_lo
	v_lshlrev_b64 v[20:21], 3, v[18:19]
	s_delay_alu instid0(VALU_DEP_3) | instskip(NEXT) | instid1(VALU_DEP_3)
	v_add_co_u32 v18, vcc_lo, v3, v26
	v_add_co_ci_u32_e32 v19, vcc_lo, v22, v27, vcc_lo
	v_cndmask_b32_e64 v22, 0, v24, s0
	s_delay_alu instid0(VALU_DEP_4)
	v_add_co_u32 v3, vcc_lo, s26, v20
	v_mad_u64_u32 v[24:25], null, v32, s25, v[23:24]
	v_add_co_ci_u32_e32 v21, vcc_lo, s27, v21, vcc_lo
	v_cmp_gt_i32_e32 vcc_lo, s7, v32
	v_cndmask_b32_e64 v23, 0, v29, s0
	v_add_co_u32 v20, s0, v3, v26
	s_delay_alu instid0(VALU_DEP_1)
	v_add_co_ci_u32_e64 v21, s0, v21, v27, s0
	v_cndmask_b32_e32 v28, 0, v28, vcc_lo
	v_cndmask_b32_e32 v29, 0, v24, vcc_lo
	v_lshlrev_b64 v[22:23], 3, v[22:23]
	s_clause 0x1
	flat_load_b64 v[30:31], v[18:19]
	flat_load_b64 v[32:33], v[20:21]
	s_mov_b32 s0, exec_lo
	v_lshlrev_b64 v[24:25], 3, v[28:29]
	v_add_co_u32 v3, vcc_lo, s26, v22
	v_add_co_ci_u32_e32 v22, vcc_lo, s27, v23, vcc_lo
	s_delay_alu instid0(VALU_DEP_3) | instskip(NEXT) | instid1(VALU_DEP_4)
	v_add_co_u32 v23, vcc_lo, s26, v24
	v_add_co_ci_u32_e32 v28, vcc_lo, s27, v25, vcc_lo
	s_delay_alu instid0(VALU_DEP_4) | instskip(NEXT) | instid1(VALU_DEP_4)
	v_add_co_u32 v24, vcc_lo, v3, v26
	v_add_co_ci_u32_e32 v25, vcc_lo, v22, v27, vcc_lo
	s_delay_alu instid0(VALU_DEP_4) | instskip(NEXT) | instid1(VALU_DEP_4)
	v_add_co_u32 v22, vcc_lo, v23, v26
	v_add_co_ci_u32_e32 v23, vcc_lo, v28, v27, vcc_lo
	s_clause 0x1
	flat_load_b64 v[26:27], v[24:25]
	flat_load_b64 v[28:29], v[22:23]
	s_waitcnt vmcnt(2) lgkmcnt(2)
	v_dual_mul_f32 v3, v11, v31 :: v_dual_mul_f32 v34, v13, v33
	v_mul_f32_e32 v33, v12, v33
	s_delay_alu instid0(VALU_DEP_2) | instskip(NEXT) | instid1(VALU_DEP_1)
	v_fma_f32 v3, v10, v30, -v3
	v_dual_fmac_f32 v33, v13, v32 :: v_dual_add_f32 v8, v8, v3
	v_mul_f32_e32 v31, v10, v31
	s_delay_alu instid0(VALU_DEP_1) | instskip(SKIP_1) | instid1(VALU_DEP_2)
	v_fmac_f32_e32 v31, v11, v30
	v_fma_f32 v30, v12, v32, -v34
	v_add_f32_e32 v9, v9, v31
	s_waitcnt vmcnt(1) lgkmcnt(1)
	v_dual_mul_f32 v32, v15, v27 :: v_dual_add_nc_u32 v31, 64, v2
	s_waitcnt vmcnt(0) lgkmcnt(0)
	v_dual_mul_f32 v27, v14, v27 :: v_dual_mul_f32 v34, v17, v29
	v_mul_f32_e32 v3, v16, v29
	s_delay_alu instid0(VALU_DEP_3) | instskip(NEXT) | instid1(VALU_DEP_3)
	v_fma_f32 v29, v14, v26, -v32
	v_fmac_f32_e32 v27, v15, v26
	v_add_f32_e32 v26, v8, v30
	v_add_f32_e32 v30, v9, v33
	v_fma_f32 v8, v16, v28, -v34
	v_fmac_f32_e32 v3, v17, v28
	s_delay_alu instid0(VALU_DEP_4) | instskip(NEXT) | instid1(VALU_DEP_4)
	v_add_f32_e32 v9, v26, v29
	v_add_f32_e32 v26, v30, v27
	v_cmpx_gt_i32_e64 s6, v31
	s_cbranch_execz .LBB303_44
; %bb.39:
	s_clause 0x3
	flat_load_b64 v[27:28], v[18:19] offset:512
	flat_load_b64 v[29:30], v[20:21] offset:512
	;; [unrolled: 1-line block ×4, first 2 shown]
	s_mov_b32 s2, exec_lo
	s_waitcnt vmcnt(2) lgkmcnt(2)
	v_dual_mul_f32 v35, v11, v28 :: v_dual_mul_f32 v36, v13, v30
	v_mul_f32_e32 v28, v10, v28
	s_waitcnt vmcnt(1) lgkmcnt(1)
	v_dual_mul_f32 v30, v12, v30 :: v_dual_mul_f32 v37, v15, v32
	s_delay_alu instid0(VALU_DEP_3) | instskip(SKIP_2) | instid1(VALU_DEP_4)
	v_fma_f32 v35, v10, v27, -v35
	v_fma_f32 v36, v12, v29, -v36
	v_mul_f32_e32 v32, v14, v32
	v_fmac_f32_e32 v30, v13, v29
	v_fma_f32 v29, v14, v31, -v37
	v_add_f32_e32 v6, v6, v35
	s_waitcnt vmcnt(0) lgkmcnt(0)
	v_dual_fmac_f32 v28, v11, v27 :: v_dual_mul_f32 v27, v17, v34
	s_delay_alu instid0(VALU_DEP_1) | instskip(NEXT) | instid1(VALU_DEP_1)
	v_dual_add_f32 v28, v7, v28 :: v_dual_mul_f32 v7, v16, v34
	v_dual_fmac_f32 v32, v15, v31 :: v_dual_fmac_f32 v7, v17, v33
	s_delay_alu instid0(VALU_DEP_2) | instskip(SKIP_2) | instid1(VALU_DEP_3)
	v_dual_add_f32 v31, v6, v36 :: v_dual_add_f32 v28, v28, v30
	v_add_nc_u32_e32 v30, 0x80, v2
	v_fma_f32 v6, v16, v33, -v27
	v_dual_add_f32 v27, v31, v29 :: v_dual_add_f32 v28, v28, v32
	s_delay_alu instid0(VALU_DEP_3)
	v_cmpx_gt_i32_e64 s6, v30
	s_cbranch_execz .LBB303_43
; %bb.40:
	s_clause 0x3
	flat_load_b64 v[29:30], v[18:19] offset:1024
	flat_load_b64 v[31:32], v[20:21] offset:1024
	;; [unrolled: 1-line block ×4, first 2 shown]
	s_mov_b32 s3, exec_lo
	s_waitcnt vmcnt(2) lgkmcnt(2)
	v_dual_mul_f32 v37, v11, v30 :: v_dual_mul_f32 v38, v13, v32
	v_mul_f32_e32 v30, v10, v30
	s_waitcnt vmcnt(1) lgkmcnt(1)
	v_dual_mul_f32 v32, v12, v32 :: v_dual_mul_f32 v39, v15, v34
	v_mul_f32_e32 v34, v14, v34
	v_fma_f32 v37, v10, v29, -v37
	v_fmac_f32_e32 v30, v11, v29
	v_fma_f32 v38, v12, v31, -v38
	s_waitcnt vmcnt(0) lgkmcnt(0)
	s_delay_alu instid0(VALU_DEP_3) | instskip(NEXT) | instid1(VALU_DEP_3)
	v_dual_mul_f32 v29, v17, v36 :: v_dual_add_f32 v4, v4, v37
	v_dual_add_f32 v30, v5, v30 :: v_dual_mul_f32 v5, v16, v36
	v_fmac_f32_e32 v34, v15, v33
	v_fmac_f32_e32 v32, v13, v31
	v_fma_f32 v31, v14, v33, -v39
	s_delay_alu instid0(VALU_DEP_4) | instskip(NEXT) | instid1(VALU_DEP_3)
	v_dual_add_f32 v4, v4, v38 :: v_dual_fmac_f32 v5, v17, v35
	v_add_f32_e32 v30, v30, v32
	v_add_nc_u32_e32 v32, 0xc0, v2
	v_fma_f32 v2, v16, v35, -v29
	s_delay_alu instid0(VALU_DEP_3) | instskip(NEXT) | instid1(VALU_DEP_3)
	v_dual_add_f32 v4, v4, v31 :: v_dual_add_f32 v29, v30, v34
	v_cmpx_gt_i32_e64 s6, v32
	s_cbranch_execz .LBB303_42
; %bb.41:
	s_clause 0x3
	flat_load_b64 v[18:19], v[18:19] offset:1536
	flat_load_b64 v[20:21], v[20:21] offset:1536
	;; [unrolled: 1-line block ×4, first 2 shown]
	s_waitcnt vmcnt(2) lgkmcnt(2)
	v_dual_mul_f32 v30, v11, v19 :: v_dual_mul_f32 v31, v13, v21
	s_waitcnt vmcnt(1) lgkmcnt(1)
	v_dual_mul_f32 v19, v10, v19 :: v_dual_mul_f32 v32, v15, v25
	s_delay_alu instid0(VALU_DEP_2) | instskip(SKIP_1) | instid1(VALU_DEP_3)
	v_fma_f32 v10, v10, v18, -v30
	v_mul_f32_e32 v25, v14, v25
	v_fmac_f32_e32 v19, v11, v18
	s_delay_alu instid0(VALU_DEP_3)
	v_add_f32_e32 v0, v0, v10
	s_waitcnt vmcnt(0) lgkmcnt(0)
	v_mul_f32_e32 v10, v16, v23
	v_mul_f32_e32 v21, v12, v21
	v_fma_f32 v12, v12, v20, -v31
	v_mul_f32_e32 v11, v17, v23
	v_add_f32_e32 v1, v1, v19
	v_fmac_f32_e32 v10, v17, v22
	s_delay_alu instid0(VALU_DEP_4) | instskip(SKIP_3) | instid1(VALU_DEP_2)
	v_add_f32_e32 v0, v0, v12
	v_fmac_f32_e32 v21, v13, v20
	v_fma_f32 v13, v14, v24, -v32
	v_fma_f32 v11, v16, v22, -v11
	v_dual_add_f32 v0, v0, v13 :: v_dual_fmac_f32 v25, v15, v24
	s_delay_alu instid0(VALU_DEP_1) | instskip(NEXT) | instid1(VALU_DEP_1)
	v_dual_add_f32 v1, v1, v21 :: v_dual_add_f32 v0, v0, v11
	v_add_f32_e32 v1, v1, v25
	s_delay_alu instid0(VALU_DEP_1)
	v_add_f32_e32 v1, v1, v10
.LBB303_42:
	s_or_b32 exec_lo, exec_lo, s3
	s_delay_alu instid0(VALU_DEP_2)
	v_dual_add_f32 v4, v4, v2 :: v_dual_add_f32 v5, v29, v5
.LBB303_43:
	s_or_b32 exec_lo, exec_lo, s2
	s_delay_alu instid0(VALU_DEP_2)
	v_dual_add_f32 v6, v27, v6 :: v_dual_add_f32 v7, v28, v7
.LBB303_44:
	s_or_b32 exec_lo, exec_lo, s0
	s_delay_alu instid0(VALU_DEP_2)
	v_dual_add_f32 v8, v9, v8 :: v_dual_add_f32 v9, v26, v3
.LBB303_45:
	s_or_b32 exec_lo, exec_lo, s1
.LBB303_46:
	v_lshlrev_b32_e32 v2, 8, v62
	s_mov_b32 s0, exec_lo
	s_delay_alu instid0(VALU_DEP_1)
	v_add_lshl_u32 v2, v2, v61, 3
	ds_store_2addr_stride64_b64 v2, v[8:9], v[6:7] offset1:1
	ds_store_2addr_stride64_b64 v2, v[4:5], v[0:1] offset0:2 offset1:3
	s_waitcnt vmcnt(0) lgkmcnt(0)
	s_waitcnt_vscnt null, 0x0
	s_barrier
	buffer_gl0_inv
	v_cmpx_gt_u32_e32 0x100, v60
	s_cbranch_execz .LBB303_51
; %bb.47:
	v_lshlrev_b32_e32 v12, 3, v60
	ds_load_2addr_stride64_b64 v[0:3], v12 offset1:4
	ds_load_2addr_stride64_b64 v[4:7], v12 offset0:8 offset1:12
	ds_load_2addr_stride64_b64 v[8:11], v12 offset0:16 offset1:20
	s_waitcnt lgkmcnt(2)
	v_add_f32_e32 v13, v0, v2
	s_waitcnt lgkmcnt(1)
	s_delay_alu instid0(VALU_DEP_1) | instskip(SKIP_4) | instid1(VALU_DEP_1)
	v_add_f32_e32 v4, v13, v4
	v_add_f32_e32 v14, v1, v3
	ds_load_2addr_stride64_b64 v[0:3], v12 offset0:24 offset1:28
	v_add_f32_e32 v13, v4, v6
	s_waitcnt lgkmcnt(1)
	v_dual_add_f32 v5, v14, v5 :: v_dual_add_f32 v8, v13, v8
	s_delay_alu instid0(VALU_DEP_1) | instskip(SKIP_3) | instid1(VALU_DEP_1)
	v_add_f32_e32 v14, v5, v7
	ds_load_2addr_stride64_b64 v[4:7], v12 offset0:32 offset1:36
	v_add_f32_e32 v13, v8, v10
	s_waitcnt lgkmcnt(1)
	v_dual_add_f32 v9, v14, v9 :: v_dual_add_f32 v0, v13, v0
	s_delay_alu instid0(VALU_DEP_1) | instskip(SKIP_3) | instid1(VALU_DEP_1)
	;; [unrolled: 6-line block ×3, first 2 shown]
	v_add_f32_e32 v14, v1, v3
	ds_load_2addr_stride64_b64 v[0:3], v12 offset0:48 offset1:52
	v_add_f32_e32 v13, v4, v6
	v_add_f32_e32 v5, v14, v5
	;; [unrolled: 1-line block ×3, first 2 shown]
	ds_load_2addr_stride64_b64 v[4:7], v12 offset0:56 offset1:60
	s_waitcnt lgkmcnt(2)
	v_dual_add_f32 v8, v13, v8 :: v_dual_add_f32 v9, v14, v9
	s_delay_alu instid0(VALU_DEP_1) | instskip(SKIP_1) | instid1(VALU_DEP_1)
	v_dual_add_f32 v8, v8, v10 :: v_dual_add_f32 v9, v9, v11
	s_waitcnt lgkmcnt(1)
	v_dual_add_f32 v0, v8, v0 :: v_dual_add_f32 v1, v9, v1
	s_delay_alu instid0(VALU_DEP_1) | instskip(SKIP_1) | instid1(VALU_DEP_1)
	v_dual_add_f32 v0, v0, v2 :: v_dual_add_f32 v1, v1, v3
	s_waitcnt lgkmcnt(0)
	v_add_f32_e32 v2, v0, v4
	v_or_b32_e32 v0, s23, v60
	s_delay_alu instid0(VALU_DEP_2) | instskip(NEXT) | instid1(VALU_DEP_2)
	v_dual_add_f32 v1, v1, v5 :: v_dual_add_f32 v2, v2, v6
	v_cmp_gt_i32_e32 vcc_lo, s6, v0
	s_delay_alu instid0(VALU_DEP_2)
	v_add_f32_e32 v3, v1, v7
	ds_store_b64 v12, v[2:3]
	s_and_b32 exec_lo, exec_lo, vcc_lo
	s_cbranch_execz .LBB303_51
; %bb.48:
	v_ashrrev_i32_e32 v1, 31, v0
	v_mul_lo_u32 v6, v0, s19
	v_mad_u64_u32 v[4:5], null, v0, s18, 0
	v_cmp_neq_f32_e64 s0, s12, 0
	s_delay_alu instid0(VALU_DEP_4) | instskip(SKIP_1) | instid1(VALU_DEP_1)
	v_mul_lo_u32 v1, v1, s18
	v_cmp_neq_f32_e64 s1, s13, 0
	s_or_b32 s0, s0, s1
	s_delay_alu instid0(SALU_CYCLE_1) | instskip(NEXT) | instid1(VALU_DEP_2)
	s_and_not1_b32 vcc_lo, exec_lo, s0
	v_add3_u32 v5, v5, v6, v1
	v_mul_f32_e32 v1, s16, v3
	v_mul_f32_e32 v0, s17, v3
	s_delay_alu instid0(VALU_DEP_3) | instskip(NEXT) | instid1(VALU_DEP_3)
	v_lshlrev_b64 v[3:4], 3, v[4:5]
	v_fmac_f32_e32 v1, s17, v2
	s_delay_alu instid0(VALU_DEP_3)
	v_fma_f32 v0, v2, s16, -v0
	s_cbranch_vccnz .LBB303_50
; %bb.49:
	s_delay_alu instid0(VALU_DEP_3) | instskip(NEXT) | instid1(VALU_DEP_4)
	v_add_co_u32 v5, vcc_lo, s5, v3
	v_add_co_ci_u32_e32 v6, vcc_lo, s22, v4, vcc_lo
	global_load_b64 v[5:6], v[5:6], off
	s_waitcnt vmcnt(0)
	v_mul_f32_e32 v2, s13, v6
	v_mul_f32_e32 v6, s12, v6
	s_delay_alu instid0(VALU_DEP_2) | instskip(NEXT) | instid1(VALU_DEP_2)
	v_fma_f32 v2, s12, v5, -v2
	v_fmac_f32_e32 v6, s13, v5
	s_delay_alu instid0(VALU_DEP_2) | instskip(NEXT) | instid1(VALU_DEP_2)
	v_add_f32_e32 v0, v0, v2
	v_add_f32_e32 v1, v1, v6
.LBB303_50:
	s_delay_alu instid0(VALU_DEP_3) | instskip(NEXT) | instid1(VALU_DEP_4)
	v_add_co_u32 v2, vcc_lo, s5, v3
	v_add_co_ci_u32_e32 v3, vcc_lo, s22, v4, vcc_lo
	global_store_b64 v[2:3], v[0:1], off
.LBB303_51:
	s_nop 0
	s_sendmsg sendmsg(MSG_DEALLOC_VGPRS)
	s_endpgm
	.section	.rodata,"a",@progbits
	.p2align	6, 0x0
	.amdhsa_kernel _ZL20rocblas_gemvn_kernelILi64ELi16ElPK19rocblas_complex_numIfES3_KPS1_EviiT3_lPKT2_lT1_lS9_lSA_lS6_lPT4_lSA_li
		.amdhsa_group_segment_fixed_size 32768
		.amdhsa_private_segment_fixed_size 0
		.amdhsa_kernarg_size 400
		.amdhsa_user_sgpr_count 14
		.amdhsa_user_sgpr_dispatch_ptr 0
		.amdhsa_user_sgpr_queue_ptr 0
		.amdhsa_user_sgpr_kernarg_segment_ptr 1
		.amdhsa_user_sgpr_dispatch_id 0
		.amdhsa_user_sgpr_private_segment_size 0
		.amdhsa_wavefront_size32 1
		.amdhsa_uses_dynamic_stack 0
		.amdhsa_enable_private_segment 0
		.amdhsa_system_sgpr_workgroup_id_x 1
		.amdhsa_system_sgpr_workgroup_id_y 0
		.amdhsa_system_sgpr_workgroup_id_z 1
		.amdhsa_system_sgpr_workgroup_info 0
		.amdhsa_system_vgpr_workitem_id 1
		.amdhsa_next_free_vgpr 68
		.amdhsa_next_free_sgpr 36
		.amdhsa_reserve_vcc 1
		.amdhsa_float_round_mode_32 0
		.amdhsa_float_round_mode_16_64 0
		.amdhsa_float_denorm_mode_32 3
		.amdhsa_float_denorm_mode_16_64 3
		.amdhsa_dx10_clamp 1
		.amdhsa_ieee_mode 1
		.amdhsa_fp16_overflow 0
		.amdhsa_workgroup_processor_mode 1
		.amdhsa_memory_ordered 1
		.amdhsa_forward_progress 0
		.amdhsa_shared_vgpr_count 0
		.amdhsa_exception_fp_ieee_invalid_op 0
		.amdhsa_exception_fp_denorm_src 0
		.amdhsa_exception_fp_ieee_div_zero 0
		.amdhsa_exception_fp_ieee_overflow 0
		.amdhsa_exception_fp_ieee_underflow 0
		.amdhsa_exception_fp_ieee_inexact 0
		.amdhsa_exception_int_div_zero 0
	.end_amdhsa_kernel
	.section	.text._ZL20rocblas_gemvn_kernelILi64ELi16ElPK19rocblas_complex_numIfES3_KPS1_EviiT3_lPKT2_lT1_lS9_lSA_lS6_lPT4_lSA_li,"axG",@progbits,_ZL20rocblas_gemvn_kernelILi64ELi16ElPK19rocblas_complex_numIfES3_KPS1_EviiT3_lPKT2_lT1_lS9_lSA_lS6_lPT4_lSA_li,comdat
.Lfunc_end303:
	.size	_ZL20rocblas_gemvn_kernelILi64ELi16ElPK19rocblas_complex_numIfES3_KPS1_EviiT3_lPKT2_lT1_lS9_lSA_lS6_lPT4_lSA_li, .Lfunc_end303-_ZL20rocblas_gemvn_kernelILi64ELi16ElPK19rocblas_complex_numIfES3_KPS1_EviiT3_lPKT2_lT1_lS9_lSA_lS6_lPT4_lSA_li
                                        ; -- End function
	.section	.AMDGPU.csdata,"",@progbits
; Kernel info:
; codeLenInByte = 4292
; NumSgprs: 38
; NumVgprs: 68
; ScratchSize: 0
; MemoryBound: 0
; FloatMode: 240
; IeeeMode: 1
; LDSByteSize: 32768 bytes/workgroup (compile time only)
; SGPRBlocks: 4
; VGPRBlocks: 8
; NumSGPRsForWavesPerEU: 38
; NumVGPRsForWavesPerEU: 68
; Occupancy: 16
; WaveLimiterHint : 1
; COMPUTE_PGM_RSRC2:SCRATCH_EN: 0
; COMPUTE_PGM_RSRC2:USER_SGPR: 14
; COMPUTE_PGM_RSRC2:TRAP_HANDLER: 0
; COMPUTE_PGM_RSRC2:TGID_X_EN: 1
; COMPUTE_PGM_RSRC2:TGID_Y_EN: 0
; COMPUTE_PGM_RSRC2:TGID_Z_EN: 1
; COMPUTE_PGM_RSRC2:TIDIG_COMP_CNT: 1
	.section	.text._ZL20rocblas_gemvn_kernelILi64ELi16EiPK19rocblas_complex_numIfES1_KPS1_EviiT3_lPKT2_lT1_lS9_lSA_lS6_lPT4_lSA_li,"axG",@progbits,_ZL20rocblas_gemvn_kernelILi64ELi16EiPK19rocblas_complex_numIfES1_KPS1_EviiT3_lPKT2_lT1_lS9_lSA_lS6_lPT4_lSA_li,comdat
	.globl	_ZL20rocblas_gemvn_kernelILi64ELi16EiPK19rocblas_complex_numIfES1_KPS1_EviiT3_lPKT2_lT1_lS9_lSA_lS6_lPT4_lSA_li ; -- Begin function _ZL20rocblas_gemvn_kernelILi64ELi16EiPK19rocblas_complex_numIfES1_KPS1_EviiT3_lPKT2_lT1_lS9_lSA_lS6_lPT4_lSA_li
	.p2align	8
	.type	_ZL20rocblas_gemvn_kernelILi64ELi16EiPK19rocblas_complex_numIfES1_KPS1_EviiT3_lPKT2_lT1_lS9_lSA_lS6_lPT4_lSA_li,@function
_ZL20rocblas_gemvn_kernelILi64ELi16EiPK19rocblas_complex_numIfES1_KPS1_EviiT3_lPKT2_lT1_lS9_lSA_lS6_lPT4_lSA_li: ; @_ZL20rocblas_gemvn_kernelILi64ELi16EiPK19rocblas_complex_numIfES1_KPS1_EviiT3_lPKT2_lT1_lS9_lSA_lS6_lPT4_lSA_li
; %bb.0:
	s_load_b64 s[4:5], s[0:1], 0x9c
	s_waitcnt lgkmcnt(0)
	s_lshr_b32 s3, s4, 16
	s_and_b32 s4, s4, 0xffff
	s_and_b32 s5, s5, 0xffff
	s_mul_i32 s3, s3, s4
	s_delay_alu instid0(SALU_CYCLE_1) | instskip(NEXT) | instid1(SALU_CYCLE_1)
	s_mul_i32 s3, s3, s5
	s_cmpk_lg_i32 s3, 0x400
	s_cbranch_scc1 .LBB304_53
; %bb.1:
	s_clause 0x1
	s_load_b128 s[4:7], s[0:1], 0x0
	s_load_b64 s[8:9], s[0:1], 0x58
	s_mov_b32 s2, s15
	s_waitcnt lgkmcnt(0)
	v_cmp_neq_f32_e64 s3, s6, 0
	v_cmp_neq_f32_e64 s10, s7, 0
	s_delay_alu instid0(VALU_DEP_1) | instskip(NEXT) | instid1(SALU_CYCLE_1)
	s_or_b32 s3, s3, s10
	s_and_b32 vcc_lo, exec_lo, s3
	s_mov_b32 s3, -1
	s_cbranch_vccnz .LBB304_3
; %bb.2:
	v_cmp_neq_f32_e64 s3, s8, 1.0
	v_cmp_neq_f32_e64 s10, s9, 0
	s_delay_alu instid0(VALU_DEP_1)
	s_or_b32 s3, s3, s10
.LBB304_3:
	s_delay_alu instid0(SALU_CYCLE_1)
	s_and_not1_b32 vcc_lo, exec_lo, s3
	s_cbranch_vccnz .LBB304_53
; %bb.4:
	s_or_b32 s3, s6, s7
	s_delay_alu instid0(SALU_CYCLE_1) | instskip(NEXT) | instid1(SALU_CYCLE_1)
	s_bitset0_b32 s3, 31
	s_cmp_lg_u32 s3, 0
	s_cselect_b32 s12, -1, 0
	s_cmp_eq_u32 s3, 0
	s_mov_b32 s3, 0
	s_cselect_b32 s16, -1, 0
	s_and_b32 vcc_lo, exec_lo, s12
	s_cbranch_vccnz .LBB304_6
; %bb.5:
	s_mov_b64 s[10:11], 0
	s_and_not1_b32 vcc_lo, exec_lo, s3
	s_cbranch_vccz .LBB304_7
	s_branch .LBB304_8
.LBB304_6:
	s_mov_b32 s3, -1
                                        ; implicit-def: $sgpr10_sgpr11
.LBB304_7:
	s_load_b128 s[20:23], s[0:1], 0x18
	s_mov_b32 s3, 0
	s_delay_alu instid0(SALU_CYCLE_1)
	s_lshl_b64 s[10:11], s[2:3], 3
	s_waitcnt lgkmcnt(0)
	s_add_u32 s10, s20, s10
	s_addc_u32 s11, s21, s11
	s_lshl_b64 s[18:19], s[22:23], 3
	s_load_b64 s[10:11], s[10:11], 0x0
	s_waitcnt lgkmcnt(0)
	s_add_u32 s10, s10, s18
	s_addc_u32 s11, s11, s19
.LBB304_8:
	s_and_not1_b32 vcc_lo, exec_lo, s12
	s_mov_b64 s[12:13], 0
	s_cbranch_vccnz .LBB304_10
; %bb.9:
	s_load_b128 s[20:23], s[0:1], 0x38
	s_lshl_b64 s[12:13], s[2:3], 3
	s_waitcnt lgkmcnt(0)
	s_add_u32 s12, s20, s12
	s_addc_u32 s13, s21, s13
	s_lshl_b64 s[18:19], s[22:23], 3
	s_load_b64 s[12:13], s[12:13], 0x0
	s_waitcnt lgkmcnt(0)
	s_add_u32 s12, s12, s18
	s_addc_u32 s13, s13, s19
.LBB304_10:
	s_clause 0x1
	s_load_b128 s[20:23], s[0:1], 0x68
	s_load_b32 s18, s[0:1], 0x78
	s_lshl_b64 s[2:3], s[2:3], 3
	v_and_b32_e32 v1, 0x3ff, v0
	v_bfe_u32 v53, v0, 10, 10
	s_delay_alu instid0(VALU_DEP_1)
	v_lshl_add_u32 v0, v53, 6, v1
	s_waitcnt lgkmcnt(0)
	s_add_u32 s2, s20, s2
	s_addc_u32 s3, s21, s3
	s_lshl_b64 s[22:23], s[22:23], 3
	s_load_b64 s[20:21], s[2:3], 0x0
	v_cmp_gt_u32_e64 s2, 0x100, v0
	s_mov_b32 s3, -1
	s_waitcnt lgkmcnt(0)
	s_add_u32 s15, s20, s22
	s_addc_u32 s17, s21, s23
	s_and_not1_b32 vcc_lo, exec_lo, s16
	s_cbranch_vccnz .LBB304_17
; %bb.11:
	s_and_saveexec_b32 s3, s2
	s_cbranch_execz .LBB304_16
; %bb.12:
	v_lshl_or_b32 v2, s14, 8, v0
	v_mov_b32_e32 v3, 0
	s_ashr_i32 s21, s4, 31
	s_mov_b32 s20, s4
	s_delay_alu instid0(VALU_DEP_1) | instid1(SALU_CYCLE_1)
	v_cmp_gt_i64_e32 vcc_lo, s[20:21], v[2:3]
	s_and_b32 exec_lo, exec_lo, vcc_lo
	s_cbranch_execz .LBB304_16
; %bb.13:
	v_mad_u64_u32 v[4:5], null, s18, v2, 0
	s_ashr_i32 s19, s18, 31
	v_cmp_neq_f32_e64 s2, s8, 0
	v_cmp_neq_f32_e64 s16, s9, 0
	s_delay_alu instid0(VALU_DEP_3) | instskip(NEXT) | instid1(VALU_DEP_2)
	v_mad_u64_u32 v[6:7], null, s19, v2, v[5:6]
	s_or_b32 s2, s2, s16
	s_delay_alu instid0(SALU_CYCLE_1) | instskip(NEXT) | instid1(VALU_DEP_1)
	s_and_not1_b32 vcc_lo, exec_lo, s2
	v_dual_mov_b32 v5, v6 :: v_dual_mov_b32 v6, v3
	s_delay_alu instid0(VALU_DEP_1)
	v_lshlrev_b64 v[4:5], 3, v[4:5]
	s_cbranch_vccnz .LBB304_15
; %bb.14:
	s_delay_alu instid0(VALU_DEP_1) | instskip(NEXT) | instid1(VALU_DEP_2)
	v_add_co_u32 v2, vcc_lo, s15, v4
	v_add_co_ci_u32_e32 v3, vcc_lo, s17, v5, vcc_lo
	global_load_b64 v[2:3], v[2:3], off
	s_waitcnt vmcnt(0)
	v_mul_f32_e32 v6, s8, v3
	s_delay_alu instid0(VALU_DEP_1) | instskip(NEXT) | instid1(VALU_DEP_1)
	v_dual_mul_f32 v7, s9, v3 :: v_dual_fmac_f32 v6, s9, v2
	v_fma_f32 v3, s8, v2, -v7
.LBB304_15:
	s_delay_alu instid0(VALU_DEP_1) | instskip(NEXT) | instid1(VALU_DEP_2)
	v_add_co_u32 v7, vcc_lo, s15, v4
	v_add_co_ci_u32_e32 v8, vcc_lo, s17, v5, vcc_lo
	s_delay_alu instid0(VALU_DEP_3)
	v_mov_b32_e32 v5, v3
	global_store_b64 v[7:8], v[5:6], off
.LBB304_16:
	s_or_b32 exec_lo, exec_lo, s3
	s_mov_b32 s3, 0
.LBB304_17:
	s_delay_alu instid0(SALU_CYCLE_1)
	s_and_not1_b32 vcc_lo, exec_lo, s3
	s_cbranch_vccnz .LBB304_53
; %bb.18:
	s_clause 0x1
	s_load_b32 s19, s[0:1], 0x28
	s_load_b32 s16, s[0:1], 0x48
	s_ashr_i32 s2, s5, 31
	s_lshl_b32 s14, s14, 8
	s_lshr_b32 s0, s2, 26
	v_dual_mov_b32 v2, 0 :: v_dual_lshlrev_b32 v55, 2, v53
	v_dual_mov_b32 v3, 0 :: v_dual_add_nc_u32 v54, s14, v1
	v_dual_mov_b32 v5, 0 :: v_dual_mov_b32 v4, 0
	v_dual_mov_b32 v7, 0 :: v_dual_mov_b32 v6, 0
	;; [unrolled: 1-line block ×3, first 2 shown]
	s_add_i32 s20, s5, s0
	s_mov_b32 s21, exec_lo
	s_and_not1_b32 s20, s20, 63
	s_delay_alu instid0(SALU_CYCLE_1)
	v_cmpx_gt_i32_e64 s20, v55
	s_cbranch_execz .LBB304_30
; %bb.19:
	s_waitcnt lgkmcnt(0)
	v_mul_lo_u32 v3, s19, v55
	v_add_nc_u32_e32 v2, 64, v54
	v_cmp_gt_i32_e32 vcc_lo, s4, v54
	s_lshl_b32 s22, s19, 6
	s_lshl_b32 s24, s16, 6
	s_mov_b32 s23, 0
	s_mov_b32 s25, 0
	s_delay_alu instid0(VALU_DEP_3) | instskip(SKIP_1) | instid1(VALU_DEP_1)
	v_add3_u32 v56, v3, s19, v1
	v_mul_lo_u32 v3, v53, s19
	v_lshl_add_u32 v57, v3, 2, v1
	v_mov_b32_e32 v3, 0
	v_add_nc_u32_e32 v5, 0xc0, v54
	v_add_nc_u32_e32 v4, 0x80, v54
	v_cmp_gt_i32_e64 s0, s4, v2
	s_delay_alu instid0(VALU_DEP_4) | instskip(NEXT) | instid1(VALU_DEP_4)
	v_dual_mov_b32 v7, v3 :: v_dual_add_nc_u32 v2, 2, v55
	v_cmp_gt_i32_e64 s2, s4, v5
	v_mul_lo_u32 v5, v53, s16
	v_mov_b32_e32 v6, v3
	s_delay_alu instid0(VALU_DEP_4)
	v_mad_u64_u32 v[10:11], null, s19, v2, v[1:2]
	v_mov_b32_e32 v9, v3
	v_mul_lo_u32 v58, s16, v2
	v_mov_b32_e32 v8, v3
	v_dual_mov_b32 v5, v3 :: v_dual_lshlrev_b32 v60, 2, v5
	v_cmp_gt_i32_e64 s1, s4, v4
	v_add_nc_u32_e32 v4, 3, v55
	s_delay_alu instid0(VALU_DEP_1)
	v_mad_u64_u32 v[11:12], null, s19, v4, v[1:2]
	v_mad_u64_u32 v[12:13], null, s16, v55, s[16:17]
	v_mul_lo_u32 v59, s16, v4
	v_mov_b32_e32 v2, v3
	v_mov_b32_e32 v4, v3
	s_branch .LBB304_24
.LBB304_20:                             ;   in Loop: Header=BB304_24 Depth=1
	s_or_b32 exec_lo, exec_lo, s28
	s_waitcnt vmcnt(3) lgkmcnt(3)
	v_mul_f32_e32 v45, v26, v44
	v_mul_f32_e32 v44, v25, v44
	s_waitcnt vmcnt(1) lgkmcnt(1)
	v_dual_mul_f32 v46, v22, v42 :: v_dual_mul_f32 v47, v16, v40
	v_mul_f32_e32 v42, v21, v42
	v_fma_f32 v45, v25, v43, -v45
	v_fmac_f32_e32 v44, v26, v43
	s_waitcnt vmcnt(0) lgkmcnt(0)
	v_mul_f32_e32 v43, v14, v38
	v_mul_f32_e32 v38, v13, v38
	v_fma_f32 v46, v21, v41, -v46
	v_dual_add_f32 v4, v4, v45 :: v_dual_add_f32 v5, v5, v44
	s_delay_alu instid0(VALU_DEP_3) | instskip(SKIP_4) | instid1(VALU_DEP_3)
	v_fmac_f32_e32 v38, v14, v37
	v_fmac_f32_e32 v42, v22, v41
	v_mul_f32_e32 v40, v15, v40
	v_fma_f32 v41, v15, v39, -v47
	v_add_f32_e32 v4, v4, v46
	v_dual_add_f32 v5, v5, v42 :: v_dual_fmac_f32 v40, v16, v39
	v_fma_f32 v39, v13, v37, -v43
	s_delay_alu instid0(VALU_DEP_2) | instskip(NEXT) | instid1(VALU_DEP_1)
	v_dual_add_f32 v4, v4, v41 :: v_dual_add_f32 v5, v5, v40
	v_dual_add_f32 v4, v4, v39 :: v_dual_add_f32 v5, v5, v38
.LBB304_21:                             ;   in Loop: Header=BB304_24 Depth=1
	s_or_b32 exec_lo, exec_lo, s27
	s_waitcnt vmcnt(3) lgkmcnt(3)
	v_mul_f32_e32 v37, v26, v36
	v_mul_f32_e32 v36, v25, v36
	s_waitcnt vmcnt(1) lgkmcnt(1)
	v_dual_mul_f32 v38, v22, v34 :: v_dual_mul_f32 v39, v16, v32
	v_mul_f32_e32 v34, v21, v34
	v_mul_f32_e32 v32, v15, v32
	v_fma_f32 v37, v25, v35, -v37
	s_delay_alu instid0(VALU_DEP_4) | instskip(NEXT) | instid1(VALU_DEP_3)
	v_fma_f32 v38, v21, v33, -v38
	v_fmac_f32_e32 v32, v16, v31
	v_fmac_f32_e32 v34, v22, v33
	;; [unrolled: 1-line block ×3, first 2 shown]
	v_add_f32_e32 v6, v6, v37
	s_waitcnt vmcnt(0) lgkmcnt(0)
	v_mul_f32_e32 v35, v14, v30
	v_mul_f32_e32 v30, v13, v30
	v_fma_f32 v33, v15, v31, -v39
	v_dual_add_f32 v7, v7, v36 :: v_dual_add_f32 v6, v6, v38
	s_delay_alu instid0(VALU_DEP_4) | instskip(NEXT) | instid1(VALU_DEP_2)
	v_fma_f32 v31, v13, v29, -v35
	v_dual_fmac_f32 v30, v14, v29 :: v_dual_add_f32 v7, v7, v34
	s_delay_alu instid0(VALU_DEP_1) | instskip(NEXT) | instid1(VALU_DEP_1)
	v_dual_add_f32 v6, v6, v33 :: v_dual_add_f32 v7, v7, v32
	v_dual_add_f32 v6, v6, v31 :: v_dual_add_f32 v7, v7, v30
.LBB304_22:                             ;   in Loop: Header=BB304_24 Depth=1
	s_or_b32 exec_lo, exec_lo, s3
	s_waitcnt vmcnt(3) lgkmcnt(3)
	v_mul_f32_e32 v29, v26, v28
	v_mul_f32_e32 v28, v25, v28
	s_waitcnt vmcnt(1) lgkmcnt(1)
	v_mul_f32_e32 v31, v16, v20
	v_mul_f32_e32 v20, v15, v20
	v_fma_f32 v25, v25, v27, -v29
	v_fmac_f32_e32 v28, v26, v27
	s_waitcnt vmcnt(0) lgkmcnt(0)
	v_mul_f32_e32 v26, v14, v18
	v_mul_f32_e32 v18, v13, v18
	v_fma_f32 v15, v15, v19, -v31
	v_dual_add_f32 v8, v8, v25 :: v_dual_add_f32 v9, v9, v28
	v_fmac_f32_e32 v20, v16, v19
	s_delay_alu instid0(VALU_DEP_4) | instskip(SKIP_3) | instid1(VALU_DEP_2)
	v_fmac_f32_e32 v18, v14, v17
	v_mul_f32_e32 v30, v22, v24
	v_mul_f32_e32 v24, v21, v24
	v_fma_f32 v13, v13, v17, -v26
	v_fmac_f32_e32 v24, v22, v23
	s_delay_alu instid0(VALU_DEP_1) | instskip(NEXT) | instid1(VALU_DEP_1)
	v_add_f32_e32 v9, v9, v24
	v_add_f32_e32 v9, v9, v20
	s_delay_alu instid0(VALU_DEP_1) | instskip(SKIP_1) | instid1(VALU_DEP_1)
	v_add_f32_e32 v9, v9, v18
	v_fma_f32 v21, v21, v23, -v30
	v_add_f32_e32 v8, v8, v21
	s_delay_alu instid0(VALU_DEP_1) | instskip(NEXT) | instid1(VALU_DEP_1)
	v_add_f32_e32 v8, v8, v15
	v_add_f32_e32 v8, v8, v13
.LBB304_23:                             ;   in Loop: Header=BB304_24 Depth=1
	s_or_b32 exec_lo, exec_lo, s26
	v_add_nc_u32_e32 v55, 64, v55
	v_add_nc_u32_e32 v56, s22, v56
	;; [unrolled: 1-line block ×5, first 2 shown]
	v_cmp_le_i32_e64 s3, s20, v55
	s_add_i32 s25, s25, s24
	s_delay_alu instid0(VALU_DEP_1) | instskip(NEXT) | instid1(SALU_CYCLE_1)
	s_or_b32 s23, s3, s23
	s_and_not1_b32 exec_lo, exec_lo, s23
	s_cbranch_execz .LBB304_29
.LBB304_24:                             ; =>This Inner Loop Header: Depth=1
	s_and_saveexec_b32 s26, vcc_lo
	s_cbranch_execz .LBB304_23
; %bb.25:                               ;   in Loop: Header=BB304_24 Depth=1
	v_add_nc_u32_e32 v13, s25, v60
	v_add_nc_u32_e32 v15, s25, v12
	;; [unrolled: 1-line block ×5, first 2 shown]
	v_ashrrev_i32_e32 v14, 31, v13
	v_ashrrev_i32_e32 v16, 31, v15
	;; [unrolled: 1-line block ×4, first 2 shown]
	v_add_nc_u32_e32 v23, s14, v56
	v_lshlrev_b64 v[13:14], 3, v[13:14]
	v_lshlrev_b64 v[15:16], 3, v[15:16]
	;; [unrolled: 1-line block ×3, first 2 shown]
	v_ashrrev_i32_e32 v22, 31, v21
	v_lshlrev_b64 v[19:20], 3, v[19:20]
	v_ashrrev_i32_e32 v24, 31, v23
	v_add_co_u32 v13, s3, s12, v13
	s_delay_alu instid0(VALU_DEP_1)
	v_add_co_ci_u32_e64 v14, s3, s13, v14, s3
	v_add_co_u32 v15, s3, s12, v15
	v_add_nc_u32_e32 v25, s14, v10
	v_add_co_ci_u32_e64 v16, s3, s13, v16, s3
	v_add_co_u32 v17, s3, s12, v17
	v_lshlrev_b64 v[21:22], 3, v[21:22]
	v_add_nc_u32_e32 v27, s14, v11
	v_add_co_ci_u32_e64 v18, s3, s13, v18, s3
	v_add_co_u32 v19, s3, s12, v19
	v_lshlrev_b64 v[23:24], 3, v[23:24]
	v_ashrrev_i32_e32 v26, 31, v25
	v_add_co_ci_u32_e64 v20, s3, s13, v20, s3
	v_add_co_u32 v51, s3, s10, v21
	v_ashrrev_i32_e32 v28, 31, v27
	v_add_co_ci_u32_e64 v52, s3, s11, v22, s3
	v_lshlrev_b64 v[21:22], 3, v[25:26]
	v_add_co_u32 v49, s3, s10, v23
	s_delay_alu instid0(VALU_DEP_1) | instskip(SKIP_1) | instid1(VALU_DEP_4)
	v_add_co_ci_u32_e64 v50, s3, s11, v24, s3
	v_lshlrev_b64 v[23:24], 3, v[27:28]
	v_add_co_u32 v47, s3, s10, v21
	s_delay_alu instid0(VALU_DEP_1) | instskip(NEXT) | instid1(VALU_DEP_3)
	v_add_co_ci_u32_e64 v48, s3, s11, v22, s3
	v_add_co_u32 v45, s3, s10, v23
	s_delay_alu instid0(VALU_DEP_1)
	v_add_co_ci_u32_e64 v46, s3, s11, v24, s3
	s_clause 0x3
	flat_load_b64 v[25:26], v[13:14]
	flat_load_b64 v[21:22], v[15:16]
	;; [unrolled: 1-line block ×4, first 2 shown]
	s_clause 0x3
	flat_load_b64 v[27:28], v[51:52]
	flat_load_b64 v[23:24], v[49:50]
	;; [unrolled: 1-line block ×4, first 2 shown]
	s_and_saveexec_b32 s3, s0
	s_cbranch_execz .LBB304_22
; %bb.26:                               ;   in Loop: Header=BB304_24 Depth=1
	s_clause 0x3
	flat_load_b64 v[35:36], v[51:52] offset:512
	flat_load_b64 v[33:34], v[49:50] offset:512
	flat_load_b64 v[31:32], v[47:48] offset:512
	flat_load_b64 v[29:30], v[45:46] offset:512
	s_and_saveexec_b32 s27, s1
	s_cbranch_execz .LBB304_21
; %bb.27:                               ;   in Loop: Header=BB304_24 Depth=1
	s_clause 0x3
	flat_load_b64 v[43:44], v[51:52] offset:1024
	flat_load_b64 v[41:42], v[49:50] offset:1024
	flat_load_b64 v[39:40], v[47:48] offset:1024
	flat_load_b64 v[37:38], v[45:46] offset:1024
	;; [unrolled: 8-line block ×3, first 2 shown]
	s_waitcnt vmcnt(3) lgkmcnt(3)
	v_mul_f32_e32 v61, v26, v52
	v_mul_f32_e32 v52, v25, v52
	s_waitcnt vmcnt(1) lgkmcnt(1)
	v_dual_mul_f32 v62, v22, v50 :: v_dual_mul_f32 v63, v16, v48
	v_mul_f32_e32 v50, v21, v50
	v_mul_f32_e32 v48, v15, v48
	v_fma_f32 v61, v25, v51, -v61
	s_delay_alu instid0(VALU_DEP_4) | instskip(NEXT) | instid1(VALU_DEP_4)
	v_fma_f32 v62, v21, v49, -v62
	v_fmac_f32_e32 v50, v22, v49
	v_fmac_f32_e32 v52, v26, v51
	s_waitcnt vmcnt(0) lgkmcnt(0)
	v_mul_f32_e32 v51, v14, v46
	v_mul_f32_e32 v46, v13, v46
	v_fma_f32 v49, v15, v47, -v63
	s_delay_alu instid0(VALU_DEP_2) | instskip(SKIP_2) | instid1(VALU_DEP_3)
	v_dual_add_f32 v3, v3, v52 :: v_dual_fmac_f32 v46, v14, v45
	v_fmac_f32_e32 v48, v16, v47
	v_fma_f32 v47, v13, v45, -v51
	v_dual_add_f32 v3, v3, v50 :: v_dual_add_f32 v2, v2, v61
	s_delay_alu instid0(VALU_DEP_1) | instskip(NEXT) | instid1(VALU_DEP_1)
	v_dual_add_f32 v3, v3, v48 :: v_dual_add_f32 v2, v2, v62
	v_dual_add_f32 v3, v3, v46 :: v_dual_add_f32 v2, v2, v49
	s_delay_alu instid0(VALU_DEP_1)
	v_add_f32_e32 v2, v2, v47
	s_branch .LBB304_20
.LBB304_29:
	s_or_b32 exec_lo, exec_lo, s23
.LBB304_30:
	s_delay_alu instid0(SALU_CYCLE_1) | instskip(SKIP_1) | instid1(SALU_CYCLE_1)
	s_or_b32 exec_lo, exec_lo, s21
	s_sub_i32 s0, s5, s20
	s_cmp_lt_i32 s0, 1
	s_cbranch_scc1 .LBB304_48
; %bb.31:
	v_cmp_gt_i32_e32 vcc_lo, s5, v55
	v_dual_mov_b32 v10, 0 :: v_dual_mov_b32 v11, 0
	v_or_b32_e32 v18, 1, v55
	v_dual_mov_b32 v12, 0 :: v_dual_mov_b32 v13, 0
	v_dual_mov_b32 v14, 0 :: v_dual_mov_b32 v15, 0
	;; [unrolled: 1-line block ×3, first 2 shown]
	s_and_saveexec_b32 s1, vcc_lo
	s_cbranch_execz .LBB304_39
; %bb.32:
	s_waitcnt lgkmcnt(0)
	v_mul_lo_u32 v10, v55, s16
	v_dual_mov_b32 v17, 0 :: v_dual_mov_b32 v16, 0
	v_dual_mov_b32 v15, 0 :: v_dual_mov_b32 v14, 0
	;; [unrolled: 1-line block ×3, first 2 shown]
	s_mov_b32 s2, exec_lo
	s_delay_alu instid0(VALU_DEP_4) | instskip(NEXT) | instid1(VALU_DEP_1)
	v_ashrrev_i32_e32 v11, 31, v10
	v_lshlrev_b64 v[10:11], 3, v[10:11]
	s_delay_alu instid0(VALU_DEP_1) | instskip(NEXT) | instid1(VALU_DEP_1)
	v_add_co_u32 v10, s0, s12, v10
	v_add_co_ci_u32_e64 v11, s0, s13, v11, s0
	flat_load_b64 v[10:11], v[10:11]
	v_cmpx_gt_i32_e64 s5, v18
	s_cbranch_execz .LBB304_38
; %bb.33:
	v_mul_lo_u32 v12, v18, s16
	v_or_b32_e32 v19, 2, v55
	v_dual_mov_b32 v17, 0 :: v_dual_mov_b32 v16, 0
	v_dual_mov_b32 v15, 0 :: v_dual_mov_b32 v14, 0
	s_mov_b32 s3, exec_lo
	s_delay_alu instid0(VALU_DEP_4) | instskip(NEXT) | instid1(VALU_DEP_1)
	v_ashrrev_i32_e32 v13, 31, v12
	v_lshlrev_b64 v[12:13], 3, v[12:13]
	s_delay_alu instid0(VALU_DEP_1) | instskip(NEXT) | instid1(VALU_DEP_1)
	v_add_co_u32 v12, s0, s12, v12
	v_add_co_ci_u32_e64 v13, s0, s13, v13, s0
	flat_load_b64 v[12:13], v[12:13]
	v_cmpx_gt_i32_e64 s5, v19
	s_cbranch_execz .LBB304_37
; %bb.34:
	v_mul_lo_u32 v14, v19, s16
	v_or_b32_e32 v19, 3, v55
	v_dual_mov_b32 v17, 0 :: v_dual_mov_b32 v16, 0
	s_mov_b32 s20, exec_lo
	s_delay_alu instid0(VALU_DEP_3) | instskip(NEXT) | instid1(VALU_DEP_1)
	v_ashrrev_i32_e32 v15, 31, v14
	v_lshlrev_b64 v[14:15], 3, v[14:15]
	s_delay_alu instid0(VALU_DEP_1) | instskip(NEXT) | instid1(VALU_DEP_1)
	v_add_co_u32 v14, s0, s12, v14
	v_add_co_ci_u32_e64 v15, s0, s13, v15, s0
	flat_load_b64 v[14:15], v[14:15]
	v_cmpx_gt_i32_e64 s5, v19
	s_cbranch_execz .LBB304_36
; %bb.35:
	v_mul_lo_u32 v16, v19, s16
	s_delay_alu instid0(VALU_DEP_1) | instskip(NEXT) | instid1(VALU_DEP_1)
	v_ashrrev_i32_e32 v17, 31, v16
	v_lshlrev_b64 v[16:17], 3, v[16:17]
	s_delay_alu instid0(VALU_DEP_1) | instskip(NEXT) | instid1(VALU_DEP_1)
	v_add_co_u32 v16, s0, s12, v16
	v_add_co_ci_u32_e64 v17, s0, s13, v17, s0
	flat_load_b64 v[16:17], v[16:17]
.LBB304_36:
	s_or_b32 exec_lo, exec_lo, s20
.LBB304_37:
	s_delay_alu instid0(SALU_CYCLE_1)
	s_or_b32 exec_lo, exec_lo, s3
.LBB304_38:
	s_delay_alu instid0(SALU_CYCLE_1)
	s_or_b32 exec_lo, exec_lo, s2
.LBB304_39:
	s_delay_alu instid0(SALU_CYCLE_1) | instskip(NEXT) | instid1(SALU_CYCLE_1)
	s_or_b32 exec_lo, exec_lo, s1
	s_mov_b32 s1, exec_lo
	v_cmpx_gt_i32_e64 s4, v54
	s_cbranch_execz .LBB304_47
; %bb.40:
	s_waitcnt lgkmcnt(0)
	v_mul_lo_u32 v19, v55, s19
	v_mul_lo_u32 v20, v18, s19
	v_or_b32_e32 v21, 2, v55
	v_or_b32_e32 v22, 3, v55
	s_mov_b32 s0, exec_lo
	s_delay_alu instid0(VALU_DEP_2)
	v_mul_lo_u32 v23, v21, s19
	v_cndmask_b32_e32 v19, 0, v19, vcc_lo
	v_cmp_gt_i32_e32 vcc_lo, s5, v18
	v_mul_lo_u32 v24, v22, s19
	v_cndmask_b32_e32 v20, 0, v20, vcc_lo
	v_cmp_gt_i32_e32 vcc_lo, s5, v21
	v_add_nc_u32_e32 v18, v19, v54
	s_delay_alu instid0(VALU_DEP_3) | instskip(NEXT) | instid1(VALU_DEP_2)
	v_dual_cndmask_b32 v23, 0, v23 :: v_dual_add_nc_u32 v20, v20, v54
	v_ashrrev_i32_e32 v19, 31, v18
	v_cmp_gt_i32_e32 vcc_lo, s5, v22
	s_delay_alu instid0(VALU_DEP_3) | instskip(NEXT) | instid1(VALU_DEP_3)
	v_ashrrev_i32_e32 v21, 31, v20
	v_lshlrev_b64 v[18:19], 3, v[18:19]
	v_cndmask_b32_e32 v24, 0, v24, vcc_lo
	s_delay_alu instid0(VALU_DEP_3) | instskip(NEXT) | instid1(VALU_DEP_2)
	v_lshlrev_b64 v[20:21], 3, v[20:21]
	v_add_nc_u32_e32 v26, v24, v54
	s_delay_alu instid0(VALU_DEP_4) | instskip(SKIP_1) | instid1(VALU_DEP_4)
	v_add_co_u32 v24, vcc_lo, s10, v18
	v_add_co_ci_u32_e32 v25, vcc_lo, s11, v19, vcc_lo
	v_add_co_u32 v20, vcc_lo, s10, v20
	v_add_co_ci_u32_e32 v21, vcc_lo, s11, v21, vcc_lo
	s_clause 0x1
	flat_load_b64 v[28:29], v[24:25]
	flat_load_b64 v[30:31], v[20:21]
	s_waitcnt vmcnt(0) lgkmcnt(0)
	v_dual_mul_f32 v35, v13, v31 :: v_dual_add_nc_u32 v22, v23, v54
	v_dual_mul_f32 v31, v12, v31 :: v_dual_mul_f32 v34, v11, v29
	v_mul_f32_e32 v29, v10, v29
	s_delay_alu instid0(VALU_DEP_3) | instskip(NEXT) | instid1(VALU_DEP_3)
	v_ashrrev_i32_e32 v23, 31, v22
	v_fmac_f32_e32 v31, v13, v30
	s_delay_alu instid0(VALU_DEP_4) | instskip(NEXT) | instid1(VALU_DEP_4)
	v_fma_f32 v34, v10, v28, -v34
	v_fmac_f32_e32 v29, v11, v28
	v_ashrrev_i32_e32 v27, 31, v26
	v_lshlrev_b64 v[18:19], 3, v[22:23]
	v_fma_f32 v28, v12, v30, -v35
	s_delay_alu instid0(VALU_DEP_4) | instskip(NEXT) | instid1(VALU_DEP_4)
	v_dual_add_f32 v8, v8, v34 :: v_dual_add_f32 v29, v9, v29
	v_lshlrev_b64 v[26:27], 3, v[26:27]
	s_delay_alu instid0(VALU_DEP_4) | instskip(SKIP_1) | instid1(VALU_DEP_3)
	v_add_co_u32 v22, vcc_lo, s10, v18
	v_add_co_ci_u32_e32 v23, vcc_lo, s11, v19, vcc_lo
	v_add_co_u32 v18, vcc_lo, s10, v26
	s_delay_alu instid0(VALU_DEP_4)
	v_add_co_ci_u32_e32 v19, vcc_lo, s11, v27, vcc_lo
	s_clause 0x1
	flat_load_b64 v[26:27], v[22:23]
	flat_load_b64 v[32:33], v[18:19]
	s_waitcnt vmcnt(0) lgkmcnt(0)
	v_dual_mul_f32 v30, v15, v27 :: v_dual_mul_f32 v35, v17, v33
	v_mul_f32_e32 v27, v14, v27
	v_mul_f32_e32 v9, v16, v33
	s_delay_alu instid0(VALU_DEP_3) | instskip(NEXT) | instid1(VALU_DEP_3)
	v_fma_f32 v30, v14, v26, -v30
	v_dual_fmac_f32 v27, v15, v26 :: v_dual_add_f32 v26, v8, v28
	v_dual_add_f32 v28, v29, v31 :: v_dual_add_nc_u32 v29, 64, v54
	v_fma_f32 v8, v16, v32, -v35
	s_delay_alu instid0(VALU_DEP_3) | instskip(NEXT) | instid1(VALU_DEP_3)
	v_dual_fmac_f32 v9, v17, v32 :: v_dual_add_f32 v26, v26, v30
	v_add_f32_e32 v27, v28, v27
	s_delay_alu instid0(VALU_DEP_4)
	v_cmpx_gt_i32_e64 s4, v29
	s_cbranch_execz .LBB304_46
; %bb.41:
	s_clause 0x3
	flat_load_b64 v[28:29], v[24:25] offset:512
	flat_load_b64 v[30:31], v[20:21] offset:512
	;; [unrolled: 1-line block ×4, first 2 shown]
	s_mov_b32 s2, exec_lo
	s_waitcnt vmcnt(2) lgkmcnt(2)
	v_dual_mul_f32 v36, v11, v29 :: v_dual_mul_f32 v37, v13, v31
	v_mul_f32_e32 v29, v10, v29
	s_waitcnt vmcnt(1) lgkmcnt(1)
	v_dual_mul_f32 v31, v12, v31 :: v_dual_mul_f32 v38, v15, v33
	s_delay_alu instid0(VALU_DEP_3) | instskip(SKIP_1) | instid1(VALU_DEP_3)
	v_fma_f32 v36, v10, v28, -v36
	v_fma_f32 v37, v12, v30, -v37
	v_fmac_f32_e32 v31, v13, v30
	s_delay_alu instid0(VALU_DEP_4) | instskip(NEXT) | instid1(VALU_DEP_4)
	v_fma_f32 v30, v14, v32, -v38
	v_add_f32_e32 v6, v6, v36
	v_mul_f32_e32 v33, v14, v33
	s_waitcnt vmcnt(0) lgkmcnt(0)
	v_dual_fmac_f32 v29, v11, v28 :: v_dual_mul_f32 v28, v17, v35
	s_delay_alu instid0(VALU_DEP_2) | instskip(NEXT) | instid1(VALU_DEP_2)
	v_dual_fmac_f32 v33, v15, v32 :: v_dual_add_f32 v32, v6, v37
	v_add_f32_e32 v29, v7, v29
	v_mul_f32_e32 v7, v16, v35
	s_delay_alu instid0(VALU_DEP_4) | instskip(NEXT) | instid1(VALU_DEP_3)
	v_fma_f32 v6, v16, v34, -v28
	v_dual_add_f32 v28, v32, v30 :: v_dual_add_f32 v29, v29, v31
	v_add_nc_u32_e32 v31, 0x80, v54
	s_delay_alu instid0(VALU_DEP_4) | instskip(NEXT) | instid1(VALU_DEP_3)
	v_fmac_f32_e32 v7, v17, v34
	v_add_f32_e32 v29, v29, v33
	s_delay_alu instid0(VALU_DEP_3)
	v_cmpx_gt_i32_e64 s4, v31
	s_cbranch_execz .LBB304_45
; %bb.42:
	s_clause 0x3
	flat_load_b64 v[30:31], v[24:25] offset:1024
	flat_load_b64 v[32:33], v[20:21] offset:1024
	;; [unrolled: 1-line block ×4, first 2 shown]
	s_mov_b32 s3, exec_lo
	s_waitcnt vmcnt(2) lgkmcnt(2)
	v_dual_mul_f32 v38, v11, v31 :: v_dual_mul_f32 v39, v13, v33
	v_mul_f32_e32 v31, v10, v31
	s_waitcnt vmcnt(1) lgkmcnt(1)
	v_dual_mul_f32 v33, v12, v33 :: v_dual_mul_f32 v40, v15, v35
	s_delay_alu instid0(VALU_DEP_3) | instskip(SKIP_2) | instid1(VALU_DEP_4)
	v_fma_f32 v38, v10, v30, -v38
	v_mul_f32_e32 v35, v14, v35
	v_fma_f32 v39, v12, v32, -v39
	v_fmac_f32_e32 v33, v13, v32
	v_fma_f32 v32, v14, v34, -v40
	v_add_f32_e32 v4, v4, v38
	s_waitcnt vmcnt(0) lgkmcnt(0)
	v_dual_fmac_f32 v31, v11, v30 :: v_dual_mul_f32 v30, v17, v37
	s_delay_alu instid0(VALU_DEP_2) | instskip(NEXT) | instid1(VALU_DEP_2)
	v_dual_fmac_f32 v35, v15, v34 :: v_dual_add_f32 v34, v4, v39
	v_add_f32_e32 v31, v5, v31
	v_mul_f32_e32 v5, v16, v37
	s_delay_alu instid0(VALU_DEP_4) | instskip(NEXT) | instid1(VALU_DEP_3)
	v_fma_f32 v4, v16, v36, -v30
	v_dual_add_f32 v30, v34, v32 :: v_dual_add_f32 v31, v31, v33
	v_add_nc_u32_e32 v33, 0xc0, v54
	s_delay_alu instid0(VALU_DEP_4) | instskip(NEXT) | instid1(VALU_DEP_3)
	v_fmac_f32_e32 v5, v17, v36
	v_add_f32_e32 v31, v31, v35
	s_delay_alu instid0(VALU_DEP_3)
	v_cmpx_gt_i32_e64 s4, v33
	s_cbranch_execz .LBB304_44
; %bb.43:
	s_clause 0x3
	flat_load_b64 v[24:25], v[24:25] offset:1536
	flat_load_b64 v[20:21], v[20:21] offset:1536
	;; [unrolled: 1-line block ×4, first 2 shown]
	s_waitcnt vmcnt(3) lgkmcnt(3)
	v_mul_f32_e32 v32, v11, v25
	s_waitcnt vmcnt(1) lgkmcnt(1)
	v_dual_mul_f32 v25, v10, v25 :: v_dual_mul_f32 v34, v15, v23
	v_mul_f32_e32 v23, v14, v23
	s_delay_alu instid0(VALU_DEP_3) | instskip(SKIP_1) | instid1(VALU_DEP_4)
	v_fma_f32 v10, v10, v24, -v32
	v_mul_f32_e32 v33, v13, v21
	v_fmac_f32_e32 v25, v11, v24
	s_delay_alu instid0(VALU_DEP_4) | instskip(NEXT) | instid1(VALU_DEP_4)
	v_fmac_f32_e32 v23, v15, v22
	v_add_f32_e32 v2, v2, v10
	s_waitcnt vmcnt(0) lgkmcnt(0)
	v_mul_f32_e32 v10, v16, v19
	v_mul_f32_e32 v21, v12, v21
	v_fma_f32 v12, v12, v20, -v33
	s_delay_alu instid0(VALU_DEP_3) | instskip(NEXT) | instid1(VALU_DEP_2)
	v_dual_add_f32 v3, v3, v25 :: v_dual_fmac_f32 v10, v17, v18
	v_add_f32_e32 v2, v2, v12
	s_delay_alu instid0(VALU_DEP_4) | instskip(SKIP_1) | instid1(VALU_DEP_1)
	v_fmac_f32_e32 v21, v13, v20
	v_fma_f32 v13, v14, v22, -v34
	v_dual_mul_f32 v11, v17, v19 :: v_dual_add_f32 v2, v2, v13
	s_delay_alu instid0(VALU_DEP_1) | instskip(NEXT) | instid1(VALU_DEP_1)
	v_fma_f32 v11, v16, v18, -v11
	v_dual_add_f32 v2, v2, v11 :: v_dual_add_f32 v3, v3, v21
	s_delay_alu instid0(VALU_DEP_1) | instskip(NEXT) | instid1(VALU_DEP_1)
	v_add_f32_e32 v3, v3, v23
	v_add_f32_e32 v3, v3, v10
.LBB304_44:
	s_or_b32 exec_lo, exec_lo, s3
	s_delay_alu instid0(VALU_DEP_2)
	v_dual_add_f32 v4, v30, v4 :: v_dual_add_f32 v5, v31, v5
.LBB304_45:
	s_or_b32 exec_lo, exec_lo, s2
	s_delay_alu instid0(VALU_DEP_2)
	v_dual_add_f32 v6, v28, v6 :: v_dual_add_f32 v7, v29, v7
.LBB304_46:
	s_or_b32 exec_lo, exec_lo, s0
	s_delay_alu instid0(VALU_DEP_2)
	v_dual_add_f32 v8, v26, v8 :: v_dual_add_f32 v9, v27, v9
.LBB304_47:
	s_or_b32 exec_lo, exec_lo, s1
.LBB304_48:
	s_waitcnt vmcnt(0) lgkmcnt(0)
	v_lshlrev_b32_e32 v10, 8, v53
	s_mov_b32 s0, exec_lo
	s_delay_alu instid0(VALU_DEP_1)
	v_add_lshl_u32 v1, v10, v1, 3
	ds_store_2addr_stride64_b64 v1, v[8:9], v[6:7] offset1:1
	ds_store_2addr_stride64_b64 v1, v[4:5], v[2:3] offset0:2 offset1:3
	s_waitcnt lgkmcnt(0)
	s_waitcnt_vscnt null, 0x0
	s_barrier
	buffer_gl0_inv
	v_cmpx_gt_u32_e32 0x100, v0
	s_cbranch_execz .LBB304_53
; %bb.49:
	v_lshlrev_b32_e32 v13, 3, v0
	v_or_b32_e32 v0, s14, v0
	ds_load_2addr_stride64_b64 v[1:4], v13 offset1:4
	ds_load_2addr_stride64_b64 v[5:8], v13 offset0:8 offset1:12
	ds_load_2addr_stride64_b64 v[9:12], v13 offset0:16 offset1:20
	v_cmp_gt_i32_e32 vcc_lo, s4, v0
	s_waitcnt lgkmcnt(2)
	v_add_f32_e32 v14, v1, v3
	s_waitcnt lgkmcnt(1)
	s_delay_alu instid0(VALU_DEP_1) | instskip(SKIP_4) | instid1(VALU_DEP_1)
	v_add_f32_e32 v5, v14, v5
	v_add_f32_e32 v15, v2, v4
	ds_load_2addr_stride64_b64 v[1:4], v13 offset0:24 offset1:28
	v_add_f32_e32 v14, v5, v7
	s_waitcnt lgkmcnt(1)
	v_dual_add_f32 v6, v15, v6 :: v_dual_add_f32 v9, v14, v9
	s_delay_alu instid0(VALU_DEP_1) | instskip(SKIP_3) | instid1(VALU_DEP_1)
	v_add_f32_e32 v15, v6, v8
	ds_load_2addr_stride64_b64 v[5:8], v13 offset0:32 offset1:36
	v_add_f32_e32 v14, v9, v11
	s_waitcnt lgkmcnt(1)
	v_dual_add_f32 v10, v15, v10 :: v_dual_add_f32 v1, v14, v1
	s_delay_alu instid0(VALU_DEP_1) | instskip(SKIP_3) | instid1(VALU_DEP_1)
	;; [unrolled: 6-line block ×3, first 2 shown]
	v_add_f32_e32 v15, v2, v4
	ds_load_2addr_stride64_b64 v[1:4], v13 offset0:48 offset1:52
	v_add_f32_e32 v14, v5, v7
	v_add_f32_e32 v6, v15, v6
	;; [unrolled: 1-line block ×3, first 2 shown]
	ds_load_2addr_stride64_b64 v[5:8], v13 offset0:56 offset1:60
	s_waitcnt lgkmcnt(2)
	v_dual_add_f32 v9, v14, v9 :: v_dual_add_f32 v10, v15, v10
	s_delay_alu instid0(VALU_DEP_1) | instskip(SKIP_1) | instid1(VALU_DEP_1)
	v_dual_add_f32 v9, v9, v11 :: v_dual_add_f32 v10, v10, v12
	s_waitcnt lgkmcnt(1)
	v_dual_add_f32 v1, v9, v1 :: v_dual_add_f32 v2, v10, v2
	s_delay_alu instid0(VALU_DEP_1) | instskip(SKIP_1) | instid1(VALU_DEP_1)
	v_dual_add_f32 v1, v1, v3 :: v_dual_add_f32 v2, v2, v4
	s_waitcnt lgkmcnt(0)
	v_add_f32_e32 v1, v1, v5
	s_delay_alu instid0(VALU_DEP_1) | instskip(NEXT) | instid1(VALU_DEP_1)
	v_dual_add_f32 v3, v2, v6 :: v_dual_add_f32 v2, v1, v7
	v_add_f32_e32 v3, v3, v8
	ds_store_b64 v13, v[2:3]
	s_and_b32 exec_lo, exec_lo, vcc_lo
	s_cbranch_execz .LBB304_53
; %bb.50:
	v_mul_lo_u32 v4, v0, s18
	v_mul_f32_e32 v1, s6, v3
	v_mul_f32_e32 v0, s7, v3
	v_cmp_neq_f32_e64 s0, s8, 0
	v_cmp_neq_f32_e64 s1, s9, 0
	s_delay_alu instid0(VALU_DEP_4) | instskip(NEXT) | instid1(VALU_DEP_4)
	v_fmac_f32_e32 v1, s7, v2
	v_fma_f32 v0, v2, s6, -v0
	v_ashrrev_i32_e32 v5, 31, v4
	s_delay_alu instid0(VALU_DEP_4) | instskip(NEXT) | instid1(SALU_CYCLE_1)
	s_or_b32 s0, s0, s1
	s_and_not1_b32 vcc_lo, exec_lo, s0
	s_delay_alu instid0(VALU_DEP_1)
	v_lshlrev_b64 v[3:4], 3, v[4:5]
	s_cbranch_vccnz .LBB304_52
; %bb.51:
	s_delay_alu instid0(VALU_DEP_1) | instskip(NEXT) | instid1(VALU_DEP_2)
	v_add_co_u32 v5, vcc_lo, s15, v3
	v_add_co_ci_u32_e32 v6, vcc_lo, s17, v4, vcc_lo
	global_load_b64 v[5:6], v[5:6], off
	s_waitcnt vmcnt(0)
	v_mul_f32_e32 v2, s9, v6
	v_mul_f32_e32 v6, s8, v6
	s_delay_alu instid0(VALU_DEP_2) | instskip(NEXT) | instid1(VALU_DEP_2)
	v_fma_f32 v2, s8, v5, -v2
	v_fmac_f32_e32 v6, s9, v5
	s_delay_alu instid0(VALU_DEP_2) | instskip(NEXT) | instid1(VALU_DEP_2)
	v_add_f32_e32 v0, v0, v2
	v_add_f32_e32 v1, v1, v6
.LBB304_52:
	s_delay_alu instid0(VALU_DEP_1) | instskip(NEXT) | instid1(VALU_DEP_2)
	v_add_co_u32 v2, vcc_lo, s15, v3
	v_add_co_ci_u32_e32 v3, vcc_lo, s17, v4, vcc_lo
	global_store_b64 v[2:3], v[0:1], off
.LBB304_53:
	s_nop 0
	s_sendmsg sendmsg(MSG_DEALLOC_VGPRS)
	s_endpgm
	.section	.rodata,"a",@progbits
	.p2align	6, 0x0
	.amdhsa_kernel _ZL20rocblas_gemvn_kernelILi64ELi16EiPK19rocblas_complex_numIfES1_KPS1_EviiT3_lPKT2_lT1_lS9_lSA_lS6_lPT4_lSA_li
		.amdhsa_group_segment_fixed_size 32768
		.amdhsa_private_segment_fixed_size 0
		.amdhsa_kernarg_size 400
		.amdhsa_user_sgpr_count 14
		.amdhsa_user_sgpr_dispatch_ptr 0
		.amdhsa_user_sgpr_queue_ptr 0
		.amdhsa_user_sgpr_kernarg_segment_ptr 1
		.amdhsa_user_sgpr_dispatch_id 0
		.amdhsa_user_sgpr_private_segment_size 0
		.amdhsa_wavefront_size32 1
		.amdhsa_uses_dynamic_stack 0
		.amdhsa_enable_private_segment 0
		.amdhsa_system_sgpr_workgroup_id_x 1
		.amdhsa_system_sgpr_workgroup_id_y 0
		.amdhsa_system_sgpr_workgroup_id_z 1
		.amdhsa_system_sgpr_workgroup_info 0
		.amdhsa_system_vgpr_workitem_id 1
		.amdhsa_next_free_vgpr 64
		.amdhsa_next_free_sgpr 29
		.amdhsa_reserve_vcc 1
		.amdhsa_float_round_mode_32 0
		.amdhsa_float_round_mode_16_64 0
		.amdhsa_float_denorm_mode_32 3
		.amdhsa_float_denorm_mode_16_64 3
		.amdhsa_dx10_clamp 1
		.amdhsa_ieee_mode 1
		.amdhsa_fp16_overflow 0
		.amdhsa_workgroup_processor_mode 1
		.amdhsa_memory_ordered 1
		.amdhsa_forward_progress 0
		.amdhsa_shared_vgpr_count 0
		.amdhsa_exception_fp_ieee_invalid_op 0
		.amdhsa_exception_fp_denorm_src 0
		.amdhsa_exception_fp_ieee_div_zero 0
		.amdhsa_exception_fp_ieee_overflow 0
		.amdhsa_exception_fp_ieee_underflow 0
		.amdhsa_exception_fp_ieee_inexact 0
		.amdhsa_exception_int_div_zero 0
	.end_amdhsa_kernel
	.section	.text._ZL20rocblas_gemvn_kernelILi64ELi16EiPK19rocblas_complex_numIfES1_KPS1_EviiT3_lPKT2_lT1_lS9_lSA_lS6_lPT4_lSA_li,"axG",@progbits,_ZL20rocblas_gemvn_kernelILi64ELi16EiPK19rocblas_complex_numIfES1_KPS1_EviiT3_lPKT2_lT1_lS9_lSA_lS6_lPT4_lSA_li,comdat
.Lfunc_end304:
	.size	_ZL20rocblas_gemvn_kernelILi64ELi16EiPK19rocblas_complex_numIfES1_KPS1_EviiT3_lPKT2_lT1_lS9_lSA_lS6_lPT4_lSA_li, .Lfunc_end304-_ZL20rocblas_gemvn_kernelILi64ELi16EiPK19rocblas_complex_numIfES1_KPS1_EviiT3_lPKT2_lT1_lS9_lSA_lS6_lPT4_lSA_li
                                        ; -- End function
	.section	.AMDGPU.csdata,"",@progbits
; Kernel info:
; codeLenInByte = 4072
; NumSgprs: 31
; NumVgprs: 64
; ScratchSize: 0
; MemoryBound: 0
; FloatMode: 240
; IeeeMode: 1
; LDSByteSize: 32768 bytes/workgroup (compile time only)
; SGPRBlocks: 3
; VGPRBlocks: 7
; NumSGPRsForWavesPerEU: 31
; NumVGPRsForWavesPerEU: 64
; Occupancy: 16
; WaveLimiterHint : 1
; COMPUTE_PGM_RSRC2:SCRATCH_EN: 0
; COMPUTE_PGM_RSRC2:USER_SGPR: 14
; COMPUTE_PGM_RSRC2:TRAP_HANDLER: 0
; COMPUTE_PGM_RSRC2:TGID_X_EN: 1
; COMPUTE_PGM_RSRC2:TGID_Y_EN: 0
; COMPUTE_PGM_RSRC2:TGID_Z_EN: 1
; COMPUTE_PGM_RSRC2:TIDIG_COMP_CNT: 1
	.section	.text._ZL20rocblas_gemvn_kernelILi64ELi16ElPK19rocblas_complex_numIfES1_KPS1_EviiT3_lPKT2_lT1_lS9_lSA_lS6_lPT4_lSA_li,"axG",@progbits,_ZL20rocblas_gemvn_kernelILi64ELi16ElPK19rocblas_complex_numIfES1_KPS1_EviiT3_lPKT2_lT1_lS9_lSA_lS6_lPT4_lSA_li,comdat
	.globl	_ZL20rocblas_gemvn_kernelILi64ELi16ElPK19rocblas_complex_numIfES1_KPS1_EviiT3_lPKT2_lT1_lS9_lSA_lS6_lPT4_lSA_li ; -- Begin function _ZL20rocblas_gemvn_kernelILi64ELi16ElPK19rocblas_complex_numIfES1_KPS1_EviiT3_lPKT2_lT1_lS9_lSA_lS6_lPT4_lSA_li
	.p2align	8
	.type	_ZL20rocblas_gemvn_kernelILi64ELi16ElPK19rocblas_complex_numIfES1_KPS1_EviiT3_lPKT2_lT1_lS9_lSA_lS6_lPT4_lSA_li,@function
_ZL20rocblas_gemvn_kernelILi64ELi16ElPK19rocblas_complex_numIfES1_KPS1_EviiT3_lPKT2_lT1_lS9_lSA_lS6_lPT4_lSA_li: ; @_ZL20rocblas_gemvn_kernelILi64ELi16ElPK19rocblas_complex_numIfES1_KPS1_EviiT3_lPKT2_lT1_lS9_lSA_lS6_lPT4_lSA_li
; %bb.0:
	s_load_b64 s[4:5], s[0:1], 0x9c
	s_waitcnt lgkmcnt(0)
	s_lshr_b32 s3, s4, 16
	s_and_b32 s4, s4, 0xffff
	s_and_b32 s5, s5, 0xffff
	s_mul_i32 s3, s3, s4
	s_delay_alu instid0(SALU_CYCLE_1) | instskip(NEXT) | instid1(SALU_CYCLE_1)
	s_mul_i32 s3, s3, s5
	s_cmpk_lg_i32 s3, 0x400
	s_cbranch_scc1 .LBB305_53
; %bb.1:
	s_clause 0x1
	s_load_b128 s[8:11], s[0:1], 0x0
	s_load_b64 s[12:13], s[0:1], 0x58
	s_mov_b32 s2, s15
	s_waitcnt lgkmcnt(0)
	v_cmp_neq_f32_e64 s3, s10, 0
	v_cmp_neq_f32_e64 s4, s11, 0
	s_delay_alu instid0(VALU_DEP_1) | instskip(NEXT) | instid1(SALU_CYCLE_1)
	s_or_b32 s3, s3, s4
	s_and_b32 vcc_lo, exec_lo, s3
	s_mov_b32 s3, -1
	s_cbranch_vccnz .LBB305_3
; %bb.2:
	v_cmp_neq_f32_e64 s3, s12, 1.0
	v_cmp_neq_f32_e64 s4, s13, 0
	s_delay_alu instid0(VALU_DEP_1)
	s_or_b32 s3, s3, s4
.LBB305_3:
	s_delay_alu instid0(SALU_CYCLE_1)
	s_and_not1_b32 vcc_lo, exec_lo, s3
	s_cbranch_vccnz .LBB305_53
; %bb.4:
	s_clause 0x1
	s_load_b128 s[4:7], s[0:1], 0x18
	s_load_b64 s[16:17], s[0:1], 0x28
	s_or_b32 s3, s10, s11
	s_delay_alu instid0(SALU_CYCLE_1) | instskip(NEXT) | instid1(SALU_CYCLE_1)
	s_bitset0_b32 s3, 31
	s_cmp_lg_u32 s3, 0
	s_cselect_b32 s22, -1, 0
	s_cmp_eq_u32 s3, 0
	s_mov_b32 s3, 0
	s_cselect_b32 s15, -1, 0
	s_and_b32 vcc_lo, exec_lo, s22
	s_cbranch_vccnz .LBB305_6
; %bb.5:
	s_mov_b64 s[18:19], 0
	s_and_not1_b32 vcc_lo, exec_lo, s3
	s_cbranch_vccz .LBB305_7
	s_branch .LBB305_8
.LBB305_6:
	s_mov_b32 s3, -1
                                        ; implicit-def: $sgpr18_sgpr19
.LBB305_7:
	s_mov_b32 s3, 0
	s_delay_alu instid0(SALU_CYCLE_1)
	s_lshl_b64 s[18:19], s[2:3], 3
	s_waitcnt lgkmcnt(0)
	s_add_u32 s4, s4, s18
	s_addc_u32 s5, s5, s19
	s_lshl_b64 s[6:7], s[6:7], 3
	s_load_b64 s[4:5], s[4:5], 0x0
	s_waitcnt lgkmcnt(0)
	s_add_u32 s18, s4, s6
	s_addc_u32 s19, s5, s7
.LBB305_8:
	s_waitcnt lgkmcnt(0)
	s_clause 0x1
	s_load_b128 s[4:7], s[0:1], 0x38
	s_load_b64 s[20:21], s[0:1], 0x48
	s_and_not1_b32 vcc_lo, exec_lo, s22
	s_mov_b64 s[22:23], 0
	s_cbranch_vccnz .LBB305_10
; %bb.9:
	s_lshl_b64 s[22:23], s[2:3], 3
	s_waitcnt lgkmcnt(0)
	s_add_u32 s4, s4, s22
	s_addc_u32 s5, s5, s23
	s_lshl_b64 s[6:7], s[6:7], 3
	s_load_b64 s[4:5], s[4:5], 0x0
	s_waitcnt lgkmcnt(0)
	s_add_u32 s22, s4, s6
	s_addc_u32 s23, s5, s7
.LBB305_10:
	s_load_b128 s[24:27], s[0:1], 0x68
	s_waitcnt lgkmcnt(0)
	s_load_b64 s[6:7], s[0:1], 0x78
	s_lshl_b64 s[2:3], s[2:3], 3
	v_and_b32_e32 v61, 0x3ff, v0
	v_bfe_u32 v62, v0, 10, 10
	s_delay_alu instid0(VALU_DEP_1)
	v_lshl_add_u32 v60, v62, 6, v61
	s_add_u32 s0, s24, s2
	s_addc_u32 s1, s25, s3
	s_lshl_b64 s[24:25], s[26:27], 3
	s_load_b64 s[2:3], s[0:1], 0x0
	v_cmp_gt_u32_e64 s0, 0x100, v60
	s_mov_b32 s1, -1
	s_waitcnt lgkmcnt(0)
	s_add_u32 s5, s2, s24
	s_addc_u32 s28, s3, s25
	s_and_not1_b32 vcc_lo, exec_lo, s15
	s_cbranch_vccnz .LBB305_17
; %bb.11:
	s_and_saveexec_b32 s1, s0
	s_cbranch_execz .LBB305_16
; %bb.12:
	v_lshl_or_b32 v0, s14, 8, v60
	v_mov_b32_e32 v1, 0
	s_ashr_i32 s3, s8, 31
	s_mov_b32 s2, s8
	s_delay_alu instid0(VALU_DEP_1) | instid1(SALU_CYCLE_1)
	v_cmp_gt_i64_e32 vcc_lo, s[2:3], v[0:1]
	s_and_b32 exec_lo, exec_lo, vcc_lo
	s_cbranch_execz .LBB305_16
; %bb.13:
	v_mad_u64_u32 v[2:3], null, v0, s6, 0
	v_cmp_neq_f32_e64 s0, s12, 0
	v_cmp_neq_f32_e64 s2, s13, 0
	s_delay_alu instid0(VALU_DEP_1) | instskip(NEXT) | instid1(VALU_DEP_3)
	s_or_b32 s0, s0, s2
	v_mad_u64_u32 v[4:5], null, v0, s7, v[3:4]
	s_and_not1_b32 vcc_lo, exec_lo, s0
	s_delay_alu instid0(VALU_DEP_1) | instskip(NEXT) | instid1(VALU_DEP_1)
	v_dual_mov_b32 v3, v4 :: v_dual_mov_b32 v4, v1
	v_lshlrev_b64 v[2:3], 3, v[2:3]
	s_cbranch_vccnz .LBB305_15
; %bb.14:
	s_delay_alu instid0(VALU_DEP_1) | instskip(NEXT) | instid1(VALU_DEP_2)
	v_add_co_u32 v0, vcc_lo, s5, v2
	v_add_co_ci_u32_e32 v1, vcc_lo, s28, v3, vcc_lo
	global_load_b64 v[0:1], v[0:1], off
	s_waitcnt vmcnt(0)
	v_mul_f32_e32 v4, s12, v1
	s_delay_alu instid0(VALU_DEP_1) | instskip(NEXT) | instid1(VALU_DEP_1)
	v_dual_mul_f32 v5, s13, v1 :: v_dual_fmac_f32 v4, s13, v0
	v_fma_f32 v1, s12, v0, -v5
.LBB305_15:
	s_delay_alu instid0(VALU_DEP_1) | instskip(NEXT) | instid1(VALU_DEP_2)
	v_add_co_u32 v5, vcc_lo, s5, v2
	v_add_co_ci_u32_e32 v6, vcc_lo, s28, v3, vcc_lo
	s_delay_alu instid0(VALU_DEP_3)
	v_mov_b32_e32 v3, v1
	global_store_b64 v[5:6], v[3:4], off
.LBB305_16:
	s_or_b32 exec_lo, exec_lo, s1
	s_mov_b32 s1, 0
.LBB305_17:
	s_delay_alu instid0(SALU_CYCLE_1)
	s_and_not1_b32 vcc_lo, exec_lo, s1
	s_cbranch_vccnz .LBB305_53
; %bb.18:
	s_ashr_i32 s0, s9, 31
	s_lshl_b32 s29, s14, 8
	s_lshr_b32 s0, s0, 26
	v_dual_mov_b32 v0, 0 :: v_dual_lshlrev_b32 v63, 2, v62
	v_dual_mov_b32 v1, 0 :: v_dual_add_nc_u32 v2, s29, v61
	v_dual_mov_b32 v5, 0 :: v_dual_mov_b32 v4, 0
	v_dual_mov_b32 v7, 0 :: v_dual_mov_b32 v6, 0
	;; [unrolled: 1-line block ×3, first 2 shown]
	s_add_i32 s30, s9, s0
	s_mov_b32 s31, exec_lo
	s_and_not1_b32 s30, s30, 63
	s_delay_alu instid0(SALU_CYCLE_1)
	v_cmpx_gt_i32_e64 s30, v63
	s_cbranch_execz .LBB305_30
; %bb.19:
	v_lshlrev_b32_e32 v17, 2, v62
	v_mad_u64_u32 v[0:1], null, s20, v62, 0
	v_mad_u64_u32 v[6:7], null, s16, v62, 0
	s_delay_alu instid0(VALU_DEP_3)
	v_or_b32_e32 v13, 3, v17
	v_ashrrev_i32_e32 v3, 31, v2
	v_add_nc_u32_e32 v8, 64, v2
	v_or_b32_e32 v20, 2, v17
	v_mad_u64_u32 v[10:11], null, s21, v62, v[1:2]
	v_mad_u64_u32 v[4:5], null, s16, v13, 0
	s_delay_alu instid0(VALU_DEP_3)
	v_mad_u64_u32 v[18:19], null, s16, v20, 0
	v_add_nc_u32_e32 v15, 0xc0, v2
	v_cmp_gt_i32_e32 vcc_lo, s8, v2
	v_mov_b32_e32 v1, v10
	s_lshl_b64 s[14:15], s[16:17], 9
	v_mad_u64_u32 v[11:12], null, s17, v13, v[5:6]
	v_lshlrev_b64 v[12:13], 3, v[2:3]
	v_mov_b32_e32 v3, v7
	v_cmp_gt_i32_e64 s0, s8, v8
	v_mad_u64_u32 v[8:9], null, s16, v17, s[16:17]
	v_add_nc_u32_e32 v14, 0x80, v2
	v_cmp_gt_i32_e64 s2, s8, v15
	v_mov_b32_e32 v5, v11
	s_lshl_b64 s[24:25], s[20:21], 9
	s_lshl_b64 s[26:27], s[20:21], 3
	s_mov_b32 s33, 0
	s_delay_alu instid0(VALU_DEP_4) | instskip(SKIP_3) | instid1(VALU_DEP_4)
	v_mov_b32_e32 v7, v9
	v_mov_b32_e32 v9, v19
	v_cmp_gt_i32_e64 s1, s8, v14
	v_mad_u64_u32 v[14:15], null, s17, v62, v[3:4]
	v_mad_u64_u32 v[15:16], null, s17, v17, v[7:8]
	s_delay_alu instid0(VALU_DEP_4)
	v_mad_u64_u32 v[16:17], null, s17, v20, v[9:10]
	v_lshlrev_b64 v[10:11], 3, v[4:5]
	v_lshlrev_b64 v[4:5], 5, v[0:1]
	v_mov_b32_e32 v7, v14
	v_add_co_u32 v3, s3, s18, v12
	v_mov_b32_e32 v9, v15
	v_mov_b32_e32 v19, v16
	;; [unrolled: 1-line block ×3, first 2 shown]
	v_add_co_ci_u32_e64 v64, s3, s19, v13, s3
	v_add_co_u32 v12, s3, s22, v4
	v_lshlrev_b64 v[14:15], 5, v[6:7]
	v_lshlrev_b64 v[16:17], 3, v[8:9]
	v_mov_b32_e32 v8, v1
	v_lshlrev_b64 v[18:19], 3, v[18:19]
	v_add_co_ci_u32_e64 v13, s3, s23, v5, s3
	v_mov_b32_e32 v0, v1
	v_mov_b32_e32 v5, v1
	;; [unrolled: 1-line block ×6, first 2 shown]
	s_branch .LBB305_24
.LBB305_20:                             ;   in Loop: Header=BB305_24 Depth=1
	s_or_b32 exec_lo, exec_lo, s35
	s_waitcnt vmcnt(2) lgkmcnt(2)
	v_dual_mul_f32 v52, v33, v51 :: v_dual_mul_f32 v53, v23, v49
	v_mul_f32_e32 v51, v32, v51
	s_waitcnt vmcnt(1) lgkmcnt(1)
	v_dual_mul_f32 v49, v22, v49 :: v_dual_mul_f32 v54, v21, v47
	s_delay_alu instid0(VALU_DEP_3)
	v_fma_f32 v52, v32, v50, -v52
	v_fma_f32 v53, v22, v48, -v53
	v_fmac_f32_e32 v51, v33, v50
	s_waitcnt vmcnt(0) lgkmcnt(0)
	v_dual_mul_f32 v47, v20, v47 :: v_dual_mul_f32 v50, v25, v45
	v_add_f32_e32 v4, v4, v52
	v_fmac_f32_e32 v49, v23, v48
	v_fma_f32 v48, v20, v46, -v54
	v_mul_f32_e32 v45, v24, v45
	s_delay_alu instid0(VALU_DEP_4) | instskip(SKIP_2) | instid1(VALU_DEP_4)
	v_dual_fmac_f32 v47, v21, v46 :: v_dual_add_f32 v4, v4, v53
	v_add_f32_e32 v5, v5, v51
	v_fma_f32 v46, v24, v44, -v50
	v_fmac_f32_e32 v45, v25, v44
	s_delay_alu instid0(VALU_DEP_3) | instskip(NEXT) | instid1(VALU_DEP_1)
	v_dual_add_f32 v4, v4, v48 :: v_dual_add_f32 v5, v5, v49
	v_dual_add_f32 v4, v4, v46 :: v_dual_add_f32 v5, v5, v47
	s_delay_alu instid0(VALU_DEP_1)
	v_add_f32_e32 v5, v5, v45
.LBB305_21:                             ;   in Loop: Header=BB305_24 Depth=1
	s_or_b32 exec_lo, exec_lo, s34
	s_waitcnt vmcnt(2) lgkmcnt(2)
	v_dual_mul_f32 v44, v33, v43 :: v_dual_mul_f32 v45, v23, v41
	v_mul_f32_e32 v43, v32, v43
	s_waitcnt vmcnt(1) lgkmcnt(1)
	v_dual_mul_f32 v41, v22, v41 :: v_dual_mul_f32 v46, v21, v39
	s_delay_alu instid0(VALU_DEP_3) | instskip(SKIP_2) | instid1(VALU_DEP_4)
	v_fma_f32 v44, v32, v42, -v44
	v_mul_f32_e32 v39, v20, v39
	v_fma_f32 v45, v22, v40, -v45
	v_fmac_f32_e32 v41, v23, v40
	v_fma_f32 v40, v20, v38, -v46
	v_dual_add_f32 v6, v6, v44 :: v_dual_fmac_f32 v43, v33, v42
	s_waitcnt vmcnt(0) lgkmcnt(0)
	v_mul_f32_e32 v42, v25, v37
	v_fmac_f32_e32 v39, v21, v38
	v_mul_f32_e32 v37, v24, v37
	v_dual_add_f32 v6, v6, v45 :: v_dual_add_f32 v7, v7, v43
	s_delay_alu instid0(VALU_DEP_4) | instskip(NEXT) | instid1(VALU_DEP_3)
	v_fma_f32 v38, v24, v36, -v42
	v_fmac_f32_e32 v37, v25, v36
	s_delay_alu instid0(VALU_DEP_3) | instskip(NEXT) | instid1(VALU_DEP_1)
	v_add_f32_e32 v6, v6, v40
	v_dual_add_f32 v6, v6, v38 :: v_dual_add_f32 v7, v7, v41
	s_delay_alu instid0(VALU_DEP_1) | instskip(NEXT) | instid1(VALU_DEP_1)
	v_add_f32_e32 v7, v7, v39
	v_add_f32_e32 v7, v7, v37
.LBB305_22:                             ;   in Loop: Header=BB305_24 Depth=1
	s_or_b32 exec_lo, exec_lo, s3
	s_waitcnt vmcnt(3) lgkmcnt(3)
	v_mul_f32_e32 v36, v33, v35
	s_waitcnt vmcnt(1) lgkmcnt(1)
	v_dual_mul_f32 v35, v32, v35 :: v_dual_mul_f32 v38, v21, v29
	v_mul_f32_e32 v29, v20, v29
	s_delay_alu instid0(VALU_DEP_3) | instskip(SKIP_1) | instid1(VALU_DEP_4)
	v_fma_f32 v32, v32, v34, -v36
	v_mul_f32_e32 v37, v23, v31
	v_fma_f32 v20, v20, v28, -v38
	s_delay_alu instid0(VALU_DEP_4) | instskip(NEXT) | instid1(VALU_DEP_4)
	v_fmac_f32_e32 v29, v21, v28
	v_dual_add_f32 v8, v8, v32 :: v_dual_mul_f32 v31, v22, v31
	s_delay_alu instid0(VALU_DEP_4) | instskip(NEXT) | instid1(VALU_DEP_1)
	v_fma_f32 v22, v22, v30, -v37
	v_add_f32_e32 v8, v8, v22
	v_fmac_f32_e32 v35, v33, v34
	s_delay_alu instid0(VALU_DEP_4) | instskip(SKIP_2) | instid1(VALU_DEP_3)
	v_fmac_f32_e32 v31, v23, v30
	s_waitcnt vmcnt(0) lgkmcnt(0)
	v_mul_f32_e32 v23, v24, v27
	v_dual_add_f32 v8, v8, v20 :: v_dual_add_f32 v9, v9, v35
	v_mul_f32_e32 v33, v25, v27
	s_delay_alu instid0(VALU_DEP_3) | instskip(NEXT) | instid1(VALU_DEP_3)
	v_fmac_f32_e32 v23, v25, v26
	v_add_f32_e32 v9, v9, v31
	s_delay_alu instid0(VALU_DEP_3) | instskip(NEXT) | instid1(VALU_DEP_2)
	v_fma_f32 v21, v24, v26, -v33
	v_add_f32_e32 v9, v9, v29
	s_delay_alu instid0(VALU_DEP_1)
	v_dual_add_f32 v8, v8, v21 :: v_dual_add_f32 v9, v9, v23
.LBB305_23:                             ;   in Loop: Header=BB305_24 Depth=1
	s_or_b32 exec_lo, exec_lo, s4
	v_add_nc_u32_e32 v63, 64, v63
	v_add_co_u32 v3, s3, v3, s14
	s_delay_alu instid0(VALU_DEP_1) | instskip(NEXT) | instid1(VALU_DEP_3)
	v_add_co_ci_u32_e64 v64, s3, s15, v64, s3
	v_cmp_le_i32_e64 s3, s30, v63
	v_add_co_u32 v12, s4, v12, s24
	s_delay_alu instid0(VALU_DEP_1) | instskip(NEXT) | instid1(VALU_DEP_3)
	v_add_co_ci_u32_e64 v13, s4, s25, v13, s4
	s_or_b32 s33, s3, s33
	s_delay_alu instid0(SALU_CYCLE_1)
	s_and_not1_b32 exec_lo, exec_lo, s33
	s_cbranch_execz .LBB305_29
.LBB305_24:                             ; =>This Inner Loop Header: Depth=1
	s_and_saveexec_b32 s4, vcc_lo
	s_cbranch_execz .LBB305_23
; %bb.25:                               ;   in Loop: Header=BB305_24 Depth=1
	v_add_co_u32 v20, s3, v12, s26
	s_delay_alu instid0(VALU_DEP_1) | instskip(NEXT) | instid1(VALU_DEP_2)
	v_add_co_ci_u32_e64 v21, s3, s27, v13, s3
	v_add_co_u32 v24, s3, v20, s26
	s_delay_alu instid0(VALU_DEP_1) | instskip(SKIP_4) | instid1(VALU_DEP_1)
	v_add_co_ci_u32_e64 v25, s3, s27, v21, s3
	s_clause 0x1
	flat_load_b64 v[22:23], v[20:21]
	flat_load_b64 v[20:21], v[24:25]
	v_add_co_u32 v24, s3, v24, s26
	v_add_co_ci_u32_e64 v25, s3, s27, v25, s3
	v_add_co_u32 v58, s3, v3, v14
	s_delay_alu instid0(VALU_DEP_1) | instskip(SKIP_1) | instid1(VALU_DEP_1)
	v_add_co_ci_u32_e64 v59, s3, v64, v15, s3
	v_add_co_u32 v56, s3, v3, v16
	v_add_co_ci_u32_e64 v57, s3, v64, v17, s3
	v_add_co_u32 v54, s3, v3, v18
	s_delay_alu instid0(VALU_DEP_1) | instskip(SKIP_1) | instid1(VALU_DEP_1)
	v_add_co_ci_u32_e64 v55, s3, v64, v19, s3
	v_add_co_u32 v52, s3, v3, v10
	v_add_co_ci_u32_e64 v53, s3, v64, v11, s3
	s_clause 0x1
	flat_load_b64 v[32:33], v[12:13]
	flat_load_b64 v[24:25], v[24:25]
	s_clause 0x3
	flat_load_b64 v[34:35], v[58:59]
	flat_load_b64 v[30:31], v[56:57]
	;; [unrolled: 1-line block ×4, first 2 shown]
	s_and_saveexec_b32 s3, s0
	s_cbranch_execz .LBB305_22
; %bb.26:                               ;   in Loop: Header=BB305_24 Depth=1
	s_clause 0x3
	flat_load_b64 v[42:43], v[58:59] offset:512
	flat_load_b64 v[40:41], v[56:57] offset:512
	flat_load_b64 v[38:39], v[54:55] offset:512
	flat_load_b64 v[36:37], v[52:53] offset:512
	s_and_saveexec_b32 s34, s1
	s_cbranch_execz .LBB305_21
; %bb.27:                               ;   in Loop: Header=BB305_24 Depth=1
	s_clause 0x3
	flat_load_b64 v[50:51], v[58:59] offset:1024
	flat_load_b64 v[48:49], v[56:57] offset:1024
	flat_load_b64 v[46:47], v[54:55] offset:1024
	flat_load_b64 v[44:45], v[52:53] offset:1024
	;; [unrolled: 8-line block ×3, first 2 shown]
	s_waitcnt vmcnt(2) lgkmcnt(2)
	v_dual_mul_f32 v65, v33, v59 :: v_dual_mul_f32 v66, v23, v57
	v_mul_f32_e32 v59, v32, v59
	s_delay_alu instid0(VALU_DEP_2)
	v_fma_f32 v65, v32, v58, -v65
	s_waitcnt vmcnt(1) lgkmcnt(1)
	v_mul_f32_e32 v67, v21, v55
	v_fma_f32 v66, v22, v56, -v66
	v_mul_f32_e32 v55, v20, v55
	v_add_f32_e32 v0, v0, v65
	v_mul_f32_e32 v57, v22, v57
	s_delay_alu instid0(VALU_DEP_3) | instskip(NEXT) | instid1(VALU_DEP_2)
	v_fmac_f32_e32 v55, v21, v54
	v_dual_add_f32 v0, v0, v66 :: v_dual_fmac_f32 v57, v23, v56
	v_fma_f32 v56, v20, v54, -v67
	v_fmac_f32_e32 v59, v33, v58
	s_waitcnt vmcnt(0) lgkmcnt(0)
	v_mul_f32_e32 v58, v25, v53
	v_mul_f32_e32 v53, v24, v53
	s_delay_alu instid0(VALU_DEP_3) | instskip(NEXT) | instid1(VALU_DEP_3)
	v_dual_add_f32 v0, v0, v56 :: v_dual_add_f32 v1, v1, v59
	v_fma_f32 v54, v24, v52, -v58
	s_delay_alu instid0(VALU_DEP_1) | instskip(NEXT) | instid1(VALU_DEP_3)
	v_dual_fmac_f32 v53, v25, v52 :: v_dual_add_f32 v0, v0, v54
	v_add_f32_e32 v1, v1, v57
	s_delay_alu instid0(VALU_DEP_1) | instskip(NEXT) | instid1(VALU_DEP_1)
	v_add_f32_e32 v1, v1, v55
	v_add_f32_e32 v1, v1, v53
	s_branch .LBB305_20
.LBB305_29:
	s_or_b32 exec_lo, exec_lo, s33
.LBB305_30:
	s_delay_alu instid0(SALU_CYCLE_1) | instskip(SKIP_1) | instid1(SALU_CYCLE_1)
	s_or_b32 exec_lo, exec_lo, s31
	s_sub_i32 s0, s9, s30
	s_cmp_lt_i32 s0, 1
	s_cbranch_scc1 .LBB305_48
; %bb.31:
	v_cmp_gt_i32_e32 vcc_lo, s9, v63
	v_dual_mov_b32 v10, 0 :: v_dual_mov_b32 v11, 0
	v_or_b32_e32 v18, 1, v63
	v_dual_mov_b32 v12, 0 :: v_dual_mov_b32 v13, 0
	v_dual_mov_b32 v14, 0 :: v_dual_mov_b32 v15, 0
	;; [unrolled: 1-line block ×3, first 2 shown]
	s_and_saveexec_b32 s1, vcc_lo
	s_cbranch_execz .LBB305_39
; %bb.32:
	v_mad_u64_u32 v[10:11], null, v63, s20, 0
	v_dual_mov_b32 v17, 0 :: v_dual_mov_b32 v14, 0
	v_mov_b32_e32 v15, 0
	v_mov_b32_e32 v13, 0
	s_mov_b32 s2, exec_lo
	s_delay_alu instid0(VALU_DEP_4) | instskip(NEXT) | instid1(VALU_DEP_1)
	v_dual_mov_b32 v16, 0 :: v_dual_mov_b32 v3, v11
	v_mad_u64_u32 v[11:12], null, v63, s21, v[3:4]
	v_mov_b32_e32 v12, 0
	s_delay_alu instid0(VALU_DEP_2) | instskip(NEXT) | instid1(VALU_DEP_1)
	v_lshlrev_b64 v[10:11], 3, v[10:11]
	v_add_co_u32 v10, s0, s22, v10
	s_delay_alu instid0(VALU_DEP_1)
	v_add_co_ci_u32_e64 v11, s0, s23, v11, s0
	flat_load_b64 v[10:11], v[10:11]
	v_cmpx_gt_i32_e64 s9, v18
	s_cbranch_execz .LBB305_38
; %bb.33:
	v_mad_u64_u32 v[12:13], null, v18, s20, 0
	v_mov_b32_e32 v17, 0
	v_mov_b32_e32 v15, 0
	s_mov_b32 s3, exec_lo
	s_delay_alu instid0(VALU_DEP_3) | instskip(NEXT) | instid1(VALU_DEP_1)
	v_dual_mov_b32 v16, 0 :: v_dual_mov_b32 v3, v13
	v_mad_u64_u32 v[13:14], null, v18, s21, v[3:4]
	v_or_b32_e32 v3, 2, v63
	v_mov_b32_e32 v14, 0
	s_delay_alu instid0(VALU_DEP_3) | instskip(NEXT) | instid1(VALU_DEP_1)
	v_lshlrev_b64 v[12:13], 3, v[12:13]
	v_add_co_u32 v12, s0, s22, v12
	s_delay_alu instid0(VALU_DEP_1)
	v_add_co_ci_u32_e64 v13, s0, s23, v13, s0
	flat_load_b64 v[12:13], v[12:13]
	v_cmpx_gt_i32_e64 s9, v3
	s_cbranch_execz .LBB305_37
; %bb.34:
	v_mad_u64_u32 v[14:15], null, v3, s20, 0
	s_mov_b32 s4, exec_lo
	s_delay_alu instid0(VALU_DEP_1) | instskip(SKIP_2) | instid1(VALU_DEP_3)
	v_mad_u64_u32 v[16:17], null, v3, s21, v[15:16]
	v_or_b32_e32 v3, 3, v63
	v_mov_b32_e32 v17, 0
	v_dual_mov_b32 v15, v16 :: v_dual_mov_b32 v16, 0
	s_delay_alu instid0(VALU_DEP_1) | instskip(NEXT) | instid1(VALU_DEP_1)
	v_lshlrev_b64 v[14:15], 3, v[14:15]
	v_add_co_u32 v14, s0, s22, v14
	s_delay_alu instid0(VALU_DEP_1)
	v_add_co_ci_u32_e64 v15, s0, s23, v15, s0
	flat_load_b64 v[14:15], v[14:15]
	v_cmpx_gt_i32_e64 s9, v3
	s_cbranch_execz .LBB305_36
; %bb.35:
	v_mad_u64_u32 v[16:17], null, v3, s20, 0
	s_delay_alu instid0(VALU_DEP_1) | instskip(NEXT) | instid1(VALU_DEP_1)
	v_mad_u64_u32 v[19:20], null, v3, s21, v[17:18]
	v_mov_b32_e32 v17, v19
	s_delay_alu instid0(VALU_DEP_1) | instskip(NEXT) | instid1(VALU_DEP_1)
	v_lshlrev_b64 v[16:17], 3, v[16:17]
	v_add_co_u32 v16, s0, s22, v16
	s_delay_alu instid0(VALU_DEP_1)
	v_add_co_ci_u32_e64 v17, s0, s23, v17, s0
	flat_load_b64 v[16:17], v[16:17]
.LBB305_36:
	s_or_b32 exec_lo, exec_lo, s4
.LBB305_37:
	s_delay_alu instid0(SALU_CYCLE_1)
	s_or_b32 exec_lo, exec_lo, s3
.LBB305_38:
	s_delay_alu instid0(SALU_CYCLE_1)
	s_or_b32 exec_lo, exec_lo, s2
.LBB305_39:
	s_delay_alu instid0(SALU_CYCLE_1) | instskip(NEXT) | instid1(SALU_CYCLE_1)
	s_or_b32 exec_lo, exec_lo, s1
	s_mov_b32 s1, exec_lo
	v_cmpx_gt_i32_e64 s8, v2
	s_cbranch_execz .LBB305_47
; %bb.40:
	v_mad_u64_u32 v[19:20], null, v63, s16, 0
	v_mad_u64_u32 v[21:22], null, v18, s16, 0
	v_ashrrev_i32_e32 v3, 31, v2
	v_or_b32_e32 v31, 2, v63
	v_or_b32_e32 v32, 3, v63
	v_cndmask_b32_e32 v19, 0, v19, vcc_lo
	s_delay_alu instid0(VALU_DEP_4)
	v_lshlrev_b64 v[26:27], 3, v[2:3]
	v_mad_u64_u32 v[23:24], null, v63, s17, v[20:21]
	v_mov_b32_e32 v3, v22
	v_mad_u64_u32 v[24:25], null, v31, s16, 0
	v_mad_u64_u32 v[28:29], null, v32, s16, 0
	v_cmp_gt_i32_e64 s0, s9, v31
	v_cndmask_b32_e32 v20, 0, v23, vcc_lo
	v_mad_u64_u32 v[22:23], null, v18, s17, v[3:4]
	v_cmp_gt_i32_e32 vcc_lo, s9, v18
	v_mov_b32_e32 v3, v25
	v_dual_mov_b32 v23, v29 :: v_dual_cndmask_b32 v18, 0, v21
	v_lshlrev_b64 v[20:21], 3, v[19:20]
	v_cndmask_b32_e32 v19, 0, v22, vcc_lo
	s_delay_alu instid0(VALU_DEP_4) | instskip(NEXT) | instid1(VALU_DEP_3)
	v_mad_u64_u32 v[29:30], null, v31, s17, v[3:4]
	v_add_co_u32 v3, vcc_lo, s18, v20
	s_delay_alu instid0(VALU_DEP_4) | instskip(NEXT) | instid1(VALU_DEP_4)
	v_add_co_ci_u32_e32 v22, vcc_lo, s19, v21, vcc_lo
	v_lshlrev_b64 v[20:21], 3, v[18:19]
	s_delay_alu instid0(VALU_DEP_3) | instskip(NEXT) | instid1(VALU_DEP_3)
	v_add_co_u32 v18, vcc_lo, v3, v26
	v_add_co_ci_u32_e32 v19, vcc_lo, v22, v27, vcc_lo
	v_cndmask_b32_e64 v22, 0, v24, s0
	s_delay_alu instid0(VALU_DEP_4)
	v_add_co_u32 v3, vcc_lo, s18, v20
	v_mad_u64_u32 v[24:25], null, v32, s17, v[23:24]
	v_add_co_ci_u32_e32 v21, vcc_lo, s19, v21, vcc_lo
	v_cmp_gt_i32_e32 vcc_lo, s9, v32
	v_cndmask_b32_e64 v23, 0, v29, s0
	v_add_co_u32 v20, s0, v3, v26
	s_delay_alu instid0(VALU_DEP_1)
	v_add_co_ci_u32_e64 v21, s0, v21, v27, s0
	v_cndmask_b32_e32 v28, 0, v28, vcc_lo
	v_cndmask_b32_e32 v29, 0, v24, vcc_lo
	v_lshlrev_b64 v[22:23], 3, v[22:23]
	s_clause 0x1
	flat_load_b64 v[30:31], v[18:19]
	flat_load_b64 v[32:33], v[20:21]
	s_mov_b32 s0, exec_lo
	v_lshlrev_b64 v[24:25], 3, v[28:29]
	v_add_co_u32 v3, vcc_lo, s18, v22
	v_add_co_ci_u32_e32 v22, vcc_lo, s19, v23, vcc_lo
	s_delay_alu instid0(VALU_DEP_3) | instskip(NEXT) | instid1(VALU_DEP_4)
	v_add_co_u32 v23, vcc_lo, s18, v24
	v_add_co_ci_u32_e32 v28, vcc_lo, s19, v25, vcc_lo
	s_delay_alu instid0(VALU_DEP_4) | instskip(NEXT) | instid1(VALU_DEP_4)
	v_add_co_u32 v24, vcc_lo, v3, v26
	v_add_co_ci_u32_e32 v25, vcc_lo, v22, v27, vcc_lo
	s_delay_alu instid0(VALU_DEP_4) | instskip(NEXT) | instid1(VALU_DEP_4)
	v_add_co_u32 v22, vcc_lo, v23, v26
	v_add_co_ci_u32_e32 v23, vcc_lo, v28, v27, vcc_lo
	s_clause 0x1
	flat_load_b64 v[26:27], v[24:25]
	flat_load_b64 v[28:29], v[22:23]
	s_waitcnt vmcnt(2) lgkmcnt(2)
	v_dual_mul_f32 v3, v11, v31 :: v_dual_mul_f32 v34, v13, v33
	v_mul_f32_e32 v33, v12, v33
	s_delay_alu instid0(VALU_DEP_2) | instskip(NEXT) | instid1(VALU_DEP_1)
	v_fma_f32 v3, v10, v30, -v3
	v_dual_fmac_f32 v33, v13, v32 :: v_dual_add_f32 v8, v8, v3
	v_mul_f32_e32 v31, v10, v31
	s_delay_alu instid0(VALU_DEP_1) | instskip(SKIP_1) | instid1(VALU_DEP_2)
	v_fmac_f32_e32 v31, v11, v30
	v_fma_f32 v30, v12, v32, -v34
	v_add_f32_e32 v9, v9, v31
	s_waitcnt vmcnt(1) lgkmcnt(1)
	v_dual_mul_f32 v32, v15, v27 :: v_dual_add_nc_u32 v31, 64, v2
	s_waitcnt vmcnt(0) lgkmcnt(0)
	v_dual_mul_f32 v27, v14, v27 :: v_dual_mul_f32 v34, v17, v29
	v_mul_f32_e32 v3, v16, v29
	s_delay_alu instid0(VALU_DEP_3) | instskip(NEXT) | instid1(VALU_DEP_3)
	v_fma_f32 v29, v14, v26, -v32
	v_fmac_f32_e32 v27, v15, v26
	v_add_f32_e32 v26, v8, v30
	v_add_f32_e32 v30, v9, v33
	v_fma_f32 v8, v16, v28, -v34
	v_fmac_f32_e32 v3, v17, v28
	s_delay_alu instid0(VALU_DEP_4) | instskip(NEXT) | instid1(VALU_DEP_4)
	v_add_f32_e32 v9, v26, v29
	v_add_f32_e32 v26, v30, v27
	v_cmpx_gt_i32_e64 s8, v31
	s_cbranch_execz .LBB305_46
; %bb.41:
	s_clause 0x3
	flat_load_b64 v[27:28], v[18:19] offset:512
	flat_load_b64 v[29:30], v[20:21] offset:512
	;; [unrolled: 1-line block ×4, first 2 shown]
	s_mov_b32 s2, exec_lo
	s_waitcnt vmcnt(2) lgkmcnt(2)
	v_dual_mul_f32 v35, v11, v28 :: v_dual_mul_f32 v36, v13, v30
	v_mul_f32_e32 v28, v10, v28
	s_waitcnt vmcnt(1) lgkmcnt(1)
	v_dual_mul_f32 v30, v12, v30 :: v_dual_mul_f32 v37, v15, v32
	s_delay_alu instid0(VALU_DEP_3) | instskip(SKIP_2) | instid1(VALU_DEP_4)
	v_fma_f32 v35, v10, v27, -v35
	v_fma_f32 v36, v12, v29, -v36
	v_mul_f32_e32 v32, v14, v32
	v_fmac_f32_e32 v30, v13, v29
	v_fma_f32 v29, v14, v31, -v37
	v_add_f32_e32 v6, v6, v35
	s_waitcnt vmcnt(0) lgkmcnt(0)
	v_dual_fmac_f32 v28, v11, v27 :: v_dual_mul_f32 v27, v17, v34
	s_delay_alu instid0(VALU_DEP_1) | instskip(NEXT) | instid1(VALU_DEP_1)
	v_dual_add_f32 v28, v7, v28 :: v_dual_mul_f32 v7, v16, v34
	v_dual_fmac_f32 v32, v15, v31 :: v_dual_fmac_f32 v7, v17, v33
	s_delay_alu instid0(VALU_DEP_2) | instskip(SKIP_2) | instid1(VALU_DEP_3)
	v_dual_add_f32 v31, v6, v36 :: v_dual_add_f32 v28, v28, v30
	v_add_nc_u32_e32 v30, 0x80, v2
	v_fma_f32 v6, v16, v33, -v27
	v_dual_add_f32 v27, v31, v29 :: v_dual_add_f32 v28, v28, v32
	s_delay_alu instid0(VALU_DEP_3)
	v_cmpx_gt_i32_e64 s8, v30
	s_cbranch_execz .LBB305_45
; %bb.42:
	s_clause 0x3
	flat_load_b64 v[29:30], v[18:19] offset:1024
	flat_load_b64 v[31:32], v[20:21] offset:1024
	;; [unrolled: 1-line block ×4, first 2 shown]
	s_mov_b32 s3, exec_lo
	s_waitcnt vmcnt(2) lgkmcnt(2)
	v_dual_mul_f32 v37, v11, v30 :: v_dual_mul_f32 v38, v13, v32
	v_mul_f32_e32 v30, v10, v30
	s_waitcnt vmcnt(1) lgkmcnt(1)
	v_dual_mul_f32 v32, v12, v32 :: v_dual_mul_f32 v39, v15, v34
	v_mul_f32_e32 v34, v14, v34
	v_fma_f32 v37, v10, v29, -v37
	v_fmac_f32_e32 v30, v11, v29
	v_fma_f32 v38, v12, v31, -v38
	s_waitcnt vmcnt(0) lgkmcnt(0)
	s_delay_alu instid0(VALU_DEP_3) | instskip(NEXT) | instid1(VALU_DEP_3)
	v_dual_mul_f32 v29, v17, v36 :: v_dual_add_f32 v4, v4, v37
	v_dual_add_f32 v30, v5, v30 :: v_dual_mul_f32 v5, v16, v36
	v_fmac_f32_e32 v34, v15, v33
	v_fmac_f32_e32 v32, v13, v31
	v_fma_f32 v31, v14, v33, -v39
	s_delay_alu instid0(VALU_DEP_4) | instskip(NEXT) | instid1(VALU_DEP_3)
	v_dual_add_f32 v4, v4, v38 :: v_dual_fmac_f32 v5, v17, v35
	v_add_f32_e32 v30, v30, v32
	v_add_nc_u32_e32 v32, 0xc0, v2
	v_fma_f32 v2, v16, v35, -v29
	s_delay_alu instid0(VALU_DEP_3) | instskip(NEXT) | instid1(VALU_DEP_3)
	v_dual_add_f32 v4, v4, v31 :: v_dual_add_f32 v29, v30, v34
	v_cmpx_gt_i32_e64 s8, v32
	s_cbranch_execz .LBB305_44
; %bb.43:
	s_clause 0x3
	flat_load_b64 v[18:19], v[18:19] offset:1536
	flat_load_b64 v[20:21], v[20:21] offset:1536
	;; [unrolled: 1-line block ×4, first 2 shown]
	s_waitcnt vmcnt(2) lgkmcnt(2)
	v_dual_mul_f32 v30, v11, v19 :: v_dual_mul_f32 v31, v13, v21
	s_waitcnt vmcnt(1) lgkmcnt(1)
	v_dual_mul_f32 v19, v10, v19 :: v_dual_mul_f32 v32, v15, v25
	s_delay_alu instid0(VALU_DEP_2) | instskip(SKIP_1) | instid1(VALU_DEP_3)
	v_fma_f32 v10, v10, v18, -v30
	v_mul_f32_e32 v25, v14, v25
	v_fmac_f32_e32 v19, v11, v18
	s_delay_alu instid0(VALU_DEP_3)
	v_add_f32_e32 v0, v0, v10
	s_waitcnt vmcnt(0) lgkmcnt(0)
	v_mul_f32_e32 v10, v16, v23
	v_mul_f32_e32 v21, v12, v21
	v_fma_f32 v12, v12, v20, -v31
	v_mul_f32_e32 v11, v17, v23
	v_add_f32_e32 v1, v1, v19
	v_fmac_f32_e32 v10, v17, v22
	s_delay_alu instid0(VALU_DEP_4) | instskip(SKIP_3) | instid1(VALU_DEP_2)
	v_add_f32_e32 v0, v0, v12
	v_fmac_f32_e32 v21, v13, v20
	v_fma_f32 v13, v14, v24, -v32
	v_fma_f32 v11, v16, v22, -v11
	v_dual_add_f32 v0, v0, v13 :: v_dual_fmac_f32 v25, v15, v24
	s_delay_alu instid0(VALU_DEP_1) | instskip(NEXT) | instid1(VALU_DEP_1)
	v_dual_add_f32 v1, v1, v21 :: v_dual_add_f32 v0, v0, v11
	v_add_f32_e32 v1, v1, v25
	s_delay_alu instid0(VALU_DEP_1)
	v_add_f32_e32 v1, v1, v10
.LBB305_44:
	s_or_b32 exec_lo, exec_lo, s3
	s_delay_alu instid0(VALU_DEP_2)
	v_dual_add_f32 v4, v4, v2 :: v_dual_add_f32 v5, v29, v5
.LBB305_45:
	s_or_b32 exec_lo, exec_lo, s2
	s_delay_alu instid0(VALU_DEP_2)
	v_dual_add_f32 v6, v27, v6 :: v_dual_add_f32 v7, v28, v7
.LBB305_46:
	s_or_b32 exec_lo, exec_lo, s0
	s_delay_alu instid0(VALU_DEP_2)
	v_dual_add_f32 v8, v9, v8 :: v_dual_add_f32 v9, v26, v3
.LBB305_47:
	s_or_b32 exec_lo, exec_lo, s1
.LBB305_48:
	v_lshlrev_b32_e32 v2, 8, v62
	s_mov_b32 s0, exec_lo
	s_delay_alu instid0(VALU_DEP_1)
	v_add_lshl_u32 v2, v2, v61, 3
	ds_store_2addr_stride64_b64 v2, v[8:9], v[6:7] offset1:1
	ds_store_2addr_stride64_b64 v2, v[4:5], v[0:1] offset0:2 offset1:3
	s_waitcnt vmcnt(0) lgkmcnt(0)
	s_waitcnt_vscnt null, 0x0
	s_barrier
	buffer_gl0_inv
	v_cmpx_gt_u32_e32 0x100, v60
	s_cbranch_execz .LBB305_53
; %bb.49:
	v_lshlrev_b32_e32 v12, 3, v60
	ds_load_2addr_stride64_b64 v[0:3], v12 offset1:4
	ds_load_2addr_stride64_b64 v[4:7], v12 offset0:8 offset1:12
	ds_load_2addr_stride64_b64 v[8:11], v12 offset0:16 offset1:20
	s_waitcnt lgkmcnt(2)
	v_add_f32_e32 v13, v0, v2
	s_waitcnt lgkmcnt(1)
	s_delay_alu instid0(VALU_DEP_1) | instskip(SKIP_4) | instid1(VALU_DEP_1)
	v_add_f32_e32 v4, v13, v4
	v_add_f32_e32 v14, v1, v3
	ds_load_2addr_stride64_b64 v[0:3], v12 offset0:24 offset1:28
	v_add_f32_e32 v13, v4, v6
	s_waitcnt lgkmcnt(1)
	v_dual_add_f32 v5, v14, v5 :: v_dual_add_f32 v8, v13, v8
	s_delay_alu instid0(VALU_DEP_1) | instskip(SKIP_3) | instid1(VALU_DEP_1)
	v_add_f32_e32 v14, v5, v7
	ds_load_2addr_stride64_b64 v[4:7], v12 offset0:32 offset1:36
	v_add_f32_e32 v13, v8, v10
	s_waitcnt lgkmcnt(1)
	v_dual_add_f32 v9, v14, v9 :: v_dual_add_f32 v0, v13, v0
	s_delay_alu instid0(VALU_DEP_1) | instskip(SKIP_3) | instid1(VALU_DEP_1)
	;; [unrolled: 6-line block ×3, first 2 shown]
	v_add_f32_e32 v14, v1, v3
	ds_load_2addr_stride64_b64 v[0:3], v12 offset0:48 offset1:52
	v_add_f32_e32 v13, v4, v6
	v_add_f32_e32 v5, v14, v5
	v_add_f32_e32 v14, v5, v7
	ds_load_2addr_stride64_b64 v[4:7], v12 offset0:56 offset1:60
	s_waitcnt lgkmcnt(2)
	v_dual_add_f32 v8, v13, v8 :: v_dual_add_f32 v9, v14, v9
	s_delay_alu instid0(VALU_DEP_1) | instskip(SKIP_1) | instid1(VALU_DEP_1)
	v_dual_add_f32 v8, v8, v10 :: v_dual_add_f32 v9, v9, v11
	s_waitcnt lgkmcnt(1)
	v_dual_add_f32 v0, v8, v0 :: v_dual_add_f32 v1, v9, v1
	s_delay_alu instid0(VALU_DEP_1) | instskip(SKIP_1) | instid1(VALU_DEP_1)
	v_dual_add_f32 v0, v0, v2 :: v_dual_add_f32 v1, v1, v3
	s_waitcnt lgkmcnt(0)
	v_add_f32_e32 v2, v0, v4
	v_or_b32_e32 v0, s29, v60
	s_delay_alu instid0(VALU_DEP_2) | instskip(NEXT) | instid1(VALU_DEP_2)
	v_dual_add_f32 v1, v1, v5 :: v_dual_add_f32 v2, v2, v6
	v_cmp_gt_i32_e32 vcc_lo, s8, v0
	s_delay_alu instid0(VALU_DEP_2)
	v_add_f32_e32 v3, v1, v7
	ds_store_b64 v12, v[2:3]
	s_and_b32 exec_lo, exec_lo, vcc_lo
	s_cbranch_execz .LBB305_53
; %bb.50:
	v_ashrrev_i32_e32 v1, 31, v0
	v_mul_lo_u32 v6, v0, s7
	v_mad_u64_u32 v[4:5], null, v0, s6, 0
	v_cmp_neq_f32_e64 s0, s12, 0
	s_delay_alu instid0(VALU_DEP_4) | instskip(SKIP_1) | instid1(VALU_DEP_1)
	v_mul_lo_u32 v1, v1, s6
	v_cmp_neq_f32_e64 s1, s13, 0
	s_or_b32 s0, s0, s1
	s_delay_alu instid0(SALU_CYCLE_1) | instskip(NEXT) | instid1(VALU_DEP_2)
	s_and_not1_b32 vcc_lo, exec_lo, s0
	v_add3_u32 v5, v5, v6, v1
	v_mul_f32_e32 v1, s10, v3
	v_mul_f32_e32 v0, s11, v3
	s_delay_alu instid0(VALU_DEP_3) | instskip(NEXT) | instid1(VALU_DEP_3)
	v_lshlrev_b64 v[3:4], 3, v[4:5]
	v_fmac_f32_e32 v1, s11, v2
	s_delay_alu instid0(VALU_DEP_3)
	v_fma_f32 v0, v2, s10, -v0
	s_cbranch_vccnz .LBB305_52
; %bb.51:
	s_delay_alu instid0(VALU_DEP_3) | instskip(NEXT) | instid1(VALU_DEP_4)
	v_add_co_u32 v5, vcc_lo, s5, v3
	v_add_co_ci_u32_e32 v6, vcc_lo, s28, v4, vcc_lo
	global_load_b64 v[5:6], v[5:6], off
	s_waitcnt vmcnt(0)
	v_mul_f32_e32 v2, s13, v6
	v_mul_f32_e32 v6, s12, v6
	s_delay_alu instid0(VALU_DEP_2) | instskip(NEXT) | instid1(VALU_DEP_2)
	v_fma_f32 v2, s12, v5, -v2
	v_fmac_f32_e32 v6, s13, v5
	s_delay_alu instid0(VALU_DEP_2) | instskip(NEXT) | instid1(VALU_DEP_2)
	v_add_f32_e32 v0, v0, v2
	v_add_f32_e32 v1, v1, v6
.LBB305_52:
	s_delay_alu instid0(VALU_DEP_3) | instskip(NEXT) | instid1(VALU_DEP_4)
	v_add_co_u32 v2, vcc_lo, s5, v3
	v_add_co_ci_u32_e32 v3, vcc_lo, s28, v4, vcc_lo
	global_store_b64 v[2:3], v[0:1], off
.LBB305_53:
	s_nop 0
	s_sendmsg sendmsg(MSG_DEALLOC_VGPRS)
	s_endpgm
	.section	.rodata,"a",@progbits
	.p2align	6, 0x0
	.amdhsa_kernel _ZL20rocblas_gemvn_kernelILi64ELi16ElPK19rocblas_complex_numIfES1_KPS1_EviiT3_lPKT2_lT1_lS9_lSA_lS6_lPT4_lSA_li
		.amdhsa_group_segment_fixed_size 32768
		.amdhsa_private_segment_fixed_size 0
		.amdhsa_kernarg_size 400
		.amdhsa_user_sgpr_count 14
		.amdhsa_user_sgpr_dispatch_ptr 0
		.amdhsa_user_sgpr_queue_ptr 0
		.amdhsa_user_sgpr_kernarg_segment_ptr 1
		.amdhsa_user_sgpr_dispatch_id 0
		.amdhsa_user_sgpr_private_segment_size 0
		.amdhsa_wavefront_size32 1
		.amdhsa_uses_dynamic_stack 0
		.amdhsa_enable_private_segment 0
		.amdhsa_system_sgpr_workgroup_id_x 1
		.amdhsa_system_sgpr_workgroup_id_y 0
		.amdhsa_system_sgpr_workgroup_id_z 1
		.amdhsa_system_sgpr_workgroup_info 0
		.amdhsa_system_vgpr_workitem_id 1
		.amdhsa_next_free_vgpr 68
		.amdhsa_next_free_sgpr 36
		.amdhsa_reserve_vcc 1
		.amdhsa_float_round_mode_32 0
		.amdhsa_float_round_mode_16_64 0
		.amdhsa_float_denorm_mode_32 3
		.amdhsa_float_denorm_mode_16_64 3
		.amdhsa_dx10_clamp 1
		.amdhsa_ieee_mode 1
		.amdhsa_fp16_overflow 0
		.amdhsa_workgroup_processor_mode 1
		.amdhsa_memory_ordered 1
		.amdhsa_forward_progress 0
		.amdhsa_shared_vgpr_count 0
		.amdhsa_exception_fp_ieee_invalid_op 0
		.amdhsa_exception_fp_denorm_src 0
		.amdhsa_exception_fp_ieee_div_zero 0
		.amdhsa_exception_fp_ieee_overflow 0
		.amdhsa_exception_fp_ieee_underflow 0
		.amdhsa_exception_fp_ieee_inexact 0
		.amdhsa_exception_int_div_zero 0
	.end_amdhsa_kernel
	.section	.text._ZL20rocblas_gemvn_kernelILi64ELi16ElPK19rocblas_complex_numIfES1_KPS1_EviiT3_lPKT2_lT1_lS9_lSA_lS6_lPT4_lSA_li,"axG",@progbits,_ZL20rocblas_gemvn_kernelILi64ELi16ElPK19rocblas_complex_numIfES1_KPS1_EviiT3_lPKT2_lT1_lS9_lSA_lS6_lPT4_lSA_li,comdat
.Lfunc_end305:
	.size	_ZL20rocblas_gemvn_kernelILi64ELi16ElPK19rocblas_complex_numIfES1_KPS1_EviiT3_lPKT2_lT1_lS9_lSA_lS6_lPT4_lSA_li, .Lfunc_end305-_ZL20rocblas_gemvn_kernelILi64ELi16ElPK19rocblas_complex_numIfES1_KPS1_EviiT3_lPKT2_lT1_lS9_lSA_lS6_lPT4_lSA_li
                                        ; -- End function
	.section	.AMDGPU.csdata,"",@progbits
; Kernel info:
; codeLenInByte = 4244
; NumSgprs: 38
; NumVgprs: 68
; ScratchSize: 0
; MemoryBound: 0
; FloatMode: 240
; IeeeMode: 1
; LDSByteSize: 32768 bytes/workgroup (compile time only)
; SGPRBlocks: 4
; VGPRBlocks: 8
; NumSGPRsForWavesPerEU: 38
; NumVGPRsForWavesPerEU: 68
; Occupancy: 16
; WaveLimiterHint : 1
; COMPUTE_PGM_RSRC2:SCRATCH_EN: 0
; COMPUTE_PGM_RSRC2:USER_SGPR: 14
; COMPUTE_PGM_RSRC2:TRAP_HANDLER: 0
; COMPUTE_PGM_RSRC2:TGID_X_EN: 1
; COMPUTE_PGM_RSRC2:TGID_Y_EN: 0
; COMPUTE_PGM_RSRC2:TGID_Z_EN: 1
; COMPUTE_PGM_RSRC2:TIDIG_COMP_CNT: 1
	.section	.text._ZL22rocblas_gemvtsm_kernelILb0ELi256EPK19rocblas_complex_numIfES3_KPS1_EviiT2_lPKT1_lilS9_lilS6_lPT3_lil,"axG",@progbits,_ZL22rocblas_gemvtsm_kernelILb0ELi256EPK19rocblas_complex_numIfES3_KPS1_EviiT2_lPKT1_lilS9_lilS6_lPT3_lil,comdat
	.globl	_ZL22rocblas_gemvtsm_kernelILb0ELi256EPK19rocblas_complex_numIfES3_KPS1_EviiT2_lPKT1_lilS9_lilS6_lPT3_lil ; -- Begin function _ZL22rocblas_gemvtsm_kernelILb0ELi256EPK19rocblas_complex_numIfES3_KPS1_EviiT2_lPKT1_lilS9_lilS6_lPT3_lil
	.p2align	8
	.type	_ZL22rocblas_gemvtsm_kernelILb0ELi256EPK19rocblas_complex_numIfES3_KPS1_EviiT2_lPKT1_lilS9_lilS6_lPT3_lil,@function
_ZL22rocblas_gemvtsm_kernelILb0ELi256EPK19rocblas_complex_numIfES3_KPS1_EviiT2_lPKT1_lilS9_lilS6_lPT3_lil: ; @_ZL22rocblas_gemvtsm_kernelILb0ELi256EPK19rocblas_complex_numIfES3_KPS1_EviiT2_lPKT1_lilS9_lilS6_lPT3_lil
; %bb.0:
	s_mov_b32 s22, s15
	s_clause 0x1
	s_load_b256 s[12:19], s[0:1], 0x8
	s_load_b256 s[4:11], s[0:1], 0x58
	s_mov_b32 s23, 0
	s_waitcnt lgkmcnt(0)
	s_mul_i32 s3, s22, s15
	s_mul_hi_u32 s15, s22, s14
	s_mul_i32 s2, s22, s14
	s_add_i32 s3, s15, s3
	s_delay_alu instid0(SALU_CYCLE_1) | instskip(NEXT) | instid1(SALU_CYCLE_1)
	s_lshl_b64 s[2:3], s[2:3], 3
	s_add_u32 s2, s12, s2
	s_addc_u32 s3, s13, s3
	s_load_b64 s[14:15], s[2:3], 0x0
	s_mul_i32 s3, s22, s7
	s_mul_hi_u32 s7, s22, s6
	s_mul_i32 s2, s22, s6
	s_add_i32 s3, s7, s3
	s_delay_alu instid0(SALU_CYCLE_1) | instskip(NEXT) | instid1(SALU_CYCLE_1)
	s_lshl_b64 s[2:3], s[2:3], 3
	s_add_u32 s2, s4, s2
	s_addc_u32 s3, s5, s3
	s_load_b64 s[2:3], s[2:3], 0x0
	s_waitcnt lgkmcnt(0)
	v_cmp_neq_f32_e64 s4, s14, 0
	v_cmp_neq_f32_e64 s5, s15, 0
	s_delay_alu instid0(VALU_DEP_1) | instskip(NEXT) | instid1(SALU_CYCLE_1)
	s_or_b32 s4, s4, s5
	s_and_b32 vcc_lo, exec_lo, s4
	s_mov_b32 s4, -1
	s_cbranch_vccnz .LBB306_2
; %bb.1:
	v_cmp_neq_f32_e64 s4, s2, 1.0
	v_cmp_neq_f32_e64 s5, s3, 0
	s_delay_alu instid0(VALU_DEP_1)
	s_or_b32 s4, s4, s5
.LBB306_2:
	s_delay_alu instid0(SALU_CYCLE_1)
	s_and_not1_b32 vcc_lo, exec_lo, s4
	s_cbranch_vccnz .LBB306_40
; %bb.3:
	s_or_b32 s4, s14, s15
	s_mov_b64 s[20:21], 0
	s_and_b32 s5, s4, 0x7fffffff
	s_mov_b64 s[12:13], 0
	s_cmp_lg_u32 s5, 0
	s_cselect_b32 s4, -1, 0
	s_cmp_eq_u32 s5, 0
	s_cselect_b32 s7, -1, 0
	s_delay_alu instid0(SALU_CYCLE_1)
	s_and_b32 vcc_lo, exec_lo, s7
	s_cbranch_vccnz .LBB306_5
; %bb.4:
	s_lshl_b64 s[12:13], s[22:23], 3
	s_delay_alu instid0(SALU_CYCLE_1)
	s_add_u32 s12, s16, s12
	s_addc_u32 s13, s17, s13
	s_lshl_b64 s[16:17], s[18:19], 3
	s_load_b64 s[12:13], s[12:13], 0x0
	s_waitcnt lgkmcnt(0)
	s_add_u32 s12, s12, s16
	s_addc_u32 s13, s13, s17
.LBB306_5:
	s_and_not1_b32 vcc_lo, exec_lo, s4
	s_cbranch_vccnz .LBB306_7
; %bb.6:
	s_load_b128 s[16:19], s[0:1], 0x38
	s_lshl_b64 s[4:5], s[22:23], 3
	s_waitcnt lgkmcnt(0)
	s_add_u32 s4, s16, s4
	s_addc_u32 s5, s17, s5
	s_lshl_b64 s[16:17], s[18:19], 3
	s_load_b64 s[4:5], s[4:5], 0x0
	s_waitcnt lgkmcnt(0)
	s_add_u32 s20, s4, s16
	s_addc_u32 s21, s5, s17
.LBB306_7:
	s_lshl_b64 s[4:5], s[22:23], 3
	s_delay_alu instid0(SALU_CYCLE_1)
	s_add_u32 s8, s8, s4
	s_addc_u32 s9, s9, s5
	s_clause 0x1
	s_load_b64 s[4:5], s[0:1], 0x0
	s_load_b32 s6, s[0:1], 0x78
	s_load_b64 s[8:9], s[8:9], 0x0
	s_and_not1_b32 vcc_lo, exec_lo, s7
	s_mov_b32 s7, -1
	s_cbranch_vccnz .LBB306_22
; %bb.8:
	v_cmp_neq_f32_e64 s7, s2, 0
	v_cmp_neq_f32_e64 s16, s3, 0
	s_delay_alu instid0(VALU_DEP_1)
	s_or_b32 s7, s7, s16
	s_waitcnt lgkmcnt(0)
	s_cmp_gt_i32 s5, 0
	s_cselect_b32 s18, -1, 0
	s_and_b32 vcc_lo, exec_lo, s7
	s_mov_b32 s7, -1
	s_cbranch_vccnz .LBB306_15
; %bb.9:
	s_and_not1_b32 vcc_lo, exec_lo, s18
	s_cbranch_vccnz .LBB306_14
; %bb.10:
	v_mad_i64_i32 v[1:2], null, s6, v0, 0
	s_lshl_b64 s[16:17], s[10:11], 3
	s_ashr_i32 s7, s6, 31
	s_add_u32 s16, s8, s16
	s_addc_u32 s17, s9, s17
	v_mov_b32_e32 v3, 0
	s_delay_alu instid0(VALU_DEP_2) | instskip(NEXT) | instid1(VALU_DEP_1)
	v_lshlrev_b64 v[1:2], 3, v[1:2]
	v_add_co_u32 v1, vcc_lo, s16, v1
	s_delay_alu instid0(VALU_DEP_2) | instskip(SKIP_1) | instid1(VALU_DEP_2)
	v_add_co_ci_u32_e32 v2, vcc_lo, s17, v2, vcc_lo
	s_lshl_b64 s[16:17], s[6:7], 11
	v_add_co_u32 v1, vcc_lo, v1, 4
	s_delay_alu instid0(VALU_DEP_2)
	v_add_co_ci_u32_e32 v2, vcc_lo, 0, v2, vcc_lo
	s_mov_b32 s7, 0
	s_branch .LBB306_12
.LBB306_11:                             ;   in Loop: Header=BB306_12 Depth=1
	s_or_b32 exec_lo, exec_lo, s19
	v_add_co_u32 v1, vcc_lo, v1, s16
	v_add_co_ci_u32_e32 v2, vcc_lo, s17, v2, vcc_lo
	s_addk_i32 s7, 0x100
	s_delay_alu instid0(SALU_CYCLE_1)
	s_cmp_ge_i32 s7, s5
	s_cbranch_scc1 .LBB306_14
.LBB306_12:                             ; =>This Inner Loop Header: Depth=1
	v_add_nc_u32_e32 v4, s7, v0
	s_mov_b32 s19, exec_lo
	s_delay_alu instid0(VALU_DEP_1)
	v_cmpx_gt_i32_e64 s5, v4
	s_cbranch_execz .LBB306_11
; %bb.13:                               ;   in Loop: Header=BB306_12 Depth=1
	v_mov_b32_e32 v4, v3
	global_store_b64 v[1:2], v[3:4], off offset:-4
	s_branch .LBB306_11
.LBB306_14:
	s_mov_b32 s7, 0
.LBB306_15:
	s_delay_alu instid0(SALU_CYCLE_1)
	s_and_not1_b32 vcc_lo, exec_lo, s7
	s_cbranch_vccnz .LBB306_21
; %bb.16:
	s_and_not1_b32 vcc_lo, exec_lo, s18
	s_cbranch_vccnz .LBB306_21
; %bb.17:
	v_mad_i64_i32 v[1:2], null, s6, v0, 0
	s_lshl_b64 s[16:17], s[10:11], 3
	s_ashr_i32 s7, s6, 31
	s_add_u32 s16, s8, s16
	s_addc_u32 s17, s9, s17
	s_delay_alu instid0(VALU_DEP_1) | instskip(NEXT) | instid1(VALU_DEP_1)
	v_lshlrev_b64 v[1:2], 3, v[1:2]
	v_add_co_u32 v1, vcc_lo, s16, v1
	s_delay_alu instid0(VALU_DEP_2) | instskip(SKIP_1) | instid1(VALU_DEP_2)
	v_add_co_ci_u32_e32 v2, vcc_lo, s17, v2, vcc_lo
	s_lshl_b64 s[16:17], s[6:7], 11
	v_add_co_u32 v1, vcc_lo, v1, 4
	s_delay_alu instid0(VALU_DEP_2)
	v_add_co_ci_u32_e32 v2, vcc_lo, 0, v2, vcc_lo
	s_mov_b32 s7, 0
	s_branch .LBB306_19
	.p2align	6
.LBB306_18:                             ;   in Loop: Header=BB306_19 Depth=1
	s_or_b32 exec_lo, exec_lo, s18
	v_add_co_u32 v1, vcc_lo, v1, s16
	v_add_co_ci_u32_e32 v2, vcc_lo, s17, v2, vcc_lo
	s_addk_i32 s7, 0x100
	s_delay_alu instid0(SALU_CYCLE_1)
	s_cmp_ge_i32 s7, s5
	s_cbranch_scc1 .LBB306_21
.LBB306_19:                             ; =>This Inner Loop Header: Depth=1
	v_add_nc_u32_e32 v3, s7, v0
	s_mov_b32 s18, exec_lo
	s_delay_alu instid0(VALU_DEP_1)
	v_cmpx_gt_i32_e64 s5, v3
	s_cbranch_execz .LBB306_18
; %bb.20:                               ;   in Loop: Header=BB306_19 Depth=1
	global_load_b64 v[3:4], v[1:2], off offset:-4
	s_waitcnt vmcnt(0)
	v_mul_f32_e32 v5, s2, v4
	s_delay_alu instid0(VALU_DEP_1) | instskip(NEXT) | instid1(VALU_DEP_1)
	v_dual_mul_f32 v6, s3, v4 :: v_dual_fmac_f32 v5, s3, v3
	v_fma_f32 v4, s2, v3, -v6
	global_store_b64 v[1:2], v[4:5], off offset:-4
	s_branch .LBB306_18
.LBB306_21:
	s_mov_b32 s7, 0
.LBB306_22:
	s_delay_alu instid0(SALU_CYCLE_1)
	s_and_not1_b32 vcc_lo, exec_lo, s7
	s_cbranch_vccnz .LBB306_40
; %bb.23:
	s_mov_b32 s7, exec_lo
	s_waitcnt lgkmcnt(0)
	v_cmpx_gt_i32_e64 s4, v0
	s_cbranch_execz .LBB306_25
; %bb.24:
	s_load_b32 s16, s[0:1], 0x48
	s_waitcnt lgkmcnt(0)
	v_mad_i64_i32 v[1:2], null, s16, v0, 0
	s_delay_alu instid0(VALU_DEP_1) | instskip(NEXT) | instid1(VALU_DEP_1)
	v_lshlrev_b64 v[1:2], 3, v[1:2]
	v_add_co_u32 v1, vcc_lo, s20, v1
	s_delay_alu instid0(VALU_DEP_2) | instskip(SKIP_3) | instid1(VALU_DEP_1)
	v_add_co_ci_u32_e32 v2, vcc_lo, s21, v2, vcc_lo
	flat_load_b64 v[1:2], v[1:2]
	s_waitcnt vmcnt(0) lgkmcnt(0)
	v_mul_f32_e32 v3, s14, v2
	v_dual_mul_f32 v4, s15, v2 :: v_dual_fmac_f32 v3, s15, v1
	s_delay_alu instid0(VALU_DEP_1)
	v_fma_f32 v2, v1, s14, -v4
	v_lshlrev_b32_e32 v1, 3, v0
	ds_store_b64 v1, v[2:3]
.LBB306_25:
	s_or_b32 exec_lo, exec_lo, s7
	s_cmp_lt_i32 s5, 1
	s_waitcnt lgkmcnt(0)
	s_waitcnt_vscnt null, 0x0
	s_barrier
	buffer_gl0_inv
	s_cbranch_scc1 .LBB306_40
; %bb.26:
	s_load_b32 s20, s[0:1], 0x28
	s_lshl_b64 s[0:1], s[10:11], 3
	v_cmp_neq_f32_e64 s10, s2, 0
	v_cmp_neq_f32_e64 s11, s3, 0
	s_add_u32 s7, s8, s0
	s_addc_u32 s14, s9, s1
	s_ashr_i32 s15, s6, 31
	s_mov_b32 s1, 0
	s_or_b32 s16, s10, s11
	s_waitcnt lgkmcnt(0)
	v_mad_i64_i32 v[1:2], null, s20, v0, 0
	s_ashr_i32 s21, s20, 31
	s_cmp_gt_i32 s4, 0
	s_cselect_b32 s17, -1, 0
	s_and_b32 s18, s4, 7
	s_cmp_gt_u32 s4, 7
	s_delay_alu instid0(VALU_DEP_1) | instskip(SKIP_3) | instid1(VALU_DEP_1)
	v_lshlrev_b64 v[1:2], 3, v[1:2]
	s_cselect_b32 s19, -1, 0
	s_and_b32 s4, s4, 0x7ffffff8
	s_cmp_lg_u32 s18, 0
	v_add_co_u32 v1, vcc_lo, s12, v1
	s_delay_alu instid0(VALU_DEP_2)
	v_add_co_ci_u32_e32 v2, vcc_lo, s13, v2, vcc_lo
	s_cselect_b32 s12, -1, 0
	s_lshl_b64 s[8:9], s[20:21], 11
	s_mov_b32 s13, 0
	s_branch .LBB306_29
.LBB306_27:                             ;   in Loop: Header=BB306_29 Depth=1
	s_delay_alu instid0(VALU_DEP_2)
	v_add_co_u32 v3, vcc_lo, s7, v3
	v_add_co_ci_u32_e32 v4, vcc_lo, s14, v4, vcc_lo
	global_store_b64 v[3:4], v[5:6], off
.LBB306_28:                             ;   in Loop: Header=BB306_29 Depth=1
	s_or_b32 exec_lo, exec_lo, s20
	v_add_co_u32 v1, vcc_lo, v1, s8
	v_add_co_ci_u32_e32 v2, vcc_lo, s9, v2, vcc_lo
	s_addk_i32 s13, 0x100
	s_delay_alu instid0(SALU_CYCLE_1)
	s_cmp_ge_i32 s13, s5
	s_cbranch_scc1 .LBB306_40
.LBB306_29:                             ; =>This Loop Header: Depth=1
                                        ;     Child Loop BB306_35 Depth 2
                                        ;     Child Loop BB306_39 Depth 2
	v_add_nc_u32_e32 v3, s13, v0
	s_mov_b32 s20, exec_lo
	s_delay_alu instid0(VALU_DEP_1)
	v_cmpx_gt_i32_e64 s5, v3
	s_cbranch_execz .LBB306_28
; %bb.30:                               ;   in Loop: Header=BB306_29 Depth=1
	v_mad_u64_u32 v[6:7], null, v3, s6, 0
	s_and_not1_b32 vcc_lo, exec_lo, s16
	s_delay_alu instid0(VALU_DEP_1) | instskip(NEXT) | instid1(VALU_DEP_1)
	v_mov_b32_e32 v4, v7
	v_mad_u64_u32 v[7:8], null, v3, s15, v[4:5]
	v_mov_b32_e32 v5, 0
	s_delay_alu instid0(VALU_DEP_2)
	v_lshlrev_b64 v[3:4], 3, v[6:7]
	v_mov_b32_e32 v6, 0
	s_cbranch_vccnz .LBB306_32
; %bb.31:                               ;   in Loop: Header=BB306_29 Depth=1
	s_delay_alu instid0(VALU_DEP_2) | instskip(NEXT) | instid1(VALU_DEP_3)
	v_add_co_u32 v5, vcc_lo, s7, v3
	v_add_co_ci_u32_e32 v6, vcc_lo, s14, v4, vcc_lo
	global_load_b64 v[7:8], v[5:6], off
	s_waitcnt vmcnt(0)
	v_mul_f32_e32 v6, s2, v8
	s_delay_alu instid0(VALU_DEP_1) | instskip(NEXT) | instid1(VALU_DEP_1)
	v_dual_mul_f32 v5, s3, v8 :: v_dual_fmac_f32 v6, s3, v7
	v_fma_f32 v5, s2, v7, -v5
.LBB306_32:                             ;   in Loop: Header=BB306_29 Depth=1
	s_and_not1_b32 vcc_lo, exec_lo, s17
	s_cbranch_vccnz .LBB306_27
; %bb.33:                               ;   in Loop: Header=BB306_29 Depth=1
	s_and_not1_b32 vcc_lo, exec_lo, s19
	s_cbranch_vccnz .LBB306_37
; %bb.34:                               ;   in Loop: Header=BB306_29 Depth=1
	v_dual_mov_b32 v8, v2 :: v_dual_mov_b32 v7, v1
	s_mov_b32 s0, 0
	s_mov_b32 s10, 0
.LBB306_35:                             ;   Parent Loop BB306_29 Depth=1
                                        ; =>  This Inner Loop Header: Depth=2
	s_clause 0x3
	flat_load_b128 v[9:12], v[7:8]
	flat_load_b128 v[13:16], v[7:8] offset:16
	flat_load_b128 v[17:20], v[7:8] offset:32
	;; [unrolled: 1-line block ×3, first 2 shown]
	v_mov_b32_e32 v37, s0
	v_add_co_u32 v7, vcc_lo, v7, 64
	v_add_co_ci_u32_e32 v8, vcc_lo, 0, v8, vcc_lo
	ds_load_b128 v[25:28], v37
	ds_load_b128 v[29:32], v37 offset:16
	ds_load_b128 v[33:36], v37 offset:32
	;; [unrolled: 1-line block ×3, first 2 shown]
	s_add_i32 s10, s10, 8
	s_add_i32 s0, s0, 64
	s_cmp_eq_u32 s4, s10
	s_waitcnt vmcnt(3) lgkmcnt(3)
	v_dual_mul_f32 v41, v10, v26 :: v_dual_mul_f32 v42, v12, v28
	v_mul_f32_e32 v26, v9, v26
	s_waitcnt vmcnt(2) lgkmcnt(2)
	v_dual_mul_f32 v28, v11, v28 :: v_dual_mul_f32 v43, v14, v30
	s_delay_alu instid0(VALU_DEP_3)
	v_fma_f32 v9, v9, v25, -v41
	s_waitcnt vmcnt(1) lgkmcnt(1)
	v_mul_f32_e32 v46, v20, v36
	v_fmac_f32_e32 v26, v10, v25
	v_fma_f32 v10, v11, v27, -v42
	v_dual_mul_f32 v44, v16, v32 :: v_dual_mul_f32 v45, v18, v34
	v_dual_add_f32 v5, v5, v9 :: v_dual_mul_f32 v36, v19, v36
	v_fma_f32 v9, v13, v29, -v43
	s_waitcnt vmcnt(0) lgkmcnt(0)
	v_dual_mul_f32 v32, v15, v32 :: v_dual_mul_f32 v47, v22, v38
	s_delay_alu instid0(VALU_DEP_3) | instskip(SKIP_3) | instid1(VALU_DEP_4)
	v_dual_add_f32 v5, v5, v10 :: v_dual_mul_f32 v48, v24, v40
	v_fma_f32 v10, v15, v31, -v44
	v_mul_f32_e32 v30, v13, v30
	v_mul_f32_e32 v34, v17, v34
	v_dual_add_f32 v5, v5, v9 :: v_dual_mul_f32 v40, v23, v40
	v_fma_f32 v9, v17, v33, -v45
	v_fmac_f32_e32 v32, v16, v31
	s_delay_alu instid0(VALU_DEP_3) | instskip(SKIP_3) | instid1(VALU_DEP_4)
	v_dual_fmac_f32 v34, v18, v33 :: v_dual_add_f32 v5, v5, v10
	v_fmac_f32_e32 v28, v12, v27
	v_fma_f32 v10, v19, v35, -v46
	v_mul_f32_e32 v38, v21, v38
	v_dual_fmac_f32 v36, v20, v35 :: v_dual_add_f32 v5, v5, v9
	v_fma_f32 v9, v21, v37, -v47
	v_fmac_f32_e32 v40, v24, v39
	s_delay_alu instid0(VALU_DEP_3) | instskip(SKIP_2) | instid1(VALU_DEP_3)
	v_dual_fmac_f32 v38, v22, v37 :: v_dual_add_f32 v5, v5, v10
	v_add_f32_e32 v6, v6, v26
	v_fma_f32 v10, v23, v39, -v48
	v_add_f32_e32 v5, v5, v9
	v_fmac_f32_e32 v30, v14, v29
	s_delay_alu instid0(VALU_DEP_2) | instskip(NEXT) | instid1(VALU_DEP_1)
	v_dual_add_f32 v6, v6, v28 :: v_dual_add_f32 v5, v5, v10
	v_add_f32_e32 v6, v6, v30
	s_delay_alu instid0(VALU_DEP_1) | instskip(NEXT) | instid1(VALU_DEP_1)
	v_add_f32_e32 v6, v6, v32
	v_add_f32_e32 v6, v6, v34
	s_delay_alu instid0(VALU_DEP_1) | instskip(NEXT) | instid1(VALU_DEP_1)
	v_add_f32_e32 v6, v6, v36
	v_add_f32_e32 v6, v6, v38
	s_delay_alu instid0(VALU_DEP_1)
	v_add_f32_e32 v6, v6, v40
	s_cbranch_scc0 .LBB306_35
; %bb.36:                               ;   in Loop: Header=BB306_29 Depth=1
	s_mov_b32 s0, s4
	s_and_not1_b32 vcc_lo, exec_lo, s12
	s_cbranch_vccz .LBB306_38
	s_branch .LBB306_27
.LBB306_37:                             ;   in Loop: Header=BB306_29 Depth=1
	s_mov_b32 s0, 0
	s_and_not1_b32 vcc_lo, exec_lo, s12
	s_cbranch_vccnz .LBB306_27
.LBB306_38:                             ;   in Loop: Header=BB306_29 Depth=1
	s_lshl_b32 s21, s0, 3
	s_lshl_b64 s[10:11], s[0:1], 3
	s_mov_b32 s0, s18
	.p2align	6
.LBB306_39:                             ;   Parent Loop BB306_29 Depth=1
                                        ; =>  This Inner Loop Header: Depth=2
	v_add_co_u32 v7, vcc_lo, v1, s10
	v_add_co_ci_u32_e32 v8, vcc_lo, s11, v2, vcc_lo
	flat_load_b64 v[7:8], v[7:8]
	v_mov_b32_e32 v9, s21
	s_add_i32 s21, s21, 8
	s_add_u32 s10, s10, 8
	s_addc_u32 s11, s11, 0
	s_add_i32 s0, s0, -1
	ds_load_b64 v[9:10], v9
	s_cmp_lg_u32 s0, 0
	s_waitcnt vmcnt(0) lgkmcnt(0)
	v_mul_f32_e32 v11, v8, v10
	v_mul_f32_e32 v10, v7, v10
	s_delay_alu instid0(VALU_DEP_2) | instskip(NEXT) | instid1(VALU_DEP_1)
	v_fma_f32 v7, v7, v9, -v11
	v_dual_fmac_f32 v10, v8, v9 :: v_dual_add_f32 v5, v5, v7
	s_delay_alu instid0(VALU_DEP_1)
	v_add_f32_e32 v6, v6, v10
	s_cbranch_scc1 .LBB306_39
	s_branch .LBB306_27
.LBB306_40:
	s_nop 0
	s_sendmsg sendmsg(MSG_DEALLOC_VGPRS)
	s_endpgm
	.section	.rodata,"a",@progbits
	.p2align	6, 0x0
	.amdhsa_kernel _ZL22rocblas_gemvtsm_kernelILb0ELi256EPK19rocblas_complex_numIfES3_KPS1_EviiT2_lPKT1_lilS9_lilS6_lPT3_lil
		.amdhsa_group_segment_fixed_size 512
		.amdhsa_private_segment_fixed_size 0
		.amdhsa_kernarg_size 136
		.amdhsa_user_sgpr_count 15
		.amdhsa_user_sgpr_dispatch_ptr 0
		.amdhsa_user_sgpr_queue_ptr 0
		.amdhsa_user_sgpr_kernarg_segment_ptr 1
		.amdhsa_user_sgpr_dispatch_id 0
		.amdhsa_user_sgpr_private_segment_size 0
		.amdhsa_wavefront_size32 1
		.amdhsa_uses_dynamic_stack 0
		.amdhsa_enable_private_segment 0
		.amdhsa_system_sgpr_workgroup_id_x 1
		.amdhsa_system_sgpr_workgroup_id_y 0
		.amdhsa_system_sgpr_workgroup_id_z 0
		.amdhsa_system_sgpr_workgroup_info 0
		.amdhsa_system_vgpr_workitem_id 0
		.amdhsa_next_free_vgpr 49
		.amdhsa_next_free_sgpr 24
		.amdhsa_reserve_vcc 1
		.amdhsa_float_round_mode_32 0
		.amdhsa_float_round_mode_16_64 0
		.amdhsa_float_denorm_mode_32 3
		.amdhsa_float_denorm_mode_16_64 3
		.amdhsa_dx10_clamp 1
		.amdhsa_ieee_mode 1
		.amdhsa_fp16_overflow 0
		.amdhsa_workgroup_processor_mode 1
		.amdhsa_memory_ordered 1
		.amdhsa_forward_progress 0
		.amdhsa_shared_vgpr_count 0
		.amdhsa_exception_fp_ieee_invalid_op 0
		.amdhsa_exception_fp_denorm_src 0
		.amdhsa_exception_fp_ieee_div_zero 0
		.amdhsa_exception_fp_ieee_overflow 0
		.amdhsa_exception_fp_ieee_underflow 0
		.amdhsa_exception_fp_ieee_inexact 0
		.amdhsa_exception_int_div_zero 0
	.end_amdhsa_kernel
	.section	.text._ZL22rocblas_gemvtsm_kernelILb0ELi256EPK19rocblas_complex_numIfES3_KPS1_EviiT2_lPKT1_lilS9_lilS6_lPT3_lil,"axG",@progbits,_ZL22rocblas_gemvtsm_kernelILb0ELi256EPK19rocblas_complex_numIfES3_KPS1_EviiT2_lPKT1_lilS9_lilS6_lPT3_lil,comdat
.Lfunc_end306:
	.size	_ZL22rocblas_gemvtsm_kernelILb0ELi256EPK19rocblas_complex_numIfES3_KPS1_EviiT2_lPKT1_lilS9_lilS6_lPT3_lil, .Lfunc_end306-_ZL22rocblas_gemvtsm_kernelILb0ELi256EPK19rocblas_complex_numIfES3_KPS1_EviiT2_lPKT1_lilS9_lilS6_lPT3_lil
                                        ; -- End function
	.section	.AMDGPU.csdata,"",@progbits
; Kernel info:
; codeLenInByte = 1852
; NumSgprs: 26
; NumVgprs: 49
; ScratchSize: 0
; MemoryBound: 0
; FloatMode: 240
; IeeeMode: 1
; LDSByteSize: 512 bytes/workgroup (compile time only)
; SGPRBlocks: 3
; VGPRBlocks: 6
; NumSGPRsForWavesPerEU: 26
; NumVGPRsForWavesPerEU: 49
; Occupancy: 16
; WaveLimiterHint : 1
; COMPUTE_PGM_RSRC2:SCRATCH_EN: 0
; COMPUTE_PGM_RSRC2:USER_SGPR: 15
; COMPUTE_PGM_RSRC2:TRAP_HANDLER: 0
; COMPUTE_PGM_RSRC2:TGID_X_EN: 1
; COMPUTE_PGM_RSRC2:TGID_Y_EN: 0
; COMPUTE_PGM_RSRC2:TGID_Z_EN: 0
; COMPUTE_PGM_RSRC2:TIDIG_COMP_CNT: 0
	.section	.text._ZL22rocblas_gemvtsm_kernelILb0ELi256EPK19rocblas_complex_numIfES1_KPS1_EviiT2_lPKT1_lilS9_lilS6_lPT3_lil,"axG",@progbits,_ZL22rocblas_gemvtsm_kernelILb0ELi256EPK19rocblas_complex_numIfES1_KPS1_EviiT2_lPKT1_lilS9_lilS6_lPT3_lil,comdat
	.globl	_ZL22rocblas_gemvtsm_kernelILb0ELi256EPK19rocblas_complex_numIfES1_KPS1_EviiT2_lPKT1_lilS9_lilS6_lPT3_lil ; -- Begin function _ZL22rocblas_gemvtsm_kernelILb0ELi256EPK19rocblas_complex_numIfES1_KPS1_EviiT2_lPKT1_lilS9_lilS6_lPT3_lil
	.p2align	8
	.type	_ZL22rocblas_gemvtsm_kernelILb0ELi256EPK19rocblas_complex_numIfES1_KPS1_EviiT2_lPKT1_lilS9_lilS6_lPT3_lil,@function
_ZL22rocblas_gemvtsm_kernelILb0ELi256EPK19rocblas_complex_numIfES1_KPS1_EviiT2_lPKT1_lilS9_lilS6_lPT3_lil: ; @_ZL22rocblas_gemvtsm_kernelILb0ELi256EPK19rocblas_complex_numIfES1_KPS1_EviiT2_lPKT1_lilS9_lilS6_lPT3_lil
; %bb.0:
	s_clause 0x1
	s_load_b128 s[4:7], s[0:1], 0x0
	s_load_b64 s[2:3], s[0:1], 0x58
	s_mov_b32 s12, s15
	s_waitcnt lgkmcnt(0)
	v_cmp_neq_f32_e64 s8, s6, 0
	v_cmp_neq_f32_e64 s9, s7, 0
	s_delay_alu instid0(VALU_DEP_1) | instskip(NEXT) | instid1(SALU_CYCLE_1)
	s_or_b32 s8, s8, s9
	s_and_b32 vcc_lo, exec_lo, s8
	s_mov_b32 s8, -1
	s_cbranch_vccnz .LBB307_2
; %bb.1:
	v_cmp_neq_f32_e64 s8, s2, 1.0
	v_cmp_neq_f32_e64 s9, s3, 0
	s_delay_alu instid0(VALU_DEP_1)
	s_or_b32 s8, s8, s9
.LBB307_2:
	s_delay_alu instid0(SALU_CYCLE_1)
	s_and_not1_b32 vcc_lo, exec_lo, s8
	s_cbranch_vccnz .LBB307_42
; %bb.3:
	s_or_b32 s8, s6, s7
	s_mov_b32 s13, 0
	s_and_b32 s9, s8, 0x7fffffff
	s_delay_alu instid0(SALU_CYCLE_1)
	s_cmp_lg_u32 s9, 0
	s_cselect_b32 s8, -1, 0
	s_cmp_eq_u32 s9, 0
	s_cselect_b32 s18, -1, 0
	s_and_b32 vcc_lo, exec_lo, s8
	s_cbranch_vccnz .LBB307_5
; %bb.4:
	s_mov_b64 s[14:15], 0
	s_and_not1_b32 vcc_lo, exec_lo, s13
	s_cbranch_vccz .LBB307_6
	s_branch .LBB307_7
.LBB307_5:
	s_mov_b32 s13, -1
                                        ; implicit-def: $sgpr14_sgpr15
.LBB307_6:
	s_load_b128 s[20:23], s[0:1], 0x18
	s_mov_b32 s13, 0
	s_delay_alu instid0(SALU_CYCLE_1)
	s_lshl_b64 s[10:11], s[12:13], 3
	s_waitcnt lgkmcnt(0)
	s_add_u32 s10, s20, s10
	s_addc_u32 s11, s21, s11
	s_lshl_b64 s[14:15], s[22:23], 3
	s_load_b64 s[10:11], s[10:11], 0x0
	s_waitcnt lgkmcnt(0)
	s_add_u32 s14, s10, s14
	s_addc_u32 s15, s11, s15
.LBB307_7:
	s_and_not1_b32 vcc_lo, exec_lo, s8
	s_mov_b64 s[16:17], 0
	s_cbranch_vccnz .LBB307_9
; %bb.8:
	s_load_b128 s[8:11], s[0:1], 0x38
	s_lshl_b64 s[16:17], s[12:13], 3
	s_waitcnt lgkmcnt(0)
	s_add_u32 s8, s8, s16
	s_addc_u32 s9, s9, s17
	s_lshl_b64 s[10:11], s[10:11], 3
	s_load_b64 s[8:9], s[8:9], 0x0
	s_waitcnt lgkmcnt(0)
	s_add_u32 s16, s8, s10
	s_addc_u32 s17, s9, s11
.LBB307_9:
	s_load_b128 s[8:11], s[0:1], 0x68
	s_lshl_b64 s[20:21], s[12:13], 3
	s_load_b32 s12, s[0:1], 0x78
	s_mov_b32 s13, -1
	s_waitcnt lgkmcnt(0)
	s_add_u32 s8, s8, s20
	s_addc_u32 s9, s9, s21
	s_and_not1_b32 vcc_lo, exec_lo, s18
	s_load_b64 s[8:9], s[8:9], 0x0
	s_cbranch_vccnz .LBB307_24
; %bb.10:
	v_cmp_neq_f32_e64 s13, s2, 0
	v_cmp_neq_f32_e64 s18, s3, 0
	s_delay_alu instid0(VALU_DEP_1)
	s_or_b32 s13, s13, s18
	s_cmp_gt_i32 s5, 0
	s_cselect_b32 s20, -1, 0
	s_and_b32 vcc_lo, exec_lo, s13
	s_mov_b32 s13, -1
	s_cbranch_vccnz .LBB307_17
; %bb.11:
	s_and_not1_b32 vcc_lo, exec_lo, s20
	s_cbranch_vccnz .LBB307_16
; %bb.12:
	v_mad_i64_i32 v[1:2], null, s12, v0, 0
	s_lshl_b64 s[18:19], s[10:11], 3
	s_ashr_i32 s13, s12, 31
	s_waitcnt lgkmcnt(0)
	s_add_u32 s18, s8, s18
	s_addc_u32 s19, s9, s19
	v_mov_b32_e32 v3, 0
	s_delay_alu instid0(VALU_DEP_2) | instskip(NEXT) | instid1(VALU_DEP_1)
	v_lshlrev_b64 v[1:2], 3, v[1:2]
	v_add_co_u32 v1, vcc_lo, s18, v1
	s_delay_alu instid0(VALU_DEP_2) | instskip(SKIP_1) | instid1(VALU_DEP_2)
	v_add_co_ci_u32_e32 v2, vcc_lo, s19, v2, vcc_lo
	s_lshl_b64 s[18:19], s[12:13], 11
	v_add_co_u32 v1, vcc_lo, v1, 4
	s_delay_alu instid0(VALU_DEP_2)
	v_add_co_ci_u32_e32 v2, vcc_lo, 0, v2, vcc_lo
	s_mov_b32 s13, 0
	s_branch .LBB307_14
.LBB307_13:                             ;   in Loop: Header=BB307_14 Depth=1
	s_or_b32 exec_lo, exec_lo, s21
	v_add_co_u32 v1, vcc_lo, v1, s18
	v_add_co_ci_u32_e32 v2, vcc_lo, s19, v2, vcc_lo
	s_addk_i32 s13, 0x100
	s_delay_alu instid0(SALU_CYCLE_1)
	s_cmp_ge_i32 s13, s5
	s_cbranch_scc1 .LBB307_16
.LBB307_14:                             ; =>This Inner Loop Header: Depth=1
	v_add_nc_u32_e32 v4, s13, v0
	s_mov_b32 s21, exec_lo
	s_delay_alu instid0(VALU_DEP_1)
	v_cmpx_gt_i32_e64 s5, v4
	s_cbranch_execz .LBB307_13
; %bb.15:                               ;   in Loop: Header=BB307_14 Depth=1
	v_mov_b32_e32 v4, v3
	global_store_b64 v[1:2], v[3:4], off offset:-4
	s_branch .LBB307_13
.LBB307_16:
	s_mov_b32 s13, 0
.LBB307_17:
	s_delay_alu instid0(SALU_CYCLE_1)
	s_and_not1_b32 vcc_lo, exec_lo, s13
	s_cbranch_vccnz .LBB307_23
; %bb.18:
	s_and_not1_b32 vcc_lo, exec_lo, s20
	s_cbranch_vccnz .LBB307_23
; %bb.19:
	v_mad_i64_i32 v[1:2], null, s12, v0, 0
	s_lshl_b64 s[18:19], s[10:11], 3
	s_ashr_i32 s13, s12, 31
	s_waitcnt lgkmcnt(0)
	s_add_u32 s18, s8, s18
	s_addc_u32 s19, s9, s19
	s_delay_alu instid0(VALU_DEP_1) | instskip(NEXT) | instid1(VALU_DEP_1)
	v_lshlrev_b64 v[1:2], 3, v[1:2]
	v_add_co_u32 v1, vcc_lo, s18, v1
	s_delay_alu instid0(VALU_DEP_2) | instskip(SKIP_1) | instid1(VALU_DEP_2)
	v_add_co_ci_u32_e32 v2, vcc_lo, s19, v2, vcc_lo
	s_lshl_b64 s[18:19], s[12:13], 11
	v_add_co_u32 v1, vcc_lo, v1, 4
	s_delay_alu instid0(VALU_DEP_2)
	v_add_co_ci_u32_e32 v2, vcc_lo, 0, v2, vcc_lo
	s_mov_b32 s13, 0
	s_branch .LBB307_21
	.p2align	6
.LBB307_20:                             ;   in Loop: Header=BB307_21 Depth=1
	s_or_b32 exec_lo, exec_lo, s20
	v_add_co_u32 v1, vcc_lo, v1, s18
	v_add_co_ci_u32_e32 v2, vcc_lo, s19, v2, vcc_lo
	s_addk_i32 s13, 0x100
	s_delay_alu instid0(SALU_CYCLE_1)
	s_cmp_ge_i32 s13, s5
	s_cbranch_scc1 .LBB307_23
.LBB307_21:                             ; =>This Inner Loop Header: Depth=1
	v_add_nc_u32_e32 v3, s13, v0
	s_mov_b32 s20, exec_lo
	s_delay_alu instid0(VALU_DEP_1)
	v_cmpx_gt_i32_e64 s5, v3
	s_cbranch_execz .LBB307_20
; %bb.22:                               ;   in Loop: Header=BB307_21 Depth=1
	global_load_b64 v[3:4], v[1:2], off offset:-4
	s_waitcnt vmcnt(0)
	v_mul_f32_e32 v5, s2, v4
	s_delay_alu instid0(VALU_DEP_1) | instskip(NEXT) | instid1(VALU_DEP_1)
	v_dual_mul_f32 v6, s3, v4 :: v_dual_fmac_f32 v5, s3, v3
	v_fma_f32 v4, s2, v3, -v6
	global_store_b64 v[1:2], v[4:5], off offset:-4
	s_branch .LBB307_20
.LBB307_23:
	s_mov_b32 s13, 0
.LBB307_24:
	s_delay_alu instid0(SALU_CYCLE_1)
	s_and_not1_b32 vcc_lo, exec_lo, s13
	s_cbranch_vccnz .LBB307_42
; %bb.25:
	s_mov_b32 s13, exec_lo
	v_cmpx_gt_i32_e64 s4, v0
	s_cbranch_execz .LBB307_27
; %bb.26:
	s_load_b32 s18, s[0:1], 0x48
	s_waitcnt lgkmcnt(0)
	v_mad_i64_i32 v[1:2], null, s18, v0, 0
	s_delay_alu instid0(VALU_DEP_1) | instskip(NEXT) | instid1(VALU_DEP_1)
	v_lshlrev_b64 v[1:2], 3, v[1:2]
	v_add_co_u32 v1, vcc_lo, s16, v1
	s_delay_alu instid0(VALU_DEP_2) | instskip(SKIP_3) | instid1(VALU_DEP_1)
	v_add_co_ci_u32_e32 v2, vcc_lo, s17, v2, vcc_lo
	flat_load_b64 v[1:2], v[1:2]
	s_waitcnt vmcnt(0) lgkmcnt(0)
	v_mul_f32_e32 v3, s6, v2
	v_dual_mul_f32 v4, s7, v2 :: v_dual_fmac_f32 v3, s7, v1
	s_delay_alu instid0(VALU_DEP_1)
	v_fma_f32 v2, v1, s6, -v4
	v_lshlrev_b32_e32 v1, 3, v0
	ds_store_b64 v1, v[2:3]
.LBB307_27:
	s_or_b32 exec_lo, exec_lo, s13
	s_cmp_lt_i32 s5, 1
	s_waitcnt lgkmcnt(0)
	s_waitcnt_vscnt null, 0x0
	s_barrier
	buffer_gl0_inv
	s_cbranch_scc1 .LBB307_42
; %bb.28:
	s_load_b32 s6, s[0:1], 0x28
	v_cmp_neq_f32_e64 s16, s2, 0
	v_cmp_neq_f32_e64 s17, s3, 0
	s_lshl_b64 s[0:1], s[10:11], 3
	s_delay_alu instid0(SALU_CYCLE_1)
	s_add_u32 s10, s8, s0
	s_addc_u32 s11, s9, s1
	s_ashr_i32 s13, s12, 31
	s_or_b32 s16, s16, s17
	s_mov_b32 s1, 0
	s_waitcnt lgkmcnt(0)
	v_mad_i64_i32 v[1:2], null, s6, v0, 0
	s_ashr_i32 s7, s6, 31
	s_cmp_gt_i32 s4, 0
	s_cselect_b32 s17, -1, 0
	s_and_b32 s18, s4, 7
	s_cmp_gt_u32 s4, 7
	s_delay_alu instid0(VALU_DEP_1) | instskip(SKIP_3) | instid1(VALU_DEP_1)
	v_lshlrev_b64 v[1:2], 3, v[1:2]
	s_cselect_b32 s19, -1, 0
	s_and_b32 s4, s4, 0x7ffffff8
	s_cmp_lg_u32 s18, 0
	v_add_co_u32 v1, vcc_lo, s14, v1
	s_delay_alu instid0(VALU_DEP_2)
	v_add_co_ci_u32_e32 v2, vcc_lo, s15, v2, vcc_lo
	s_cselect_b32 s14, -1, 0
	s_lshl_b64 s[6:7], s[6:7], 11
	s_mov_b32 s15, 0
	s_branch .LBB307_31
.LBB307_29:                             ;   in Loop: Header=BB307_31 Depth=1
	s_delay_alu instid0(VALU_DEP_2)
	v_add_co_u32 v3, vcc_lo, s10, v3
	v_add_co_ci_u32_e32 v4, vcc_lo, s11, v4, vcc_lo
	global_store_b64 v[3:4], v[5:6], off
.LBB307_30:                             ;   in Loop: Header=BB307_31 Depth=1
	s_or_b32 exec_lo, exec_lo, s20
	v_add_co_u32 v1, vcc_lo, v1, s6
	v_add_co_ci_u32_e32 v2, vcc_lo, s7, v2, vcc_lo
	s_addk_i32 s15, 0x100
	s_delay_alu instid0(SALU_CYCLE_1)
	s_cmp_ge_i32 s15, s5
	s_cbranch_scc1 .LBB307_42
.LBB307_31:                             ; =>This Loop Header: Depth=1
                                        ;     Child Loop BB307_37 Depth 2
                                        ;     Child Loop BB307_41 Depth 2
	v_add_nc_u32_e32 v3, s15, v0
	s_mov_b32 s20, exec_lo
	s_delay_alu instid0(VALU_DEP_1)
	v_cmpx_gt_i32_e64 s5, v3
	s_cbranch_execz .LBB307_30
; %bb.32:                               ;   in Loop: Header=BB307_31 Depth=1
	v_mad_u64_u32 v[6:7], null, v3, s12, 0
	s_and_not1_b32 vcc_lo, exec_lo, s16
	s_delay_alu instid0(VALU_DEP_1) | instskip(NEXT) | instid1(VALU_DEP_1)
	v_mov_b32_e32 v4, v7
	v_mad_u64_u32 v[7:8], null, v3, s13, v[4:5]
	v_mov_b32_e32 v5, 0
	s_delay_alu instid0(VALU_DEP_2)
	v_lshlrev_b64 v[3:4], 3, v[6:7]
	v_mov_b32_e32 v6, 0
	s_cbranch_vccnz .LBB307_34
; %bb.33:                               ;   in Loop: Header=BB307_31 Depth=1
	s_delay_alu instid0(VALU_DEP_2) | instskip(NEXT) | instid1(VALU_DEP_3)
	v_add_co_u32 v5, vcc_lo, s10, v3
	v_add_co_ci_u32_e32 v6, vcc_lo, s11, v4, vcc_lo
	global_load_b64 v[7:8], v[5:6], off
	s_waitcnt vmcnt(0)
	v_mul_f32_e32 v6, s2, v8
	s_delay_alu instid0(VALU_DEP_1) | instskip(NEXT) | instid1(VALU_DEP_1)
	v_dual_mul_f32 v5, s3, v8 :: v_dual_fmac_f32 v6, s3, v7
	v_fma_f32 v5, s2, v7, -v5
.LBB307_34:                             ;   in Loop: Header=BB307_31 Depth=1
	s_and_not1_b32 vcc_lo, exec_lo, s17
	s_cbranch_vccnz .LBB307_29
; %bb.35:                               ;   in Loop: Header=BB307_31 Depth=1
	s_and_not1_b32 vcc_lo, exec_lo, s19
	s_cbranch_vccnz .LBB307_39
; %bb.36:                               ;   in Loop: Header=BB307_31 Depth=1
	v_dual_mov_b32 v8, v2 :: v_dual_mov_b32 v7, v1
	s_mov_b32 s0, 0
	s_mov_b32 s8, 0
.LBB307_37:                             ;   Parent Loop BB307_31 Depth=1
                                        ; =>  This Inner Loop Header: Depth=2
	s_clause 0x3
	flat_load_b128 v[9:12], v[7:8]
	flat_load_b128 v[13:16], v[7:8] offset:16
	flat_load_b128 v[17:20], v[7:8] offset:32
	;; [unrolled: 1-line block ×3, first 2 shown]
	v_mov_b32_e32 v37, s0
	v_add_co_u32 v7, vcc_lo, v7, 64
	v_add_co_ci_u32_e32 v8, vcc_lo, 0, v8, vcc_lo
	ds_load_b128 v[25:28], v37
	ds_load_b128 v[29:32], v37 offset:16
	ds_load_b128 v[33:36], v37 offset:32
	;; [unrolled: 1-line block ×3, first 2 shown]
	s_add_i32 s8, s8, 8
	s_add_i32 s0, s0, 64
	s_cmp_eq_u32 s4, s8
	s_waitcnt vmcnt(3) lgkmcnt(3)
	v_dual_mul_f32 v41, v10, v26 :: v_dual_mul_f32 v42, v12, v28
	v_mul_f32_e32 v26, v9, v26
	s_waitcnt vmcnt(2) lgkmcnt(2)
	v_dual_mul_f32 v28, v11, v28 :: v_dual_mul_f32 v43, v14, v30
	s_delay_alu instid0(VALU_DEP_3)
	v_fma_f32 v9, v9, v25, -v41
	s_waitcnt vmcnt(1) lgkmcnt(1)
	v_mul_f32_e32 v46, v20, v36
	v_fmac_f32_e32 v26, v10, v25
	v_fma_f32 v10, v11, v27, -v42
	v_dual_mul_f32 v44, v16, v32 :: v_dual_mul_f32 v45, v18, v34
	v_dual_add_f32 v5, v5, v9 :: v_dual_mul_f32 v36, v19, v36
	v_fma_f32 v9, v13, v29, -v43
	s_waitcnt vmcnt(0) lgkmcnt(0)
	v_dual_mul_f32 v32, v15, v32 :: v_dual_mul_f32 v47, v22, v38
	s_delay_alu instid0(VALU_DEP_3) | instskip(SKIP_3) | instid1(VALU_DEP_4)
	v_dual_add_f32 v5, v5, v10 :: v_dual_mul_f32 v48, v24, v40
	v_fma_f32 v10, v15, v31, -v44
	v_mul_f32_e32 v30, v13, v30
	v_mul_f32_e32 v34, v17, v34
	v_dual_add_f32 v5, v5, v9 :: v_dual_mul_f32 v40, v23, v40
	v_fma_f32 v9, v17, v33, -v45
	v_fmac_f32_e32 v32, v16, v31
	s_delay_alu instid0(VALU_DEP_3) | instskip(SKIP_3) | instid1(VALU_DEP_4)
	v_dual_fmac_f32 v34, v18, v33 :: v_dual_add_f32 v5, v5, v10
	v_fmac_f32_e32 v28, v12, v27
	v_fma_f32 v10, v19, v35, -v46
	v_mul_f32_e32 v38, v21, v38
	v_dual_fmac_f32 v36, v20, v35 :: v_dual_add_f32 v5, v5, v9
	v_fma_f32 v9, v21, v37, -v47
	v_fmac_f32_e32 v40, v24, v39
	s_delay_alu instid0(VALU_DEP_3) | instskip(SKIP_2) | instid1(VALU_DEP_3)
	v_dual_fmac_f32 v38, v22, v37 :: v_dual_add_f32 v5, v5, v10
	v_add_f32_e32 v6, v6, v26
	v_fma_f32 v10, v23, v39, -v48
	v_add_f32_e32 v5, v5, v9
	v_fmac_f32_e32 v30, v14, v29
	s_delay_alu instid0(VALU_DEP_2) | instskip(NEXT) | instid1(VALU_DEP_1)
	v_dual_add_f32 v6, v6, v28 :: v_dual_add_f32 v5, v5, v10
	v_add_f32_e32 v6, v6, v30
	s_delay_alu instid0(VALU_DEP_1) | instskip(NEXT) | instid1(VALU_DEP_1)
	v_add_f32_e32 v6, v6, v32
	v_add_f32_e32 v6, v6, v34
	s_delay_alu instid0(VALU_DEP_1) | instskip(NEXT) | instid1(VALU_DEP_1)
	v_add_f32_e32 v6, v6, v36
	v_add_f32_e32 v6, v6, v38
	s_delay_alu instid0(VALU_DEP_1)
	v_add_f32_e32 v6, v6, v40
	s_cbranch_scc0 .LBB307_37
; %bb.38:                               ;   in Loop: Header=BB307_31 Depth=1
	s_mov_b32 s0, s4
	s_and_not1_b32 vcc_lo, exec_lo, s14
	s_cbranch_vccz .LBB307_40
	s_branch .LBB307_29
.LBB307_39:                             ;   in Loop: Header=BB307_31 Depth=1
	s_mov_b32 s0, 0
	s_and_not1_b32 vcc_lo, exec_lo, s14
	s_cbranch_vccnz .LBB307_29
.LBB307_40:                             ;   in Loop: Header=BB307_31 Depth=1
	s_lshl_b32 s21, s0, 3
	s_lshl_b64 s[8:9], s[0:1], 3
	s_mov_b32 s0, s18
	.p2align	6
.LBB307_41:                             ;   Parent Loop BB307_31 Depth=1
                                        ; =>  This Inner Loop Header: Depth=2
	v_add_co_u32 v7, vcc_lo, v1, s8
	v_add_co_ci_u32_e32 v8, vcc_lo, s9, v2, vcc_lo
	flat_load_b64 v[7:8], v[7:8]
	v_mov_b32_e32 v9, s21
	s_add_i32 s21, s21, 8
	s_add_u32 s8, s8, 8
	s_addc_u32 s9, s9, 0
	s_add_i32 s0, s0, -1
	ds_load_b64 v[9:10], v9
	s_cmp_lg_u32 s0, 0
	s_waitcnt vmcnt(0) lgkmcnt(0)
	v_mul_f32_e32 v11, v8, v10
	v_mul_f32_e32 v10, v7, v10
	s_delay_alu instid0(VALU_DEP_2) | instskip(NEXT) | instid1(VALU_DEP_1)
	v_fma_f32 v7, v7, v9, -v11
	v_dual_fmac_f32 v10, v8, v9 :: v_dual_add_f32 v5, v5, v7
	s_delay_alu instid0(VALU_DEP_1)
	v_add_f32_e32 v6, v6, v10
	s_cbranch_scc1 .LBB307_41
	s_branch .LBB307_29
.LBB307_42:
	s_nop 0
	s_sendmsg sendmsg(MSG_DEALLOC_VGPRS)
	s_endpgm
	.section	.rodata,"a",@progbits
	.p2align	6, 0x0
	.amdhsa_kernel _ZL22rocblas_gemvtsm_kernelILb0ELi256EPK19rocblas_complex_numIfES1_KPS1_EviiT2_lPKT1_lilS9_lilS6_lPT3_lil
		.amdhsa_group_segment_fixed_size 512
		.amdhsa_private_segment_fixed_size 0
		.amdhsa_kernarg_size 136
		.amdhsa_user_sgpr_count 15
		.amdhsa_user_sgpr_dispatch_ptr 0
		.amdhsa_user_sgpr_queue_ptr 0
		.amdhsa_user_sgpr_kernarg_segment_ptr 1
		.amdhsa_user_sgpr_dispatch_id 0
		.amdhsa_user_sgpr_private_segment_size 0
		.amdhsa_wavefront_size32 1
		.amdhsa_uses_dynamic_stack 0
		.amdhsa_enable_private_segment 0
		.amdhsa_system_sgpr_workgroup_id_x 1
		.amdhsa_system_sgpr_workgroup_id_y 0
		.amdhsa_system_sgpr_workgroup_id_z 0
		.amdhsa_system_sgpr_workgroup_info 0
		.amdhsa_system_vgpr_workitem_id 0
		.amdhsa_next_free_vgpr 49
		.amdhsa_next_free_sgpr 24
		.amdhsa_reserve_vcc 1
		.amdhsa_float_round_mode_32 0
		.amdhsa_float_round_mode_16_64 0
		.amdhsa_float_denorm_mode_32 3
		.amdhsa_float_denorm_mode_16_64 3
		.amdhsa_dx10_clamp 1
		.amdhsa_ieee_mode 1
		.amdhsa_fp16_overflow 0
		.amdhsa_workgroup_processor_mode 1
		.amdhsa_memory_ordered 1
		.amdhsa_forward_progress 0
		.amdhsa_shared_vgpr_count 0
		.amdhsa_exception_fp_ieee_invalid_op 0
		.amdhsa_exception_fp_denorm_src 0
		.amdhsa_exception_fp_ieee_div_zero 0
		.amdhsa_exception_fp_ieee_overflow 0
		.amdhsa_exception_fp_ieee_underflow 0
		.amdhsa_exception_fp_ieee_inexact 0
		.amdhsa_exception_int_div_zero 0
	.end_amdhsa_kernel
	.section	.text._ZL22rocblas_gemvtsm_kernelILb0ELi256EPK19rocblas_complex_numIfES1_KPS1_EviiT2_lPKT1_lilS9_lilS6_lPT3_lil,"axG",@progbits,_ZL22rocblas_gemvtsm_kernelILb0ELi256EPK19rocblas_complex_numIfES1_KPS1_EviiT2_lPKT1_lilS9_lilS6_lPT3_lil,comdat
.Lfunc_end307:
	.size	_ZL22rocblas_gemvtsm_kernelILb0ELi256EPK19rocblas_complex_numIfES1_KPS1_EviiT2_lPKT1_lilS9_lilS6_lPT3_lil, .Lfunc_end307-_ZL22rocblas_gemvtsm_kernelILb0ELi256EPK19rocblas_complex_numIfES1_KPS1_EviiT2_lPKT1_lilS9_lilS6_lPT3_lil
                                        ; -- End function
	.section	.AMDGPU.csdata,"",@progbits
; Kernel info:
; codeLenInByte = 1800
; NumSgprs: 26
; NumVgprs: 49
; ScratchSize: 0
; MemoryBound: 0
; FloatMode: 240
; IeeeMode: 1
; LDSByteSize: 512 bytes/workgroup (compile time only)
; SGPRBlocks: 3
; VGPRBlocks: 6
; NumSGPRsForWavesPerEU: 26
; NumVGPRsForWavesPerEU: 49
; Occupancy: 16
; WaveLimiterHint : 1
; COMPUTE_PGM_RSRC2:SCRATCH_EN: 0
; COMPUTE_PGM_RSRC2:USER_SGPR: 15
; COMPUTE_PGM_RSRC2:TRAP_HANDLER: 0
; COMPUTE_PGM_RSRC2:TGID_X_EN: 1
; COMPUTE_PGM_RSRC2:TGID_Y_EN: 0
; COMPUTE_PGM_RSRC2:TGID_Z_EN: 0
; COMPUTE_PGM_RSRC2:TIDIG_COMP_CNT: 0
	.section	.text._ZL23rocblas_gemvt_sn_kernelILb0ELi256ELi4EiPK19rocblas_complex_numIfES3_S1_EviiT4_lPKT3_lilS7_lilPT5_i,"axG",@progbits,_ZL23rocblas_gemvt_sn_kernelILb0ELi256ELi4EiPK19rocblas_complex_numIfES3_S1_EviiT4_lPKT3_lilS7_lilPT5_i,comdat
	.globl	_ZL23rocblas_gemvt_sn_kernelILb0ELi256ELi4EiPK19rocblas_complex_numIfES3_S1_EviiT4_lPKT3_lilS7_lilPT5_i ; -- Begin function _ZL23rocblas_gemvt_sn_kernelILb0ELi256ELi4EiPK19rocblas_complex_numIfES3_S1_EviiT4_lPKT3_lilS7_lilPT5_i
	.p2align	8
	.type	_ZL23rocblas_gemvt_sn_kernelILb0ELi256ELi4EiPK19rocblas_complex_numIfES3_S1_EviiT4_lPKT3_lilS7_lilPT5_i,@function
_ZL23rocblas_gemvt_sn_kernelILb0ELi256ELi4EiPK19rocblas_complex_numIfES3_S1_EviiT4_lPKT3_lilS7_lilPT5_i: ; @_ZL23rocblas_gemvt_sn_kernelILb0ELi256ELi4EiPK19rocblas_complex_numIfES3_S1_EviiT4_lPKT3_lilS7_lilPT5_i
; %bb.0:
	s_load_b256 s[4:11], s[0:1], 0x8
	s_mov_b32 s16, s15
	s_mov_b32 s17, 0
	s_mov_b64 s[12:13], 0
	s_waitcnt lgkmcnt(0)
	s_mul_i32 s3, s15, s7
	s_mul_hi_u32 s7, s15, s6
	s_mul_i32 s2, s15, s6
	s_add_i32 s3, s7, s3
	s_delay_alu instid0(SALU_CYCLE_1) | instskip(NEXT) | instid1(SALU_CYCLE_1)
	s_lshl_b64 s[2:3], s[2:3], 3
	s_add_u32 s2, s4, s2
	s_addc_u32 s3, s5, s3
	s_mov_b64 s[4:5], 0
	s_load_b64 s[6:7], s[2:3], 0x0
	s_waitcnt lgkmcnt(0)
	s_or_b32 s2, s6, s7
	s_delay_alu instid0(SALU_CYCLE_1) | instskip(NEXT) | instid1(SALU_CYCLE_1)
	s_and_b32 s3, s2, 0x7fffffff
	s_cmp_lg_u32 s3, 0
	s_cselect_b32 s2, -1, 0
	s_cmp_eq_u32 s3, 0
	s_cselect_b32 s3, -1, 0
	s_delay_alu instid0(SALU_CYCLE_1)
	s_and_b32 vcc_lo, exec_lo, s3
	s_cbranch_vccnz .LBB308_2
; %bb.1:
	s_lshl_b64 s[4:5], s[16:17], 3
	s_delay_alu instid0(SALU_CYCLE_1)
	s_add_u32 s4, s8, s4
	s_addc_u32 s5, s9, s5
	s_lshl_b64 s[8:9], s[10:11], 3
	s_load_b64 s[4:5], s[4:5], 0x0
	s_waitcnt lgkmcnt(0)
	s_add_u32 s4, s4, s8
	s_addc_u32 s5, s5, s9
.LBB308_2:
	s_and_not1_b32 vcc_lo, exec_lo, s2
	s_cbranch_vccnz .LBB308_4
; %bb.3:
	s_load_b128 s[8:11], s[0:1], 0x38
	s_lshl_b64 s[12:13], s[16:17], 3
	s_waitcnt lgkmcnt(0)
	s_add_u32 s8, s8, s12
	s_addc_u32 s9, s9, s13
	s_lshl_b64 s[10:11], s[10:11], 3
	s_load_b64 s[8:9], s[8:9], 0x0
	s_waitcnt lgkmcnt(0)
	s_add_u32 s12, s8, s10
	s_addc_u32 s13, s9, s11
.LBB308_4:
	s_clause 0x2
	s_load_b64 s[8:9], s[0:1], 0x0
	s_load_b32 s10, s[0:1], 0x68
	s_load_b64 s[18:19], s[0:1], 0x58
	s_and_not1_b32 vcc_lo, exec_lo, s3
	v_cmp_eq_u32_e64 s2, 0, v0
	s_mov_b32 s11, 0
	s_waitcnt lgkmcnt(0)
	s_ashr_i32 s22, s9, 31
	s_mul_hi_u32 s3, s9, s16
	s_mul_i32 s15, s22, s16
	s_mul_i32 s16, s9, s16
	s_add_i32 s3, s3, s15
	s_mul_hi_u32 s15, s16, s10
	s_mul_i32 s3, s3, s10
	s_mul_i32 s16, s16, s10
	s_add_i32 s17, s15, s3
	s_mov_b32 s3, -1
	s_cbranch_vccnz .LBB308_9
; %bb.5:
	s_cmp_gt_i32 s9, 0
	s_cselect_b32 s3, -1, 0
	s_delay_alu instid0(SALU_CYCLE_1) | instskip(NEXT) | instid1(SALU_CYCLE_1)
	s_and_b32 s2, s2, s3
	s_and_saveexec_b32 s23, s2
	s_cbranch_execz .LBB308_8
; %bb.6:
	s_mov_b32 s15, 0
	v_mov_b32_e32 v1, 0
	s_lshl_b64 s[2:3], s[16:17], 3
	s_lshl_b64 s[20:21], s[14:15], 3
	s_delay_alu instid0(SALU_CYCLE_1)
	s_add_u32 s2, s2, s20
	s_addc_u32 s3, s3, s21
	s_add_u32 s2, s2, s18
	v_mov_b32_e32 v2, v1
	s_addc_u32 s3, s3, s19
	s_add_u32 s2, s2, 4
	s_addc_u32 s3, s3, 0
	s_lshl_b64 s[20:21], s[10:11], 3
	s_mov_b32 s11, s9
.LBB308_7:                              ; =>This Inner Loop Header: Depth=1
	s_delay_alu instid0(SALU_CYCLE_1)
	s_add_i32 s11, s11, -1
	global_store_b64 v1, v[1:2], s[2:3] offset:-4
	s_add_u32 s2, s2, s20
	s_addc_u32 s3, s3, s21
	s_cmp_eq_u32 s11, 0
	s_cbranch_scc0 .LBB308_7
.LBB308_8:
	s_or_b32 exec_lo, exec_lo, s23
	s_mov_b32 s3, 0
.LBB308_9:
	s_delay_alu instid0(SALU_CYCLE_1)
	s_and_not1_b32 vcc_lo, exec_lo, s3
	s_cbranch_vccnz .LBB308_80
; %bb.10:
	s_lshl_b64 s[2:3], s[16:17], 3
	s_clause 0x1
	s_load_b32 s11, s[0:1], 0x28
	s_load_b32 s26, s[0:1], 0x48
	s_add_u32 s30, s18, s2
	s_addc_u32 s29, s19, s3
	s_lshl_b32 s2, s14, 10
	s_ashr_i32 s0, s8, 31
	v_lshl_or_b32 v2, v0, 2, s2
	s_lshr_b32 s0, s0, 30
	s_lshr_b32 s1, s22, 30
	s_add_i32 s0, s8, s0
	s_add_i32 s1, s9, s1
	v_ashrrev_i32_e32 v3, 31, v2
	s_and_b32 s0, s0, -4
	s_and_b32 s15, s1, -4
	s_sub_i32 s27, s8, s0
	v_add_nc_u32_e32 v27, 4, v2
	v_lshlrev_b64 v[3:4], 3, v[2:3]
	v_add_nc_u32_e32 v28, s27, v2
	v_and_b32_e32 v25, 31, v0
	v_cmp_gt_u32_e64 s0, 32, v0
	v_mbcnt_lo_u32_b32 v26, -1, 0
	s_waitcnt lgkmcnt(0)
	v_mul_lo_u32 v1, v2, s26
	v_add_co_u32 v21, vcc_lo, s4, v3
	v_add_co_ci_u32_e32 v22, vcc_lo, s5, v4, vcc_lo
	v_cmp_gt_u32_e64 s1, 8, v0
	v_lshrrev_b32_e32 v24, 2, v0
	v_or_b32_e64 v23, 0, 4
	s_cmp_lt_i32 s15, 1
	s_cbranch_scc1 .LBB308_57
; %bb.11:
	v_cmp_gt_u32_e32 vcc_lo, 16, v26
	v_mul_lo_u32 v2, v2, s26
	v_cmp_ge_i32_e64 s2, s8, v27
	v_cmp_ge_i32_e64 s3, s8, v28
	v_cmp_eq_u32_e64 s4, 0, v25
	v_cndmask_b32_e64 v3, 0, 1, vcc_lo
	v_cmp_gt_u32_e32 vcc_lo, 24, v26
	v_lshlrev_b32_e32 v34, 3, v25
	v_and_b32_e32 v35, 56, v24
	v_cmp_eq_u32_e64 s5, 0, v0
	v_lshlrev_b32_e32 v3, 4, v3
	v_cndmask_b32_e64 v4, 0, 1, vcc_lo
	v_cmp_gt_u32_e32 vcc_lo, 28, v26
	v_or_b32_e64 v36, 0, 4
	s_cmp_gt_i32 s27, 0
	v_add_lshl_u32 v29, v3, v26, 2
	v_lshlrev_b32_e32 v3, 3, v4
	v_cndmask_b32_e64 v5, 0, 1, vcc_lo
	v_cmp_gt_u32_e32 vcc_lo, 30, v26
	s_mov_b32 s17, 0
	s_cselect_b32 s31, -1, 0
	v_add_lshl_u32 v30, v3, v26, 2
	v_lshlrev_b32_e32 v4, 2, v5
	v_cndmask_b32_e64 v6, 0, 1, vcc_lo
	v_cmp_ne_u32_e32 vcc_lo, 31, v26
	v_ashrrev_i32_e32 v3, 31, v2
	s_lshl_b32 s33, s11, 2
	v_add_lshl_u32 v31, v4, v26, 2
	v_lshlrev_b32_e32 v5, 1, v6
	v_add_co_ci_u32_e32 v6, vcc_lo, 0, v26, vcc_lo
	v_add_nc_u32_e32 v4, s26, v2
	v_lshlrev_b64 v[8:9], 3, v[2:3]
	s_delay_alu instid0(VALU_DEP_4) | instskip(NEXT) | instid1(VALU_DEP_4)
	v_add_lshl_u32 v32, v5, v26, 2
	v_lshlrev_b32_e32 v33, 2, v6
	s_lshl_b32 s34, s11, 1
	v_add_nc_u32_e32 v6, s26, v4
	v_ashrrev_i32_e32 v5, 31, v4
	v_add_co_u32 v3, vcc_lo, s12, v8
	s_mul_i32 s35, s11, 3
	s_delay_alu instid0(VALU_DEP_3) | instskip(SKIP_3) | instid1(VALU_DEP_4)
	v_add_nc_u32_e32 v12, s26, v6
	v_ashrrev_i32_e32 v7, 31, v6
	v_lshlrev_b64 v[10:11], 3, v[4:5]
	v_add_co_ci_u32_e32 v4, vcc_lo, s13, v9, vcc_lo
	v_ashrrev_i32_e32 v13, 31, v12
	s_delay_alu instid0(VALU_DEP_4) | instskip(SKIP_1) | instid1(VALU_DEP_4)
	v_lshlrev_b64 v[7:8], 3, v[6:7]
	s_mov_b32 s18, s17
	v_add_co_u32 v5, vcc_lo, s12, v10
	s_delay_alu instid0(VALU_DEP_3)
	v_lshlrev_b64 v[9:10], 3, v[12:13]
	v_add_co_ci_u32_e32 v6, vcc_lo, s13, v11, vcc_lo
	v_mov_b32_e32 v11, 0
	v_add_co_u32 v7, vcc_lo, s12, v7
	v_add_co_ci_u32_e32 v8, vcc_lo, s13, v8, vcc_lo
	v_add_co_u32 v9, vcc_lo, s12, v9
	v_add_co_ci_u32_e32 v10, vcc_lo, s13, v10, vcc_lo
	s_mov_b32 s36, s11
	s_mov_b32 s28, 0
	s_branch .LBB308_13
.LBB308_12:                             ;   in Loop: Header=BB308_13 Depth=1
	s_or_b32 exec_lo, exec_lo, s19
	s_add_i32 s28, s28, 4
	s_add_i32 s36, s36, s33
	;; [unrolled: 1-line block ×5, first 2 shown]
	s_cmp_ge_i32 s28, s15
	s_cbranch_scc1 .LBB308_58
.LBB308_13:                             ; =>This Loop Header: Depth=1
                                        ;     Child Loop BB308_44 Depth 2
                                        ;     Child Loop BB308_46 Depth 2
                                        ; implicit-def: $vgpr14
                                        ; implicit-def: $vgpr37
                                        ; implicit-def: $vgpr15
                                        ; implicit-def: $vgpr16
                                        ; implicit-def: $vgpr17
                                        ; implicit-def: $vgpr18
                                        ; implicit-def: $vgpr20
                                        ; implicit-def: $vgpr19
	s_and_saveexec_b32 s16, s2
	s_delay_alu instid0(SALU_CYCLE_1)
	s_xor_b32 s16, exec_lo, s16
	s_cbranch_execnz .LBB308_40
; %bb.14:                               ;   in Loop: Header=BB308_13 Depth=1
	s_and_not1_saveexec_b32 s16, s16
	s_cbranch_execnz .LBB308_41
.LBB308_15:                             ;   in Loop: Header=BB308_13 Depth=1
	s_or_b32 exec_lo, exec_lo, s16
	s_and_saveexec_b32 s16, s0
	s_cbranch_execz .LBB308_17
.LBB308_16:                             ;   in Loop: Header=BB308_13 Depth=1
	v_mov_b32_e32 v12, v11
	ds_store_b64 v34, v[11:12]
.LBB308_17:                             ;   in Loop: Header=BB308_13 Depth=1
	s_or_b32 exec_lo, exec_lo, s16
	ds_bpermute_b32 v12, v29, v14
	ds_bpermute_b32 v13, v29, v37
	s_waitcnt lgkmcnt(0)
	s_waitcnt_vscnt null, 0x0
	s_barrier
	buffer_gl0_inv
	v_dual_add_f32 v12, v14, v12 :: v_dual_add_f32 v13, v37, v13
	ds_bpermute_b32 v14, v30, v12
	ds_bpermute_b32 v37, v30, v13
	s_waitcnt lgkmcnt(0)
	v_dual_add_f32 v12, v12, v14 :: v_dual_add_f32 v13, v13, v37
	ds_bpermute_b32 v14, v31, v12
	ds_bpermute_b32 v37, v31, v13
	s_waitcnt lgkmcnt(0)
	;; [unrolled: 4-line block ×3, first 2 shown]
	v_dual_add_f32 v12, v12, v14 :: v_dual_add_f32 v13, v13, v37
	ds_bpermute_b32 v14, v33, v12
	ds_bpermute_b32 v37, v33, v13
	s_and_saveexec_b32 s16, s4
	s_cbranch_execz .LBB308_19
; %bb.18:                               ;   in Loop: Header=BB308_13 Depth=1
	s_waitcnt lgkmcnt(0)
	v_dual_add_f32 v13, v13, v37 :: v_dual_add_f32 v12, v12, v14
	ds_store_b64 v35, v[12:13]
.LBB308_19:                             ;   in Loop: Header=BB308_13 Depth=1
	s_or_b32 exec_lo, exec_lo, s16
	s_waitcnt lgkmcnt(1)
	v_dual_mov_b32 v14, 0 :: v_dual_mov_b32 v13, 0
	s_waitcnt lgkmcnt(0)
	s_barrier
	buffer_gl0_inv
	s_and_saveexec_b32 s16, s1
	s_cbranch_execnz .LBB308_48
; %bb.20:                               ;   in Loop: Header=BB308_13 Depth=1
	s_or_b32 exec_lo, exec_lo, s16
	s_and_saveexec_b32 s16, s0
	s_cbranch_execnz .LBB308_49
.LBB308_21:                             ;   in Loop: Header=BB308_13 Depth=1
	s_or_b32 exec_lo, exec_lo, s16
	s_and_saveexec_b32 s16, s0
	s_cbranch_execz .LBB308_23
.LBB308_22:                             ;   in Loop: Header=BB308_13 Depth=1
	v_mov_b32_e32 v12, v11
	ds_store_b64 v34, v[11:12]
.LBB308_23:                             ;   in Loop: Header=BB308_13 Depth=1
	s_or_b32 exec_lo, exec_lo, s16
	ds_bpermute_b32 v12, v29, v15
	ds_bpermute_b32 v37, v29, v16
	s_waitcnt lgkmcnt(0)
	s_barrier
	buffer_gl0_inv
	v_dual_add_f32 v12, v15, v12 :: v_dual_add_f32 v15, v16, v37
	ds_bpermute_b32 v16, v30, v12
	ds_bpermute_b32 v37, v30, v15
	s_waitcnt lgkmcnt(0)
	v_dual_add_f32 v12, v12, v16 :: v_dual_add_f32 v15, v15, v37
	ds_bpermute_b32 v16, v31, v12
	ds_bpermute_b32 v37, v31, v15
	s_waitcnt lgkmcnt(0)
	;; [unrolled: 4-line block ×3, first 2 shown]
	v_dual_add_f32 v12, v12, v16 :: v_dual_add_f32 v15, v15, v37
	ds_bpermute_b32 v16, v33, v12
	ds_bpermute_b32 v37, v33, v15
	s_and_saveexec_b32 s16, s4
	s_cbranch_execz .LBB308_25
; %bb.24:                               ;   in Loop: Header=BB308_13 Depth=1
	s_waitcnt lgkmcnt(0)
	v_dual_add_f32 v38, v15, v37 :: v_dual_add_f32 v37, v12, v16
	ds_store_b64 v35, v[37:38]
.LBB308_25:                             ;   in Loop: Header=BB308_13 Depth=1
	s_or_b32 exec_lo, exec_lo, s16
	s_waitcnt lgkmcnt(1)
	v_dual_mov_b32 v16, 0 :: v_dual_mov_b32 v15, 0
	s_waitcnt lgkmcnt(0)
	s_barrier
	buffer_gl0_inv
	s_and_saveexec_b32 s16, s1
	s_cbranch_execnz .LBB308_50
; %bb.26:                               ;   in Loop: Header=BB308_13 Depth=1
	s_or_b32 exec_lo, exec_lo, s16
	s_and_saveexec_b32 s16, s0
	s_cbranch_execnz .LBB308_51
.LBB308_27:                             ;   in Loop: Header=BB308_13 Depth=1
	s_or_b32 exec_lo, exec_lo, s16
	s_and_saveexec_b32 s16, s0
	s_cbranch_execz .LBB308_29
.LBB308_28:                             ;   in Loop: Header=BB308_13 Depth=1
	v_mov_b32_e32 v12, v11
	ds_store_b64 v34, v[11:12]
.LBB308_29:                             ;   in Loop: Header=BB308_13 Depth=1
	s_or_b32 exec_lo, exec_lo, s16
	ds_bpermute_b32 v12, v29, v17
	ds_bpermute_b32 v37, v29, v18
	s_waitcnt lgkmcnt(0)
	s_barrier
	buffer_gl0_inv
	v_dual_add_f32 v12, v17, v12 :: v_dual_add_f32 v17, v18, v37
	ds_bpermute_b32 v18, v30, v12
	ds_bpermute_b32 v37, v30, v17
	s_waitcnt lgkmcnt(0)
	v_dual_add_f32 v12, v12, v18 :: v_dual_add_f32 v17, v17, v37
	ds_bpermute_b32 v18, v31, v12
	ds_bpermute_b32 v37, v31, v17
	s_waitcnt lgkmcnt(0)
	;; [unrolled: 4-line block ×3, first 2 shown]
	v_dual_add_f32 v12, v12, v18 :: v_dual_add_f32 v17, v17, v37
	ds_bpermute_b32 v18, v33, v12
	ds_bpermute_b32 v37, v33, v17
	s_and_saveexec_b32 s16, s4
	s_cbranch_execz .LBB308_31
; %bb.30:                               ;   in Loop: Header=BB308_13 Depth=1
	s_waitcnt lgkmcnt(0)
	v_dual_add_f32 v38, v17, v37 :: v_dual_add_f32 v37, v12, v18
	ds_store_b64 v35, v[37:38]
.LBB308_31:                             ;   in Loop: Header=BB308_13 Depth=1
	s_or_b32 exec_lo, exec_lo, s16
	s_waitcnt lgkmcnt(1)
	v_dual_mov_b32 v18, 0 :: v_dual_mov_b32 v17, 0
	s_waitcnt lgkmcnt(0)
	s_barrier
	buffer_gl0_inv
	s_and_saveexec_b32 s16, s1
	s_cbranch_execnz .LBB308_52
; %bb.32:                               ;   in Loop: Header=BB308_13 Depth=1
	s_or_b32 exec_lo, exec_lo, s16
	s_and_saveexec_b32 s16, s0
	s_cbranch_execnz .LBB308_53
.LBB308_33:                             ;   in Loop: Header=BB308_13 Depth=1
	s_or_b32 exec_lo, exec_lo, s16
	s_and_saveexec_b32 s16, s0
	s_cbranch_execz .LBB308_35
.LBB308_34:                             ;   in Loop: Header=BB308_13 Depth=1
	v_mov_b32_e32 v12, v11
	ds_store_b64 v34, v[11:12]
.LBB308_35:                             ;   in Loop: Header=BB308_13 Depth=1
	s_or_b32 exec_lo, exec_lo, s16
	ds_bpermute_b32 v12, v29, v20
	ds_bpermute_b32 v37, v29, v19
	s_waitcnt lgkmcnt(0)
	s_barrier
	buffer_gl0_inv
	v_dual_add_f32 v12, v20, v12 :: v_dual_add_f32 v19, v19, v37
	ds_bpermute_b32 v20, v30, v12
	ds_bpermute_b32 v37, v30, v19
	s_waitcnt lgkmcnt(0)
	v_dual_add_f32 v12, v12, v20 :: v_dual_add_f32 v19, v19, v37
	ds_bpermute_b32 v20, v31, v12
	ds_bpermute_b32 v37, v31, v19
	s_waitcnt lgkmcnt(0)
	;; [unrolled: 4-line block ×3, first 2 shown]
	v_dual_add_f32 v12, v12, v20 :: v_dual_add_f32 v19, v19, v37
	ds_bpermute_b32 v20, v33, v12
	ds_bpermute_b32 v37, v33, v19
	s_and_saveexec_b32 s16, s4
	s_cbranch_execz .LBB308_37
; %bb.36:                               ;   in Loop: Header=BB308_13 Depth=1
	s_waitcnt lgkmcnt(0)
	v_dual_add_f32 v38, v19, v37 :: v_dual_add_f32 v37, v12, v20
	ds_store_b64 v35, v[37:38]
.LBB308_37:                             ;   in Loop: Header=BB308_13 Depth=1
	s_or_b32 exec_lo, exec_lo, s16
	s_waitcnt lgkmcnt(1)
	v_dual_mov_b32 v20, 0 :: v_dual_mov_b32 v19, 0
	s_waitcnt lgkmcnt(0)
	s_barrier
	buffer_gl0_inv
	s_and_saveexec_b32 s16, s1
	s_cbranch_execnz .LBB308_54
; %bb.38:                               ;   in Loop: Header=BB308_13 Depth=1
	s_or_b32 exec_lo, exec_lo, s16
	s_and_saveexec_b32 s16, s0
	s_cbranch_execnz .LBB308_55
.LBB308_39:                             ;   in Loop: Header=BB308_13 Depth=1
	s_or_b32 exec_lo, exec_lo, s16
	s_and_saveexec_b32 s19, s5
	s_cbranch_execz .LBB308_12
	s_branch .LBB308_56
.LBB308_40:                             ;   in Loop: Header=BB308_13 Depth=1
	s_mul_i32 s20, s28, s11
	s_delay_alu instid0(SALU_CYCLE_1)
	s_ashr_i32 s21, s20, 31
	s_add_i32 s22, s20, s11
	s_lshl_b64 s[20:21], s[20:21], 3
	s_ashr_i32 s23, s22, 31
	v_add_co_u32 v16, vcc_lo, v21, s20
	v_add_co_ci_u32_e32 v17, vcc_lo, s21, v22, vcc_lo
	s_lshl_b64 s[20:21], s[22:23], 3
	s_delay_alu instid0(SALU_CYCLE_1)
	v_add_co_u32 v50, vcc_lo, v21, s20
	s_add_i32 s20, s22, s11
	flat_load_b128 v[12:15], v[16:17]
	v_add_co_ci_u32_e32 v51, vcc_lo, s21, v22, vcc_lo
	s_ashr_i32 s21, s20, 31
	s_clause 0x3
	flat_load_b64 v[38:39], v[3:4]
	flat_load_b64 v[40:41], v[5:6]
	;; [unrolled: 1-line block ×4, first 2 shown]
	s_lshl_b64 s[22:23], s[20:21], 3
	s_add_i32 s20, s20, s11
	v_add_co_u32 v58, vcc_lo, v21, s22
	v_add_co_ci_u32_e32 v59, vcc_lo, s23, v22, vcc_lo
	s_waitcnt lgkmcnt(5)
	s_clause 0x1
	flat_load_b128 v[16:19], v[16:17] offset:16
	flat_load_b128 v[46:49], v[50:51]
	s_ashr_i32 s21, s20, 31
	s_clause 0x1
	flat_load_b128 v[50:53], v[50:51] offset:16
	flat_load_b128 v[54:57], v[58:59]
	s_lshl_b64 s[20:21], s[20:21], 3
	flat_load_b128 v[58:61], v[58:59] offset:16
	v_add_co_u32 v66, vcc_lo, v21, s20
	v_add_co_ci_u32_e32 v67, vcc_lo, s21, v22, vcc_lo
	s_clause 0x1
	flat_load_b128 v[62:65], v[66:67]
	flat_load_b128 v[66:69], v[66:67] offset:16
	s_waitcnt vmcnt(9) lgkmcnt(9)
	scratch_store_b128 off, v[38:41], off
	s_waitcnt vmcnt(7) lgkmcnt(7)
	scratch_store_b128 off, v[42:45], off offset:16
	v_dual_mul_f32 v20, v39, v13 :: v_dual_mul_f32 v37, v41, v15
	v_mul_f32_e32 v13, v38, v13
	v_mul_f32_e32 v15, v40, v15
	s_delay_alu instid0(VALU_DEP_3)
	v_fma_f32 v20, v38, v12, -v20
	s_waitcnt vmcnt(6) lgkmcnt(6)
	v_mul_f32_e32 v70, v43, v17
	s_waitcnt vmcnt(4) lgkmcnt(4)
	v_dual_mul_f32 v17, v42, v17 :: v_dual_mul_f32 v74, v43, v51
	v_dual_mul_f32 v71, v45, v19 :: v_dual_add_f32 v20, 0, v20
	v_mul_f32_e32 v72, v39, v47
	v_mul_f32_e32 v47, v38, v47
	s_waitcnt vmcnt(3) lgkmcnt(3)
	v_dual_mul_f32 v73, v41, v49 :: v_dual_mul_f32 v76, v39, v55
	s_waitcnt vmcnt(2) lgkmcnt(2)
	v_dual_mul_f32 v49, v40, v49 :: v_dual_mul_f32 v78, v43, v59
	v_fmac_f32_e32 v13, v39, v12
	v_fma_f32 v12, v40, v14, -v37
	v_mul_f32_e32 v51, v42, v51
	v_fma_f32 v72, v38, v46, -v72
	v_mul_f32_e32 v19, v44, v19
	v_fmac_f32_e32 v47, v39, v46
	v_fma_f32 v46, v40, v48, -v73
	v_fmac_f32_e32 v49, v41, v48
	v_fma_f32 v48, v42, v50, -v74
	;; [unrolled: 2-line block ×3, first 2 shown]
	v_dual_add_f32 v12, v20, v12 :: v_dual_mul_f32 v75, v45, v53
	v_mul_f32_e32 v79, v45, v61
	v_fmac_f32_e32 v17, v43, v16
	v_fma_f32 v16, v44, v18, -v71
	s_waitcnt vmcnt(1) lgkmcnt(1)
	v_dual_mul_f32 v37, v38, v63 :: v_dual_add_f32 v12, v12, v14
	v_dual_fmac_f32 v19, v45, v18 :: v_dual_mul_f32 v18, v39, v63
	s_waitcnt vmcnt(0) lgkmcnt(0)
	v_dual_mul_f32 v53, v44, v53 :: v_dual_mul_f32 v70, v43, v67
	v_add_f32_e32 v13, 0, v13
	v_fmac_f32_e32 v37, v39, v62
	v_fma_f32 v18, v38, v62, -v18
	v_add_f32_e32 v47, 0, v47
	v_mul_f32_e32 v55, v38, v55
	v_mul_f32_e32 v77, v41, v57
	v_fmac_f32_e32 v51, v43, v50
	v_fma_f32 v50, v44, v52, -v75
	v_fmac_f32_e32 v53, v45, v52
	v_fma_f32 v52, v38, v54, -v76
	v_add_f32_e32 v13, v13, v15
	v_dual_add_f32 v15, 0, v18 :: v_dual_add_f32 v18, 0, v37
	v_add_f32_e32 v37, v47, v49
	v_mul_f32_e32 v57, v40, v57
	v_mul_f32_e32 v63, v41, v65
	;; [unrolled: 1-line block ×3, first 2 shown]
	v_fmac_f32_e32 v55, v39, v54
	v_fma_f32 v54, v40, v56, -v77
	v_fmac_f32_e32 v57, v41, v56
	v_fma_f32 v56, v42, v58, -v78
	v_dual_mul_f32 v61, v44, v61 :: v_dual_add_f32 v52, 0, v52
	v_mul_f32_e32 v59, v42, v59
	v_fmac_f32_e32 v65, v41, v64
	v_add_f32_e32 v55, 0, v55
	s_delay_alu instid0(VALU_DEP_4)
	v_fmac_f32_e32 v61, v45, v60
	v_fma_f32 v62, v42, v66, -v70
	v_fmac_f32_e32 v59, v43, v58
	v_fma_f32 v58, v44, v60, -v79
	v_fma_f32 v60, v40, v64, -v63
	v_dual_add_f32 v64, 0, v72 :: v_dual_add_f32 v47, v55, v57
	v_add_f32_e32 v13, v13, v17
	v_add_f32_e32 v17, v18, v65
	s_delay_alu instid0(VALU_DEP_3) | instskip(NEXT) | instid1(VALU_DEP_4)
	v_dual_add_f32 v15, v15, v60 :: v_dual_add_f32 v20, v64, v46
	v_dual_add_f32 v46, v52, v54 :: v_dual_add_f32 v47, v47, v59
	v_mul_f32_e32 v67, v42, v67
	s_delay_alu instid0(VALU_DEP_3) | instskip(SKIP_3) | instid1(VALU_DEP_4)
	v_dual_mul_f32 v71, v45, v69 :: v_dual_add_f32 v18, v20, v48
	v_mul_f32_e32 v69, v44, v69
	v_add_f32_e32 v14, v12, v16
	v_add_f32_e32 v12, v15, v62
	v_fma_f32 v63, v44, v68, -v71
	v_dual_add_f32 v15, v18, v50 :: v_dual_add_f32 v18, v47, v61
	v_fmac_f32_e32 v67, v43, v66
	v_fmac_f32_e32 v69, v45, v68
	v_add_f32_e32 v20, v37, v51
	v_dual_add_f32 v46, v46, v56 :: v_dual_add_f32 v37, v13, v19
	s_delay_alu instid0(VALU_DEP_2) | instskip(NEXT) | instid1(VALU_DEP_2)
	v_dual_add_f32 v13, v17, v67 :: v_dual_add_f32 v16, v20, v53
	v_dual_add_f32 v17, v46, v58 :: v_dual_add_f32 v20, v12, v63
	s_delay_alu instid0(VALU_DEP_2)
	v_add_f32_e32 v19, v13, v69
	s_and_not1_saveexec_b32 s16, s16
	s_cbranch_execz .LBB308_15
.LBB308_41:                             ;   in Loop: Header=BB308_13 Depth=1
	v_dual_mov_b32 v14, 0 :: v_dual_mov_b32 v37, 0
	v_dual_mov_b32 v15, 0 :: v_dual_mov_b32 v16, 0
	;; [unrolled: 1-line block ×3, first 2 shown]
	s_waitcnt lgkmcnt(0)
	v_dual_mov_b32 v20, 0 :: v_dual_mov_b32 v19, 0
	s_and_saveexec_b32 s37, s3
	s_cbranch_execz .LBB308_47
; %bb.42:                               ;   in Loop: Header=BB308_13 Depth=1
	v_dual_mov_b32 v14, 0 :: v_dual_mov_b32 v37, 0
	v_dual_mov_b32 v15, 0 :: v_dual_mov_b32 v16, 0
	;; [unrolled: 1-line block ×4, first 2 shown]
	s_and_not1_b32 vcc_lo, exec_lo, s31
	s_cbranch_vccnz .LBB308_47
; %bb.43:                               ;   in Loop: Header=BB308_13 Depth=1
	v_mov_b32_e32 v14, 0
	v_mov_b32_e32 v12, v2
	s_mov_b32 s19, s27
.LBB308_44:                             ;   Parent Loop BB308_13 Depth=1
                                        ; =>  This Inner Loop Header: Depth=2
	s_delay_alu instid0(VALU_DEP_1) | instskip(SKIP_1) | instid1(SALU_CYCLE_1)
	v_ashrrev_i32_e32 v13, 31, v12
	s_add_i32 s19, s19, -1
	s_cmp_eq_u32 s19, 0
	s_delay_alu instid0(VALU_DEP_1) | instskip(SKIP_1) | instid1(VALU_DEP_2)
	v_lshlrev_b64 v[15:16], 3, v[12:13]
	v_add_nc_u32_e32 v12, s26, v12
	v_add_co_u32 v15, vcc_lo, s12, v15
	s_delay_alu instid0(VALU_DEP_3)
	v_add_co_ci_u32_e32 v16, vcc_lo, s13, v16, vcc_lo
	flat_load_b64 v[15:16], v[15:16]
	s_waitcnt vmcnt(0) lgkmcnt(0)
	scratch_store_b64 v14, v[15:16], off
	v_add_nc_u32_e32 v14, 8, v14
	s_cbranch_scc0 .LBB308_44
; %bb.45:                               ;   in Loop: Header=BB308_13 Depth=1
	s_ashr_i32 s19, s18, 31
	v_dual_mov_b32 v19, 0 :: v_dual_mov_b32 v38, v36
	s_lshl_b64 s[20:21], s[18:19], 3
	v_dual_mov_b32 v20, 0 :: v_dual_mov_b32 v17, 0
	v_add_co_u32 v12, vcc_lo, v21, s20
	v_add_co_ci_u32_e32 v13, vcc_lo, s21, v22, vcc_lo
	v_dual_mov_b32 v18, 0 :: v_dual_mov_b32 v15, 0
	v_dual_mov_b32 v16, 0 :: v_dual_mov_b32 v37, 0
	v_mov_b32_e32 v14, 0
	s_mov_b32 s20, s35
	s_mov_b32 s22, s34
	;; [unrolled: 1-line block ×4, first 2 shown]
.LBB308_46:                             ;   Parent Loop BB308_13 Depth=1
                                        ; =>  This Inner Loop Header: Depth=2
	s_ashr_i32 s25, s24, 31
	s_ashr_i32 s23, s22, 31
	s_lshl_b64 s[38:39], s[24:25], 3
	s_lshl_b64 s[40:41], s[22:23], 3
	v_add_co_u32 v43, vcc_lo, v21, s38
	s_ashr_i32 s21, s20, 31
	v_add_co_ci_u32_e32 v44, vcc_lo, s39, v22, vcc_lo
	v_add_co_u32 v45, vcc_lo, v21, s40
	s_lshl_b64 s[42:43], s[20:21], 3
	v_add_co_ci_u32_e32 v46, vcc_lo, s41, v22, vcc_lo
	v_add_co_u32 v47, vcc_lo, v21, s42
	v_add_co_ci_u32_e32 v48, vcc_lo, s43, v22, vcc_lo
	scratch_load_b64 v[39:40], v38, off offset:-4
	flat_load_b64 v[41:42], v[12:13]
	s_clause 0x2
	flat_load_b64 v[43:44], v[43:44]
	flat_load_b64 v[45:46], v[45:46]
	;; [unrolled: 1-line block ×3, first 2 shown]
	v_add_nc_u32_e32 v38, 8, v38
	v_add_co_u32 v12, vcc_lo, v12, 8
	v_add_co_ci_u32_e32 v13, vcc_lo, 0, v13, vcc_lo
	s_add_i32 s19, s19, -1
	s_add_i32 s24, s24, 1
	s_add_i32 s22, s22, 1
	s_add_i32 s20, s20, 1
	s_cmp_lg_u32 s19, 0
	s_waitcnt vmcnt(3) lgkmcnt(3)
	v_mul_f32_e32 v49, v40, v42
	s_waitcnt vmcnt(0) lgkmcnt(0)
	v_dual_mul_f32 v42, v39, v42 :: v_dual_mul_f32 v51, v40, v48
	v_mul_f32_e32 v48, v39, v48
	s_delay_alu instid0(VALU_DEP_3) | instskip(NEXT) | instid1(VALU_DEP_2)
	v_fma_f32 v49, v39, v41, -v49
	v_fmac_f32_e32 v48, v40, v47
	s_delay_alu instid0(VALU_DEP_4) | instskip(SKIP_2) | instid1(VALU_DEP_4)
	v_fmac_f32_e32 v42, v40, v41
	v_mul_f32_e32 v41, v40, v44
	v_mul_f32_e32 v44, v39, v44
	v_add_f32_e32 v19, v19, v48
	s_delay_alu instid0(VALU_DEP_4) | instskip(NEXT) | instid1(VALU_DEP_4)
	v_add_f32_e32 v37, v37, v42
	v_fma_f32 v41, v39, v43, -v41
	v_mul_f32_e32 v50, v40, v46
	v_mul_f32_e32 v46, v39, v46
	s_delay_alu instid0(VALU_DEP_3) | instskip(NEXT) | instid1(VALU_DEP_3)
	v_dual_fmac_f32 v44, v40, v43 :: v_dual_add_f32 v15, v15, v41
	v_fma_f32 v42, v39, v45, -v50
	s_delay_alu instid0(VALU_DEP_3) | instskip(SKIP_2) | instid1(VALU_DEP_4)
	v_fmac_f32_e32 v46, v40, v45
	v_fma_f32 v39, v39, v47, -v51
	v_add_f32_e32 v14, v14, v49
	v_dual_add_f32 v16, v16, v44 :: v_dual_add_f32 v17, v17, v42
	s_delay_alu instid0(VALU_DEP_4) | instskip(NEXT) | instid1(VALU_DEP_4)
	v_add_f32_e32 v18, v18, v46
	v_add_f32_e32 v20, v20, v39
	s_cbranch_scc1 .LBB308_46
.LBB308_47:                             ;   in Loop: Header=BB308_13 Depth=1
	s_or_b32 exec_lo, exec_lo, s37
	s_delay_alu instid0(SALU_CYCLE_1)
	s_or_b32 exec_lo, exec_lo, s16
	s_and_saveexec_b32 s16, s0
	s_cbranch_execnz .LBB308_16
	s_branch .LBB308_17
.LBB308_48:                             ;   in Loop: Header=BB308_13 Depth=1
	ds_load_b64 v[13:14], v34
	s_or_b32 exec_lo, exec_lo, s16
	s_and_saveexec_b32 s16, s0
	s_cbranch_execz .LBB308_21
.LBB308_49:                             ;   in Loop: Header=BB308_13 Depth=1
	s_waitcnt lgkmcnt(0)
	ds_bpermute_b32 v12, v31, v13
	ds_bpermute_b32 v37, v31, v14
	s_waitcnt lgkmcnt(0)
	v_dual_add_f32 v12, v13, v12 :: v_dual_add_f32 v13, v14, v37
	ds_bpermute_b32 v14, v32, v12
	ds_bpermute_b32 v37, v32, v13
	s_waitcnt lgkmcnt(1)
	v_add_f32_e32 v12, v12, v14
	s_waitcnt lgkmcnt(0)
	v_add_f32_e32 v14, v13, v37
	ds_bpermute_b32 v13, v33, v12
	ds_bpermute_b32 v37, v33, v14
	s_waitcnt lgkmcnt(1)
	v_add_f32_e32 v13, v12, v13
	s_waitcnt lgkmcnt(0)
	v_add_f32_e32 v14, v14, v37
	s_or_b32 exec_lo, exec_lo, s16
	s_and_saveexec_b32 s16, s0
	s_cbranch_execnz .LBB308_22
	s_branch .LBB308_23
.LBB308_50:                             ;   in Loop: Header=BB308_13 Depth=1
	ds_load_b64 v[15:16], v34
	s_or_b32 exec_lo, exec_lo, s16
	s_and_saveexec_b32 s16, s0
	s_cbranch_execz .LBB308_27
.LBB308_51:                             ;   in Loop: Header=BB308_13 Depth=1
	s_waitcnt lgkmcnt(0)
	ds_bpermute_b32 v12, v31, v15
	ds_bpermute_b32 v37, v31, v16
	s_waitcnt lgkmcnt(0)
	v_dual_add_f32 v12, v15, v12 :: v_dual_add_f32 v15, v16, v37
	ds_bpermute_b32 v16, v32, v12
	ds_bpermute_b32 v37, v32, v15
	s_waitcnt lgkmcnt(1)
	v_add_f32_e32 v12, v12, v16
	s_waitcnt lgkmcnt(0)
	v_add_f32_e32 v16, v15, v37
	ds_bpermute_b32 v15, v33, v12
	s_waitcnt lgkmcnt(0)
	v_add_f32_e32 v15, v12, v15
	ds_bpermute_b32 v37, v33, v16
	s_waitcnt lgkmcnt(0)
	v_add_f32_e32 v16, v16, v37
	s_or_b32 exec_lo, exec_lo, s16
	s_and_saveexec_b32 s16, s0
	s_cbranch_execnz .LBB308_28
	s_branch .LBB308_29
.LBB308_52:                             ;   in Loop: Header=BB308_13 Depth=1
	ds_load_b64 v[17:18], v34
	s_or_b32 exec_lo, exec_lo, s16
	s_and_saveexec_b32 s16, s0
	s_cbranch_execz .LBB308_33
.LBB308_53:                             ;   in Loop: Header=BB308_13 Depth=1
	s_waitcnt lgkmcnt(0)
	ds_bpermute_b32 v12, v31, v17
	ds_bpermute_b32 v37, v31, v18
	s_waitcnt lgkmcnt(0)
	v_dual_add_f32 v12, v17, v12 :: v_dual_add_f32 v17, v18, v37
	ds_bpermute_b32 v18, v32, v12
	ds_bpermute_b32 v37, v32, v17
	s_waitcnt lgkmcnt(1)
	v_add_f32_e32 v12, v12, v18
	s_waitcnt lgkmcnt(0)
	v_add_f32_e32 v18, v17, v37
	ds_bpermute_b32 v17, v33, v12
	ds_bpermute_b32 v37, v33, v18
	s_waitcnt lgkmcnt(1)
	v_add_f32_e32 v17, v12, v17
	s_waitcnt lgkmcnt(0)
	v_add_f32_e32 v18, v18, v37
	s_or_b32 exec_lo, exec_lo, s16
	s_and_saveexec_b32 s16, s0
	s_cbranch_execnz .LBB308_34
	s_branch .LBB308_35
.LBB308_54:                             ;   in Loop: Header=BB308_13 Depth=1
	ds_load_b64 v[19:20], v34
	s_or_b32 exec_lo, exec_lo, s16
	s_and_saveexec_b32 s16, s0
	s_cbranch_execz .LBB308_39
.LBB308_55:                             ;   in Loop: Header=BB308_13 Depth=1
	s_waitcnt lgkmcnt(0)
	ds_bpermute_b32 v12, v31, v19
	ds_bpermute_b32 v37, v31, v20
	s_waitcnt lgkmcnt(0)
	v_dual_add_f32 v12, v19, v12 :: v_dual_add_f32 v19, v20, v37
	ds_bpermute_b32 v20, v32, v12
	ds_bpermute_b32 v37, v32, v19
	s_waitcnt lgkmcnt(1)
	v_add_f32_e32 v12, v12, v20
	s_waitcnt lgkmcnt(0)
	v_add_f32_e32 v20, v19, v37
	ds_bpermute_b32 v19, v33, v12
	s_waitcnt lgkmcnt(0)
	v_add_f32_e32 v19, v12, v19
	ds_bpermute_b32 v37, v33, v20
	s_waitcnt lgkmcnt(0)
	v_add_f32_e32 v20, v20, v37
	s_or_b32 exec_lo, exec_lo, s16
	s_and_saveexec_b32 s19, s5
	s_cbranch_execz .LBB308_12
.LBB308_56:                             ;   in Loop: Header=BB308_13 Depth=1
	v_mul_f32_e32 v12, s7, v14
	v_mul_f32_e32 v38, s6, v14
	s_mul_i32 s16, s28, s10
	v_mul_f32_e32 v14, s7, v18
	s_add_i32 s16, s16, s14
	v_fma_f32 v37, v13, s6, -v12
	s_lshl_b64 s[20:21], s[16:17], 3
	v_fmac_f32_e32 v38, s7, v13
	s_add_u32 s20, s30, s20
	s_addc_u32 s21, s29, s21
	s_add_i32 s16, s16, s10
	v_mul_f32_e32 v12, s7, v16
	global_store_b64 v11, v[37:38], s[20:21]
	v_mul_f32_e32 v13, s6, v16
	s_lshl_b64 s[20:21], s[16:17], 3
	v_mul_f32_e32 v16, s6, v18
	s_add_u32 s20, s30, s20
	s_addc_u32 s21, s29, s21
	v_fmac_f32_e32 v13, s7, v15
	s_add_i32 s16, s16, s10
	v_fma_f32 v12, v15, s6, -v12
	v_fma_f32 v15, v17, s6, -v14
	s_waitcnt lgkmcnt(0)
	v_mul_f32_e32 v14, s7, v20
	s_lshl_b64 s[22:23], s[16:17], 3
	v_mul_f32_e32 v18, s6, v20
	s_add_u32 s22, s30, s22
	s_addc_u32 s23, s29, s23
	s_add_i32 s16, s16, s10
	v_fmac_f32_e32 v16, s7, v17
	v_fma_f32 v17, v19, s6, -v14
	v_fmac_f32_e32 v18, s7, v19
	s_lshl_b64 s[24:25], s[16:17], 3
	global_store_b64 v11, v[12:13], s[20:21]
	s_add_u32 s20, s30, s24
	s_addc_u32 s21, s29, s25
	s_clause 0x1
	global_store_b64 v11, v[15:16], s[22:23]
	global_store_b64 v11, v[17:18], s[20:21]
	s_branch .LBB308_12
.LBB308_57:
	s_mov_b32 s28, 0
.LBB308_58:
	s_delay_alu instid0(SALU_CYCLE_1)
	s_cmp_ge_i32 s28, s9
	s_cbranch_scc1 .LBB308_80
; %bb.59:
	v_cmp_gt_u32_e64 s1, 16, v26
	v_cmp_ge_i32_e64 s4, s8, v28
	s_cmp_gt_i32 s27, 0
	s_mov_b32 s15, 0
	v_cmp_ge_i32_e32 vcc_lo, s8, v27
	v_cndmask_b32_e64 v2, 0, 1, s1
	v_cmp_gt_u32_e64 s1, 24, v26
	s_cselect_b32 s16, -1, 0
	v_cmp_gt_u32_e64 s0, 32, v0
	v_lshlrev_b32_e32 v13, 3, v25
	v_lshlrev_b32_e32 v2, 4, v2
	v_cndmask_b32_e64 v3, 0, 1, s1
	v_cmp_gt_u32_e64 s1, 28, v26
	s_waitcnt lgkmcnt(0)
	v_and_b32_e32 v19, 56, v24
	v_cmp_gt_u32_e64 s2, 8, v0
	v_add_lshl_u32 v14, v2, v26, 2
	v_lshlrev_b32_e32 v3, 3, v3
	v_cndmask_b32_e64 v4, 0, 1, s1
	v_cmp_gt_u32_e64 s1, 30, v26
	v_ashrrev_i32_e32 v2, 31, v1
	v_cmp_eq_u32_e64 s3, 0, v0
	v_add_lshl_u32 v15, v3, v26, 2
	v_add_nc_u32_e32 v3, s26, v1
	v_cndmask_b32_e64 v5, 0, 1, s1
	v_cmp_ne_u32_e64 s1, 31, v26
	v_lshlrev_b32_e32 v4, 2, v4
	v_lshlrev_b64 v[7:8], 3, v[1:2]
	s_lshl_b64 s[14:15], s[14:15], 3
	v_lshlrev_b32_e32 v5, 1, v5
	v_add_co_ci_u32_e64 v6, s1, 0, v26, s1
	v_add_lshl_u32 v16, v4, v26, 2
	v_ashrrev_i32_e32 v4, 31, v3
	s_delay_alu instid0(VALU_DEP_4) | instskip(SKIP_4) | instid1(VALU_DEP_4)
	v_add_lshl_u32 v17, v5, v26, 2
	v_add_nc_u32_e32 v5, s26, v3
	v_lshlrev_b32_e32 v18, 2, v6
	v_add_co_u32 v2, s5, s12, v7
	v_lshlrev_b64 v[9:10], 3, v[3:4]
	v_add_nc_u32_e32 v11, s26, v5
	v_ashrrev_i32_e32 v6, 31, v5
	v_add_co_ci_u32_e64 v3, s5, s13, v8, s5
	v_cmp_eq_u32_e64 s1, 0, v25
	s_delay_alu instid0(VALU_DEP_4) | instskip(NEXT) | instid1(VALU_DEP_4)
	v_ashrrev_i32_e32 v12, 31, v11
	v_lshlrev_b64 v[6:7], 3, v[5:6]
	v_add_co_u32 v4, s5, s12, v9
	s_delay_alu instid0(VALU_DEP_1) | instskip(SKIP_3) | instid1(VALU_DEP_1)
	v_add_co_ci_u32_e64 v5, s5, s13, v10, s5
	v_mov_b32_e32 v10, 0
	v_lshlrev_b64 v[8:9], 3, v[11:12]
	v_add_co_u32 v6, s5, s12, v6
	v_add_co_ci_u32_e64 v7, s5, s13, v7, s5
	s_add_u32 s8, s30, s14
	s_delay_alu instid0(VALU_DEP_3) | instskip(NEXT) | instid1(VALU_DEP_1)
	v_add_co_u32 v8, s5, s12, v8
	v_add_co_ci_u32_e64 v9, s5, s13, v9, s5
	s_addc_u32 s5, s29, s15
	s_and_b32 s16, s16, s4
	s_mul_i32 s14, s28, s11
	s_branch .LBB308_61
.LBB308_60:                             ;   in Loop: Header=BB308_61 Depth=1
	s_or_b32 exec_lo, exec_lo, s4
	s_add_i32 s28, s28, 1
	s_add_i32 s14, s14, s11
	s_cmp_lt_i32 s28, s9
	s_cbranch_scc0 .LBB308_80
.LBB308_61:                             ; =>This Loop Header: Depth=1
                                        ;     Child Loop BB308_73 Depth 2
                                        ;     Child Loop BB308_75 Depth 2
                                        ; implicit-def: $vgpr0
                                        ; implicit-def: $vgpr20
	s_and_saveexec_b32 s4, vcc_lo
	s_delay_alu instid0(SALU_CYCLE_1)
	s_xor_b32 s15, exec_lo, s4
	s_cbranch_execnz .LBB308_70
; %bb.62:                               ;   in Loop: Header=BB308_61 Depth=1
	s_and_not1_saveexec_b32 s17, s15
	s_cbranch_execnz .LBB308_71
.LBB308_63:                             ;   in Loop: Header=BB308_61 Depth=1
	s_or_b32 exec_lo, exec_lo, s17
	s_and_saveexec_b32 s4, s0
	s_cbranch_execz .LBB308_65
.LBB308_64:                             ;   in Loop: Header=BB308_61 Depth=1
	s_waitcnt lgkmcnt(0)
	v_mov_b32_e32 v11, v10
	ds_store_b64 v13, v[10:11]
.LBB308_65:                             ;   in Loop: Header=BB308_61 Depth=1
	s_or_b32 exec_lo, exec_lo, s4
	s_waitcnt lgkmcnt(0)
	ds_bpermute_b32 v11, v14, v0
	ds_bpermute_b32 v12, v14, v20
	s_waitcnt lgkmcnt(0)
	s_waitcnt_vscnt null, 0x0
	s_barrier
	buffer_gl0_inv
	v_add_f32_e32 v0, v0, v11
	v_add_f32_e32 v11, v20, v12
	ds_bpermute_b32 v20, v15, v11
	s_waitcnt lgkmcnt(0)
	v_add_f32_e32 v11, v11, v20
	ds_bpermute_b32 v12, v15, v0
	ds_bpermute_b32 v20, v16, v11
	s_waitcnt lgkmcnt(1)
	v_add_f32_e32 v0, v0, v12
	s_waitcnt lgkmcnt(0)
	v_add_f32_e32 v11, v11, v20
	ds_bpermute_b32 v12, v16, v0
	ds_bpermute_b32 v20, v17, v11
	s_waitcnt lgkmcnt(1)
	v_add_f32_e32 v0, v0, v12
	;; [unrolled: 6-line block ×3, first 2 shown]
	ds_bpermute_b32 v12, v18, v0
	s_and_saveexec_b32 s4, s1
	s_cbranch_execz .LBB308_67
; %bb.66:                               ;   in Loop: Header=BB308_61 Depth=1
	s_waitcnt lgkmcnt(1)
	v_add_f32_e32 v25, v11, v20
	s_waitcnt lgkmcnt(0)
	v_add_f32_e32 v24, v0, v12
	ds_store_b64 v19, v[24:25]
.LBB308_67:                             ;   in Loop: Header=BB308_61 Depth=1
	s_or_b32 exec_lo, exec_lo, s4
	s_waitcnt lgkmcnt(0)
	v_dual_mov_b32 v12, 0 :: v_dual_mov_b32 v11, 0
	s_barrier
	buffer_gl0_inv
	s_and_saveexec_b32 s4, s2
	s_cbranch_execnz .LBB308_77
; %bb.68:                               ;   in Loop: Header=BB308_61 Depth=1
	s_or_b32 exec_lo, exec_lo, s4
	s_and_saveexec_b32 s4, s0
	s_cbranch_execnz .LBB308_78
.LBB308_69:                             ;   in Loop: Header=BB308_61 Depth=1
	s_or_b32 exec_lo, exec_lo, s4
	s_and_saveexec_b32 s4, s3
	s_cbranch_execz .LBB308_60
	s_branch .LBB308_79
.LBB308_70:                             ;   in Loop: Header=BB308_61 Depth=1
	s_mul_i32 s18, s28, s11
	s_delay_alu instid0(SALU_CYCLE_1) | instskip(NEXT) | instid1(SALU_CYCLE_1)
	s_ashr_i32 s19, s18, 31
	s_lshl_b64 s[18:19], s[18:19], 3
	s_waitcnt lgkmcnt(0)
	v_add_co_u32 v11, s4, v21, s18
	s_delay_alu instid0(VALU_DEP_1)
	v_add_co_ci_u32_e64 v12, s4, s19, v22, s4
	flat_load_b128 v[24:27], v[11:12]
	s_clause 0x1
	flat_load_b64 v[28:29], v[2:3]
	flat_load_b64 v[30:31], v[4:5]
	flat_load_b128 v[32:35], v[11:12] offset:16
	s_clause 0x1
	flat_load_b64 v[36:37], v[6:7]
	flat_load_b64 v[38:39], v[8:9]
	s_waitcnt vmcnt(3) lgkmcnt(3)
	scratch_store_b128 off, v[28:31], off
	s_waitcnt vmcnt(0) lgkmcnt(0)
	scratch_store_b128 off, v[36:39], off offset:16
	v_dual_mul_f32 v11, v28, v25 :: v_dual_mul_f32 v12, v31, v27
	v_dual_mul_f32 v20, v30, v27 :: v_dual_mul_f32 v27, v36, v33
	s_delay_alu instid0(VALU_DEP_2) | instskip(SKIP_1) | instid1(VALU_DEP_3)
	v_fmac_f32_e32 v11, v29, v24
	v_mul_f32_e32 v0, v29, v25
	v_dual_mul_f32 v25, v37, v33 :: v_dual_fmac_f32 v20, v31, v26
	v_fma_f32 v12, v30, v26, -v12
	s_delay_alu instid0(VALU_DEP_4) | instskip(NEXT) | instid1(VALU_DEP_4)
	v_add_f32_e32 v11, 0, v11
	v_fma_f32 v0, v28, v24, -v0
	v_mul_f32_e32 v24, v39, v35
	v_dual_mul_f32 v26, v38, v35 :: v_dual_fmac_f32 v27, v37, v32
	v_fma_f32 v25, v36, v32, -v25
	v_add_f32_e32 v11, v11, v20
	v_add_f32_e32 v0, 0, v0
	s_delay_alu instid0(VALU_DEP_4) | instskip(NEXT) | instid1(VALU_DEP_2)
	v_fmac_f32_e32 v26, v39, v34
	v_dual_add_f32 v11, v11, v27 :: v_dual_add_f32 v0, v0, v12
	v_fma_f32 v12, v38, v34, -v24
	s_delay_alu instid0(VALU_DEP_2) | instskip(NEXT) | instid1(VALU_DEP_3)
	v_add_f32_e32 v20, v11, v26
	v_add_f32_e32 v0, v0, v25
	s_delay_alu instid0(VALU_DEP_1)
	v_add_f32_e32 v0, v0, v12
	s_and_not1_saveexec_b32 s17, s15
	s_cbranch_execz .LBB308_63
.LBB308_71:                             ;   in Loop: Header=BB308_61 Depth=1
	v_mov_b32_e32 v0, 0
	v_mov_b32_e32 v20, 0
	s_and_saveexec_b32 s18, s16
	s_cbranch_execz .LBB308_76
; %bb.72:                               ;   in Loop: Header=BB308_61 Depth=1
	s_waitcnt lgkmcnt(0)
	v_dual_mov_b32 v0, 0 :: v_dual_mov_b32 v11, v1
	s_mov_b32 s15, s27
.LBB308_73:                             ;   Parent Loop BB308_61 Depth=1
                                        ; =>  This Inner Loop Header: Depth=2
	s_delay_alu instid0(VALU_DEP_1) | instskip(SKIP_1) | instid1(SALU_CYCLE_1)
	v_ashrrev_i32_e32 v12, 31, v11
	s_add_i32 s15, s15, -1
	s_cmp_eq_u32 s15, 0
	s_delay_alu instid0(VALU_DEP_1) | instskip(SKIP_1) | instid1(VALU_DEP_2)
	v_lshlrev_b64 v[24:25], 3, v[11:12]
	v_add_nc_u32_e32 v11, s26, v11
	v_add_co_u32 v24, s4, s12, v24
	s_delay_alu instid0(VALU_DEP_1)
	v_add_co_ci_u32_e64 v25, s4, s13, v25, s4
	flat_load_b64 v[24:25], v[24:25]
	s_waitcnt vmcnt(0) lgkmcnt(0)
	scratch_store_b64 v0, v[24:25], off
	v_add_nc_u32_e32 v0, 8, v0
	s_cbranch_scc0 .LBB308_73
; %bb.74:                               ;   in Loop: Header=BB308_61 Depth=1
	s_ashr_i32 s15, s14, 31
	v_mov_b32_e32 v0, 0
	s_lshl_b64 s[20:21], s[14:15], 3
	v_mov_b32_e32 v24, v23
	v_add_co_u32 v11, s4, v21, s20
	s_delay_alu instid0(VALU_DEP_1)
	v_add_co_ci_u32_e64 v12, s4, s21, v22, s4
	v_mov_b32_e32 v20, 0
	s_mov_b32 s15, s27
	.p2align	6
.LBB308_75:                             ;   Parent Loop BB308_61 Depth=1
                                        ; =>  This Inner Loop Header: Depth=2
	flat_load_b64 v[25:26], v[11:12]
	scratch_load_b64 v[27:28], v24, off offset:-4
	v_add_co_u32 v11, s4, v11, 8
	s_delay_alu instid0(VALU_DEP_1)
	v_add_co_ci_u32_e64 v12, s4, 0, v12, s4
	s_add_i32 s15, s15, -1
	v_add_nc_u32_e32 v24, 8, v24
	s_cmp_lg_u32 s15, 0
	s_waitcnt vmcnt(0) lgkmcnt(0)
	v_mul_f32_e32 v29, v28, v26
	v_mul_f32_e32 v26, v27, v26
	s_delay_alu instid0(VALU_DEP_2) | instskip(NEXT) | instid1(VALU_DEP_2)
	v_fma_f32 v27, v27, v25, -v29
	v_fmac_f32_e32 v26, v28, v25
	s_delay_alu instid0(VALU_DEP_2) | instskip(NEXT) | instid1(VALU_DEP_2)
	v_add_f32_e32 v0, v0, v27
	v_add_f32_e32 v20, v20, v26
	s_cbranch_scc1 .LBB308_75
.LBB308_76:                             ;   in Loop: Header=BB308_61 Depth=1
	s_or_b32 exec_lo, exec_lo, s18
	s_delay_alu instid0(SALU_CYCLE_1)
	s_or_b32 exec_lo, exec_lo, s17
	s_and_saveexec_b32 s4, s0
	s_cbranch_execnz .LBB308_64
	s_branch .LBB308_65
.LBB308_77:                             ;   in Loop: Header=BB308_61 Depth=1
	ds_load_b64 v[11:12], v13
	s_or_b32 exec_lo, exec_lo, s4
	s_and_saveexec_b32 s4, s0
	s_cbranch_execz .LBB308_69
.LBB308_78:                             ;   in Loop: Header=BB308_61 Depth=1
	s_waitcnt lgkmcnt(0)
	ds_bpermute_b32 v0, v16, v11
	ds_bpermute_b32 v20, v16, v12
	s_waitcnt lgkmcnt(1)
	v_add_f32_e32 v0, v11, v0
	s_waitcnt lgkmcnt(0)
	v_add_f32_e32 v11, v12, v20
	ds_bpermute_b32 v12, v17, v0
	ds_bpermute_b32 v20, v17, v11
	s_waitcnt lgkmcnt(1)
	v_add_f32_e32 v0, v0, v12
	s_waitcnt lgkmcnt(0)
	v_add_f32_e32 v12, v11, v20
	ds_bpermute_b32 v11, v18, v0
	s_waitcnt lgkmcnt(0)
	v_add_f32_e32 v11, v0, v11
	ds_bpermute_b32 v20, v18, v12
	s_waitcnt lgkmcnt(0)
	v_add_f32_e32 v12, v12, v20
	s_or_b32 exec_lo, exec_lo, s4
	s_and_saveexec_b32 s4, s3
	s_cbranch_execz .LBB308_60
.LBB308_79:                             ;   in Loop: Header=BB308_61 Depth=1
	s_waitcnt lgkmcnt(0)
	v_mul_f32_e32 v25, s6, v12
	v_mul_f32_e32 v0, s7, v12
	s_mul_hi_u32 s19, s28, s10
	s_mul_i32 s18, s28, s10
	s_delay_alu instid0(VALU_DEP_2) | instskip(NEXT) | instid1(VALU_DEP_2)
	v_fmac_f32_e32 v25, s7, v11
	v_fma_f32 v24, v11, s6, -v0
	s_lshl_b64 s[18:19], s[18:19], 3
	s_delay_alu instid0(SALU_CYCLE_1)
	s_add_u32 s18, s8, s18
	s_addc_u32 s19, s5, s19
	global_store_b64 v10, v[24:25], s[18:19]
	s_branch .LBB308_60
.LBB308_80:
	s_nop 0
	s_sendmsg sendmsg(MSG_DEALLOC_VGPRS)
	s_endpgm
	.section	.rodata,"a",@progbits
	.p2align	6, 0x0
	.amdhsa_kernel _ZL23rocblas_gemvt_sn_kernelILb0ELi256ELi4EiPK19rocblas_complex_numIfES3_S1_EviiT4_lPKT3_lilS7_lilPT5_i
		.amdhsa_group_segment_fixed_size 256
		.amdhsa_private_segment_fixed_size 48
		.amdhsa_kernarg_size 360
		.amdhsa_user_sgpr_count 14
		.amdhsa_user_sgpr_dispatch_ptr 0
		.amdhsa_user_sgpr_queue_ptr 0
		.amdhsa_user_sgpr_kernarg_segment_ptr 1
		.amdhsa_user_sgpr_dispatch_id 0
		.amdhsa_user_sgpr_private_segment_size 0
		.amdhsa_wavefront_size32 1
		.amdhsa_uses_dynamic_stack 0
		.amdhsa_enable_private_segment 1
		.amdhsa_system_sgpr_workgroup_id_x 1
		.amdhsa_system_sgpr_workgroup_id_y 0
		.amdhsa_system_sgpr_workgroup_id_z 1
		.amdhsa_system_sgpr_workgroup_info 0
		.amdhsa_system_vgpr_workitem_id 0
		.amdhsa_next_free_vgpr 80
		.amdhsa_next_free_sgpr 44
		.amdhsa_reserve_vcc 1
		.amdhsa_float_round_mode_32 0
		.amdhsa_float_round_mode_16_64 0
		.amdhsa_float_denorm_mode_32 3
		.amdhsa_float_denorm_mode_16_64 3
		.amdhsa_dx10_clamp 1
		.amdhsa_ieee_mode 1
		.amdhsa_fp16_overflow 0
		.amdhsa_workgroup_processor_mode 1
		.amdhsa_memory_ordered 1
		.amdhsa_forward_progress 0
		.amdhsa_shared_vgpr_count 0
		.amdhsa_exception_fp_ieee_invalid_op 0
		.amdhsa_exception_fp_denorm_src 0
		.amdhsa_exception_fp_ieee_div_zero 0
		.amdhsa_exception_fp_ieee_overflow 0
		.amdhsa_exception_fp_ieee_underflow 0
		.amdhsa_exception_fp_ieee_inexact 0
		.amdhsa_exception_int_div_zero 0
	.end_amdhsa_kernel
	.section	.text._ZL23rocblas_gemvt_sn_kernelILb0ELi256ELi4EiPK19rocblas_complex_numIfES3_S1_EviiT4_lPKT3_lilS7_lilPT5_i,"axG",@progbits,_ZL23rocblas_gemvt_sn_kernelILb0ELi256ELi4EiPK19rocblas_complex_numIfES3_S1_EviiT4_lPKT3_lilS7_lilPT5_i,comdat
.Lfunc_end308:
	.size	_ZL23rocblas_gemvt_sn_kernelILb0ELi256ELi4EiPK19rocblas_complex_numIfES3_S1_EviiT4_lPKT3_lilS7_lilPT5_i, .Lfunc_end308-_ZL23rocblas_gemvt_sn_kernelILb0ELi256ELi4EiPK19rocblas_complex_numIfES3_S1_EviiT4_lPKT3_lilS7_lilPT5_i
                                        ; -- End function
	.section	.AMDGPU.csdata,"",@progbits
; Kernel info:
; codeLenInByte = 5480
; NumSgprs: 46
; NumVgprs: 80
; ScratchSize: 48
; MemoryBound: 0
; FloatMode: 240
; IeeeMode: 1
; LDSByteSize: 256 bytes/workgroup (compile time only)
; SGPRBlocks: 5
; VGPRBlocks: 9
; NumSGPRsForWavesPerEU: 46
; NumVGPRsForWavesPerEU: 80
; Occupancy: 16
; WaveLimiterHint : 0
; COMPUTE_PGM_RSRC2:SCRATCH_EN: 1
; COMPUTE_PGM_RSRC2:USER_SGPR: 14
; COMPUTE_PGM_RSRC2:TRAP_HANDLER: 0
; COMPUTE_PGM_RSRC2:TGID_X_EN: 1
; COMPUTE_PGM_RSRC2:TGID_Y_EN: 0
; COMPUTE_PGM_RSRC2:TGID_Z_EN: 1
; COMPUTE_PGM_RSRC2:TIDIG_COMP_CNT: 0
	.section	.text._ZL23rocblas_gemvt_sn_kernelILb0ELi256ELi4ElPK19rocblas_complex_numIfES3_S1_EviiT4_lPKT3_lilS7_lilPT5_i,"axG",@progbits,_ZL23rocblas_gemvt_sn_kernelILb0ELi256ELi4ElPK19rocblas_complex_numIfES3_S1_EviiT4_lPKT3_lilS7_lilPT5_i,comdat
	.globl	_ZL23rocblas_gemvt_sn_kernelILb0ELi256ELi4ElPK19rocblas_complex_numIfES3_S1_EviiT4_lPKT3_lilS7_lilPT5_i ; -- Begin function _ZL23rocblas_gemvt_sn_kernelILb0ELi256ELi4ElPK19rocblas_complex_numIfES3_S1_EviiT4_lPKT3_lilS7_lilPT5_i
	.p2align	8
	.type	_ZL23rocblas_gemvt_sn_kernelILb0ELi256ELi4ElPK19rocblas_complex_numIfES3_S1_EviiT4_lPKT3_lilS7_lilPT5_i,@function
_ZL23rocblas_gemvt_sn_kernelILb0ELi256ELi4ElPK19rocblas_complex_numIfES3_S1_EviiT4_lPKT3_lilS7_lilPT5_i: ; @_ZL23rocblas_gemvt_sn_kernelILb0ELi256ELi4ElPK19rocblas_complex_numIfES3_S1_EviiT4_lPKT3_lilS7_lilPT5_i
; %bb.0:
	s_load_b256 s[4:11], s[0:1], 0x8
	s_mov_b32 s12, s15
	s_mov_b32 s13, 0
	s_mov_b64 s[18:19], 0
	s_mov_b64 s[16:17], 0
	s_waitcnt lgkmcnt(0)
	s_mul_i32 s3, s15, s7
	s_mul_hi_u32 s7, s15, s6
	s_mul_i32 s2, s15, s6
	s_add_i32 s3, s7, s3
	s_delay_alu instid0(SALU_CYCLE_1) | instskip(NEXT) | instid1(SALU_CYCLE_1)
	s_lshl_b64 s[2:3], s[2:3], 3
	s_add_u32 s2, s4, s2
	s_addc_u32 s3, s5, s3
	s_load_b64 s[6:7], s[2:3], 0x0
	s_waitcnt lgkmcnt(0)
	s_or_b32 s2, s6, s7
	s_delay_alu instid0(SALU_CYCLE_1) | instskip(NEXT) | instid1(SALU_CYCLE_1)
	s_and_b32 s3, s2, 0x7fffffff
	s_cmp_lg_u32 s3, 0
	s_cselect_b32 s2, -1, 0
	s_cmp_eq_u32 s3, 0
	s_cselect_b32 s3, -1, 0
	s_delay_alu instid0(SALU_CYCLE_1)
	s_and_b32 vcc_lo, exec_lo, s3
	s_cbranch_vccnz .LBB309_2
; %bb.1:
	s_lshl_b64 s[4:5], s[12:13], 3
	s_delay_alu instid0(SALU_CYCLE_1)
	s_add_u32 s4, s8, s4
	s_addc_u32 s5, s9, s5
	s_lshl_b64 s[8:9], s[10:11], 3
	s_load_b64 s[4:5], s[4:5], 0x0
	s_waitcnt lgkmcnt(0)
	s_add_u32 s16, s4, s8
	s_addc_u32 s17, s5, s9
.LBB309_2:
	s_and_not1_b32 vcc_lo, exec_lo, s2
	s_cbranch_vccnz .LBB309_4
; %bb.3:
	s_load_b128 s[8:11], s[0:1], 0x38
	s_lshl_b64 s[4:5], s[12:13], 3
	s_waitcnt lgkmcnt(0)
	s_add_u32 s4, s8, s4
	s_addc_u32 s5, s9, s5
	s_lshl_b64 s[8:9], s[10:11], 3
	s_load_b64 s[4:5], s[4:5], 0x0
	s_waitcnt lgkmcnt(0)
	s_add_u32 s18, s4, s8
	s_addc_u32 s19, s5, s9
.LBB309_4:
	s_clause 0x2
	s_load_b64 s[8:9], s[0:1], 0x0
	s_load_b32 s10, s[0:1], 0x68
	s_load_b64 s[4:5], s[0:1], 0x58
	s_and_not1_b32 vcc_lo, exec_lo, s3
	v_cmp_eq_u32_e64 s2, 0, v0
	s_mov_b32 s11, 0
	s_waitcnt lgkmcnt(0)
	s_ashr_i32 s24, s9, 31
	s_mul_hi_u32 s3, s9, s12
	s_mul_i32 s13, s24, s12
	s_mul_i32 s12, s9, s12
	s_add_i32 s3, s3, s13
	s_mul_hi_u32 s13, s12, s10
	s_mul_i32 s3, s3, s10
	s_mul_i32 s22, s12, s10
	s_add_i32 s23, s13, s3
	s_mov_b32 s3, -1
	s_cbranch_vccnz .LBB309_9
; %bb.5:
	s_cmp_gt_i32 s9, 0
	s_cselect_b32 s3, -1, 0
	s_delay_alu instid0(SALU_CYCLE_1) | instskip(NEXT) | instid1(SALU_CYCLE_1)
	s_and_b32 s2, s2, s3
	s_and_saveexec_b32 s20, s2
	s_cbranch_execz .LBB309_8
; %bb.6:
	s_mov_b32 s15, 0
	v_mov_b32_e32 v1, 0
	s_lshl_b64 s[2:3], s[22:23], 3
	s_lshl_b64 s[12:13], s[14:15], 3
	s_delay_alu instid0(SALU_CYCLE_1)
	s_add_u32 s2, s2, s12
	s_addc_u32 s3, s3, s13
	s_add_u32 s2, s2, s4
	v_mov_b32_e32 v2, v1
	s_addc_u32 s3, s3, s5
	s_add_u32 s2, s2, 4
	s_addc_u32 s3, s3, 0
	s_lshl_b64 s[12:13], s[10:11], 3
	s_mov_b32 s11, s9
.LBB309_7:                              ; =>This Inner Loop Header: Depth=1
	s_delay_alu instid0(SALU_CYCLE_1)
	s_add_i32 s11, s11, -1
	global_store_b64 v1, v[1:2], s[2:3] offset:-4
	s_add_u32 s2, s2, s12
	s_addc_u32 s3, s3, s13
	s_cmp_eq_u32 s11, 0
	s_cbranch_scc0 .LBB309_7
.LBB309_8:
	s_or_b32 exec_lo, exec_lo, s20
	s_mov_b32 s3, 0
.LBB309_9:
	s_delay_alu instid0(SALU_CYCLE_1)
	s_and_not1_b32 vcc_lo, exec_lo, s3
	s_cbranch_vccnz .LBB309_80
; %bb.10:
	s_clause 0x1
	s_load_b32 s12, s[0:1], 0x28
	s_load_b32 s20, s[0:1], 0x48
	s_lshl_b64 s[2:3], s[22:23], 3
	v_and_b32_e32 v29, 31, v0
	v_cmp_gt_u32_e64 s0, 32, v0
	v_mbcnt_lo_u32_b32 v32, -1, 0
	v_cmp_gt_u32_e64 s1, 8, v0
	v_lshrrev_b32_e32 v31, 2, v0
	v_or_b32_e64 v26, 0, 4
	s_waitcnt lgkmcnt(0)
	s_ashr_i32 s13, s12, 31
	s_ashr_i32 s21, s20, 31
	s_add_u32 s30, s4, s2
	s_addc_u32 s31, s5, s3
	s_lshl_b32 s2, s14, 10
	s_ashr_i32 s3, s8, 31
	v_lshl_or_b32 v5, v0, 2, s2
	s_lshr_b32 s2, s24, 30
	s_lshr_b32 s3, s3, 30
	s_add_i32 s2, s9, s2
	s_add_i32 s3, s8, s3
	v_ashrrev_i32_e32 v6, 31, v5
	s_and_b32 s33, s2, -4
	s_and_b32 s2, s3, -4
	v_add_nc_u32_e32 v33, 4, v5
	s_sub_i32 s11, s8, s2
	v_lshlrev_b64 v[3:4], 3, v[5:6]
	v_or_b32_e32 v30, 1, v5
	v_or_b32_e32 v28, 2, v5
	;; [unrolled: 1-line block ×3, first 2 shown]
	v_add_nc_u32_e32 v34, s11, v5
	s_cmp_lt_i32 s33, 1
	v_add_co_u32 v1, vcc_lo, s16, v3
	v_add_co_ci_u32_e32 v2, vcc_lo, s17, v4, vcc_lo
	s_cbranch_scc1 .LBB309_57
; %bb.11:
	v_cmp_gt_u32_e32 vcc_lo, 16, v32
	v_mad_i64_i32 v[12:13], null, s20, v27, 0
	s_mov_b32 s15, 0
	s_cmp_gt_i32 s11, 0
	v_cndmask_b32_e64 v6, 0, 1, vcc_lo
	v_cmp_gt_u32_e32 vcc_lo, 24, v32
	v_cmp_ge_i32_e64 s2, s8, v33
	v_cmp_ge_i32_e64 s3, s8, v34
	v_lshlrev_b64 v[12:13], 3, v[12:13]
	v_dual_mov_b32 v17, v2 :: v_dual_lshlrev_b32 v6, 4, v6
	v_cndmask_b32_e64 v7, 0, 1, vcc_lo
	v_cmp_gt_u32_e32 vcc_lo, 28, v32
	s_cselect_b32 s34, -1, 0
	s_delay_alu instid0(VALU_DEP_3) | instskip(NEXT) | instid1(VALU_DEP_3)
	v_add_lshl_u32 v35, v6, v32, 2
	v_dual_mov_b32 v14, 0 :: v_dual_lshlrev_b32 v7, 3, v7
	v_cndmask_b32_e64 v8, 0, 1, vcc_lo
	v_cmp_gt_u32_e32 vcc_lo, 30, v32
	v_cmp_eq_u32_e64 s4, 0, v29
	v_lshlrev_b32_e32 v40, 3, v29
	v_add_lshl_u32 v36, v7, v32, 2
	v_lshlrev_b32_e32 v8, 2, v8
	v_cndmask_b32_e64 v9, 0, 1, vcc_lo
	v_cmp_ne_u32_e32 vcc_lo, 31, v32
	v_mad_i64_i32 v[6:7], null, s20, v5, 0
	s_delay_alu instid0(VALU_DEP_4) | instskip(NEXT) | instid1(VALU_DEP_4)
	v_add_lshl_u32 v37, v8, v32, 2
	v_dual_mov_b32 v16, v1 :: v_dual_lshlrev_b32 v9, 1, v9
	v_add_co_ci_u32_e32 v10, vcc_lo, 0, v32, vcc_lo
	v_and_b32_e32 v41, 56, v31
	s_delay_alu instid0(VALU_DEP_3) | instskip(SKIP_1) | instid1(VALU_DEP_4)
	v_add_lshl_u32 v38, v9, v32, 2
	v_mad_i64_i32 v[8:9], null, s20, v30, 0
	v_lshlrev_b32_e32 v39, 2, v10
	v_mad_i64_i32 v[10:11], null, s20, v28, 0
	v_lshlrev_b64 v[6:7], 3, v[6:7]
	s_lshl_b64 s[22:23], s[14:15], 3
	v_cmp_eq_u32_e64 s5, 0, v0
	v_lshlrev_b64 v[8:9], 3, v[8:9]
	v_or_b32_e64 v42, 0, 4
	s_add_u32 s35, s30, s22
	v_add_co_u32 v6, vcc_lo, s18, v6
	v_lshlrev_b64 v[10:11], 3, v[10:11]
	v_add_co_ci_u32_e32 v7, vcc_lo, s19, v7, vcc_lo
	v_add_co_u32 v8, vcc_lo, s18, v8
	v_add_co_ci_u32_e32 v9, vcc_lo, s19, v9, vcc_lo
	s_delay_alu instid0(VALU_DEP_4)
	v_add_co_u32 v10, vcc_lo, s18, v10
	v_add_co_ci_u32_e32 v11, vcc_lo, s19, v11, vcc_lo
	v_add_co_u32 v12, vcc_lo, s18, v12
	v_add_co_ci_u32_e32 v13, vcc_lo, s19, v13, vcc_lo
	s_addc_u32 s36, s31, s23
	s_lshl_b64 s[22:23], s[20:21], 3
	s_lshl_b64 s[24:25], s[12:13], 5
	s_mul_hi_i32 s37, s12, 24
	s_mul_i32 s38, s12, 24
	s_lshl_b64 s[26:27], s[12:13], 4
	s_lshl_b64 s[28:29], s[12:13], 3
	s_branch .LBB309_13
.LBB309_12:                             ;   in Loop: Header=BB309_13 Depth=1
	s_or_b32 exec_lo, exec_lo, s39
	v_add_co_u32 v16, vcc_lo, v16, s24
	v_add_co_ci_u32_e32 v17, vcc_lo, s25, v17, vcc_lo
	s_add_i32 s15, s15, 4
	s_delay_alu instid0(SALU_CYCLE_1)
	s_cmp_ge_i32 s15, s33
	s_cbranch_scc1 .LBB309_58
.LBB309_13:                             ; =>This Loop Header: Depth=1
                                        ;     Child Loop BB309_44 Depth 2
                                        ;     Child Loop BB309_46 Depth 2
                                        ; implicit-def: $vgpr43
                                        ; implicit-def: $vgpr44
                                        ; implicit-def: $vgpr20
                                        ; implicit-def: $vgpr21
                                        ; implicit-def: $vgpr22
                                        ; implicit-def: $vgpr23
                                        ; implicit-def: $vgpr25
                                        ; implicit-def: $vgpr24
	s_and_saveexec_b32 s39, s2
	s_delay_alu instid0(SALU_CYCLE_1)
	s_xor_b32 s39, exec_lo, s39
	s_cbranch_execnz .LBB309_40
; %bb.14:                               ;   in Loop: Header=BB309_13 Depth=1
	s_and_not1_saveexec_b32 s39, s39
	s_cbranch_execnz .LBB309_41
.LBB309_15:                             ;   in Loop: Header=BB309_13 Depth=1
	s_or_b32 exec_lo, exec_lo, s39
	s_and_saveexec_b32 s39, s0
	s_cbranch_execz .LBB309_17
.LBB309_16:                             ;   in Loop: Header=BB309_13 Depth=1
	v_mov_b32_e32 v15, v14
	ds_store_b64 v40, v[14:15]
.LBB309_17:                             ;   in Loop: Header=BB309_13 Depth=1
	s_or_b32 exec_lo, exec_lo, s39
	ds_bpermute_b32 v15, v35, v43
	ds_bpermute_b32 v18, v35, v44
	s_waitcnt lgkmcnt(0)
	s_waitcnt_vscnt null, 0x0
	s_barrier
	buffer_gl0_inv
	v_dual_add_f32 v15, v43, v15 :: v_dual_add_f32 v18, v44, v18
	ds_bpermute_b32 v19, v36, v15
	ds_bpermute_b32 v43, v36, v18
	s_waitcnt lgkmcnt(1)
	v_add_f32_e32 v15, v15, v19
	s_waitcnt lgkmcnt(0)
	v_add_f32_e32 v18, v18, v43
	ds_bpermute_b32 v19, v37, v15
	ds_bpermute_b32 v43, v37, v18
	s_waitcnt lgkmcnt(1)
	v_add_f32_e32 v15, v15, v19
	s_waitcnt lgkmcnt(0)
	v_add_f32_e32 v18, v18, v43
	;; [unrolled: 6-line block ×3, first 2 shown]
	ds_bpermute_b32 v19, v39, v15
	ds_bpermute_b32 v43, v39, v18
	s_and_saveexec_b32 s39, s4
	s_cbranch_execz .LBB309_19
; %bb.18:                               ;   in Loop: Header=BB309_13 Depth=1
	s_waitcnt lgkmcnt(0)
	v_add_f32_e32 v44, v18, v43
	v_add_f32_e32 v43, v15, v19
	ds_store_b64 v41, v[43:44]
.LBB309_19:                             ;   in Loop: Header=BB309_13 Depth=1
	s_or_b32 exec_lo, exec_lo, s39
	s_waitcnt lgkmcnt(1)
	v_dual_mov_b32 v19, 0 :: v_dual_mov_b32 v18, 0
	s_waitcnt lgkmcnt(0)
	s_barrier
	buffer_gl0_inv
	s_and_saveexec_b32 s39, s1
	s_cbranch_execnz .LBB309_48
; %bb.20:                               ;   in Loop: Header=BB309_13 Depth=1
	s_or_b32 exec_lo, exec_lo, s39
	s_and_saveexec_b32 s39, s0
	s_cbranch_execnz .LBB309_49
.LBB309_21:                             ;   in Loop: Header=BB309_13 Depth=1
	s_or_b32 exec_lo, exec_lo, s39
	s_and_saveexec_b32 s39, s0
	s_cbranch_execz .LBB309_23
.LBB309_22:                             ;   in Loop: Header=BB309_13 Depth=1
	v_mov_b32_e32 v15, v14
	ds_store_b64 v40, v[14:15]
.LBB309_23:                             ;   in Loop: Header=BB309_13 Depth=1
	s_or_b32 exec_lo, exec_lo, s39
	ds_bpermute_b32 v15, v35, v20
	ds_bpermute_b32 v43, v35, v21
	s_waitcnt lgkmcnt(0)
	s_barrier
	buffer_gl0_inv
	v_add_f32_e32 v15, v20, v15
	v_add_f32_e32 v20, v21, v43
	ds_bpermute_b32 v21, v36, v15
	s_waitcnt lgkmcnt(0)
	v_add_f32_e32 v15, v15, v21
	ds_bpermute_b32 v43, v36, v20
	ds_bpermute_b32 v21, v37, v15
	s_waitcnt lgkmcnt(0)
	v_dual_add_f32 v20, v20, v43 :: v_dual_add_f32 v15, v15, v21
	ds_bpermute_b32 v43, v37, v20
	ds_bpermute_b32 v21, v38, v15
	s_waitcnt lgkmcnt(0)
	v_dual_add_f32 v20, v20, v43 :: v_dual_add_f32 v15, v15, v21
	ds_bpermute_b32 v43, v38, v20
	ds_bpermute_b32 v21, v39, v15
	s_waitcnt lgkmcnt(1)
	v_add_f32_e32 v20, v20, v43
	ds_bpermute_b32 v43, v39, v20
	s_and_saveexec_b32 s39, s4
	s_cbranch_execz .LBB309_25
; %bb.24:                               ;   in Loop: Header=BB309_13 Depth=1
	s_waitcnt lgkmcnt(0)
	v_dual_add_f32 v44, v20, v43 :: v_dual_add_f32 v43, v15, v21
	ds_store_b64 v41, v[43:44]
.LBB309_25:                             ;   in Loop: Header=BB309_13 Depth=1
	s_or_b32 exec_lo, exec_lo, s39
	s_waitcnt lgkmcnt(1)
	v_dual_mov_b32 v21, 0 :: v_dual_mov_b32 v20, 0
	s_waitcnt lgkmcnt(0)
	s_barrier
	buffer_gl0_inv
	s_and_saveexec_b32 s39, s1
	s_cbranch_execnz .LBB309_50
; %bb.26:                               ;   in Loop: Header=BB309_13 Depth=1
	s_or_b32 exec_lo, exec_lo, s39
	s_and_saveexec_b32 s39, s0
	s_cbranch_execnz .LBB309_51
.LBB309_27:                             ;   in Loop: Header=BB309_13 Depth=1
	s_or_b32 exec_lo, exec_lo, s39
	s_and_saveexec_b32 s39, s0
	s_cbranch_execz .LBB309_29
.LBB309_28:                             ;   in Loop: Header=BB309_13 Depth=1
	v_mov_b32_e32 v15, v14
	ds_store_b64 v40, v[14:15]
.LBB309_29:                             ;   in Loop: Header=BB309_13 Depth=1
	s_or_b32 exec_lo, exec_lo, s39
	ds_bpermute_b32 v15, v35, v22
	ds_bpermute_b32 v43, v35, v23
	s_waitcnt lgkmcnt(0)
	s_barrier
	buffer_gl0_inv
	v_add_f32_e32 v15, v22, v15
	v_add_f32_e32 v22, v23, v43
	ds_bpermute_b32 v23, v36, v15
	ds_bpermute_b32 v43, v36, v22
	s_waitcnt lgkmcnt(1)
	v_add_f32_e32 v15, v15, v23
	s_waitcnt lgkmcnt(0)
	v_add_f32_e32 v22, v22, v43
	ds_bpermute_b32 v23, v37, v15
	ds_bpermute_b32 v43, v37, v22
	s_waitcnt lgkmcnt(1)
	v_add_f32_e32 v15, v15, v23
	s_waitcnt lgkmcnt(0)
	;; [unrolled: 6-line block ×3, first 2 shown]
	v_add_f32_e32 v22, v22, v43
	ds_bpermute_b32 v23, v39, v15
	ds_bpermute_b32 v43, v39, v22
	s_and_saveexec_b32 s39, s4
	s_cbranch_execz .LBB309_31
; %bb.30:                               ;   in Loop: Header=BB309_13 Depth=1
	s_waitcnt lgkmcnt(0)
	v_add_f32_e32 v44, v22, v43
	v_add_f32_e32 v43, v15, v23
	ds_store_b64 v41, v[43:44]
.LBB309_31:                             ;   in Loop: Header=BB309_13 Depth=1
	s_or_b32 exec_lo, exec_lo, s39
	s_waitcnt lgkmcnt(1)
	v_dual_mov_b32 v23, 0 :: v_dual_mov_b32 v22, 0
	s_waitcnt lgkmcnt(0)
	s_barrier
	buffer_gl0_inv
	s_and_saveexec_b32 s39, s1
	s_cbranch_execnz .LBB309_52
; %bb.32:                               ;   in Loop: Header=BB309_13 Depth=1
	s_or_b32 exec_lo, exec_lo, s39
	s_and_saveexec_b32 s39, s0
	s_cbranch_execnz .LBB309_53
.LBB309_33:                             ;   in Loop: Header=BB309_13 Depth=1
	s_or_b32 exec_lo, exec_lo, s39
	s_and_saveexec_b32 s39, s0
	s_cbranch_execz .LBB309_35
.LBB309_34:                             ;   in Loop: Header=BB309_13 Depth=1
	v_mov_b32_e32 v15, v14
	ds_store_b64 v40, v[14:15]
.LBB309_35:                             ;   in Loop: Header=BB309_13 Depth=1
	s_or_b32 exec_lo, exec_lo, s39
	ds_bpermute_b32 v15, v35, v25
	ds_bpermute_b32 v43, v35, v24
	s_waitcnt lgkmcnt(0)
	s_barrier
	buffer_gl0_inv
	v_add_f32_e32 v15, v25, v15
	ds_bpermute_b32 v25, v36, v15
	s_waitcnt lgkmcnt(0)
	v_dual_add_f32 v24, v24, v43 :: v_dual_add_f32 v15, v15, v25
	ds_bpermute_b32 v43, v36, v24
	ds_bpermute_b32 v25, v37, v15
	s_waitcnt lgkmcnt(0)
	v_dual_add_f32 v24, v24, v43 :: v_dual_add_f32 v15, v15, v25
	ds_bpermute_b32 v43, v37, v24
	;; [unrolled: 4-line block ×3, first 2 shown]
	ds_bpermute_b32 v25, v39, v15
	s_waitcnt lgkmcnt(1)
	v_add_f32_e32 v24, v24, v43
	ds_bpermute_b32 v43, v39, v24
	s_and_saveexec_b32 s39, s4
	s_cbranch_execz .LBB309_37
; %bb.36:                               ;   in Loop: Header=BB309_13 Depth=1
	s_waitcnt lgkmcnt(0)
	v_dual_add_f32 v44, v24, v43 :: v_dual_add_f32 v43, v15, v25
	ds_store_b64 v41, v[43:44]
.LBB309_37:                             ;   in Loop: Header=BB309_13 Depth=1
	s_or_b32 exec_lo, exec_lo, s39
	s_waitcnt lgkmcnt(1)
	v_dual_mov_b32 v25, 0 :: v_dual_mov_b32 v24, 0
	s_waitcnt lgkmcnt(0)
	s_barrier
	buffer_gl0_inv
	s_and_saveexec_b32 s39, s1
	s_cbranch_execnz .LBB309_54
; %bb.38:                               ;   in Loop: Header=BB309_13 Depth=1
	s_or_b32 exec_lo, exec_lo, s39
	s_and_saveexec_b32 s39, s0
	s_cbranch_execnz .LBB309_55
.LBB309_39:                             ;   in Loop: Header=BB309_13 Depth=1
	s_or_b32 exec_lo, exec_lo, s39
	s_and_saveexec_b32 s39, s5
	s_cbranch_execz .LBB309_12
	s_branch .LBB309_56
.LBB309_40:                             ;   in Loop: Header=BB309_13 Depth=1
	s_mul_i32 s41, s15, s13
	s_mul_hi_u32 s42, s15, s12
	s_mul_i32 s40, s15, s12
	s_add_i32 s41, s42, s41
	s_clause 0x3
	flat_load_b64 v[45:46], v[6:7]
	flat_load_b64 v[47:48], v[8:9]
	;; [unrolled: 1-line block ×4, first 2 shown]
	s_lshl_b64 s[40:41], s[40:41], 3
	s_delay_alu instid0(SALU_CYCLE_1)
	v_add_co_u32 v22, vcc_lo, v1, s40
	s_or_b32 s40, s15, 1
	v_add_co_ci_u32_e32 v23, vcc_lo, s41, v2, vcc_lo
	s_mul_i32 s41, s40, s13
	s_mul_hi_u32 s42, s40, s12
	s_mul_i32 s40, s40, s12
	s_add_i32 s41, s42, s41
	s_or_b32 s42, s15, 2
	s_lshl_b64 s[40:41], s[40:41], 3
	s_mul_i32 s43, s42, s13
	s_mul_hi_u32 s44, s42, s12
	v_add_co_u32 v43, vcc_lo, v1, s40
	v_add_co_ci_u32_e32 v44, vcc_lo, s41, v2, vcc_lo
	s_add_i32 s41, s44, s43
	s_or_b32 s44, s15, 3
	s_mul_i32 s40, s42, s12
	s_mul_i32 s42, s44, s13
	s_mul_hi_u32 s43, s44, s12
	s_lshl_b64 s[40:41], s[40:41], 3
	s_add_i32 s43, s43, s42
	s_mul_i32 s42, s44, s12
	v_add_co_u32 v69, vcc_lo, v1, s40
	v_add_co_ci_u32_e32 v70, vcc_lo, s41, v2, vcc_lo
	s_lshl_b64 s[40:41], s[42:43], 3
	flat_load_b128 v[18:21], v[22:23]
	s_waitcnt lgkmcnt(5)
	flat_load_b128 v[22:25], v[22:23] offset:16
	v_add_co_u32 v73, vcc_lo, v1, s40
	v_add_co_ci_u32_e32 v74, vcc_lo, s41, v2, vcc_lo
	s_clause 0x5
	flat_load_b128 v[53:56], v[43:44]
	flat_load_b128 v[57:60], v[69:70]
	;; [unrolled: 1-line block ×3, first 2 shown]
	flat_load_b128 v[65:68], v[43:44] offset:16
	flat_load_b128 v[69:72], v[69:70] offset:16
	;; [unrolled: 1-line block ×3, first 2 shown]
	s_waitcnt vmcnt(10) lgkmcnt(10)
	scratch_store_b128 off, v[45:48], off
	s_waitcnt vmcnt(8) lgkmcnt(8)
	scratch_store_b128 off, v[49:52], off offset:16
	s_waitcnt vmcnt(7) lgkmcnt(7)
	v_mul_f32_e32 v15, v46, v19
	s_waitcnt vmcnt(5) lgkmcnt(5)
	v_dual_mul_f32 v19, v45, v19 :: v_dual_mul_f32 v78, v46, v54
	v_dual_mul_f32 v43, v48, v21 :: v_dual_mul_f32 v44, v50, v23
	v_mul_f32_e32 v21, v47, v21
	s_waitcnt vmcnt(3) lgkmcnt(3)
	v_dual_mul_f32 v23, v49, v23 :: v_dual_mul_f32 v80, v46, v62
	v_dual_mul_f32 v77, v52, v25 :: v_dual_mul_f32 v62, v45, v62
	;; [unrolled: 1-line block ×3, first 2 shown]
	v_mul_f32_e32 v54, v45, v54
	v_mul_f32_e32 v79, v46, v58
	v_dual_mul_f32 v58, v45, v58 :: v_dual_mul_f32 v81, v48, v56
	s_waitcnt vmcnt(2) lgkmcnt(2)
	v_mul_f32_e32 v84, v50, v66
	s_waitcnt vmcnt(1) lgkmcnt(1)
	v_dual_mul_f32 v60, v47, v60 :: v_dual_mul_f32 v85, v50, v70
	v_dual_mul_f32 v83, v48, v64 :: v_dual_mul_f32 v66, v49, v66
	v_dual_mul_f32 v64, v47, v64 :: v_dual_fmac_f32 v19, v46, v18
	v_dual_mul_f32 v70, v49, v70 :: v_dual_mul_f32 v87, v52, v68
	s_waitcnt vmcnt(0) lgkmcnt(0)
	v_dual_mul_f32 v86, v50, v74 :: v_dual_mul_f32 v89, v52, v76
	v_dual_mul_f32 v74, v49, v74 :: v_dual_fmac_f32 v21, v48, v20
	v_dual_mul_f32 v68, v51, v68 :: v_dual_fmac_f32 v23, v50, v22
	v_fma_f32 v15, v45, v18, -v15
	v_fma_f32 v18, v47, v20, -v43
	;; [unrolled: 1-line block ×4, first 2 shown]
	v_dual_fmac_f32 v25, v52, v24 :: v_dual_fmac_f32 v54, v46, v53
	v_fma_f32 v24, v45, v53, -v78
	v_mul_f32_e32 v56, v47, v56
	v_dual_mul_f32 v88, v52, v72 :: v_dual_add_f32 v15, 0, v15
	v_dual_mul_f32 v72, v51, v72 :: v_dual_add_f32 v19, 0, v19
	v_fma_f32 v43, v45, v57, -v79
	s_delay_alu instid0(VALU_DEP_3) | instskip(SKIP_2) | instid1(VALU_DEP_4)
	v_dual_fmac_f32 v58, v46, v57 :: v_dual_add_f32 v15, v15, v18
	v_fma_f32 v53, v47, v55, -v81
	v_add_f32_e32 v24, 0, v24
	v_dual_mul_f32 v76, v51, v76 :: v_dual_add_f32 v43, 0, v43
	v_fma_f32 v44, v45, v61, -v80
	v_dual_fmac_f32 v62, v46, v61 :: v_dual_add_f32 v15, v15, v20
	v_fma_f32 v61, v49, v69, -v85
	v_add_f32_e32 v54, 0, v54
	v_add_f32_e32 v58, 0, v58
	;; [unrolled: 1-line block ×4, first 2 shown]
	v_fmac_f32_e32 v60, v48, v59
	v_fmac_f32_e32 v56, v48, v55
	v_fma_f32 v55, v47, v59, -v82
	v_fma_f32 v59, v49, v65, -v84
	;; [unrolled: 1-line block ×3, first 2 shown]
	v_fmac_f32_e32 v66, v50, v65
	v_add_f32_e32 v44, 0, v44
	v_add_f32_e32 v24, v43, v55
	v_dual_add_f32 v19, v19, v59 :: v_dual_add_f32 v62, 0, v62
	v_add_f32_e32 v18, v18, v23
	v_fmac_f32_e32 v74, v50, v73
	s_delay_alu instid0(VALU_DEP_4)
	v_add_f32_e32 v23, v24, v61
	v_add_f32_e32 v43, v58, v60
	v_dual_add_f32 v21, v54, v56 :: v_dual_fmac_f32 v64, v48, v63
	v_fma_f32 v63, v49, v73, -v86
	v_add_f32_e32 v44, v44, v57
	v_fma_f32 v65, v51, v67, -v87
	s_delay_alu instid0(VALU_DEP_4) | instskip(SKIP_3) | instid1(VALU_DEP_4)
	v_dual_add_f32 v21, v21, v66 :: v_dual_fmac_f32 v68, v52, v67
	v_add_f32_e32 v53, v62, v64
	v_fmac_f32_e32 v70, v50, v69
	v_fma_f32 v67, v51, v71, -v88
	v_dual_fmac_f32 v72, v52, v71 :: v_dual_add_f32 v21, v21, v68
	v_fma_f32 v69, v51, v75, -v89
	v_add_f32_e32 v54, v44, v63
	v_dual_fmac_f32 v76, v52, v75 :: v_dual_add_f32 v53, v53, v74
	v_add_f32_e32 v24, v43, v70
	v_dual_add_f32 v43, v15, v22 :: v_dual_add_f32 v44, v18, v25
	s_delay_alu instid0(VALU_DEP_4) | instskip(SKIP_1) | instid1(VALU_DEP_4)
	v_add_f32_e32 v25, v54, v69
	v_add_f32_e32 v20, v19, v65
	v_dual_add_f32 v22, v23, v67 :: v_dual_add_f32 v23, v24, v72
	v_add_f32_e32 v24, v53, v76
	s_and_not1_saveexec_b32 s39, s39
	s_cbranch_execz .LBB309_15
.LBB309_41:                             ;   in Loop: Header=BB309_13 Depth=1
	v_dual_mov_b32 v43, 0 :: v_dual_mov_b32 v44, 0
	v_dual_mov_b32 v20, 0 :: v_dual_mov_b32 v21, 0
	;; [unrolled: 1-line block ×3, first 2 shown]
	s_waitcnt lgkmcnt(0)
	v_dual_mov_b32 v25, 0 :: v_dual_mov_b32 v24, 0
	s_and_saveexec_b32 s40, s3
	s_cbranch_execz .LBB309_47
; %bb.42:                               ;   in Loop: Header=BB309_13 Depth=1
	v_dual_mov_b32 v43, 0 :: v_dual_mov_b32 v44, 0
	v_dual_mov_b32 v20, 0 :: v_dual_mov_b32 v21, 0
	;; [unrolled: 1-line block ×4, first 2 shown]
	s_and_not1_b32 vcc_lo, exec_lo, s34
	s_cbranch_vccnz .LBB309_47
; %bb.43:                               ;   in Loop: Header=BB309_13 Depth=1
	v_mov_b32_e32 v19, v7
	v_dual_mov_b32 v15, 0 :: v_dual_mov_b32 v18, v6
	s_mov_b32 s41, s11
.LBB309_44:                             ;   Parent Loop BB309_13 Depth=1
                                        ; =>  This Inner Loop Header: Depth=2
	flat_load_b64 v[20:21], v[18:19]
	v_add_co_u32 v18, vcc_lo, v18, s22
	v_add_co_ci_u32_e32 v19, vcc_lo, s23, v19, vcc_lo
	s_add_i32 s41, s41, -1
	s_delay_alu instid0(SALU_CYCLE_1)
	s_cmp_eq_u32 s41, 0
	s_waitcnt vmcnt(0) lgkmcnt(0)
	scratch_store_b64 v15, v[20:21], off
	v_add_nc_u32_e32 v15, 8, v15
	s_cbranch_scc0 .LBB309_44
; %bb.45:                               ;   in Loop: Header=BB309_13 Depth=1
	v_dual_mov_b32 v24, 0 :: v_dual_mov_b32 v19, v17
	v_dual_mov_b32 v18, v16 :: v_dual_mov_b32 v15, v42
	;; [unrolled: 1-line block ×5, first 2 shown]
	v_mov_b32_e32 v43, 0
	s_mov_b32 s41, s11
.LBB309_46:                             ;   Parent Loop BB309_13 Depth=1
                                        ; =>  This Inner Loop Header: Depth=2
	v_add_co_u32 v49, vcc_lo, v18, s28
	v_add_co_ci_u32_e32 v50, vcc_lo, s29, v19, vcc_lo
	v_add_co_u32 v51, vcc_lo, v18, s26
	scratch_load_b64 v[45:46], v15, off offset:-4
	flat_load_b64 v[47:48], v[18:19]
	v_add_co_ci_u32_e32 v52, vcc_lo, s27, v19, vcc_lo
	v_add_co_u32 v53, vcc_lo, v18, s38
	v_add_co_ci_u32_e32 v54, vcc_lo, s37, v19, vcc_lo
	s_clause 0x2
	flat_load_b64 v[49:50], v[49:50]
	flat_load_b64 v[51:52], v[51:52]
	flat_load_b64 v[53:54], v[53:54]
	v_add_nc_u32_e32 v15, 8, v15
	v_add_co_u32 v18, vcc_lo, v18, 8
	v_add_co_ci_u32_e32 v19, vcc_lo, 0, v19, vcc_lo
	s_add_i32 s41, s41, -1
	s_delay_alu instid0(SALU_CYCLE_1) | instskip(SKIP_3) | instid1(VALU_DEP_2)
	s_cmp_lg_u32 s41, 0
	s_waitcnt vmcnt(3) lgkmcnt(3)
	v_mul_f32_e32 v55, v46, v48
	v_mul_f32_e32 v48, v45, v48
	v_fma_f32 v55, v45, v47, -v55
	s_delay_alu instid0(VALU_DEP_2)
	v_fmac_f32_e32 v48, v46, v47
	s_waitcnt vmcnt(2) lgkmcnt(2)
	v_mul_f32_e32 v47, v46, v50
	v_mul_f32_e32 v50, v45, v50
	s_waitcnt vmcnt(1) lgkmcnt(1)
	v_dual_mul_f32 v56, v46, v52 :: v_dual_add_f32 v43, v43, v55
	v_mul_f32_e32 v52, v45, v52
	v_fma_f32 v47, v45, v49, -v47
	v_fmac_f32_e32 v50, v46, v49
	s_delay_alu instid0(VALU_DEP_3) | instskip(NEXT) | instid1(VALU_DEP_2)
	v_fmac_f32_e32 v52, v46, v51
	v_dual_add_f32 v20, v20, v47 :: v_dual_add_f32 v21, v21, v50
	s_waitcnt vmcnt(0) lgkmcnt(0)
	v_dual_mul_f32 v57, v46, v54 :: v_dual_add_f32 v44, v44, v48
	v_mul_f32_e32 v54, v45, v54
	v_fma_f32 v48, v45, v51, -v56
	s_delay_alu instid0(VALU_DEP_3) | instskip(NEXT) | instid1(VALU_DEP_1)
	v_fma_f32 v45, v45, v53, -v57
	v_dual_add_f32 v22, v22, v48 :: v_dual_add_f32 v25, v25, v45
	s_delay_alu instid0(VALU_DEP_4) | instskip(NEXT) | instid1(VALU_DEP_1)
	v_dual_add_f32 v23, v23, v52 :: v_dual_fmac_f32 v54, v46, v53
	v_add_f32_e32 v24, v24, v54
	s_cbranch_scc1 .LBB309_46
.LBB309_47:                             ;   in Loop: Header=BB309_13 Depth=1
	s_or_b32 exec_lo, exec_lo, s40
	s_delay_alu instid0(SALU_CYCLE_1)
	s_or_b32 exec_lo, exec_lo, s39
	s_and_saveexec_b32 s39, s0
	s_cbranch_execnz .LBB309_16
	s_branch .LBB309_17
.LBB309_48:                             ;   in Loop: Header=BB309_13 Depth=1
	ds_load_b64 v[18:19], v40
	s_or_b32 exec_lo, exec_lo, s39
	s_and_saveexec_b32 s39, s0
	s_cbranch_execz .LBB309_21
.LBB309_49:                             ;   in Loop: Header=BB309_13 Depth=1
	s_waitcnt lgkmcnt(0)
	ds_bpermute_b32 v15, v37, v18
	ds_bpermute_b32 v43, v37, v19
	s_waitcnt lgkmcnt(1)
	v_add_f32_e32 v15, v18, v15
	s_waitcnt lgkmcnt(0)
	v_add_f32_e32 v18, v19, v43
	ds_bpermute_b32 v19, v38, v15
	ds_bpermute_b32 v43, v38, v18
	s_waitcnt lgkmcnt(1)
	v_add_f32_e32 v15, v15, v19
	s_waitcnt lgkmcnt(0)
	v_add_f32_e32 v19, v18, v43
	ds_bpermute_b32 v18, v39, v15
	s_waitcnt lgkmcnt(0)
	v_add_f32_e32 v18, v15, v18
	ds_bpermute_b32 v43, v39, v19
	s_waitcnt lgkmcnt(0)
	v_add_f32_e32 v19, v19, v43
	s_or_b32 exec_lo, exec_lo, s39
	s_and_saveexec_b32 s39, s0
	s_cbranch_execnz .LBB309_22
	s_branch .LBB309_23
.LBB309_50:                             ;   in Loop: Header=BB309_13 Depth=1
	ds_load_b64 v[20:21], v40
	s_or_b32 exec_lo, exec_lo, s39
	s_and_saveexec_b32 s39, s0
	s_cbranch_execz .LBB309_27
.LBB309_51:                             ;   in Loop: Header=BB309_13 Depth=1
	s_waitcnt lgkmcnt(0)
	ds_bpermute_b32 v15, v37, v20
	ds_bpermute_b32 v43, v37, v21
	s_waitcnt lgkmcnt(1)
	v_add_f32_e32 v15, v20, v15
	s_waitcnt lgkmcnt(0)
	v_add_f32_e32 v20, v21, v43
	ds_bpermute_b32 v21, v38, v15
	s_waitcnt lgkmcnt(0)
	v_add_f32_e32 v15, v15, v21
	ds_bpermute_b32 v43, v38, v20
	;; [unrolled: 3-line block ×4, first 2 shown]
	s_waitcnt lgkmcnt(0)
	v_add_f32_e32 v21, v21, v43
	s_or_b32 exec_lo, exec_lo, s39
	s_and_saveexec_b32 s39, s0
	s_cbranch_execnz .LBB309_28
	s_branch .LBB309_29
.LBB309_52:                             ;   in Loop: Header=BB309_13 Depth=1
	ds_load_b64 v[22:23], v40
	s_or_b32 exec_lo, exec_lo, s39
	s_and_saveexec_b32 s39, s0
	s_cbranch_execz .LBB309_33
.LBB309_53:                             ;   in Loop: Header=BB309_13 Depth=1
	s_waitcnt lgkmcnt(0)
	ds_bpermute_b32 v15, v37, v22
	ds_bpermute_b32 v43, v37, v23
	s_waitcnt lgkmcnt(1)
	v_add_f32_e32 v15, v22, v15
	s_waitcnt lgkmcnt(0)
	v_add_f32_e32 v22, v23, v43
	ds_bpermute_b32 v23, v38, v15
	ds_bpermute_b32 v43, v38, v22
	s_waitcnt lgkmcnt(1)
	v_add_f32_e32 v15, v15, v23
	s_waitcnt lgkmcnt(0)
	v_add_f32_e32 v23, v22, v43
	ds_bpermute_b32 v22, v39, v15
	s_waitcnt lgkmcnt(0)
	v_add_f32_e32 v22, v15, v22
	ds_bpermute_b32 v43, v39, v23
	s_waitcnt lgkmcnt(0)
	v_add_f32_e32 v23, v23, v43
	s_or_b32 exec_lo, exec_lo, s39
	s_and_saveexec_b32 s39, s0
	s_cbranch_execnz .LBB309_34
	s_branch .LBB309_35
.LBB309_54:                             ;   in Loop: Header=BB309_13 Depth=1
	ds_load_b64 v[24:25], v40
	s_or_b32 exec_lo, exec_lo, s39
	s_and_saveexec_b32 s39, s0
	s_cbranch_execz .LBB309_39
.LBB309_55:                             ;   in Loop: Header=BB309_13 Depth=1
	s_waitcnt lgkmcnt(0)
	ds_bpermute_b32 v15, v37, v24
	ds_bpermute_b32 v43, v37, v25
	s_waitcnt lgkmcnt(1)
	v_add_f32_e32 v15, v24, v15
	s_waitcnt lgkmcnt(0)
	v_add_f32_e32 v24, v25, v43
	ds_bpermute_b32 v25, v38, v15
	s_waitcnt lgkmcnt(0)
	v_add_f32_e32 v15, v15, v25
	ds_bpermute_b32 v43, v38, v24
	;; [unrolled: 3-line block ×4, first 2 shown]
	s_waitcnt lgkmcnt(0)
	v_add_f32_e32 v25, v25, v43
	s_or_b32 exec_lo, exec_lo, s39
	s_and_saveexec_b32 s39, s5
	s_cbranch_execz .LBB309_12
.LBB309_56:                             ;   in Loop: Header=BB309_13 Depth=1
	v_mul_f32_e32 v44, s6, v19
	v_mul_f32_e32 v15, s7, v19
	s_mul_hi_u32 s41, s15, s10
	s_mul_i32 s40, s15, s10
	s_delay_alu instid0(VALU_DEP_2)
	v_dual_mul_f32 v19, s6, v21 :: v_dual_fmac_f32 v44, s7, v18
	s_lshl_b64 s[40:41], s[40:41], 3
	v_fma_f32 v43, v18, s6, -v15
	s_add_u32 s40, s35, s40
	s_addc_u32 s41, s36, s41
	v_mul_f32_e32 v15, s7, v21
	v_mul_f32_e32 v21, s6, v23
	global_store_b64 v14, v[43:44], s[40:41]
	s_or_b32 s40, s15, 1
	v_fmac_f32_e32 v19, s7, v20
	s_mul_hi_u32 s41, s40, s10
	s_mul_i32 s40, s40, s10
	v_fma_f32 v18, v20, s6, -v15
	s_lshl_b64 s[40:41], s[40:41], 3
	v_mul_f32_e32 v15, s7, v23
	s_add_u32 s40, s35, s40
	s_addc_u32 s41, s36, s41
	s_or_b32 s42, s15, 2
	s_waitcnt lgkmcnt(0)
	v_mul_f32_e32 v23, s6, v25
	s_mul_hi_u32 s43, s42, s10
	s_mul_i32 s42, s42, s10
	v_fma_f32 v20, v22, s6, -v15
	s_lshl_b64 s[42:43], s[42:43], 3
	v_mul_f32_e32 v15, s7, v25
	s_add_u32 s42, s35, s42
	s_addc_u32 s43, s36, s43
	s_or_b32 s44, s15, 3
	v_fmac_f32_e32 v21, s7, v22
	s_mul_hi_u32 s45, s44, s10
	s_mul_i32 s44, s44, s10
	v_fma_f32 v22, v24, s6, -v15
	v_fmac_f32_e32 v23, s7, v24
	s_lshl_b64 s[44:45], s[44:45], 3
	global_store_b64 v14, v[18:19], s[40:41]
	s_add_u32 s40, s35, s44
	s_addc_u32 s41, s36, s45
	s_clause 0x1
	global_store_b64 v14, v[20:21], s[42:43]
	global_store_b64 v14, v[22:23], s[40:41]
	s_branch .LBB309_12
.LBB309_57:
	s_mov_b32 s15, 0
.LBB309_58:
	s_delay_alu instid0(SALU_CYCLE_1)
	s_cmp_ge_i32 s15, s9
	s_cbranch_scc1 .LBB309_80
; %bb.59:
	v_cmp_gt_u32_e64 s1, 16, v32
	v_mad_i64_i32 v[12:13], null, s20, v27, 0
	s_cmp_gt_i32 s11, 0
	s_mov_b32 s23, 0
	s_delay_alu instid0(VALU_DEP_2)
	v_cndmask_b32_e64 v6, 0, 1, s1
	v_cmp_gt_u32_e64 s1, 24, v32
	s_mov_b32 s22, s14
	s_cselect_b32 s24, -1, 0
	s_lshl_b64 s[22:23], s[22:23], 3
	v_lshlrev_b32_e32 v6, 4, v6
	v_cndmask_b32_e64 v7, 0, 1, s1
	v_cmp_gt_u32_e64 s1, 28, v32
	v_cmp_ge_i32_e32 vcc_lo, s8, v33
	v_cmp_ge_i32_e64 s4, s8, v34
	v_add_lshl_u32 v17, v6, v32, 2
	v_lshlrev_b32_e32 v7, 3, v7
	v_cndmask_b32_e64 v8, 0, 1, s1
	v_cmp_gt_u32_e64 s1, 30, v32
	s_add_u32 s8, s30, s22
	s_addc_u32 s14, s31, s23
	v_add_lshl_u32 v18, v7, v32, 2
	v_lshlrev_b32_e32 v8, 2, v8
	v_cndmask_b32_e64 v9, 0, 1, s1
	v_cmp_ne_u32_e64 s1, 31, v32
	v_mad_i64_i32 v[6:7], null, s20, v5, 0
	s_delay_alu instid0(VALU_DEP_4) | instskip(NEXT) | instid1(VALU_DEP_4)
	v_add_lshl_u32 v19, v8, v32, 2
	v_lshlrev_b32_e32 v9, 1, v9
	s_delay_alu instid0(VALU_DEP_4) | instskip(SKIP_2) | instid1(VALU_DEP_2)
	v_add_co_ci_u32_e64 v10, s1, 0, v32, s1
	s_mul_i32 s22, s13, s15
	s_mul_hi_u32 s23, s12, s15
	v_add_lshl_u32 v20, v9, v32, 2
	v_mad_i64_i32 v[8:9], null, s20, v30, 0
	v_lshlrev_b32_e32 v21, 2, v10
	v_mad_i64_i32 v[10:11], null, s20, v28, 0
	v_lshlrev_b64 v[5:6], 3, v[6:7]
	v_cmp_gt_u32_e64 s0, 32, v0
	v_lshlrev_b32_e32 v16, 3, v29
	v_lshlrev_b64 v[7:8], 3, v[8:9]
	v_cmp_eq_u32_e64 s1, 0, v29
	v_and_b32_e32 v22, 56, v31
	v_add_co_u32 v5, s5, s18, v5
	v_lshlrev_b64 v[9:10], 3, v[10:11]
	v_add_co_ci_u32_e64 v6, s5, s19, v6, s5
	v_add_co_u32 v7, s5, s18, v7
	v_lshlrev_b64 v[11:12], 3, v[12:13]
	v_mov_b32_e32 v13, 0
	v_add_co_ci_u32_e64 v8, s5, s19, v8, s5
	v_add_co_u32 v9, s5, s18, v9
	s_delay_alu instid0(VALU_DEP_1) | instskip(SKIP_1) | instid1(VALU_DEP_1)
	v_add_co_ci_u32_e64 v10, s5, s19, v10, s5
	v_add_co_u32 v11, s5, s18, v11
	v_add_co_ci_u32_e64 v12, s5, s19, v12, s5
	s_add_i32 s19, s23, s22
	s_mul_i32 s18, s12, s15
	s_and_b32 s5, s24, s4
	s_lshl_b64 s[22:23], s[18:19], 3
	s_lshl_b64 s[18:19], s[20:21], 3
	s_add_u32 s4, s16, s22
	s_addc_u32 s16, s17, s23
	v_add_co_u32 v3, s4, s4, v3
	v_cmp_gt_u32_e64 s2, 8, v0
	v_cmp_eq_u32_e64 s3, 0, v0
	v_add_co_ci_u32_e64 v4, s4, s16, v4, s4
	s_lshl_b64 s[16:17], s[12:13], 3
	s_branch .LBB309_61
.LBB309_60:                             ;   in Loop: Header=BB309_61 Depth=1
	s_or_b32 exec_lo, exec_lo, s4
	v_add_co_u32 v3, s4, v3, s16
	s_delay_alu instid0(VALU_DEP_1) | instskip(SKIP_1) | instid1(SALU_CYCLE_1)
	v_add_co_ci_u32_e64 v4, s4, s17, v4, s4
	s_add_i32 s15, s15, 1
	s_cmp_lt_i32 s15, s9
	s_cbranch_scc0 .LBB309_80
.LBB309_61:                             ; =>This Loop Header: Depth=1
                                        ;     Child Loop BB309_73 Depth 2
                                        ;     Child Loop BB309_75 Depth 2
                                        ; implicit-def: $vgpr0
                                        ; implicit-def: $vgpr23
	s_and_saveexec_b32 s4, vcc_lo
	s_delay_alu instid0(SALU_CYCLE_1)
	s_xor_b32 s20, exec_lo, s4
	s_cbranch_execnz .LBB309_70
; %bb.62:                               ;   in Loop: Header=BB309_61 Depth=1
	s_and_not1_saveexec_b32 s20, s20
	s_cbranch_execnz .LBB309_71
.LBB309_63:                             ;   in Loop: Header=BB309_61 Depth=1
	s_or_b32 exec_lo, exec_lo, s20
	s_and_saveexec_b32 s4, s0
	s_cbranch_execz .LBB309_65
.LBB309_64:                             ;   in Loop: Header=BB309_61 Depth=1
	s_waitcnt lgkmcnt(0)
	v_mov_b32_e32 v14, v13
	ds_store_b64 v16, v[13:14]
.LBB309_65:                             ;   in Loop: Header=BB309_61 Depth=1
	s_or_b32 exec_lo, exec_lo, s4
	s_waitcnt lgkmcnt(0)
	ds_bpermute_b32 v14, v17, v0
	ds_bpermute_b32 v15, v17, v23
	s_waitcnt lgkmcnt(0)
	s_waitcnt_vscnt null, 0x0
	s_barrier
	buffer_gl0_inv
	v_add_f32_e32 v0, v0, v14
	v_add_f32_e32 v14, v23, v15
	ds_bpermute_b32 v15, v18, v0
	ds_bpermute_b32 v23, v18, v14
	s_waitcnt lgkmcnt(1)
	v_add_f32_e32 v0, v0, v15
	s_waitcnt lgkmcnt(0)
	v_add_f32_e32 v14, v14, v23
	ds_bpermute_b32 v15, v19, v0
	ds_bpermute_b32 v23, v19, v14
	s_waitcnt lgkmcnt(1)
	v_add_f32_e32 v0, v0, v15
	s_waitcnt lgkmcnt(0)
	;; [unrolled: 6-line block ×3, first 2 shown]
	v_add_f32_e32 v14, v14, v23
	ds_bpermute_b32 v15, v21, v0
	ds_bpermute_b32 v23, v21, v14
	s_and_saveexec_b32 s4, s1
	s_cbranch_execz .LBB309_67
; %bb.66:                               ;   in Loop: Header=BB309_61 Depth=1
	s_waitcnt lgkmcnt(0)
	v_add_f32_e32 v24, v14, v23
	v_add_f32_e32 v23, v0, v15
	ds_store_b64 v22, v[23:24]
.LBB309_67:                             ;   in Loop: Header=BB309_61 Depth=1
	s_or_b32 exec_lo, exec_lo, s4
	s_waitcnt lgkmcnt(1)
	v_dual_mov_b32 v15, 0 :: v_dual_mov_b32 v14, 0
	s_waitcnt lgkmcnt(0)
	s_barrier
	buffer_gl0_inv
	s_and_saveexec_b32 s4, s2
	s_cbranch_execnz .LBB309_77
; %bb.68:                               ;   in Loop: Header=BB309_61 Depth=1
	s_or_b32 exec_lo, exec_lo, s4
	s_and_saveexec_b32 s4, s0
	s_cbranch_execnz .LBB309_78
.LBB309_69:                             ;   in Loop: Header=BB309_61 Depth=1
	s_or_b32 exec_lo, exec_lo, s4
	s_and_saveexec_b32 s4, s3
	s_cbranch_execz .LBB309_60
	s_branch .LBB309_79
.LBB309_70:                             ;   in Loop: Header=BB309_61 Depth=1
	s_mul_i32 s4, s15, s13
	s_mul_hi_u32 s21, s15, s12
	s_mul_i32 s22, s15, s12
	s_add_i32 s23, s21, s4
	s_delay_alu instid0(SALU_CYCLE_1) | instskip(SKIP_2) | instid1(VALU_DEP_1)
	s_lshl_b64 s[22:23], s[22:23], 3
	s_waitcnt lgkmcnt(0)
	v_add_co_u32 v14, s4, v1, s22
	v_add_co_ci_u32_e64 v15, s4, s23, v2, s4
	flat_load_b128 v[27:30], v[14:15]
	s_clause 0x1
	flat_load_b64 v[31:32], v[5:6]
	flat_load_b64 v[33:34], v[7:8]
	flat_load_b128 v[35:38], v[14:15] offset:16
	s_clause 0x1
	flat_load_b64 v[39:40], v[9:10]
	flat_load_b64 v[41:42], v[11:12]
	s_waitcnt vmcnt(3) lgkmcnt(3)
	scratch_store_b128 off, v[31:34], off
	s_waitcnt vmcnt(0) lgkmcnt(0)
	scratch_store_b128 off, v[39:42], off offset:16
	v_dual_mul_f32 v14, v31, v28 :: v_dual_mul_f32 v23, v33, v30
	v_dual_mul_f32 v0, v32, v28 :: v_dual_mul_f32 v15, v34, v30
	s_delay_alu instid0(VALU_DEP_2) | instskip(SKIP_1) | instid1(VALU_DEP_3)
	v_dual_mul_f32 v25, v39, v36 :: v_dual_fmac_f32 v14, v32, v27
	v_mul_f32_e32 v24, v40, v36
	v_fma_f32 v0, v31, v27, -v0
	v_mul_f32_e32 v27, v42, v38
	s_delay_alu instid0(VALU_DEP_4)
	v_dual_fmac_f32 v23, v34, v29 :: v_dual_add_f32 v14, 0, v14
	v_fmac_f32_e32 v25, v40, v35
	v_fma_f32 v15, v33, v29, -v15
	v_add_f32_e32 v0, 0, v0
	v_mul_f32_e32 v28, v41, v38
	v_add_f32_e32 v14, v14, v23
	v_fma_f32 v24, v39, v35, -v24
	s_delay_alu instid0(VALU_DEP_3) | instskip(NEXT) | instid1(VALU_DEP_3)
	v_fmac_f32_e32 v28, v42, v37
	v_add_f32_e32 v14, v14, v25
	v_add_f32_e32 v0, v0, v15
	v_fma_f32 v15, v41, v37, -v27
	s_delay_alu instid0(VALU_DEP_3) | instskip(NEXT) | instid1(VALU_DEP_3)
	v_add_f32_e32 v23, v14, v28
	v_add_f32_e32 v0, v0, v24
	s_delay_alu instid0(VALU_DEP_1)
	v_add_f32_e32 v0, v0, v15
	s_and_not1_saveexec_b32 s20, s20
	s_cbranch_execz .LBB309_63
.LBB309_71:                             ;   in Loop: Header=BB309_61 Depth=1
	v_dual_mov_b32 v0, 0 :: v_dual_mov_b32 v23, 0
	s_and_saveexec_b32 s21, s5
	s_cbranch_execz .LBB309_76
; %bb.72:                               ;   in Loop: Header=BB309_61 Depth=1
	s_waitcnt lgkmcnt(0)
	v_dual_mov_b32 v0, 0 :: v_dual_mov_b32 v15, v6
	v_mov_b32_e32 v14, v5
	s_mov_b32 s22, s11
.LBB309_73:                             ;   Parent Loop BB309_61 Depth=1
                                        ; =>  This Inner Loop Header: Depth=2
	s_waitcnt lgkmcnt(0)
	flat_load_b64 v[23:24], v[14:15]
	v_add_co_u32 v14, s4, v14, s18
	s_delay_alu instid0(VALU_DEP_1) | instskip(SKIP_1) | instid1(SALU_CYCLE_1)
	v_add_co_ci_u32_e64 v15, s4, s19, v15, s4
	s_add_i32 s22, s22, -1
	s_cmp_eq_u32 s22, 0
	s_waitcnt vmcnt(0) lgkmcnt(0)
	scratch_store_b64 v0, v[23:24], off
	v_add_nc_u32_e32 v0, 8, v0
	s_cbranch_scc0 .LBB309_73
; %bb.74:                               ;   in Loop: Header=BB309_61 Depth=1
	v_dual_mov_b32 v0, 0 :: v_dual_mov_b32 v15, v4
	v_dual_mov_b32 v14, v3 :: v_dual_mov_b32 v23, 0
	v_mov_b32_e32 v24, v26
	s_mov_b32 s22, s11
	.p2align	6
.LBB309_75:                             ;   Parent Loop BB309_61 Depth=1
                                        ; =>  This Inner Loop Header: Depth=2
	flat_load_b64 v[27:28], v[14:15]
	scratch_load_b64 v[29:30], v24, off offset:-4
	v_add_co_u32 v14, s4, v14, 8
	v_add_nc_u32_e32 v24, 8, v24
	v_add_co_ci_u32_e64 v15, s4, 0, v15, s4
	s_add_i32 s22, s22, -1
	s_delay_alu instid0(SALU_CYCLE_1) | instskip(SKIP_3) | instid1(VALU_DEP_2)
	s_cmp_lg_u32 s22, 0
	s_waitcnt vmcnt(0) lgkmcnt(0)
	v_mul_f32_e32 v25, v30, v28
	v_mul_f32_e32 v28, v29, v28
	v_fma_f32 v25, v29, v27, -v25
	s_delay_alu instid0(VALU_DEP_2) | instskip(NEXT) | instid1(VALU_DEP_1)
	v_fmac_f32_e32 v28, v30, v27
	v_dual_add_f32 v0, v0, v25 :: v_dual_add_f32 v23, v23, v28
	s_cbranch_scc1 .LBB309_75
.LBB309_76:                             ;   in Loop: Header=BB309_61 Depth=1
	s_or_b32 exec_lo, exec_lo, s21
	s_delay_alu instid0(SALU_CYCLE_1)
	s_or_b32 exec_lo, exec_lo, s20
	s_and_saveexec_b32 s4, s0
	s_cbranch_execnz .LBB309_64
	s_branch .LBB309_65
.LBB309_77:                             ;   in Loop: Header=BB309_61 Depth=1
	ds_load_b64 v[14:15], v16
	s_or_b32 exec_lo, exec_lo, s4
	s_and_saveexec_b32 s4, s0
	s_cbranch_execz .LBB309_69
.LBB309_78:                             ;   in Loop: Header=BB309_61 Depth=1
	s_waitcnt lgkmcnt(0)
	ds_bpermute_b32 v0, v19, v14
	ds_bpermute_b32 v23, v19, v15
	s_waitcnt lgkmcnt(1)
	v_add_f32_e32 v0, v14, v0
	s_waitcnt lgkmcnt(0)
	v_add_f32_e32 v14, v15, v23
	ds_bpermute_b32 v15, v20, v0
	ds_bpermute_b32 v23, v20, v14
	s_waitcnt lgkmcnt(1)
	v_add_f32_e32 v0, v0, v15
	s_waitcnt lgkmcnt(0)
	v_add_f32_e32 v15, v14, v23
	ds_bpermute_b32 v14, v21, v0
	s_waitcnt lgkmcnt(0)
	v_add_f32_e32 v14, v0, v14
	ds_bpermute_b32 v23, v21, v15
	s_waitcnt lgkmcnt(0)
	v_add_f32_e32 v15, v15, v23
	s_or_b32 exec_lo, exec_lo, s4
	s_and_saveexec_b32 s4, s3
	s_cbranch_execz .LBB309_60
.LBB309_79:                             ;   in Loop: Header=BB309_61 Depth=1
	s_waitcnt lgkmcnt(0)
	v_mul_f32_e32 v0, s7, v15
	v_mul_f32_e32 v24, s6, v15
	s_mul_hi_u32 s21, s15, s10
	s_mul_i32 s20, s15, s10
	s_delay_alu instid0(SALU_CYCLE_1)
	s_lshl_b64 s[20:21], s[20:21], 3
	v_fma_f32 v23, v14, s6, -v0
	v_fmac_f32_e32 v24, s7, v14
	s_add_u32 s20, s8, s20
	s_addc_u32 s21, s14, s21
	global_store_b64 v13, v[23:24], s[20:21]
	s_branch .LBB309_60
.LBB309_80:
	s_nop 0
	s_sendmsg sendmsg(MSG_DEALLOC_VGPRS)
	s_endpgm
	.section	.rodata,"a",@progbits
	.p2align	6, 0x0
	.amdhsa_kernel _ZL23rocblas_gemvt_sn_kernelILb0ELi256ELi4ElPK19rocblas_complex_numIfES3_S1_EviiT4_lPKT3_lilS7_lilPT5_i
		.amdhsa_group_segment_fixed_size 256
		.amdhsa_private_segment_fixed_size 48
		.amdhsa_kernarg_size 360
		.amdhsa_user_sgpr_count 14
		.amdhsa_user_sgpr_dispatch_ptr 0
		.amdhsa_user_sgpr_queue_ptr 0
		.amdhsa_user_sgpr_kernarg_segment_ptr 1
		.amdhsa_user_sgpr_dispatch_id 0
		.amdhsa_user_sgpr_private_segment_size 0
		.amdhsa_wavefront_size32 1
		.amdhsa_uses_dynamic_stack 0
		.amdhsa_enable_private_segment 1
		.amdhsa_system_sgpr_workgroup_id_x 1
		.amdhsa_system_sgpr_workgroup_id_y 0
		.amdhsa_system_sgpr_workgroup_id_z 1
		.amdhsa_system_sgpr_workgroup_info 0
		.amdhsa_system_vgpr_workitem_id 0
		.amdhsa_next_free_vgpr 90
		.amdhsa_next_free_sgpr 46
		.amdhsa_reserve_vcc 1
		.amdhsa_float_round_mode_32 0
		.amdhsa_float_round_mode_16_64 0
		.amdhsa_float_denorm_mode_32 3
		.amdhsa_float_denorm_mode_16_64 3
		.amdhsa_dx10_clamp 1
		.amdhsa_ieee_mode 1
		.amdhsa_fp16_overflow 0
		.amdhsa_workgroup_processor_mode 1
		.amdhsa_memory_ordered 1
		.amdhsa_forward_progress 0
		.amdhsa_shared_vgpr_count 0
		.amdhsa_exception_fp_ieee_invalid_op 0
		.amdhsa_exception_fp_denorm_src 0
		.amdhsa_exception_fp_ieee_div_zero 0
		.amdhsa_exception_fp_ieee_overflow 0
		.amdhsa_exception_fp_ieee_underflow 0
		.amdhsa_exception_fp_ieee_inexact 0
		.amdhsa_exception_int_div_zero 0
	.end_amdhsa_kernel
	.section	.text._ZL23rocblas_gemvt_sn_kernelILb0ELi256ELi4ElPK19rocblas_complex_numIfES3_S1_EviiT4_lPKT3_lilS7_lilPT5_i,"axG",@progbits,_ZL23rocblas_gemvt_sn_kernelILb0ELi256ELi4ElPK19rocblas_complex_numIfES3_S1_EviiT4_lPKT3_lilS7_lilPT5_i,comdat
.Lfunc_end309:
	.size	_ZL23rocblas_gemvt_sn_kernelILb0ELi256ELi4ElPK19rocblas_complex_numIfES3_S1_EviiT4_lPKT3_lilS7_lilPT5_i, .Lfunc_end309-_ZL23rocblas_gemvt_sn_kernelILb0ELi256ELi4ElPK19rocblas_complex_numIfES3_S1_EviiT4_lPKT3_lilS7_lilPT5_i
                                        ; -- End function
	.section	.AMDGPU.csdata,"",@progbits
; Kernel info:
; codeLenInByte = 5560
; NumSgprs: 48
; NumVgprs: 90
; ScratchSize: 48
; MemoryBound: 0
; FloatMode: 240
; IeeeMode: 1
; LDSByteSize: 256 bytes/workgroup (compile time only)
; SGPRBlocks: 5
; VGPRBlocks: 11
; NumSGPRsForWavesPerEU: 48
; NumVGPRsForWavesPerEU: 90
; Occupancy: 16
; WaveLimiterHint : 0
; COMPUTE_PGM_RSRC2:SCRATCH_EN: 1
; COMPUTE_PGM_RSRC2:USER_SGPR: 14
; COMPUTE_PGM_RSRC2:TRAP_HANDLER: 0
; COMPUTE_PGM_RSRC2:TGID_X_EN: 1
; COMPUTE_PGM_RSRC2:TGID_Y_EN: 0
; COMPUTE_PGM_RSRC2:TGID_Z_EN: 1
; COMPUTE_PGM_RSRC2:TIDIG_COMP_CNT: 0
	.section	.text._ZL23rocblas_gemvt_sn_reduceILi256ELi8E19rocblas_complex_numIfEPKS1_KPS1_EviT2_lPT3_lilPT1_i,"axG",@progbits,_ZL23rocblas_gemvt_sn_reduceILi256ELi8E19rocblas_complex_numIfEPKS1_KPS1_EviT2_lPT3_lilPT1_i,comdat
	.globl	_ZL23rocblas_gemvt_sn_reduceILi256ELi8E19rocblas_complex_numIfEPKS1_KPS1_EviT2_lPT3_lilPT1_i ; -- Begin function _ZL23rocblas_gemvt_sn_reduceILi256ELi8E19rocblas_complex_numIfEPKS1_KPS1_EviT2_lPT3_lilPT1_i
	.p2align	8
	.type	_ZL23rocblas_gemvt_sn_reduceILi256ELi8E19rocblas_complex_numIfEPKS1_KPS1_EviT2_lPT3_lilPT1_i,@function
_ZL23rocblas_gemvt_sn_reduceILi256ELi8E19rocblas_complex_numIfEPKS1_KPS1_EviT2_lPT3_lilPT1_i: ; @_ZL23rocblas_gemvt_sn_reduceILi256ELi8E19rocblas_complex_numIfEPKS1_KPS1_EviT2_lPT3_lilPT1_i
; %bb.0:
	s_mov_b32 s2, s15
	s_clause 0x1
	s_load_b32 s15, s[0:1], 0x0
	s_load_b256 s[4:11], s[0:1], 0x8
	s_mov_b32 s3, 0
	s_load_b32 s17, s[0:1], 0x4c
	s_lshl_b64 s[12:13], s[2:3], 3
	v_dual_mov_b32 v4, 0 :: v_dual_lshlrev_b32 v5, 3, v0
	v_mov_b32_e32 v3, 0
	s_mov_b32 s19, exec_lo
	s_waitcnt lgkmcnt(0)
	s_ashr_i32 s18, s15, 31
	s_mul_i32 s7, s2, s7
	s_mul_hi_u32 s16, s2, s6
	s_add_u32 s12, s8, s12
	s_addc_u32 s13, s9, s13
	s_add_i32 s7, s16, s7
	s_mul_i32 s6, s2, s6
	s_load_b64 s[8:9], s[0:1], 0x38
	s_lshl_b64 s[6:7], s[6:7], 3
	s_mul_i32 s2, s17, s2
	s_add_u32 s4, s4, s6
	s_addc_u32 s5, s5, s7
	s_load_b64 s[6:7], s[12:13], 0x0
	s_load_b64 s[4:5], s[4:5], 0x0
	s_add_u32 s16, s0, 0x48
	s_addc_u32 s17, s1, 0
	s_lshr_b32 s12, s18, 29
	s_add_i32 s2, s2, s14
	s_add_i32 s12, s15, s12
	s_mul_i32 s13, s2, s18
	s_and_b32 s18, s12, -8
	s_mul_hi_u32 s12, s2, s15
	s_delay_alu instid0(SALU_CYCLE_1)
	s_add_i32 s13, s12, s13
	s_mul_i32 s12, s2, s15
	v_cmpx_gt_i32_e64 s18, v5
	s_cbranch_execz .LBB310_4
; %bb.1:
	s_load_b32 s2, s[16:17], 0xc
	v_dual_mov_b32 v4, 0 :: v_dual_lshlrev_b32 v1, 6, v0
	s_lshl_b64 s[20:21], s[12:13], 3
	v_mov_b32_e32 v3, 0
	s_waitcnt lgkmcnt(0)
	s_and_b32 s2, s2, 0xffff
	s_delay_alu instid0(SALU_CYCLE_1) | instskip(SKIP_3) | instid1(VALU_DEP_1)
	s_lshl_b32 s16, s2, 3
	s_add_u32 s17, s8, s20
	s_addc_u32 s20, s9, s21
	v_add_co_u32 v1, s17, s17, v1
	v_add_co_ci_u32_e64 v2, null, s20, 0, s17
	s_lshl_b32 s17, s2, 6
	s_delay_alu instid0(VALU_DEP_2) | instskip(NEXT) | instid1(VALU_DEP_2)
	v_add_co_u32 v1, vcc_lo, v1, 60
	v_add_co_ci_u32_e32 v2, vcc_lo, 0, v2, vcc_lo
	s_set_inst_prefetch_distance 0x1
	.p2align	6
.LBB310_2:                              ; =>This Inner Loop Header: Depth=1
	s_clause 0x3
	global_load_b128 v[6:9], v[1:2], off offset:-60
	global_load_b128 v[10:13], v[1:2], off offset:-44
	global_load_b128 v[14:17], v[1:2], off offset:-28
	global_load_b128 v[18:21], v[1:2], off offset:-12
	v_add_co_u32 v1, vcc_lo, v1, s17
	v_add_co_ci_u32_e32 v2, vcc_lo, 0, v2, vcc_lo
	s_waitcnt vmcnt(3)
	v_dual_add_f32 v4, v4, v6 :: v_dual_add_f32 v3, v3, v7
	s_delay_alu instid0(VALU_DEP_1) | instskip(SKIP_1) | instid1(VALU_DEP_1)
	v_dual_add_f32 v4, v4, v8 :: v_dual_add_f32 v3, v3, v9
	s_waitcnt vmcnt(2)
	v_dual_add_f32 v4, v4, v10 :: v_dual_add_f32 v3, v3, v11
	s_delay_alu instid0(VALU_DEP_1) | instskip(SKIP_1) | instid1(VALU_DEP_1)
	v_dual_add_f32 v4, v4, v12 :: v_dual_add_f32 v3, v3, v13
	;; [unrolled: 4-line block ×3, first 2 shown]
	s_waitcnt vmcnt(0)
	v_dual_add_f32 v4, v4, v18 :: v_dual_add_nc_u32 v5, s16, v5
	s_delay_alu instid0(VALU_DEP_2) | instskip(NEXT) | instid1(VALU_DEP_2)
	v_add_f32_e32 v3, v3, v19
	v_cmp_le_i32_e64 s2, s18, v5
	s_delay_alu instid0(VALU_DEP_2) | instskip(NEXT) | instid1(VALU_DEP_2)
	v_dual_add_f32 v4, v4, v20 :: v_dual_add_f32 v3, v3, v21
	s_or_b32 s3, s2, s3
	s_delay_alu instid0(SALU_CYCLE_1)
	s_and_not1_b32 exec_lo, exec_lo, s3
	s_cbranch_execnz .LBB310_2
; %bb.3:
	s_set_inst_prefetch_distance 0x2
	s_or_b32 exec_lo, exec_lo, s3
.LBB310_4:
	s_delay_alu instid0(SALU_CYCLE_1) | instskip(SKIP_1) | instid1(SALU_CYCLE_1)
	s_or_b32 exec_lo, exec_lo, s19
	s_sub_i32 s2, s15, s18
	v_cmp_gt_u32_e32 vcc_lo, s2, v0
	s_and_saveexec_b32 s2, vcc_lo
	s_cbranch_execz .LBB310_6
; %bb.5:
	v_xad_u32 v1, v0, -1, s15
	v_mov_b32_e32 v2, 0
	s_lshl_b64 s[12:13], s[12:13], 3
	s_waitcnt lgkmcnt(0)
	s_add_u32 s3, s8, s12
	s_addc_u32 s8, s9, s13
	v_lshlrev_b64 v[1:2], 3, v[1:2]
	s_delay_alu instid0(VALU_DEP_1) | instskip(NEXT) | instid1(VALU_DEP_2)
	v_add_co_u32 v1, vcc_lo, s3, v1
	v_add_co_ci_u32_e32 v2, vcc_lo, s8, v2, vcc_lo
	global_load_b64 v[1:2], v[1:2], off
	s_waitcnt vmcnt(0)
	v_dual_add_f32 v4, v4, v1 :: v_dual_add_f32 v3, v3, v2
.LBB310_6:
	s_or_b32 exec_lo, exec_lo, s2
	v_and_b32_e32 v1, 31, v0
	v_cmp_gt_u32_e32 vcc_lo, 32, v0
	s_delay_alu instid0(VALU_DEP_2)
	v_lshlrev_b32_e32 v5, 3, v1
	s_and_saveexec_b32 s2, vcc_lo
	s_cbranch_execz .LBB310_8
; %bb.7:
	v_mov_b32_e32 v6, 0
	s_delay_alu instid0(VALU_DEP_1)
	v_mov_b32_e32 v7, v6
	ds_store_b64 v5, v[6:7]
.LBB310_8:
	s_or_b32 exec_lo, exec_lo, s2
	v_mbcnt_lo_u32_b32 v2, -1, 0
	s_mov_b32 s3, exec_lo
	s_waitcnt lgkmcnt(0)
	s_barrier
	buffer_gl0_inv
	v_cmp_gt_u32_e64 s2, 16, v2
	s_delay_alu instid0(VALU_DEP_1) | instskip(SKIP_1) | instid1(VALU_DEP_2)
	v_cndmask_b32_e64 v6, 0, 1, s2
	v_cmp_gt_u32_e64 s2, 24, v2
	v_lshlrev_b32_e32 v6, 4, v6
	s_delay_alu instid0(VALU_DEP_2) | instskip(SKIP_1) | instid1(VALU_DEP_3)
	v_cndmask_b32_e64 v8, 0, 1, s2
	v_cmp_gt_u32_e64 s2, 28, v2
	v_add_lshl_u32 v6, v6, v2, 2
	s_delay_alu instid0(VALU_DEP_3)
	v_lshlrev_b32_e32 v8, 3, v8
	ds_bpermute_b32 v7, v6, v4
	ds_bpermute_b32 v6, v6, v3
	v_add_lshl_u32 v8, v8, v2, 2
	s_waitcnt lgkmcnt(1)
	v_add_f32_e32 v4, v4, v7
	s_waitcnt lgkmcnt(0)
	v_add_f32_e32 v6, v3, v6
	v_cndmask_b32_e64 v3, 0, 1, s2
	v_cmp_gt_u32_e64 s2, 30, v2
	ds_bpermute_b32 v7, v8, v4
	v_lshlrev_b32_e32 v3, 2, v3
	ds_bpermute_b32 v8, v8, v6
	v_add_lshl_u32 v3, v3, v2, 2
	s_waitcnt lgkmcnt(1)
	v_add_f32_e32 v7, v4, v7
	v_cndmask_b32_e64 v4, 0, 1, s2
	v_cmp_ne_u32_e64 s2, 31, v2
	s_waitcnt lgkmcnt(0)
	v_add_f32_e32 v6, v6, v8
	ds_bpermute_b32 v8, v3, v7
	v_lshlrev_b32_e32 v4, 1, v4
	ds_bpermute_b32 v9, v3, v6
	v_add_lshl_u32 v4, v4, v2, 2
	v_add_co_ci_u32_e64 v2, s2, 0, v2, s2
	s_waitcnt lgkmcnt(0)
	v_dual_add_f32 v7, v7, v8 :: v_dual_add_f32 v8, v6, v9
	s_delay_alu instid0(VALU_DEP_2)
	v_lshlrev_b32_e32 v6, 2, v2
	ds_bpermute_b32 v9, v4, v7
	ds_bpermute_b32 v10, v4, v8
	s_waitcnt lgkmcnt(1)
	v_add_f32_e32 v2, v7, v9
	s_waitcnt lgkmcnt(0)
	v_add_f32_e32 v8, v8, v10
	ds_bpermute_b32 v7, v6, v2
	ds_bpermute_b32 v9, v6, v8
	v_cmpx_eq_u32_e32 0, v1
	s_cbranch_execz .LBB310_10
; %bb.9:
	v_lshrrev_b32_e32 v1, 2, v0
	s_waitcnt lgkmcnt(0)
	v_dual_add_f32 v8, v8, v9 :: v_dual_add_f32 v7, v2, v7
	s_delay_alu instid0(VALU_DEP_2)
	v_and_b32_e32 v1, 56, v1
	ds_store_b64 v1, v[7:8]
.LBB310_10:
	s_or_b32 exec_lo, exec_lo, s3
	v_dual_mov_b32 v2, 0 :: v_dual_mov_b32 v1, 0
	s_mov_b32 s3, exec_lo
	s_waitcnt lgkmcnt(0)
	s_barrier
	buffer_gl0_inv
	v_cmpx_gt_u32_e32 8, v0
	s_cbranch_execz .LBB310_12
; %bb.11:
	ds_load_b64 v[1:2], v5
.LBB310_12:
	s_or_b32 exec_lo, exec_lo, s3
	s_and_saveexec_b32 s2, vcc_lo
	s_cbranch_execz .LBB310_14
; %bb.13:
	s_waitcnt lgkmcnt(0)
	ds_bpermute_b32 v5, v3, v1
	ds_bpermute_b32 v3, v3, v2
	s_waitcnt lgkmcnt(0)
	v_dual_add_f32 v1, v1, v5 :: v_dual_add_f32 v2, v2, v3
	ds_bpermute_b32 v3, v4, v1
	ds_bpermute_b32 v4, v4, v2
	s_waitcnt lgkmcnt(0)
	v_dual_add_f32 v1, v1, v3 :: v_dual_add_f32 v2, v2, v4
	ds_bpermute_b32 v3, v6, v1
	ds_bpermute_b32 v4, v6, v2
	s_waitcnt lgkmcnt(0)
	v_dual_add_f32 v1, v1, v3 :: v_dual_add_f32 v2, v2, v4
.LBB310_14:
	s_or_b32 exec_lo, exec_lo, s2
	s_delay_alu instid0(SALU_CYCLE_1)
	s_mov_b32 s2, exec_lo
	v_cmpx_eq_u32_e32 0, v0
	s_cbranch_execz .LBB310_18
; %bb.15:
	s_load_b32 s8, s[0:1], 0x28
	v_cmp_neq_f32_e64 s9, s4, 0
	v_cmp_neq_f32_e64 s12, s5, 0
	s_lshl_b64 s[0:1], s[10:11], 3
	s_waitcnt lgkmcnt(0)
	s_ashr_i32 s10, s8, 31
	s_add_u32 s2, s6, s0
	s_addc_u32 s3, s7, s1
	s_or_b32 s0, s9, s12
	s_mul_hi_u32 s1, s8, s14
	s_mul_i32 s10, s10, s14
	s_and_not1_b32 vcc_lo, exec_lo, s0
	s_add_i32 s1, s1, s10
	s_mul_i32 s0, s8, s14
	s_cbranch_vccnz .LBB310_17
; %bb.16:
	s_lshl_b64 s[6:7], s[0:1], 3
	s_delay_alu instid0(SALU_CYCLE_1)
	s_add_u32 s6, s2, s6
	s_addc_u32 s7, s3, s7
	s_load_b64 s[6:7], s[6:7], 0x0
	s_waitcnt lgkmcnt(0)
	v_mul_f32_e64 v0, s5, s7
	v_mul_f32_e64 v3, s4, s7
	s_delay_alu instid0(VALU_DEP_2) | instskip(NEXT) | instid1(VALU_DEP_2)
	v_fma_f32 v0, s4, s6, -v0
	v_fmac_f32_e64 v3, s5, s6
	s_delay_alu instid0(VALU_DEP_1)
	v_dual_add_f32 v1, v0, v1 :: v_dual_add_f32 v2, v3, v2
.LBB310_17:
	s_lshl_b64 s[0:1], s[0:1], 3
	v_mov_b32_e32 v0, 0
	s_add_u32 s0, s2, s0
	s_addc_u32 s1, s3, s1
	global_store_b64 v0, v[1:2], s[0:1]
.LBB310_18:
	s_nop 0
	s_sendmsg sendmsg(MSG_DEALLOC_VGPRS)
	s_endpgm
	.section	.rodata,"a",@progbits
	.p2align	6, 0x0
	.amdhsa_kernel _ZL23rocblas_gemvt_sn_reduceILi256ELi8E19rocblas_complex_numIfEPKS1_KPS1_EviT2_lPT3_lilPT1_i
		.amdhsa_group_segment_fixed_size 256
		.amdhsa_private_segment_fixed_size 0
		.amdhsa_kernarg_size 328
		.amdhsa_user_sgpr_count 13
		.amdhsa_user_sgpr_dispatch_ptr 0
		.amdhsa_user_sgpr_queue_ptr 0
		.amdhsa_user_sgpr_kernarg_segment_ptr 1
		.amdhsa_user_sgpr_dispatch_id 0
		.amdhsa_user_sgpr_private_segment_size 0
		.amdhsa_wavefront_size32 1
		.amdhsa_uses_dynamic_stack 0
		.amdhsa_enable_private_segment 0
		.amdhsa_system_sgpr_workgroup_id_x 1
		.amdhsa_system_sgpr_workgroup_id_y 1
		.amdhsa_system_sgpr_workgroup_id_z 1
		.amdhsa_system_sgpr_workgroup_info 0
		.amdhsa_system_vgpr_workitem_id 0
		.amdhsa_next_free_vgpr 22
		.amdhsa_next_free_sgpr 22
		.amdhsa_reserve_vcc 1
		.amdhsa_float_round_mode_32 0
		.amdhsa_float_round_mode_16_64 0
		.amdhsa_float_denorm_mode_32 3
		.amdhsa_float_denorm_mode_16_64 3
		.amdhsa_dx10_clamp 1
		.amdhsa_ieee_mode 1
		.amdhsa_fp16_overflow 0
		.amdhsa_workgroup_processor_mode 1
		.amdhsa_memory_ordered 1
		.amdhsa_forward_progress 0
		.amdhsa_shared_vgpr_count 0
		.amdhsa_exception_fp_ieee_invalid_op 0
		.amdhsa_exception_fp_denorm_src 0
		.amdhsa_exception_fp_ieee_div_zero 0
		.amdhsa_exception_fp_ieee_overflow 0
		.amdhsa_exception_fp_ieee_underflow 0
		.amdhsa_exception_fp_ieee_inexact 0
		.amdhsa_exception_int_div_zero 0
	.end_amdhsa_kernel
	.section	.text._ZL23rocblas_gemvt_sn_reduceILi256ELi8E19rocblas_complex_numIfEPKS1_KPS1_EviT2_lPT3_lilPT1_i,"axG",@progbits,_ZL23rocblas_gemvt_sn_reduceILi256ELi8E19rocblas_complex_numIfEPKS1_KPS1_EviT2_lPT3_lilPT1_i,comdat
.Lfunc_end310:
	.size	_ZL23rocblas_gemvt_sn_reduceILi256ELi8E19rocblas_complex_numIfEPKS1_KPS1_EviT2_lPT3_lilPT1_i, .Lfunc_end310-_ZL23rocblas_gemvt_sn_reduceILi256ELi8E19rocblas_complex_numIfEPKS1_KPS1_EviT2_lPT3_lilPT1_i
                                        ; -- End function
	.section	.AMDGPU.csdata,"",@progbits
; Kernel info:
; codeLenInByte = 1320
; NumSgprs: 24
; NumVgprs: 22
; ScratchSize: 0
; MemoryBound: 0
; FloatMode: 240
; IeeeMode: 1
; LDSByteSize: 256 bytes/workgroup (compile time only)
; SGPRBlocks: 2
; VGPRBlocks: 2
; NumSGPRsForWavesPerEU: 24
; NumVGPRsForWavesPerEU: 22
; Occupancy: 16
; WaveLimiterHint : 1
; COMPUTE_PGM_RSRC2:SCRATCH_EN: 0
; COMPUTE_PGM_RSRC2:USER_SGPR: 13
; COMPUTE_PGM_RSRC2:TRAP_HANDLER: 0
; COMPUTE_PGM_RSRC2:TGID_X_EN: 1
; COMPUTE_PGM_RSRC2:TGID_Y_EN: 1
; COMPUTE_PGM_RSRC2:TGID_Z_EN: 1
; COMPUTE_PGM_RSRC2:TIDIG_COMP_CNT: 0
	.section	.text._ZL23rocblas_gemvt_sn_kernelILb0ELi256ELi4EiPK19rocblas_complex_numIfES1_S1_EviiT4_lPKT3_lilS7_lilPT5_i,"axG",@progbits,_ZL23rocblas_gemvt_sn_kernelILb0ELi256ELi4EiPK19rocblas_complex_numIfES1_S1_EviiT4_lPKT3_lilS7_lilPT5_i,comdat
	.globl	_ZL23rocblas_gemvt_sn_kernelILb0ELi256ELi4EiPK19rocblas_complex_numIfES1_S1_EviiT4_lPKT3_lilS7_lilPT5_i ; -- Begin function _ZL23rocblas_gemvt_sn_kernelILb0ELi256ELi4EiPK19rocblas_complex_numIfES1_S1_EviiT4_lPKT3_lilS7_lilPT5_i
	.p2align	8
	.type	_ZL23rocblas_gemvt_sn_kernelILb0ELi256ELi4EiPK19rocblas_complex_numIfES1_S1_EviiT4_lPKT3_lilS7_lilPT5_i,@function
_ZL23rocblas_gemvt_sn_kernelILb0ELi256ELi4EiPK19rocblas_complex_numIfES1_S1_EviiT4_lPKT3_lilS7_lilPT5_i: ; @_ZL23rocblas_gemvt_sn_kernelILb0ELi256ELi4EiPK19rocblas_complex_numIfES1_S1_EviiT4_lPKT3_lilS7_lilPT5_i
; %bb.0:
	s_load_b128 s[8:11], s[0:1], 0x0
	s_mov_b32 s2, s15
	s_waitcnt lgkmcnt(0)
	s_or_b32 s3, s10, s11
	s_delay_alu instid0(SALU_CYCLE_1) | instskip(NEXT) | instid1(SALU_CYCLE_1)
	s_bitset0_b32 s3, 31
	s_cmp_lg_u32 s3, 0
	s_cselect_b32 s6, -1, 0
	s_cmp_eq_u32 s3, 0
	s_mov_b32 s3, 0
	s_cselect_b32 s15, -1, 0
	s_and_b32 vcc_lo, exec_lo, s6
	s_cbranch_vccnz .LBB311_2
; %bb.1:
	s_mov_b64 s[4:5], 0
	s_and_not1_b32 vcc_lo, exec_lo, s3
	s_cbranch_vccz .LBB311_3
	s_branch .LBB311_4
.LBB311_2:
	s_mov_b32 s3, -1
                                        ; implicit-def: $sgpr4_sgpr5
.LBB311_3:
	s_load_b128 s[16:19], s[0:1], 0x18
	s_mov_b32 s3, 0
	s_delay_alu instid0(SALU_CYCLE_1)
	s_lshl_b64 s[4:5], s[2:3], 3
	s_waitcnt lgkmcnt(0)
	s_add_u32 s4, s16, s4
	s_addc_u32 s5, s17, s5
	s_lshl_b64 s[12:13], s[18:19], 3
	s_load_b64 s[4:5], s[4:5], 0x0
	s_waitcnt lgkmcnt(0)
	s_add_u32 s4, s4, s12
	s_addc_u32 s5, s5, s13
.LBB311_4:
	s_and_not1_b32 vcc_lo, exec_lo, s6
	s_mov_b64 s[6:7], 0
	s_cbranch_vccnz .LBB311_6
; %bb.5:
	s_load_b128 s[16:19], s[0:1], 0x38
	s_lshl_b64 s[6:7], s[2:3], 3
	s_waitcnt lgkmcnt(0)
	s_add_u32 s6, s16, s6
	s_addc_u32 s7, s17, s7
	s_lshl_b64 s[12:13], s[18:19], 3
	s_load_b64 s[6:7], s[6:7], 0x0
	s_waitcnt lgkmcnt(0)
	s_add_u32 s6, s6, s12
	s_addc_u32 s7, s7, s13
.LBB311_6:
	s_clause 0x1
	s_load_b32 s12, s[0:1], 0x68
	s_load_b64 s[16:17], s[0:1], 0x58
	s_ashr_i32 s22, s9, 31
	s_mul_hi_u32 s18, s2, s9
	s_mul_i32 s19, s2, s22
	s_mul_i32 s3, s3, s9
	s_add_i32 s18, s18, s19
	s_mul_i32 s20, s2, s9
	s_add_i32 s3, s18, s3
	v_cmp_eq_u32_e64 s2, 0, v0
	s_and_not1_b32 vcc_lo, exec_lo, s15
	s_mov_b32 s13, 0
	s_waitcnt lgkmcnt(0)
	s_mul_i32 s3, s3, s12
	s_mul_hi_u32 s15, s20, s12
	s_mul_i32 s18, s20, s12
	s_add_i32 s19, s15, s3
	s_mov_b32 s3, -1
	s_cbranch_vccnz .LBB311_11
; %bb.7:
	s_cmp_gt_i32 s9, 0
	s_cselect_b32 s3, -1, 0
	s_delay_alu instid0(SALU_CYCLE_1) | instskip(NEXT) | instid1(SALU_CYCLE_1)
	s_and_b32 s2, s2, s3
	s_and_saveexec_b32 s23, s2
	s_cbranch_execz .LBB311_10
; %bb.8:
	s_mov_b32 s15, 0
	v_mov_b32_e32 v1, 0
	s_lshl_b64 s[2:3], s[18:19], 3
	s_lshl_b64 s[20:21], s[14:15], 3
	s_delay_alu instid0(SALU_CYCLE_1)
	s_add_u32 s2, s2, s20
	s_addc_u32 s3, s3, s21
	s_add_u32 s2, s2, s16
	v_mov_b32_e32 v2, v1
	s_addc_u32 s3, s3, s17
	s_add_u32 s2, s2, 4
	s_addc_u32 s3, s3, 0
	s_lshl_b64 s[20:21], s[12:13], 3
	s_mov_b32 s13, s9
.LBB311_9:                              ; =>This Inner Loop Header: Depth=1
	s_delay_alu instid0(SALU_CYCLE_1)
	s_add_i32 s13, s13, -1
	global_store_b64 v1, v[1:2], s[2:3] offset:-4
	s_add_u32 s2, s2, s20
	s_addc_u32 s3, s3, s21
	s_cmp_eq_u32 s13, 0
	s_cbranch_scc0 .LBB311_9
.LBB311_10:
	s_or_b32 exec_lo, exec_lo, s23
	s_mov_b32 s3, 0
.LBB311_11:
	s_delay_alu instid0(SALU_CYCLE_1)
	s_and_not1_b32 vcc_lo, exec_lo, s3
	s_cbranch_vccnz .LBB311_82
; %bb.12:
	s_lshl_b64 s[2:3], s[18:19], 3
	s_clause 0x1
	s_load_b32 s13, s[0:1], 0x28
	s_load_b32 s26, s[0:1], 0x48
	s_add_u32 s30, s16, s2
	s_addc_u32 s29, s17, s3
	s_lshl_b32 s2, s14, 10
	s_ashr_i32 s0, s8, 31
	v_lshl_or_b32 v2, v0, 2, s2
	s_lshr_b32 s0, s0, 30
	s_lshr_b32 s1, s22, 30
	s_add_i32 s0, s8, s0
	s_add_i32 s1, s9, s1
	v_ashrrev_i32_e32 v3, 31, v2
	s_and_b32 s0, s0, -4
	s_and_b32 s15, s1, -4
	s_sub_i32 s27, s8, s0
	v_add_nc_u32_e32 v27, 4, v2
	v_lshlrev_b64 v[3:4], 3, v[2:3]
	v_add_nc_u32_e32 v28, s27, v2
	v_and_b32_e32 v25, 31, v0
	v_cmp_gt_u32_e64 s0, 32, v0
	v_mbcnt_lo_u32_b32 v26, -1, 0
	s_waitcnt lgkmcnt(0)
	v_mul_lo_u32 v1, v2, s26
	v_add_co_u32 v21, vcc_lo, s4, v3
	v_add_co_ci_u32_e32 v22, vcc_lo, s5, v4, vcc_lo
	v_cmp_gt_u32_e64 s1, 8, v0
	v_lshrrev_b32_e32 v24, 2, v0
	v_or_b32_e64 v23, 0, 4
	s_cmp_lt_i32 s15, 1
	s_cbranch_scc1 .LBB311_59
; %bb.13:
	v_cmp_gt_u32_e32 vcc_lo, 16, v26
	v_mul_lo_u32 v2, v2, s26
	v_cmp_ge_i32_e64 s2, s8, v27
	v_cmp_ge_i32_e64 s3, s8, v28
	v_cmp_eq_u32_e64 s4, 0, v25
	v_cndmask_b32_e64 v3, 0, 1, vcc_lo
	v_cmp_gt_u32_e32 vcc_lo, 24, v26
	v_lshlrev_b32_e32 v34, 3, v25
	v_and_b32_e32 v35, 56, v24
	v_cmp_eq_u32_e64 s5, 0, v0
	v_lshlrev_b32_e32 v3, 4, v3
	v_cndmask_b32_e64 v4, 0, 1, vcc_lo
	v_cmp_gt_u32_e32 vcc_lo, 28, v26
	v_or_b32_e64 v36, 0, 4
	s_cmp_gt_i32 s27, 0
	v_add_lshl_u32 v29, v3, v26, 2
	v_lshlrev_b32_e32 v3, 3, v4
	v_cndmask_b32_e64 v5, 0, 1, vcc_lo
	v_cmp_gt_u32_e32 vcc_lo, 30, v26
	s_mov_b32 s17, 0
	s_cselect_b32 s31, -1, 0
	v_add_lshl_u32 v30, v3, v26, 2
	v_lshlrev_b32_e32 v4, 2, v5
	v_cndmask_b32_e64 v6, 0, 1, vcc_lo
	v_cmp_ne_u32_e32 vcc_lo, 31, v26
	v_ashrrev_i32_e32 v3, 31, v2
	s_lshl_b32 s33, s13, 2
	v_add_lshl_u32 v31, v4, v26, 2
	v_lshlrev_b32_e32 v5, 1, v6
	v_add_co_ci_u32_e32 v6, vcc_lo, 0, v26, vcc_lo
	v_add_nc_u32_e32 v4, s26, v2
	v_lshlrev_b64 v[8:9], 3, v[2:3]
	s_delay_alu instid0(VALU_DEP_4) | instskip(NEXT) | instid1(VALU_DEP_4)
	v_add_lshl_u32 v32, v5, v26, 2
	v_lshlrev_b32_e32 v33, 2, v6
	s_lshl_b32 s34, s13, 1
	v_add_nc_u32_e32 v6, s26, v4
	v_ashrrev_i32_e32 v5, 31, v4
	v_add_co_u32 v3, vcc_lo, s6, v8
	s_mul_i32 s35, s13, 3
	s_delay_alu instid0(VALU_DEP_3) | instskip(SKIP_3) | instid1(VALU_DEP_4)
	v_add_nc_u32_e32 v12, s26, v6
	v_ashrrev_i32_e32 v7, 31, v6
	v_lshlrev_b64 v[10:11], 3, v[4:5]
	v_add_co_ci_u32_e32 v4, vcc_lo, s7, v9, vcc_lo
	v_ashrrev_i32_e32 v13, 31, v12
	s_delay_alu instid0(VALU_DEP_4) | instskip(SKIP_1) | instid1(VALU_DEP_4)
	v_lshlrev_b64 v[7:8], 3, v[6:7]
	s_mov_b32 s18, s17
	v_add_co_u32 v5, vcc_lo, s6, v10
	s_delay_alu instid0(VALU_DEP_3)
	v_lshlrev_b64 v[9:10], 3, v[12:13]
	v_add_co_ci_u32_e32 v6, vcc_lo, s7, v11, vcc_lo
	v_mov_b32_e32 v11, 0
	v_add_co_u32 v7, vcc_lo, s6, v7
	v_add_co_ci_u32_e32 v8, vcc_lo, s7, v8, vcc_lo
	v_add_co_u32 v9, vcc_lo, s6, v9
	v_add_co_ci_u32_e32 v10, vcc_lo, s7, v10, vcc_lo
	s_mov_b32 s36, s13
	s_mov_b32 s28, 0
	s_branch .LBB311_15
.LBB311_14:                             ;   in Loop: Header=BB311_15 Depth=1
	s_or_b32 exec_lo, exec_lo, s19
	s_add_i32 s28, s28, 4
	s_add_i32 s36, s36, s33
	;; [unrolled: 1-line block ×5, first 2 shown]
	s_cmp_ge_i32 s28, s15
	s_cbranch_scc1 .LBB311_60
.LBB311_15:                             ; =>This Loop Header: Depth=1
                                        ;     Child Loop BB311_46 Depth 2
                                        ;     Child Loop BB311_48 Depth 2
                                        ; implicit-def: $vgpr14
                                        ; implicit-def: $vgpr37
                                        ; implicit-def: $vgpr15
                                        ; implicit-def: $vgpr16
                                        ; implicit-def: $vgpr17
                                        ; implicit-def: $vgpr18
                                        ; implicit-def: $vgpr20
                                        ; implicit-def: $vgpr19
	s_and_saveexec_b32 s16, s2
	s_delay_alu instid0(SALU_CYCLE_1)
	s_xor_b32 s16, exec_lo, s16
	s_cbranch_execnz .LBB311_42
; %bb.16:                               ;   in Loop: Header=BB311_15 Depth=1
	s_and_not1_saveexec_b32 s16, s16
	s_cbranch_execnz .LBB311_43
.LBB311_17:                             ;   in Loop: Header=BB311_15 Depth=1
	s_or_b32 exec_lo, exec_lo, s16
	s_and_saveexec_b32 s16, s0
	s_cbranch_execz .LBB311_19
.LBB311_18:                             ;   in Loop: Header=BB311_15 Depth=1
	v_mov_b32_e32 v12, v11
	ds_store_b64 v34, v[11:12]
.LBB311_19:                             ;   in Loop: Header=BB311_15 Depth=1
	s_or_b32 exec_lo, exec_lo, s16
	ds_bpermute_b32 v12, v29, v14
	ds_bpermute_b32 v13, v29, v37
	s_waitcnt lgkmcnt(0)
	s_waitcnt_vscnt null, 0x0
	s_barrier
	buffer_gl0_inv
	v_dual_add_f32 v12, v14, v12 :: v_dual_add_f32 v13, v37, v13
	ds_bpermute_b32 v14, v30, v12
	ds_bpermute_b32 v37, v30, v13
	s_waitcnt lgkmcnt(0)
	v_dual_add_f32 v12, v12, v14 :: v_dual_add_f32 v13, v13, v37
	ds_bpermute_b32 v14, v31, v12
	ds_bpermute_b32 v37, v31, v13
	s_waitcnt lgkmcnt(0)
	;; [unrolled: 4-line block ×3, first 2 shown]
	v_dual_add_f32 v12, v12, v14 :: v_dual_add_f32 v13, v13, v37
	ds_bpermute_b32 v14, v33, v12
	ds_bpermute_b32 v37, v33, v13
	s_and_saveexec_b32 s16, s4
	s_cbranch_execz .LBB311_21
; %bb.20:                               ;   in Loop: Header=BB311_15 Depth=1
	s_waitcnt lgkmcnt(0)
	v_dual_add_f32 v13, v13, v37 :: v_dual_add_f32 v12, v12, v14
	ds_store_b64 v35, v[12:13]
.LBB311_21:                             ;   in Loop: Header=BB311_15 Depth=1
	s_or_b32 exec_lo, exec_lo, s16
	s_waitcnt lgkmcnt(1)
	v_dual_mov_b32 v14, 0 :: v_dual_mov_b32 v13, 0
	s_waitcnt lgkmcnt(0)
	s_barrier
	buffer_gl0_inv
	s_and_saveexec_b32 s16, s1
	s_cbranch_execnz .LBB311_50
; %bb.22:                               ;   in Loop: Header=BB311_15 Depth=1
	s_or_b32 exec_lo, exec_lo, s16
	s_and_saveexec_b32 s16, s0
	s_cbranch_execnz .LBB311_51
.LBB311_23:                             ;   in Loop: Header=BB311_15 Depth=1
	s_or_b32 exec_lo, exec_lo, s16
	s_and_saveexec_b32 s16, s0
	s_cbranch_execz .LBB311_25
.LBB311_24:                             ;   in Loop: Header=BB311_15 Depth=1
	v_mov_b32_e32 v12, v11
	ds_store_b64 v34, v[11:12]
.LBB311_25:                             ;   in Loop: Header=BB311_15 Depth=1
	s_or_b32 exec_lo, exec_lo, s16
	ds_bpermute_b32 v12, v29, v15
	ds_bpermute_b32 v37, v29, v16
	s_waitcnt lgkmcnt(0)
	s_barrier
	buffer_gl0_inv
	v_dual_add_f32 v12, v15, v12 :: v_dual_add_f32 v15, v16, v37
	ds_bpermute_b32 v16, v30, v12
	ds_bpermute_b32 v37, v30, v15
	s_waitcnt lgkmcnt(0)
	v_dual_add_f32 v12, v12, v16 :: v_dual_add_f32 v15, v15, v37
	ds_bpermute_b32 v16, v31, v12
	ds_bpermute_b32 v37, v31, v15
	s_waitcnt lgkmcnt(0)
	;; [unrolled: 4-line block ×3, first 2 shown]
	v_dual_add_f32 v12, v12, v16 :: v_dual_add_f32 v15, v15, v37
	ds_bpermute_b32 v16, v33, v12
	ds_bpermute_b32 v37, v33, v15
	s_and_saveexec_b32 s16, s4
	s_cbranch_execz .LBB311_27
; %bb.26:                               ;   in Loop: Header=BB311_15 Depth=1
	s_waitcnt lgkmcnt(0)
	v_dual_add_f32 v38, v15, v37 :: v_dual_add_f32 v37, v12, v16
	ds_store_b64 v35, v[37:38]
.LBB311_27:                             ;   in Loop: Header=BB311_15 Depth=1
	s_or_b32 exec_lo, exec_lo, s16
	s_waitcnt lgkmcnt(1)
	v_dual_mov_b32 v16, 0 :: v_dual_mov_b32 v15, 0
	s_waitcnt lgkmcnt(0)
	s_barrier
	buffer_gl0_inv
	s_and_saveexec_b32 s16, s1
	s_cbranch_execnz .LBB311_52
; %bb.28:                               ;   in Loop: Header=BB311_15 Depth=1
	s_or_b32 exec_lo, exec_lo, s16
	s_and_saveexec_b32 s16, s0
	s_cbranch_execnz .LBB311_53
.LBB311_29:                             ;   in Loop: Header=BB311_15 Depth=1
	s_or_b32 exec_lo, exec_lo, s16
	s_and_saveexec_b32 s16, s0
	s_cbranch_execz .LBB311_31
.LBB311_30:                             ;   in Loop: Header=BB311_15 Depth=1
	v_mov_b32_e32 v12, v11
	ds_store_b64 v34, v[11:12]
.LBB311_31:                             ;   in Loop: Header=BB311_15 Depth=1
	s_or_b32 exec_lo, exec_lo, s16
	ds_bpermute_b32 v12, v29, v17
	ds_bpermute_b32 v37, v29, v18
	s_waitcnt lgkmcnt(0)
	s_barrier
	buffer_gl0_inv
	v_dual_add_f32 v12, v17, v12 :: v_dual_add_f32 v17, v18, v37
	ds_bpermute_b32 v18, v30, v12
	ds_bpermute_b32 v37, v30, v17
	s_waitcnt lgkmcnt(0)
	v_dual_add_f32 v12, v12, v18 :: v_dual_add_f32 v17, v17, v37
	ds_bpermute_b32 v18, v31, v12
	ds_bpermute_b32 v37, v31, v17
	s_waitcnt lgkmcnt(0)
	;; [unrolled: 4-line block ×3, first 2 shown]
	v_dual_add_f32 v12, v12, v18 :: v_dual_add_f32 v17, v17, v37
	ds_bpermute_b32 v18, v33, v12
	ds_bpermute_b32 v37, v33, v17
	s_and_saveexec_b32 s16, s4
	s_cbranch_execz .LBB311_33
; %bb.32:                               ;   in Loop: Header=BB311_15 Depth=1
	s_waitcnt lgkmcnt(0)
	v_dual_add_f32 v38, v17, v37 :: v_dual_add_f32 v37, v12, v18
	ds_store_b64 v35, v[37:38]
.LBB311_33:                             ;   in Loop: Header=BB311_15 Depth=1
	s_or_b32 exec_lo, exec_lo, s16
	s_waitcnt lgkmcnt(1)
	v_dual_mov_b32 v18, 0 :: v_dual_mov_b32 v17, 0
	s_waitcnt lgkmcnt(0)
	s_barrier
	buffer_gl0_inv
	s_and_saveexec_b32 s16, s1
	s_cbranch_execnz .LBB311_54
; %bb.34:                               ;   in Loop: Header=BB311_15 Depth=1
	s_or_b32 exec_lo, exec_lo, s16
	s_and_saveexec_b32 s16, s0
	s_cbranch_execnz .LBB311_55
.LBB311_35:                             ;   in Loop: Header=BB311_15 Depth=1
	s_or_b32 exec_lo, exec_lo, s16
	s_and_saveexec_b32 s16, s0
	s_cbranch_execz .LBB311_37
.LBB311_36:                             ;   in Loop: Header=BB311_15 Depth=1
	v_mov_b32_e32 v12, v11
	ds_store_b64 v34, v[11:12]
.LBB311_37:                             ;   in Loop: Header=BB311_15 Depth=1
	s_or_b32 exec_lo, exec_lo, s16
	ds_bpermute_b32 v12, v29, v20
	ds_bpermute_b32 v37, v29, v19
	s_waitcnt lgkmcnt(0)
	s_barrier
	buffer_gl0_inv
	v_dual_add_f32 v12, v20, v12 :: v_dual_add_f32 v19, v19, v37
	ds_bpermute_b32 v20, v30, v12
	ds_bpermute_b32 v37, v30, v19
	s_waitcnt lgkmcnt(0)
	v_dual_add_f32 v12, v12, v20 :: v_dual_add_f32 v19, v19, v37
	ds_bpermute_b32 v20, v31, v12
	ds_bpermute_b32 v37, v31, v19
	s_waitcnt lgkmcnt(0)
	v_dual_add_f32 v12, v12, v20 :: v_dual_add_f32 v19, v19, v37
	ds_bpermute_b32 v20, v32, v12
	ds_bpermute_b32 v37, v32, v19
	s_waitcnt lgkmcnt(0)
	v_dual_add_f32 v12, v12, v20 :: v_dual_add_f32 v19, v19, v37
	ds_bpermute_b32 v20, v33, v12
	ds_bpermute_b32 v37, v33, v19
	s_and_saveexec_b32 s16, s4
	s_cbranch_execz .LBB311_39
; %bb.38:                               ;   in Loop: Header=BB311_15 Depth=1
	s_waitcnt lgkmcnt(0)
	v_dual_add_f32 v38, v19, v37 :: v_dual_add_f32 v37, v12, v20
	ds_store_b64 v35, v[37:38]
.LBB311_39:                             ;   in Loop: Header=BB311_15 Depth=1
	s_or_b32 exec_lo, exec_lo, s16
	s_waitcnt lgkmcnt(1)
	v_dual_mov_b32 v20, 0 :: v_dual_mov_b32 v19, 0
	s_waitcnt lgkmcnt(0)
	s_barrier
	buffer_gl0_inv
	s_and_saveexec_b32 s16, s1
	s_cbranch_execnz .LBB311_56
; %bb.40:                               ;   in Loop: Header=BB311_15 Depth=1
	s_or_b32 exec_lo, exec_lo, s16
	s_and_saveexec_b32 s16, s0
	s_cbranch_execnz .LBB311_57
.LBB311_41:                             ;   in Loop: Header=BB311_15 Depth=1
	s_or_b32 exec_lo, exec_lo, s16
	s_and_saveexec_b32 s19, s5
	s_cbranch_execz .LBB311_14
	s_branch .LBB311_58
.LBB311_42:                             ;   in Loop: Header=BB311_15 Depth=1
	s_clause 0x2
	flat_load_b64 v[12:13], v[3:4]
	flat_load_b64 v[14:15], v[5:6]
	;; [unrolled: 1-line block ×3, first 2 shown]
	s_waitcnt lgkmcnt(3)
	flat_load_b64 v[18:19], v[9:10]
	s_mul_i32 s20, s28, s13
	s_waitcnt vmcnt(2) lgkmcnt(2)
	scratch_store_b128 off, v[12:15], off
	s_waitcnt vmcnt(0) lgkmcnt(0)
	scratch_store_b128 off, v[16:19], off offset:16
	s_ashr_i32 s21, s20, 31
	s_add_i32 s22, s20, s13
	s_lshl_b64 s[20:21], s[20:21], 3
	s_ashr_i32 s23, s22, 31
	v_add_co_u32 v53, vcc_lo, v21, s20
	s_add_i32 s24, s22, s13
	v_add_co_ci_u32_e32 v54, vcc_lo, s21, v22, vcc_lo
	s_lshl_b64 s[20:21], s[22:23], 3
	s_ashr_i32 s25, s24, 31
	v_add_co_u32 v57, vcc_lo, v21, s20
	s_add_i32 s22, s24, s13
	v_add_co_ci_u32_e32 v58, vcc_lo, s21, v22, vcc_lo
	s_lshl_b64 s[20:21], s[24:25], 3
	s_ashr_i32 s23, s22, 31
	v_add_co_u32 v61, vcc_lo, v21, s20
	v_add_co_ci_u32_e32 v62, vcc_lo, s21, v22, vcc_lo
	s_lshl_b64 s[20:21], s[22:23], 3
	flat_load_b128 v[37:40], v[53:54]
	v_add_co_u32 v65, vcc_lo, v21, s20
	v_add_co_ci_u32_e32 v66, vcc_lo, s21, v22, vcc_lo
	s_clause 0x6
	flat_load_b128 v[41:44], v[57:58]
	flat_load_b128 v[45:48], v[61:62]
	;; [unrolled: 1-line block ×3, first 2 shown]
	flat_load_b128 v[53:56], v[53:54] offset:16
	flat_load_b128 v[57:60], v[57:58] offset:16
	;; [unrolled: 1-line block ×4, first 2 shown]
	s_waitcnt vmcnt(6) lgkmcnt(6)
	v_dual_mul_f32 v69, v13, v42 :: v_dual_mul_f32 v72, v15, v40
	v_dual_mul_f32 v20, v13, v38 :: v_dual_mul_f32 v73, v15, v44
	s_waitcnt vmcnt(4) lgkmcnt(4)
	v_dual_mul_f32 v38, v12, v38 :: v_dual_mul_f32 v75, v15, v52
	s_waitcnt vmcnt(2) lgkmcnt(2)
	;; [unrolled: 2-line block ×3, first 2 shown]
	v_dual_mul_f32 v70, v13, v46 :: v_dual_mul_f32 v83, v19, v68
	v_mul_f32_e32 v46, v12, v46
	v_dual_mul_f32 v74, v15, v48 :: v_dual_mul_f32 v79, v17, v66
	v_mul_f32_e32 v66, v16, v66
	v_mul_f32_e32 v60, v18, v60
	;; [unrolled: 1-line block ×5, first 2 shown]
	v_fma_f32 v20, v12, v37, -v20
	v_fmac_f32_e32 v42, v13, v41
	v_fmac_f32_e32 v46, v13, v45
	v_mul_f32_e32 v80, v19, v56
	v_mul_f32_e32 v56, v18, v56
	v_fmac_f32_e32 v66, v17, v65
	v_fmac_f32_e32 v38, v13, v37
	v_fma_f32 v37, v12, v41, -v69
	v_fma_f32 v41, v12, v45, -v70
	v_dual_mul_f32 v71, v13, v50 :: v_dual_mul_f32 v40, v14, v40
	v_mul_f32_e32 v48, v14, v48
	v_fmac_f32_e32 v56, v19, v55
	v_fmac_f32_e32 v60, v19, v59
	v_fmac_f32_e32 v64, v19, v63
	v_dual_fmac_f32 v68, v19, v67 :: v_dual_add_f32 v19, 0, v38
	v_add_f32_e32 v38, 0, v41
	v_mul_f32_e32 v50, v12, v50
	v_dual_mul_f32 v44, v14, v44 :: v_dual_mul_f32 v77, v17, v58
	v_mul_f32_e32 v52, v14, v52
	v_fmac_f32_e32 v40, v15, v39
	s_delay_alu instid0(VALU_DEP_4)
	v_fmac_f32_e32 v50, v13, v49
	v_fma_f32 v13, v14, v39, -v72
	v_fma_f32 v39, v14, v43, -v73
	v_mul_f32_e32 v76, v17, v54
	v_mul_f32_e32 v58, v16, v58
	v_fma_f32 v12, v12, v49, -v71
	v_fmac_f32_e32 v44, v15, v43
	v_fmac_f32_e32 v48, v15, v47
	;; [unrolled: 1-line block ×3, first 2 shown]
	v_fma_f32 v15, v16, v53, -v76
	v_mul_f32_e32 v54, v16, v54
	v_fma_f32 v49, v18, v59, -v81
	v_mul_f32_e32 v78, v17, v62
	v_mul_f32_e32 v62, v16, v62
	v_fma_f32 v43, v14, v47, -v74
	v_fma_f32 v14, v14, v51, -v75
	v_fmac_f32_e32 v54, v17, v53
	v_fmac_f32_e32 v58, v17, v57
	;; [unrolled: 1-line block ×3, first 2 shown]
	v_fma_f32 v51, v18, v63, -v82
	v_fma_f32 v53, v18, v67, -v83
	v_add_f32_e32 v41, 0, v46
	v_fma_f32 v17, v18, v55, -v80
	v_add_f32_e32 v18, 0, v20
	v_dual_add_f32 v20, 0, v37 :: v_dual_add_f32 v37, 0, v42
	v_add_f32_e32 v12, 0, v12
	v_add_f32_e32 v42, 0, v50
	v_fma_f32 v45, v16, v57, -v77
	v_fma_f32 v47, v16, v61, -v78
	v_fma_f32 v16, v16, v65, -v79
	v_dual_add_f32 v13, v18, v13 :: v_dual_add_f32 v18, v19, v40
	v_dual_add_f32 v19, v20, v39 :: v_dual_add_f32 v20, v37, v44
	;; [unrolled: 1-line block ×3, first 2 shown]
	v_add_f32_e32 v12, v12, v14
	s_delay_alu instid0(VALU_DEP_4) | instskip(NEXT) | instid1(VALU_DEP_4)
	v_dual_add_f32 v14, v42, v52 :: v_dual_add_f32 v13, v13, v15
	v_dual_add_f32 v15, v18, v54 :: v_dual_add_f32 v18, v19, v45
	s_delay_alu instid0(VALU_DEP_4) | instskip(SKIP_1) | instid1(VALU_DEP_4)
	v_dual_add_f32 v19, v20, v58 :: v_dual_add_f32 v20, v37, v47
	v_add_f32_e32 v38, v38, v62
	v_dual_add_f32 v12, v12, v16 :: v_dual_add_f32 v39, v14, v66
	s_delay_alu instid0(VALU_DEP_4) | instskip(NEXT) | instid1(VALU_DEP_4)
	v_dual_add_f32 v14, v13, v17 :: v_dual_add_f32 v37, v15, v56
	v_dual_add_f32 v15, v18, v49 :: v_dual_add_f32 v16, v19, v60
	s_delay_alu instid0(VALU_DEP_3)
	v_add_f32_e32 v19, v39, v68
	v_dual_add_f32 v17, v20, v51 :: v_dual_add_f32 v18, v38, v64
	v_add_f32_e32 v20, v12, v53
	s_and_not1_saveexec_b32 s16, s16
	s_cbranch_execz .LBB311_17
.LBB311_43:                             ;   in Loop: Header=BB311_15 Depth=1
	v_dual_mov_b32 v14, 0 :: v_dual_mov_b32 v37, 0
	v_dual_mov_b32 v15, 0 :: v_dual_mov_b32 v16, 0
	;; [unrolled: 1-line block ×3, first 2 shown]
	s_waitcnt lgkmcnt(0)
	v_dual_mov_b32 v20, 0 :: v_dual_mov_b32 v19, 0
	s_and_saveexec_b32 s37, s3
	s_cbranch_execz .LBB311_49
; %bb.44:                               ;   in Loop: Header=BB311_15 Depth=1
	v_dual_mov_b32 v14, 0 :: v_dual_mov_b32 v37, 0
	v_dual_mov_b32 v15, 0 :: v_dual_mov_b32 v16, 0
	;; [unrolled: 1-line block ×4, first 2 shown]
	s_and_not1_b32 vcc_lo, exec_lo, s31
	s_cbranch_vccnz .LBB311_49
; %bb.45:                               ;   in Loop: Header=BB311_15 Depth=1
	v_mov_b32_e32 v14, 0
	v_mov_b32_e32 v12, v2
	s_mov_b32 s19, s27
.LBB311_46:                             ;   Parent Loop BB311_15 Depth=1
                                        ; =>  This Inner Loop Header: Depth=2
	s_delay_alu instid0(VALU_DEP_1) | instskip(SKIP_1) | instid1(SALU_CYCLE_1)
	v_ashrrev_i32_e32 v13, 31, v12
	s_add_i32 s19, s19, -1
	s_cmp_eq_u32 s19, 0
	s_delay_alu instid0(VALU_DEP_1) | instskip(SKIP_1) | instid1(VALU_DEP_2)
	v_lshlrev_b64 v[15:16], 3, v[12:13]
	v_add_nc_u32_e32 v12, s26, v12
	v_add_co_u32 v15, vcc_lo, s6, v15
	s_delay_alu instid0(VALU_DEP_3)
	v_add_co_ci_u32_e32 v16, vcc_lo, s7, v16, vcc_lo
	flat_load_b64 v[15:16], v[15:16]
	s_waitcnt vmcnt(0) lgkmcnt(0)
	scratch_store_b64 v14, v[15:16], off
	v_add_nc_u32_e32 v14, 8, v14
	s_cbranch_scc0 .LBB311_46
; %bb.47:                               ;   in Loop: Header=BB311_15 Depth=1
	s_ashr_i32 s19, s18, 31
	v_dual_mov_b32 v19, 0 :: v_dual_mov_b32 v38, v36
	s_lshl_b64 s[20:21], s[18:19], 3
	v_dual_mov_b32 v20, 0 :: v_dual_mov_b32 v17, 0
	v_add_co_u32 v12, vcc_lo, v21, s20
	v_add_co_ci_u32_e32 v13, vcc_lo, s21, v22, vcc_lo
	v_dual_mov_b32 v18, 0 :: v_dual_mov_b32 v15, 0
	v_dual_mov_b32 v16, 0 :: v_dual_mov_b32 v37, 0
	v_mov_b32_e32 v14, 0
	s_mov_b32 s20, s35
	s_mov_b32 s22, s34
	;; [unrolled: 1-line block ×4, first 2 shown]
.LBB311_48:                             ;   Parent Loop BB311_15 Depth=1
                                        ; =>  This Inner Loop Header: Depth=2
	s_ashr_i32 s25, s24, 31
	s_ashr_i32 s23, s22, 31
	s_lshl_b64 s[38:39], s[24:25], 3
	s_lshl_b64 s[40:41], s[22:23], 3
	v_add_co_u32 v43, vcc_lo, v21, s38
	s_ashr_i32 s21, s20, 31
	v_add_co_ci_u32_e32 v44, vcc_lo, s39, v22, vcc_lo
	v_add_co_u32 v45, vcc_lo, v21, s40
	s_lshl_b64 s[42:43], s[20:21], 3
	v_add_co_ci_u32_e32 v46, vcc_lo, s41, v22, vcc_lo
	v_add_co_u32 v47, vcc_lo, v21, s42
	v_add_co_ci_u32_e32 v48, vcc_lo, s43, v22, vcc_lo
	scratch_load_b64 v[39:40], v38, off offset:-4
	flat_load_b64 v[41:42], v[12:13]
	s_clause 0x2
	flat_load_b64 v[43:44], v[43:44]
	flat_load_b64 v[45:46], v[45:46]
	;; [unrolled: 1-line block ×3, first 2 shown]
	v_add_nc_u32_e32 v38, 8, v38
	v_add_co_u32 v12, vcc_lo, v12, 8
	v_add_co_ci_u32_e32 v13, vcc_lo, 0, v13, vcc_lo
	s_add_i32 s19, s19, -1
	s_add_i32 s24, s24, 1
	s_add_i32 s22, s22, 1
	s_add_i32 s20, s20, 1
	s_cmp_lg_u32 s19, 0
	s_waitcnt vmcnt(3) lgkmcnt(3)
	v_mul_f32_e32 v49, v40, v42
	s_waitcnt vmcnt(0) lgkmcnt(0)
	v_dual_mul_f32 v42, v39, v42 :: v_dual_mul_f32 v51, v40, v48
	v_mul_f32_e32 v48, v39, v48
	s_delay_alu instid0(VALU_DEP_3) | instskip(NEXT) | instid1(VALU_DEP_2)
	v_fma_f32 v49, v39, v41, -v49
	v_fmac_f32_e32 v48, v40, v47
	s_delay_alu instid0(VALU_DEP_4) | instskip(SKIP_2) | instid1(VALU_DEP_4)
	v_fmac_f32_e32 v42, v40, v41
	v_mul_f32_e32 v41, v40, v44
	v_mul_f32_e32 v44, v39, v44
	v_add_f32_e32 v19, v19, v48
	s_delay_alu instid0(VALU_DEP_4) | instskip(NEXT) | instid1(VALU_DEP_4)
	v_add_f32_e32 v37, v37, v42
	v_fma_f32 v41, v39, v43, -v41
	v_mul_f32_e32 v50, v40, v46
	v_mul_f32_e32 v46, v39, v46
	s_delay_alu instid0(VALU_DEP_3) | instskip(NEXT) | instid1(VALU_DEP_3)
	v_dual_fmac_f32 v44, v40, v43 :: v_dual_add_f32 v15, v15, v41
	v_fma_f32 v42, v39, v45, -v50
	s_delay_alu instid0(VALU_DEP_3) | instskip(SKIP_2) | instid1(VALU_DEP_4)
	v_fmac_f32_e32 v46, v40, v45
	v_fma_f32 v39, v39, v47, -v51
	v_add_f32_e32 v14, v14, v49
	v_dual_add_f32 v16, v16, v44 :: v_dual_add_f32 v17, v17, v42
	s_delay_alu instid0(VALU_DEP_4) | instskip(NEXT) | instid1(VALU_DEP_4)
	v_add_f32_e32 v18, v18, v46
	v_add_f32_e32 v20, v20, v39
	s_cbranch_scc1 .LBB311_48
.LBB311_49:                             ;   in Loop: Header=BB311_15 Depth=1
	s_or_b32 exec_lo, exec_lo, s37
	s_delay_alu instid0(SALU_CYCLE_1)
	s_or_b32 exec_lo, exec_lo, s16
	s_and_saveexec_b32 s16, s0
	s_cbranch_execnz .LBB311_18
	s_branch .LBB311_19
.LBB311_50:                             ;   in Loop: Header=BB311_15 Depth=1
	ds_load_b64 v[13:14], v34
	s_or_b32 exec_lo, exec_lo, s16
	s_and_saveexec_b32 s16, s0
	s_cbranch_execz .LBB311_23
.LBB311_51:                             ;   in Loop: Header=BB311_15 Depth=1
	s_waitcnt lgkmcnt(0)
	ds_bpermute_b32 v12, v31, v13
	ds_bpermute_b32 v37, v31, v14
	s_waitcnt lgkmcnt(0)
	v_dual_add_f32 v12, v13, v12 :: v_dual_add_f32 v13, v14, v37
	ds_bpermute_b32 v14, v32, v12
	ds_bpermute_b32 v37, v32, v13
	s_waitcnt lgkmcnt(1)
	v_add_f32_e32 v12, v12, v14
	s_waitcnt lgkmcnt(0)
	v_add_f32_e32 v14, v13, v37
	ds_bpermute_b32 v13, v33, v12
	ds_bpermute_b32 v37, v33, v14
	s_waitcnt lgkmcnt(1)
	v_add_f32_e32 v13, v12, v13
	s_waitcnt lgkmcnt(0)
	v_add_f32_e32 v14, v14, v37
	s_or_b32 exec_lo, exec_lo, s16
	s_and_saveexec_b32 s16, s0
	s_cbranch_execnz .LBB311_24
	s_branch .LBB311_25
.LBB311_52:                             ;   in Loop: Header=BB311_15 Depth=1
	ds_load_b64 v[15:16], v34
	s_or_b32 exec_lo, exec_lo, s16
	s_and_saveexec_b32 s16, s0
	s_cbranch_execz .LBB311_29
.LBB311_53:                             ;   in Loop: Header=BB311_15 Depth=1
	s_waitcnt lgkmcnt(0)
	ds_bpermute_b32 v12, v31, v15
	ds_bpermute_b32 v37, v31, v16
	s_waitcnt lgkmcnt(0)
	v_dual_add_f32 v12, v15, v12 :: v_dual_add_f32 v15, v16, v37
	ds_bpermute_b32 v16, v32, v12
	ds_bpermute_b32 v37, v32, v15
	s_waitcnt lgkmcnt(1)
	v_add_f32_e32 v12, v12, v16
	s_waitcnt lgkmcnt(0)
	v_add_f32_e32 v16, v15, v37
	ds_bpermute_b32 v15, v33, v12
	s_waitcnt lgkmcnt(0)
	v_add_f32_e32 v15, v12, v15
	ds_bpermute_b32 v37, v33, v16
	s_waitcnt lgkmcnt(0)
	v_add_f32_e32 v16, v16, v37
	s_or_b32 exec_lo, exec_lo, s16
	s_and_saveexec_b32 s16, s0
	s_cbranch_execnz .LBB311_30
	s_branch .LBB311_31
.LBB311_54:                             ;   in Loop: Header=BB311_15 Depth=1
	ds_load_b64 v[17:18], v34
	s_or_b32 exec_lo, exec_lo, s16
	s_and_saveexec_b32 s16, s0
	s_cbranch_execz .LBB311_35
.LBB311_55:                             ;   in Loop: Header=BB311_15 Depth=1
	s_waitcnt lgkmcnt(0)
	ds_bpermute_b32 v12, v31, v17
	ds_bpermute_b32 v37, v31, v18
	s_waitcnt lgkmcnt(0)
	v_dual_add_f32 v12, v17, v12 :: v_dual_add_f32 v17, v18, v37
	ds_bpermute_b32 v18, v32, v12
	ds_bpermute_b32 v37, v32, v17
	s_waitcnt lgkmcnt(1)
	v_add_f32_e32 v12, v12, v18
	s_waitcnt lgkmcnt(0)
	v_add_f32_e32 v18, v17, v37
	ds_bpermute_b32 v17, v33, v12
	ds_bpermute_b32 v37, v33, v18
	s_waitcnt lgkmcnt(1)
	v_add_f32_e32 v17, v12, v17
	s_waitcnt lgkmcnt(0)
	v_add_f32_e32 v18, v18, v37
	s_or_b32 exec_lo, exec_lo, s16
	s_and_saveexec_b32 s16, s0
	s_cbranch_execnz .LBB311_36
	s_branch .LBB311_37
.LBB311_56:                             ;   in Loop: Header=BB311_15 Depth=1
	ds_load_b64 v[19:20], v34
	s_or_b32 exec_lo, exec_lo, s16
	s_and_saveexec_b32 s16, s0
	s_cbranch_execz .LBB311_41
.LBB311_57:                             ;   in Loop: Header=BB311_15 Depth=1
	s_waitcnt lgkmcnt(0)
	ds_bpermute_b32 v12, v31, v19
	ds_bpermute_b32 v37, v31, v20
	s_waitcnt lgkmcnt(0)
	v_dual_add_f32 v12, v19, v12 :: v_dual_add_f32 v19, v20, v37
	ds_bpermute_b32 v20, v32, v12
	ds_bpermute_b32 v37, v32, v19
	s_waitcnt lgkmcnt(1)
	v_add_f32_e32 v12, v12, v20
	s_waitcnt lgkmcnt(0)
	v_add_f32_e32 v20, v19, v37
	ds_bpermute_b32 v19, v33, v12
	s_waitcnt lgkmcnt(0)
	v_add_f32_e32 v19, v12, v19
	ds_bpermute_b32 v37, v33, v20
	s_waitcnt lgkmcnt(0)
	v_add_f32_e32 v20, v20, v37
	s_or_b32 exec_lo, exec_lo, s16
	s_and_saveexec_b32 s19, s5
	s_cbranch_execz .LBB311_14
.LBB311_58:                             ;   in Loop: Header=BB311_15 Depth=1
	v_mul_f32_e32 v12, s11, v14
	v_mul_f32_e32 v38, s10, v14
	s_mul_i32 s16, s28, s12
	v_mul_f32_e32 v14, s11, v18
	s_add_i32 s16, s16, s14
	v_fma_f32 v37, v13, s10, -v12
	s_lshl_b64 s[20:21], s[16:17], 3
	v_fmac_f32_e32 v38, s11, v13
	s_add_u32 s20, s30, s20
	s_addc_u32 s21, s29, s21
	s_add_i32 s16, s16, s12
	v_mul_f32_e32 v12, s11, v16
	global_store_b64 v11, v[37:38], s[20:21]
	v_mul_f32_e32 v13, s10, v16
	s_lshl_b64 s[20:21], s[16:17], 3
	v_mul_f32_e32 v16, s10, v18
	s_add_u32 s20, s30, s20
	s_addc_u32 s21, s29, s21
	v_fmac_f32_e32 v13, s11, v15
	s_add_i32 s16, s16, s12
	v_fma_f32 v12, v15, s10, -v12
	v_fma_f32 v15, v17, s10, -v14
	s_waitcnt lgkmcnt(0)
	v_mul_f32_e32 v14, s11, v20
	s_lshl_b64 s[22:23], s[16:17], 3
	v_mul_f32_e32 v18, s10, v20
	s_add_u32 s22, s30, s22
	s_addc_u32 s23, s29, s23
	s_add_i32 s16, s16, s12
	v_fmac_f32_e32 v16, s11, v17
	v_fma_f32 v17, v19, s10, -v14
	v_fmac_f32_e32 v18, s11, v19
	s_lshl_b64 s[24:25], s[16:17], 3
	global_store_b64 v11, v[12:13], s[20:21]
	s_add_u32 s20, s30, s24
	s_addc_u32 s21, s29, s25
	s_clause 0x1
	global_store_b64 v11, v[15:16], s[22:23]
	global_store_b64 v11, v[17:18], s[20:21]
	s_branch .LBB311_14
.LBB311_59:
	s_mov_b32 s28, 0
.LBB311_60:
	s_delay_alu instid0(SALU_CYCLE_1)
	s_cmp_ge_i32 s28, s9
	s_cbranch_scc1 .LBB311_82
; %bb.61:
	v_cmp_gt_u32_e64 s1, 16, v26
	v_cmp_ge_i32_e64 s4, s8, v28
	s_cmp_gt_i32 s27, 0
	s_mov_b32 s15, 0
	v_cmp_ge_i32_e32 vcc_lo, s8, v27
	v_cndmask_b32_e64 v2, 0, 1, s1
	v_cmp_gt_u32_e64 s1, 24, v26
	s_cselect_b32 s16, -1, 0
	v_cmp_gt_u32_e64 s0, 32, v0
	v_lshlrev_b32_e32 v13, 3, v25
	v_lshlrev_b32_e32 v2, 4, v2
	v_cndmask_b32_e64 v3, 0, 1, s1
	v_cmp_gt_u32_e64 s1, 28, v26
	s_waitcnt lgkmcnt(0)
	v_and_b32_e32 v19, 56, v24
	v_cmp_gt_u32_e64 s2, 8, v0
	v_add_lshl_u32 v14, v2, v26, 2
	v_lshlrev_b32_e32 v3, 3, v3
	v_cndmask_b32_e64 v4, 0, 1, s1
	v_cmp_gt_u32_e64 s1, 30, v26
	v_ashrrev_i32_e32 v2, 31, v1
	v_cmp_eq_u32_e64 s3, 0, v0
	v_add_lshl_u32 v15, v3, v26, 2
	v_add_nc_u32_e32 v3, s26, v1
	v_cndmask_b32_e64 v5, 0, 1, s1
	v_cmp_ne_u32_e64 s1, 31, v26
	v_lshlrev_b32_e32 v4, 2, v4
	v_lshlrev_b64 v[7:8], 3, v[1:2]
	s_lshl_b64 s[14:15], s[14:15], 3
	v_lshlrev_b32_e32 v5, 1, v5
	v_add_co_ci_u32_e64 v6, s1, 0, v26, s1
	v_add_lshl_u32 v16, v4, v26, 2
	v_ashrrev_i32_e32 v4, 31, v3
	s_delay_alu instid0(VALU_DEP_4) | instskip(SKIP_4) | instid1(VALU_DEP_4)
	v_add_lshl_u32 v17, v5, v26, 2
	v_add_nc_u32_e32 v5, s26, v3
	v_lshlrev_b32_e32 v18, 2, v6
	v_add_co_u32 v2, s5, s6, v7
	v_lshlrev_b64 v[9:10], 3, v[3:4]
	v_add_nc_u32_e32 v11, s26, v5
	v_ashrrev_i32_e32 v6, 31, v5
	v_add_co_ci_u32_e64 v3, s5, s7, v8, s5
	v_cmp_eq_u32_e64 s1, 0, v25
	s_delay_alu instid0(VALU_DEP_4) | instskip(NEXT) | instid1(VALU_DEP_4)
	v_ashrrev_i32_e32 v12, 31, v11
	v_lshlrev_b64 v[6:7], 3, v[5:6]
	v_add_co_u32 v4, s5, s6, v9
	s_delay_alu instid0(VALU_DEP_1) | instskip(SKIP_3) | instid1(VALU_DEP_1)
	v_add_co_ci_u32_e64 v5, s5, s7, v10, s5
	v_mov_b32_e32 v10, 0
	v_lshlrev_b64 v[8:9], 3, v[11:12]
	v_add_co_u32 v6, s5, s6, v6
	v_add_co_ci_u32_e64 v7, s5, s7, v7, s5
	s_add_u32 s8, s30, s14
	s_delay_alu instid0(VALU_DEP_3) | instskip(NEXT) | instid1(VALU_DEP_1)
	v_add_co_u32 v8, s5, s6, v8
	v_add_co_ci_u32_e64 v9, s5, s7, v9, s5
	s_addc_u32 s5, s29, s15
	s_and_b32 s16, s16, s4
	s_mul_i32 s14, s28, s13
	s_branch .LBB311_63
.LBB311_62:                             ;   in Loop: Header=BB311_63 Depth=1
	s_or_b32 exec_lo, exec_lo, s4
	s_add_i32 s28, s28, 1
	s_add_i32 s14, s14, s13
	s_cmp_lt_i32 s28, s9
	s_cbranch_scc0 .LBB311_82
.LBB311_63:                             ; =>This Loop Header: Depth=1
                                        ;     Child Loop BB311_75 Depth 2
                                        ;     Child Loop BB311_77 Depth 2
                                        ; implicit-def: $vgpr0
                                        ; implicit-def: $vgpr20
	s_and_saveexec_b32 s4, vcc_lo
	s_delay_alu instid0(SALU_CYCLE_1)
	s_xor_b32 s15, exec_lo, s4
	s_cbranch_execnz .LBB311_72
; %bb.64:                               ;   in Loop: Header=BB311_63 Depth=1
	s_and_not1_saveexec_b32 s17, s15
	s_cbranch_execnz .LBB311_73
.LBB311_65:                             ;   in Loop: Header=BB311_63 Depth=1
	s_or_b32 exec_lo, exec_lo, s17
	s_and_saveexec_b32 s4, s0
	s_cbranch_execz .LBB311_67
.LBB311_66:                             ;   in Loop: Header=BB311_63 Depth=1
	s_waitcnt lgkmcnt(0)
	v_mov_b32_e32 v11, v10
	ds_store_b64 v13, v[10:11]
.LBB311_67:                             ;   in Loop: Header=BB311_63 Depth=1
	s_or_b32 exec_lo, exec_lo, s4
	s_waitcnt lgkmcnt(0)
	ds_bpermute_b32 v11, v14, v0
	ds_bpermute_b32 v12, v14, v20
	s_waitcnt lgkmcnt(0)
	s_waitcnt_vscnt null, 0x0
	s_barrier
	buffer_gl0_inv
	v_add_f32_e32 v0, v0, v11
	v_add_f32_e32 v11, v20, v12
	ds_bpermute_b32 v20, v15, v11
	s_waitcnt lgkmcnt(0)
	v_add_f32_e32 v11, v11, v20
	ds_bpermute_b32 v12, v15, v0
	ds_bpermute_b32 v20, v16, v11
	s_waitcnt lgkmcnt(1)
	v_add_f32_e32 v0, v0, v12
	s_waitcnt lgkmcnt(0)
	v_add_f32_e32 v11, v11, v20
	ds_bpermute_b32 v12, v16, v0
	ds_bpermute_b32 v20, v17, v11
	s_waitcnt lgkmcnt(1)
	v_add_f32_e32 v0, v0, v12
	;; [unrolled: 6-line block ×3, first 2 shown]
	ds_bpermute_b32 v12, v18, v0
	s_and_saveexec_b32 s4, s1
	s_cbranch_execz .LBB311_69
; %bb.68:                               ;   in Loop: Header=BB311_63 Depth=1
	s_waitcnt lgkmcnt(1)
	v_add_f32_e32 v25, v11, v20
	s_waitcnt lgkmcnt(0)
	v_add_f32_e32 v24, v0, v12
	ds_store_b64 v19, v[24:25]
.LBB311_69:                             ;   in Loop: Header=BB311_63 Depth=1
	s_or_b32 exec_lo, exec_lo, s4
	s_waitcnt lgkmcnt(0)
	v_dual_mov_b32 v12, 0 :: v_dual_mov_b32 v11, 0
	s_barrier
	buffer_gl0_inv
	s_and_saveexec_b32 s4, s2
	s_cbranch_execnz .LBB311_79
; %bb.70:                               ;   in Loop: Header=BB311_63 Depth=1
	s_or_b32 exec_lo, exec_lo, s4
	s_and_saveexec_b32 s4, s0
	s_cbranch_execnz .LBB311_80
.LBB311_71:                             ;   in Loop: Header=BB311_63 Depth=1
	s_or_b32 exec_lo, exec_lo, s4
	s_and_saveexec_b32 s4, s3
	s_cbranch_execz .LBB311_62
	s_branch .LBB311_81
.LBB311_72:                             ;   in Loop: Header=BB311_63 Depth=1
	s_clause 0x3
	flat_load_b64 v[24:25], v[2:3]
	flat_load_b64 v[26:27], v[4:5]
	;; [unrolled: 1-line block ×4, first 2 shown]
	s_mul_i32 s18, s28, s13
	s_waitcnt vmcnt(2) lgkmcnt(2)
	scratch_store_b128 off, v[24:27], off
	s_waitcnt vmcnt(0) lgkmcnt(0)
	scratch_store_b128 off, v[28:31], off offset:16
	s_ashr_i32 s19, s18, 31
	s_delay_alu instid0(SALU_CYCLE_1) | instskip(NEXT) | instid1(SALU_CYCLE_1)
	s_lshl_b64 s[18:19], s[18:19], 3
	v_add_co_u32 v11, s4, v21, s18
	s_delay_alu instid0(VALU_DEP_1)
	v_add_co_ci_u32_e64 v12, s4, s19, v22, s4
	s_clause 0x1
	flat_load_b128 v[32:35], v[11:12]
	flat_load_b128 v[36:39], v[11:12] offset:16
	s_waitcnt vmcnt(1) lgkmcnt(1)
	v_dual_mul_f32 v11, v24, v33 :: v_dual_mul_f32 v12, v27, v35
	s_waitcnt vmcnt(0) lgkmcnt(0)
	v_dual_mul_f32 v20, v26, v35 :: v_dual_mul_f32 v35, v28, v37
	s_delay_alu instid0(VALU_DEP_2) | instskip(SKIP_1) | instid1(VALU_DEP_3)
	v_fmac_f32_e32 v11, v25, v32
	v_mul_f32_e32 v0, v25, v33
	v_dual_mul_f32 v33, v29, v37 :: v_dual_fmac_f32 v20, v27, v34
	v_fma_f32 v12, v26, v34, -v12
	s_delay_alu instid0(VALU_DEP_4) | instskip(NEXT) | instid1(VALU_DEP_4)
	v_add_f32_e32 v11, 0, v11
	v_fma_f32 v0, v24, v32, -v0
	v_mul_f32_e32 v25, v30, v39
	v_mul_f32_e32 v24, v31, v39
	v_fma_f32 v26, v28, v36, -v33
	v_add_f32_e32 v11, v11, v20
	s_delay_alu instid0(VALU_DEP_4) | instskip(NEXT) | instid1(VALU_DEP_1)
	v_dual_add_f32 v0, 0, v0 :: v_dual_fmac_f32 v25, v31, v38
	v_add_f32_e32 v0, v0, v12
	v_fmac_f32_e32 v35, v29, v36
	v_fma_f32 v12, v30, v38, -v24
	s_delay_alu instid0(VALU_DEP_2) | instskip(NEXT) | instid1(VALU_DEP_1)
	v_dual_add_f32 v0, v0, v26 :: v_dual_add_f32 v11, v11, v35
	v_add_f32_e32 v0, v0, v12
	s_delay_alu instid0(VALU_DEP_2)
	v_add_f32_e32 v20, v11, v25
	s_and_not1_saveexec_b32 s17, s15
	s_cbranch_execz .LBB311_65
.LBB311_73:                             ;   in Loop: Header=BB311_63 Depth=1
	v_mov_b32_e32 v0, 0
	v_mov_b32_e32 v20, 0
	s_and_saveexec_b32 s18, s16
	s_cbranch_execz .LBB311_78
; %bb.74:                               ;   in Loop: Header=BB311_63 Depth=1
	s_waitcnt lgkmcnt(0)
	v_dual_mov_b32 v0, 0 :: v_dual_mov_b32 v11, v1
	s_mov_b32 s15, s27
.LBB311_75:                             ;   Parent Loop BB311_63 Depth=1
                                        ; =>  This Inner Loop Header: Depth=2
	s_delay_alu instid0(VALU_DEP_1) | instskip(SKIP_1) | instid1(SALU_CYCLE_1)
	v_ashrrev_i32_e32 v12, 31, v11
	s_add_i32 s15, s15, -1
	s_cmp_eq_u32 s15, 0
	s_delay_alu instid0(VALU_DEP_1) | instskip(SKIP_1) | instid1(VALU_DEP_2)
	v_lshlrev_b64 v[24:25], 3, v[11:12]
	v_add_nc_u32_e32 v11, s26, v11
	v_add_co_u32 v24, s4, s6, v24
	s_delay_alu instid0(VALU_DEP_1)
	v_add_co_ci_u32_e64 v25, s4, s7, v25, s4
	flat_load_b64 v[24:25], v[24:25]
	s_waitcnt vmcnt(0) lgkmcnt(0)
	scratch_store_b64 v0, v[24:25], off
	v_add_nc_u32_e32 v0, 8, v0
	s_cbranch_scc0 .LBB311_75
; %bb.76:                               ;   in Loop: Header=BB311_63 Depth=1
	s_ashr_i32 s15, s14, 31
	v_mov_b32_e32 v0, 0
	s_lshl_b64 s[20:21], s[14:15], 3
	v_mov_b32_e32 v24, v23
	v_add_co_u32 v11, s4, v21, s20
	s_delay_alu instid0(VALU_DEP_1)
	v_add_co_ci_u32_e64 v12, s4, s21, v22, s4
	v_mov_b32_e32 v20, 0
	s_mov_b32 s15, s27
	.p2align	6
.LBB311_77:                             ;   Parent Loop BB311_63 Depth=1
                                        ; =>  This Inner Loop Header: Depth=2
	flat_load_b64 v[25:26], v[11:12]
	scratch_load_b64 v[27:28], v24, off offset:-4
	v_add_co_u32 v11, s4, v11, 8
	s_delay_alu instid0(VALU_DEP_1)
	v_add_co_ci_u32_e64 v12, s4, 0, v12, s4
	s_add_i32 s15, s15, -1
	v_add_nc_u32_e32 v24, 8, v24
	s_cmp_lg_u32 s15, 0
	s_waitcnt vmcnt(0) lgkmcnt(0)
	v_mul_f32_e32 v29, v28, v26
	v_mul_f32_e32 v26, v27, v26
	s_delay_alu instid0(VALU_DEP_2) | instskip(NEXT) | instid1(VALU_DEP_2)
	v_fma_f32 v27, v27, v25, -v29
	v_fmac_f32_e32 v26, v28, v25
	s_delay_alu instid0(VALU_DEP_2) | instskip(NEXT) | instid1(VALU_DEP_2)
	v_add_f32_e32 v0, v0, v27
	v_add_f32_e32 v20, v20, v26
	s_cbranch_scc1 .LBB311_77
.LBB311_78:                             ;   in Loop: Header=BB311_63 Depth=1
	s_or_b32 exec_lo, exec_lo, s18
	s_delay_alu instid0(SALU_CYCLE_1)
	s_or_b32 exec_lo, exec_lo, s17
	s_and_saveexec_b32 s4, s0
	s_cbranch_execnz .LBB311_66
	s_branch .LBB311_67
.LBB311_79:                             ;   in Loop: Header=BB311_63 Depth=1
	ds_load_b64 v[11:12], v13
	s_or_b32 exec_lo, exec_lo, s4
	s_and_saveexec_b32 s4, s0
	s_cbranch_execz .LBB311_71
.LBB311_80:                             ;   in Loop: Header=BB311_63 Depth=1
	s_waitcnt lgkmcnt(0)
	ds_bpermute_b32 v0, v16, v11
	ds_bpermute_b32 v20, v16, v12
	s_waitcnt lgkmcnt(1)
	v_add_f32_e32 v0, v11, v0
	s_waitcnt lgkmcnt(0)
	v_add_f32_e32 v11, v12, v20
	ds_bpermute_b32 v12, v17, v0
	ds_bpermute_b32 v20, v17, v11
	s_waitcnt lgkmcnt(1)
	v_add_f32_e32 v0, v0, v12
	s_waitcnt lgkmcnt(0)
	v_add_f32_e32 v12, v11, v20
	ds_bpermute_b32 v11, v18, v0
	s_waitcnt lgkmcnt(0)
	v_add_f32_e32 v11, v0, v11
	ds_bpermute_b32 v20, v18, v12
	s_waitcnt lgkmcnt(0)
	v_add_f32_e32 v12, v12, v20
	s_or_b32 exec_lo, exec_lo, s4
	s_and_saveexec_b32 s4, s3
	s_cbranch_execz .LBB311_62
.LBB311_81:                             ;   in Loop: Header=BB311_63 Depth=1
	s_waitcnt lgkmcnt(0)
	v_mul_f32_e32 v25, s10, v12
	v_mul_f32_e32 v0, s11, v12
	s_mul_hi_u32 s19, s28, s12
	s_mul_i32 s18, s28, s12
	s_delay_alu instid0(VALU_DEP_2) | instskip(NEXT) | instid1(VALU_DEP_2)
	v_fmac_f32_e32 v25, s11, v11
	v_fma_f32 v24, v11, s10, -v0
	s_lshl_b64 s[18:19], s[18:19], 3
	s_delay_alu instid0(SALU_CYCLE_1)
	s_add_u32 s18, s8, s18
	s_addc_u32 s19, s5, s19
	global_store_b64 v10, v[24:25], s[18:19]
	s_branch .LBB311_62
.LBB311_82:
	s_nop 0
	s_sendmsg sendmsg(MSG_DEALLOC_VGPRS)
	s_endpgm
	.section	.rodata,"a",@progbits
	.p2align	6, 0x0
	.amdhsa_kernel _ZL23rocblas_gemvt_sn_kernelILb0ELi256ELi4EiPK19rocblas_complex_numIfES1_S1_EviiT4_lPKT3_lilS7_lilPT5_i
		.amdhsa_group_segment_fixed_size 256
		.amdhsa_private_segment_fixed_size 48
		.amdhsa_kernarg_size 360
		.amdhsa_user_sgpr_count 14
		.amdhsa_user_sgpr_dispatch_ptr 0
		.amdhsa_user_sgpr_queue_ptr 0
		.amdhsa_user_sgpr_kernarg_segment_ptr 1
		.amdhsa_user_sgpr_dispatch_id 0
		.amdhsa_user_sgpr_private_segment_size 0
		.amdhsa_wavefront_size32 1
		.amdhsa_uses_dynamic_stack 0
		.amdhsa_enable_private_segment 1
		.amdhsa_system_sgpr_workgroup_id_x 1
		.amdhsa_system_sgpr_workgroup_id_y 0
		.amdhsa_system_sgpr_workgroup_id_z 1
		.amdhsa_system_sgpr_workgroup_info 0
		.amdhsa_system_vgpr_workitem_id 0
		.amdhsa_next_free_vgpr 84
		.amdhsa_next_free_sgpr 44
		.amdhsa_reserve_vcc 1
		.amdhsa_float_round_mode_32 0
		.amdhsa_float_round_mode_16_64 0
		.amdhsa_float_denorm_mode_32 3
		.amdhsa_float_denorm_mode_16_64 3
		.amdhsa_dx10_clamp 1
		.amdhsa_ieee_mode 1
		.amdhsa_fp16_overflow 0
		.amdhsa_workgroup_processor_mode 1
		.amdhsa_memory_ordered 1
		.amdhsa_forward_progress 0
		.amdhsa_shared_vgpr_count 0
		.amdhsa_exception_fp_ieee_invalid_op 0
		.amdhsa_exception_fp_denorm_src 0
		.amdhsa_exception_fp_ieee_div_zero 0
		.amdhsa_exception_fp_ieee_overflow 0
		.amdhsa_exception_fp_ieee_underflow 0
		.amdhsa_exception_fp_ieee_inexact 0
		.amdhsa_exception_int_div_zero 0
	.end_amdhsa_kernel
	.section	.text._ZL23rocblas_gemvt_sn_kernelILb0ELi256ELi4EiPK19rocblas_complex_numIfES1_S1_EviiT4_lPKT3_lilS7_lilPT5_i,"axG",@progbits,_ZL23rocblas_gemvt_sn_kernelILb0ELi256ELi4EiPK19rocblas_complex_numIfES1_S1_EviiT4_lPKT3_lilS7_lilPT5_i,comdat
.Lfunc_end311:
	.size	_ZL23rocblas_gemvt_sn_kernelILb0ELi256ELi4EiPK19rocblas_complex_numIfES1_S1_EviiT4_lPKT3_lilS7_lilPT5_i, .Lfunc_end311-_ZL23rocblas_gemvt_sn_kernelILb0ELi256ELi4EiPK19rocblas_complex_numIfES1_S1_EviiT4_lPKT3_lilS7_lilPT5_i
                                        ; -- End function
	.section	.AMDGPU.csdata,"",@progbits
; Kernel info:
; codeLenInByte = 5436
; NumSgprs: 46
; NumVgprs: 84
; ScratchSize: 48
; MemoryBound: 0
; FloatMode: 240
; IeeeMode: 1
; LDSByteSize: 256 bytes/workgroup (compile time only)
; SGPRBlocks: 5
; VGPRBlocks: 10
; NumSGPRsForWavesPerEU: 46
; NumVGPRsForWavesPerEU: 84
; Occupancy: 16
; WaveLimiterHint : 0
; COMPUTE_PGM_RSRC2:SCRATCH_EN: 1
; COMPUTE_PGM_RSRC2:USER_SGPR: 14
; COMPUTE_PGM_RSRC2:TRAP_HANDLER: 0
; COMPUTE_PGM_RSRC2:TGID_X_EN: 1
; COMPUTE_PGM_RSRC2:TGID_Y_EN: 0
; COMPUTE_PGM_RSRC2:TGID_Z_EN: 1
; COMPUTE_PGM_RSRC2:TIDIG_COMP_CNT: 0
	.section	.text._ZL23rocblas_gemvt_sn_kernelILb0ELi256ELi4ElPK19rocblas_complex_numIfES1_S1_EviiT4_lPKT3_lilS7_lilPT5_i,"axG",@progbits,_ZL23rocblas_gemvt_sn_kernelILb0ELi256ELi4ElPK19rocblas_complex_numIfES1_S1_EviiT4_lPKT3_lilS7_lilPT5_i,comdat
	.globl	_ZL23rocblas_gemvt_sn_kernelILb0ELi256ELi4ElPK19rocblas_complex_numIfES1_S1_EviiT4_lPKT3_lilS7_lilPT5_i ; -- Begin function _ZL23rocblas_gemvt_sn_kernelILb0ELi256ELi4ElPK19rocblas_complex_numIfES1_S1_EviiT4_lPKT3_lilS7_lilPT5_i
	.p2align	8
	.type	_ZL23rocblas_gemvt_sn_kernelILb0ELi256ELi4ElPK19rocblas_complex_numIfES1_S1_EviiT4_lPKT3_lilS7_lilPT5_i,@function
_ZL23rocblas_gemvt_sn_kernelILb0ELi256ELi4ElPK19rocblas_complex_numIfES1_S1_EviiT4_lPKT3_lilS7_lilPT5_i: ; @_ZL23rocblas_gemvt_sn_kernelILb0ELi256ELi4ElPK19rocblas_complex_numIfES1_S1_EviiT4_lPKT3_lilS7_lilPT5_i
; %bb.0:
	s_load_b128 s[8:11], s[0:1], 0x0
	s_mov_b32 s2, s15
	s_waitcnt lgkmcnt(0)
	s_or_b32 s3, s10, s11
	s_delay_alu instid0(SALU_CYCLE_1) | instskip(NEXT) | instid1(SALU_CYCLE_1)
	s_bitset0_b32 s3, 31
	s_cmp_lg_u32 s3, 0
	s_cselect_b32 s4, -1, 0
	s_cmp_eq_u32 s3, 0
	s_mov_b32 s3, 0
	s_cselect_b32 s12, -1, 0
	s_and_b32 vcc_lo, exec_lo, s4
	s_cbranch_vccnz .LBB312_2
; %bb.1:
	s_mov_b64 s[16:17], 0
	s_and_not1_b32 vcc_lo, exec_lo, s3
	s_cbranch_vccz .LBB312_3
	s_branch .LBB312_4
.LBB312_2:
	s_mov_b32 s3, -1
                                        ; implicit-def: $sgpr16_sgpr17
.LBB312_3:
	s_load_b128 s[16:19], s[0:1], 0x18
	s_mov_b32 s3, 0
	s_delay_alu instid0(SALU_CYCLE_1)
	s_lshl_b64 s[6:7], s[2:3], 3
	s_waitcnt lgkmcnt(0)
	s_add_u32 s6, s16, s6
	s_addc_u32 s7, s17, s7
	s_lshl_b64 s[16:17], s[18:19], 3
	s_load_b64 s[6:7], s[6:7], 0x0
	s_waitcnt lgkmcnt(0)
	s_add_u32 s16, s6, s16
	s_addc_u32 s17, s7, s17
.LBB312_4:
	s_and_not1_b32 vcc_lo, exec_lo, s4
	s_mov_b64 s[18:19], 0
	s_cbranch_vccnz .LBB312_6
; %bb.5:
	s_load_b128 s[4:7], s[0:1], 0x38
	s_lshl_b64 s[18:19], s[2:3], 3
	s_waitcnt lgkmcnt(0)
	s_add_u32 s4, s4, s18
	s_addc_u32 s5, s5, s19
	s_lshl_b64 s[6:7], s[6:7], 3
	s_load_b64 s[4:5], s[4:5], 0x0
	s_waitcnt lgkmcnt(0)
	s_add_u32 s18, s4, s6
	s_addc_u32 s19, s5, s7
.LBB312_6:
	s_clause 0x1
	s_load_b32 s6, s[0:1], 0x68
	s_load_b64 s[4:5], s[0:1], 0x58
	s_ashr_i32 s24, s9, 31
	s_mul_hi_u32 s13, s2, s9
	s_mul_i32 s15, s2, s24
	s_mul_i32 s3, s3, s9
	s_add_i32 s13, s13, s15
	s_mul_i32 s20, s2, s9
	s_add_i32 s3, s13, s3
	v_cmp_eq_u32_e64 s2, 0, v0
	s_and_not1_b32 vcc_lo, exec_lo, s12
	s_mov_b32 s7, 0
	s_waitcnt lgkmcnt(0)
	s_mul_i32 s3, s3, s6
	s_mul_hi_u32 s12, s20, s6
	s_mul_i32 s22, s20, s6
	s_add_i32 s23, s12, s3
	s_mov_b32 s3, -1
	s_cbranch_vccnz .LBB312_11
; %bb.7:
	s_cmp_gt_i32 s9, 0
	s_cselect_b32 s3, -1, 0
	s_delay_alu instid0(SALU_CYCLE_1) | instskip(NEXT) | instid1(SALU_CYCLE_1)
	s_and_b32 s2, s2, s3
	s_and_saveexec_b32 s20, s2
	s_cbranch_execz .LBB312_10
; %bb.8:
	s_mov_b32 s15, 0
	v_mov_b32_e32 v1, 0
	s_lshl_b64 s[2:3], s[22:23], 3
	s_lshl_b64 s[12:13], s[14:15], 3
	s_delay_alu instid0(SALU_CYCLE_1)
	s_add_u32 s2, s2, s12
	s_addc_u32 s3, s3, s13
	s_add_u32 s2, s2, s4
	v_mov_b32_e32 v2, v1
	s_addc_u32 s3, s3, s5
	s_add_u32 s2, s2, 4
	s_addc_u32 s3, s3, 0
	s_lshl_b64 s[12:13], s[6:7], 3
	s_mov_b32 s7, s9
.LBB312_9:                              ; =>This Inner Loop Header: Depth=1
	s_delay_alu instid0(SALU_CYCLE_1)
	s_add_i32 s7, s7, -1
	global_store_b64 v1, v[1:2], s[2:3] offset:-4
	s_add_u32 s2, s2, s12
	s_addc_u32 s3, s3, s13
	s_cmp_eq_u32 s7, 0
	s_cbranch_scc0 .LBB312_9
.LBB312_10:
	s_or_b32 exec_lo, exec_lo, s20
	s_mov_b32 s3, 0
.LBB312_11:
	s_delay_alu instid0(SALU_CYCLE_1)
	s_and_not1_b32 vcc_lo, exec_lo, s3
	s_cbranch_vccnz .LBB312_82
; %bb.12:
	s_clause 0x1
	s_load_b32 s12, s[0:1], 0x28
	s_load_b32 s20, s[0:1], 0x48
	s_lshl_b64 s[2:3], s[22:23], 3
	v_and_b32_e32 v29, 31, v0
	v_cmp_gt_u32_e64 s0, 32, v0
	v_mbcnt_lo_u32_b32 v32, -1, 0
	v_cmp_gt_u32_e64 s1, 8, v0
	v_lshrrev_b32_e32 v31, 2, v0
	v_or_b32_e64 v26, 0, 4
	s_waitcnt lgkmcnt(0)
	s_ashr_i32 s13, s12, 31
	s_ashr_i32 s21, s20, 31
	s_add_u32 s30, s4, s2
	s_addc_u32 s31, s5, s3
	s_lshl_b32 s2, s14, 10
	s_ashr_i32 s3, s8, 31
	v_lshl_or_b32 v5, v0, 2, s2
	s_lshr_b32 s2, s24, 30
	s_lshr_b32 s3, s3, 30
	s_add_i32 s2, s9, s2
	s_add_i32 s3, s8, s3
	v_ashrrev_i32_e32 v6, 31, v5
	s_and_b32 s33, s2, -4
	s_and_b32 s2, s3, -4
	v_add_nc_u32_e32 v33, 4, v5
	s_sub_i32 s7, s8, s2
	v_lshlrev_b64 v[3:4], 3, v[5:6]
	v_or_b32_e32 v30, 1, v5
	v_or_b32_e32 v28, 2, v5
	;; [unrolled: 1-line block ×3, first 2 shown]
	v_add_nc_u32_e32 v34, s7, v5
	s_cmp_lt_i32 s33, 1
	v_add_co_u32 v1, vcc_lo, s16, v3
	v_add_co_ci_u32_e32 v2, vcc_lo, s17, v4, vcc_lo
	s_cbranch_scc1 .LBB312_59
; %bb.13:
	v_cmp_gt_u32_e32 vcc_lo, 16, v32
	v_mad_i64_i32 v[12:13], null, s20, v27, 0
	s_mov_b32 s15, 0
	s_cmp_gt_i32 s7, 0
	v_cndmask_b32_e64 v6, 0, 1, vcc_lo
	v_cmp_gt_u32_e32 vcc_lo, 24, v32
	v_cmp_ge_i32_e64 s2, s8, v33
	v_cmp_ge_i32_e64 s3, s8, v34
	v_lshlrev_b64 v[12:13], 3, v[12:13]
	v_dual_mov_b32 v17, v2 :: v_dual_lshlrev_b32 v6, 4, v6
	v_cndmask_b32_e64 v7, 0, 1, vcc_lo
	v_cmp_gt_u32_e32 vcc_lo, 28, v32
	s_cselect_b32 s34, -1, 0
	s_delay_alu instid0(VALU_DEP_3) | instskip(NEXT) | instid1(VALU_DEP_3)
	v_add_lshl_u32 v35, v6, v32, 2
	v_dual_mov_b32 v14, 0 :: v_dual_lshlrev_b32 v7, 3, v7
	v_cndmask_b32_e64 v8, 0, 1, vcc_lo
	v_cmp_gt_u32_e32 vcc_lo, 30, v32
	v_cmp_eq_u32_e64 s4, 0, v29
	v_lshlrev_b32_e32 v40, 3, v29
	v_add_lshl_u32 v36, v7, v32, 2
	v_lshlrev_b32_e32 v8, 2, v8
	v_cndmask_b32_e64 v9, 0, 1, vcc_lo
	v_cmp_ne_u32_e32 vcc_lo, 31, v32
	v_mad_i64_i32 v[6:7], null, s20, v5, 0
	s_delay_alu instid0(VALU_DEP_4) | instskip(NEXT) | instid1(VALU_DEP_4)
	v_add_lshl_u32 v37, v8, v32, 2
	v_dual_mov_b32 v16, v1 :: v_dual_lshlrev_b32 v9, 1, v9
	v_add_co_ci_u32_e32 v10, vcc_lo, 0, v32, vcc_lo
	v_and_b32_e32 v41, 56, v31
	s_delay_alu instid0(VALU_DEP_3) | instskip(SKIP_1) | instid1(VALU_DEP_4)
	v_add_lshl_u32 v38, v9, v32, 2
	v_mad_i64_i32 v[8:9], null, s20, v30, 0
	v_lshlrev_b32_e32 v39, 2, v10
	v_mad_i64_i32 v[10:11], null, s20, v28, 0
	v_lshlrev_b64 v[6:7], 3, v[6:7]
	s_lshl_b64 s[22:23], s[14:15], 3
	v_cmp_eq_u32_e64 s5, 0, v0
	v_lshlrev_b64 v[8:9], 3, v[8:9]
	v_or_b32_e64 v42, 0, 4
	s_add_u32 s35, s30, s22
	v_add_co_u32 v6, vcc_lo, s18, v6
	v_lshlrev_b64 v[10:11], 3, v[10:11]
	v_add_co_ci_u32_e32 v7, vcc_lo, s19, v7, vcc_lo
	v_add_co_u32 v8, vcc_lo, s18, v8
	v_add_co_ci_u32_e32 v9, vcc_lo, s19, v9, vcc_lo
	s_delay_alu instid0(VALU_DEP_4)
	v_add_co_u32 v10, vcc_lo, s18, v10
	v_add_co_ci_u32_e32 v11, vcc_lo, s19, v11, vcc_lo
	v_add_co_u32 v12, vcc_lo, s18, v12
	v_add_co_ci_u32_e32 v13, vcc_lo, s19, v13, vcc_lo
	s_addc_u32 s36, s31, s23
	s_lshl_b64 s[22:23], s[20:21], 3
	s_lshl_b64 s[24:25], s[12:13], 5
	s_mul_hi_i32 s37, s12, 24
	s_mul_i32 s38, s12, 24
	s_lshl_b64 s[26:27], s[12:13], 4
	s_lshl_b64 s[28:29], s[12:13], 3
	s_branch .LBB312_15
.LBB312_14:                             ;   in Loop: Header=BB312_15 Depth=1
	s_or_b32 exec_lo, exec_lo, s39
	v_add_co_u32 v16, vcc_lo, v16, s24
	v_add_co_ci_u32_e32 v17, vcc_lo, s25, v17, vcc_lo
	s_add_i32 s15, s15, 4
	s_delay_alu instid0(SALU_CYCLE_1)
	s_cmp_ge_i32 s15, s33
	s_cbranch_scc1 .LBB312_60
.LBB312_15:                             ; =>This Loop Header: Depth=1
                                        ;     Child Loop BB312_46 Depth 2
                                        ;     Child Loop BB312_48 Depth 2
                                        ; implicit-def: $vgpr43
                                        ; implicit-def: $vgpr44
                                        ; implicit-def: $vgpr20
                                        ; implicit-def: $vgpr21
                                        ; implicit-def: $vgpr22
                                        ; implicit-def: $vgpr23
                                        ; implicit-def: $vgpr25
                                        ; implicit-def: $vgpr24
	s_and_saveexec_b32 s39, s2
	s_delay_alu instid0(SALU_CYCLE_1)
	s_xor_b32 s39, exec_lo, s39
	s_cbranch_execnz .LBB312_42
; %bb.16:                               ;   in Loop: Header=BB312_15 Depth=1
	s_and_not1_saveexec_b32 s39, s39
	s_cbranch_execnz .LBB312_43
.LBB312_17:                             ;   in Loop: Header=BB312_15 Depth=1
	s_or_b32 exec_lo, exec_lo, s39
	s_and_saveexec_b32 s39, s0
	s_cbranch_execz .LBB312_19
.LBB312_18:                             ;   in Loop: Header=BB312_15 Depth=1
	v_mov_b32_e32 v15, v14
	ds_store_b64 v40, v[14:15]
.LBB312_19:                             ;   in Loop: Header=BB312_15 Depth=1
	s_or_b32 exec_lo, exec_lo, s39
	ds_bpermute_b32 v15, v35, v43
	ds_bpermute_b32 v18, v35, v44
	s_waitcnt lgkmcnt(0)
	s_waitcnt_vscnt null, 0x0
	s_barrier
	buffer_gl0_inv
	v_dual_add_f32 v15, v43, v15 :: v_dual_add_f32 v18, v44, v18
	ds_bpermute_b32 v19, v36, v15
	ds_bpermute_b32 v43, v36, v18
	s_waitcnt lgkmcnt(1)
	v_add_f32_e32 v15, v15, v19
	s_waitcnt lgkmcnt(0)
	v_add_f32_e32 v18, v18, v43
	ds_bpermute_b32 v19, v37, v15
	ds_bpermute_b32 v43, v37, v18
	s_waitcnt lgkmcnt(1)
	v_add_f32_e32 v15, v15, v19
	s_waitcnt lgkmcnt(0)
	v_add_f32_e32 v18, v18, v43
	;; [unrolled: 6-line block ×3, first 2 shown]
	ds_bpermute_b32 v19, v39, v15
	ds_bpermute_b32 v43, v39, v18
	s_and_saveexec_b32 s39, s4
	s_cbranch_execz .LBB312_21
; %bb.20:                               ;   in Loop: Header=BB312_15 Depth=1
	s_waitcnt lgkmcnt(0)
	v_add_f32_e32 v44, v18, v43
	v_add_f32_e32 v43, v15, v19
	ds_store_b64 v41, v[43:44]
.LBB312_21:                             ;   in Loop: Header=BB312_15 Depth=1
	s_or_b32 exec_lo, exec_lo, s39
	s_waitcnt lgkmcnt(1)
	v_dual_mov_b32 v19, 0 :: v_dual_mov_b32 v18, 0
	s_waitcnt lgkmcnt(0)
	s_barrier
	buffer_gl0_inv
	s_and_saveexec_b32 s39, s1
	s_cbranch_execnz .LBB312_50
; %bb.22:                               ;   in Loop: Header=BB312_15 Depth=1
	s_or_b32 exec_lo, exec_lo, s39
	s_and_saveexec_b32 s39, s0
	s_cbranch_execnz .LBB312_51
.LBB312_23:                             ;   in Loop: Header=BB312_15 Depth=1
	s_or_b32 exec_lo, exec_lo, s39
	s_and_saveexec_b32 s39, s0
	s_cbranch_execz .LBB312_25
.LBB312_24:                             ;   in Loop: Header=BB312_15 Depth=1
	v_mov_b32_e32 v15, v14
	ds_store_b64 v40, v[14:15]
.LBB312_25:                             ;   in Loop: Header=BB312_15 Depth=1
	s_or_b32 exec_lo, exec_lo, s39
	ds_bpermute_b32 v15, v35, v20
	ds_bpermute_b32 v43, v35, v21
	s_waitcnt lgkmcnt(0)
	s_barrier
	buffer_gl0_inv
	v_add_f32_e32 v15, v20, v15
	v_add_f32_e32 v20, v21, v43
	ds_bpermute_b32 v21, v36, v15
	s_waitcnt lgkmcnt(0)
	v_add_f32_e32 v15, v15, v21
	ds_bpermute_b32 v43, v36, v20
	ds_bpermute_b32 v21, v37, v15
	s_waitcnt lgkmcnt(0)
	v_dual_add_f32 v20, v20, v43 :: v_dual_add_f32 v15, v15, v21
	ds_bpermute_b32 v43, v37, v20
	ds_bpermute_b32 v21, v38, v15
	s_waitcnt lgkmcnt(0)
	v_dual_add_f32 v20, v20, v43 :: v_dual_add_f32 v15, v15, v21
	ds_bpermute_b32 v43, v38, v20
	ds_bpermute_b32 v21, v39, v15
	s_waitcnt lgkmcnt(1)
	v_add_f32_e32 v20, v20, v43
	ds_bpermute_b32 v43, v39, v20
	s_and_saveexec_b32 s39, s4
	s_cbranch_execz .LBB312_27
; %bb.26:                               ;   in Loop: Header=BB312_15 Depth=1
	s_waitcnt lgkmcnt(0)
	v_dual_add_f32 v44, v20, v43 :: v_dual_add_f32 v43, v15, v21
	ds_store_b64 v41, v[43:44]
.LBB312_27:                             ;   in Loop: Header=BB312_15 Depth=1
	s_or_b32 exec_lo, exec_lo, s39
	s_waitcnt lgkmcnt(1)
	v_dual_mov_b32 v21, 0 :: v_dual_mov_b32 v20, 0
	s_waitcnt lgkmcnt(0)
	s_barrier
	buffer_gl0_inv
	s_and_saveexec_b32 s39, s1
	s_cbranch_execnz .LBB312_52
; %bb.28:                               ;   in Loop: Header=BB312_15 Depth=1
	s_or_b32 exec_lo, exec_lo, s39
	s_and_saveexec_b32 s39, s0
	s_cbranch_execnz .LBB312_53
.LBB312_29:                             ;   in Loop: Header=BB312_15 Depth=1
	s_or_b32 exec_lo, exec_lo, s39
	s_and_saveexec_b32 s39, s0
	s_cbranch_execz .LBB312_31
.LBB312_30:                             ;   in Loop: Header=BB312_15 Depth=1
	v_mov_b32_e32 v15, v14
	ds_store_b64 v40, v[14:15]
.LBB312_31:                             ;   in Loop: Header=BB312_15 Depth=1
	s_or_b32 exec_lo, exec_lo, s39
	ds_bpermute_b32 v15, v35, v22
	ds_bpermute_b32 v43, v35, v23
	s_waitcnt lgkmcnt(0)
	s_barrier
	buffer_gl0_inv
	v_add_f32_e32 v15, v22, v15
	v_add_f32_e32 v22, v23, v43
	ds_bpermute_b32 v23, v36, v15
	ds_bpermute_b32 v43, v36, v22
	s_waitcnt lgkmcnt(1)
	v_add_f32_e32 v15, v15, v23
	s_waitcnt lgkmcnt(0)
	v_add_f32_e32 v22, v22, v43
	ds_bpermute_b32 v23, v37, v15
	ds_bpermute_b32 v43, v37, v22
	s_waitcnt lgkmcnt(1)
	v_add_f32_e32 v15, v15, v23
	s_waitcnt lgkmcnt(0)
	;; [unrolled: 6-line block ×3, first 2 shown]
	v_add_f32_e32 v22, v22, v43
	ds_bpermute_b32 v23, v39, v15
	ds_bpermute_b32 v43, v39, v22
	s_and_saveexec_b32 s39, s4
	s_cbranch_execz .LBB312_33
; %bb.32:                               ;   in Loop: Header=BB312_15 Depth=1
	s_waitcnt lgkmcnt(0)
	v_add_f32_e32 v44, v22, v43
	v_add_f32_e32 v43, v15, v23
	ds_store_b64 v41, v[43:44]
.LBB312_33:                             ;   in Loop: Header=BB312_15 Depth=1
	s_or_b32 exec_lo, exec_lo, s39
	s_waitcnt lgkmcnt(1)
	v_dual_mov_b32 v23, 0 :: v_dual_mov_b32 v22, 0
	s_waitcnt lgkmcnt(0)
	s_barrier
	buffer_gl0_inv
	s_and_saveexec_b32 s39, s1
	s_cbranch_execnz .LBB312_54
; %bb.34:                               ;   in Loop: Header=BB312_15 Depth=1
	s_or_b32 exec_lo, exec_lo, s39
	s_and_saveexec_b32 s39, s0
	s_cbranch_execnz .LBB312_55
.LBB312_35:                             ;   in Loop: Header=BB312_15 Depth=1
	s_or_b32 exec_lo, exec_lo, s39
	s_and_saveexec_b32 s39, s0
	s_cbranch_execz .LBB312_37
.LBB312_36:                             ;   in Loop: Header=BB312_15 Depth=1
	v_mov_b32_e32 v15, v14
	ds_store_b64 v40, v[14:15]
.LBB312_37:                             ;   in Loop: Header=BB312_15 Depth=1
	s_or_b32 exec_lo, exec_lo, s39
	ds_bpermute_b32 v15, v35, v25
	ds_bpermute_b32 v43, v35, v24
	s_waitcnt lgkmcnt(0)
	s_barrier
	buffer_gl0_inv
	v_add_f32_e32 v15, v25, v15
	ds_bpermute_b32 v25, v36, v15
	s_waitcnt lgkmcnt(0)
	v_dual_add_f32 v24, v24, v43 :: v_dual_add_f32 v15, v15, v25
	ds_bpermute_b32 v43, v36, v24
	ds_bpermute_b32 v25, v37, v15
	s_waitcnt lgkmcnt(0)
	v_dual_add_f32 v24, v24, v43 :: v_dual_add_f32 v15, v15, v25
	ds_bpermute_b32 v43, v37, v24
	;; [unrolled: 4-line block ×3, first 2 shown]
	ds_bpermute_b32 v25, v39, v15
	s_waitcnt lgkmcnt(1)
	v_add_f32_e32 v24, v24, v43
	ds_bpermute_b32 v43, v39, v24
	s_and_saveexec_b32 s39, s4
	s_cbranch_execz .LBB312_39
; %bb.38:                               ;   in Loop: Header=BB312_15 Depth=1
	s_waitcnt lgkmcnt(0)
	v_dual_add_f32 v44, v24, v43 :: v_dual_add_f32 v43, v15, v25
	ds_store_b64 v41, v[43:44]
.LBB312_39:                             ;   in Loop: Header=BB312_15 Depth=1
	s_or_b32 exec_lo, exec_lo, s39
	s_waitcnt lgkmcnt(1)
	v_dual_mov_b32 v25, 0 :: v_dual_mov_b32 v24, 0
	s_waitcnt lgkmcnt(0)
	s_barrier
	buffer_gl0_inv
	s_and_saveexec_b32 s39, s1
	s_cbranch_execnz .LBB312_56
; %bb.40:                               ;   in Loop: Header=BB312_15 Depth=1
	s_or_b32 exec_lo, exec_lo, s39
	s_and_saveexec_b32 s39, s0
	s_cbranch_execnz .LBB312_57
.LBB312_41:                             ;   in Loop: Header=BB312_15 Depth=1
	s_or_b32 exec_lo, exec_lo, s39
	s_and_saveexec_b32 s39, s5
	s_cbranch_execz .LBB312_14
	s_branch .LBB312_58
.LBB312_42:                             ;   in Loop: Header=BB312_15 Depth=1
	s_clause 0x2
	flat_load_b64 v[18:19], v[6:7]
	flat_load_b64 v[20:21], v[8:9]
	;; [unrolled: 1-line block ×3, first 2 shown]
	s_waitcnt lgkmcnt(3)
	flat_load_b64 v[24:25], v[12:13]
	s_mul_i32 s41, s15, s13
	s_mul_hi_u32 s42, s15, s12
	s_mul_i32 s40, s15, s12
	s_add_i32 s41, s42, s41
	s_or_b32 s43, s15, 1
	s_lshl_b64 s[40:41], s[40:41], 3
	s_mul_i32 s47, s43, s13
	s_mul_hi_u32 s48, s43, s12
	s_or_b32 s44, s15, 2
	v_add_co_u32 v59, vcc_lo, v1, s40
	s_mul_i32 s42, s43, s12
	s_add_i32 s43, s48, s47
	s_or_b32 s45, s15, 3
	s_mul_i32 s49, s44, s13
	s_mul_hi_u32 s50, s44, s12
	v_add_co_ci_u32_e32 v60, vcc_lo, s41, v2, vcc_lo
	s_lshl_b64 s[40:41], s[42:43], 3
	s_mul_i32 s44, s44, s12
	s_mul_i32 s51, s45, s13
	s_mul_hi_u32 s52, s45, s12
	s_mul_i32 s46, s45, s12
	s_add_i32 s45, s50, s49
	v_add_co_u32 v63, vcc_lo, v1, s40
	s_lshl_b64 s[42:43], s[44:45], 3
	s_add_i32 s47, s52, s51
	v_add_co_ci_u32_e32 v64, vcc_lo, s41, v2, vcc_lo
	v_add_co_u32 v67, vcc_lo, v1, s42
	s_lshl_b64 s[44:45], s[46:47], 3
	v_add_co_ci_u32_e32 v68, vcc_lo, s43, v2, vcc_lo
	v_add_co_u32 v71, vcc_lo, v1, s44
	v_add_co_ci_u32_e32 v72, vcc_lo, s45, v2, vcc_lo
	s_waitcnt vmcnt(2) lgkmcnt(2)
	scratch_store_b128 off, v[18:21], off
	s_waitcnt vmcnt(0) lgkmcnt(0)
	scratch_store_b128 off, v[22:25], off offset:16
	s_clause 0x7
	flat_load_b128 v[43:46], v[59:60]
	flat_load_b128 v[47:50], v[63:64]
	;; [unrolled: 1-line block ×4, first 2 shown]
	flat_load_b128 v[59:62], v[59:60] offset:16
	flat_load_b128 v[63:66], v[63:64] offset:16
	;; [unrolled: 1-line block ×4, first 2 shown]
	s_waitcnt vmcnt(6) lgkmcnt(6)
	v_mul_f32_e32 v75, v19, v48
	s_waitcnt vmcnt(4) lgkmcnt(4)
	v_dual_mul_f32 v48, v18, v48 :: v_dual_mul_f32 v81, v21, v58
	s_waitcnt vmcnt(2) lgkmcnt(2)
	v_dual_mul_f32 v76, v19, v52 :: v_dual_mul_f32 v87, v25, v66
	v_dual_mul_f32 v15, v19, v44 :: v_dual_mul_f32 v78, v21, v46
	;; [unrolled: 1-line block ×3, first 2 shown]
	s_waitcnt vmcnt(0) lgkmcnt(0)
	v_dual_mul_f32 v52, v18, v52 :: v_dual_mul_f32 v89, v25, v74
	v_dual_mul_f32 v77, v19, v56 :: v_dual_mul_f32 v50, v20, v50
	;; [unrolled: 1-line block ×4, first 2 shown]
	v_fma_f32 v15, v18, v43, -v15
	v_mul_f32_e32 v56, v18, v56
	v_mul_f32_e32 v46, v20, v46
	v_fmac_f32_e32 v48, v19, v47
	v_fmac_f32_e32 v52, v19, v51
	;; [unrolled: 1-line block ×4, first 2 shown]
	v_fma_f32 v43, v18, v47, -v75
	v_mul_f32_e32 v82, v23, v60
	v_fma_f32 v47, v18, v51, -v76
	v_dual_mul_f32 v60, v22, v60 :: v_dual_add_f32 v15, 0, v15
	v_fmac_f32_e32 v56, v19, v55
	v_fma_f32 v19, v20, v45, -v78
	v_mul_f32_e32 v64, v22, v64
	v_mul_f32_e32 v74, v24, v74
	v_fma_f32 v51, v22, v63, -v83
	v_dual_mul_f32 v66, v24, v66 :: v_dual_add_f32 v47, 0, v47
	v_fmac_f32_e32 v60, v23, v59
	v_dual_add_f32 v15, v15, v19 :: v_dual_mul_f32 v86, v25, v62
	v_mul_f32_e32 v62, v24, v62
	v_fmac_f32_e32 v64, v23, v63
	v_mul_f32_e32 v88, v25, v70
	v_mul_f32_e32 v70, v24, v70
	;; [unrolled: 1-line block ×3, first 2 shown]
	v_fmac_f32_e32 v46, v21, v45
	v_fma_f32 v45, v20, v49, -v79
	v_fmac_f32_e32 v62, v25, v61
	v_fmac_f32_e32 v66, v25, v65
	;; [unrolled: 1-line block ×3, first 2 shown]
	v_dual_fmac_f32 v74, v25, v73 :: v_dual_add_f32 v25, 0, v44
	v_dual_mul_f32 v84, v23, v68 :: v_dual_add_f32 v43, 0, v43
	v_mul_f32_e32 v68, v22, v68
	v_add_f32_e32 v44, 0, v48
	v_add_f32_e32 v48, 0, v52
	v_fmac_f32_e32 v50, v21, v49
	v_mul_f32_e32 v72, v22, v72
	v_fmac_f32_e32 v58, v21, v57
	v_fma_f32 v21, v22, v59, -v82
	v_add_f32_e32 v19, v25, v46
	v_add_f32_e32 v25, v43, v45
	v_dual_add_f32 v43, v44, v50 :: v_dual_fmac_f32 v68, v23, v67
	v_add_f32_e32 v45, v48, v54
	v_fma_f32 v18, v18, v55, -v77
	v_fmac_f32_e32 v72, v23, v71
	v_add_f32_e32 v15, v15, v21
	v_fma_f32 v23, v24, v61, -v86
	v_add_f32_e32 v45, v45, v68
	v_fma_f32 v49, v20, v53, -v80
	v_fma_f32 v20, v20, v57, -v81
	v_dual_add_f32 v18, 0, v18 :: v_dual_add_f32 v21, v25, v51
	v_add_f32_e32 v25, v43, v64
	v_add_f32_e32 v43, v15, v23
	v_dual_add_f32 v23, v45, v70 :: v_dual_add_f32 v52, 0, v56
	v_fma_f32 v53, v22, v67, -v84
	v_fma_f32 v22, v22, v71, -v85
	v_add_f32_e32 v44, v47, v49
	v_add_f32_e32 v18, v18, v20
	;; [unrolled: 1-line block ×3, first 2 shown]
	v_fma_f32 v55, v24, v65, -v87
	v_fma_f32 v57, v24, v69, -v88
	;; [unrolled: 1-line block ×3, first 2 shown]
	v_dual_add_f32 v19, v19, v60 :: v_dual_add_f32 v46, v44, v53
	v_dual_add_f32 v18, v18, v22 :: v_dual_add_f32 v47, v20, v72
	v_add_f32_e32 v20, v21, v55
	s_delay_alu instid0(VALU_DEP_3) | instskip(NEXT) | instid1(VALU_DEP_4)
	v_add_f32_e32 v44, v19, v62
	v_dual_add_f32 v21, v25, v66 :: v_dual_add_f32 v22, v46, v57
	s_delay_alu instid0(VALU_DEP_4)
	v_dual_add_f32 v25, v18, v24 :: v_dual_add_f32 v24, v47, v74
	s_and_not1_saveexec_b32 s39, s39
	s_cbranch_execz .LBB312_17
.LBB312_43:                             ;   in Loop: Header=BB312_15 Depth=1
	v_dual_mov_b32 v43, 0 :: v_dual_mov_b32 v44, 0
	v_dual_mov_b32 v20, 0 :: v_dual_mov_b32 v21, 0
	;; [unrolled: 1-line block ×3, first 2 shown]
	s_waitcnt lgkmcnt(0)
	v_dual_mov_b32 v25, 0 :: v_dual_mov_b32 v24, 0
	s_and_saveexec_b32 s40, s3
	s_cbranch_execz .LBB312_49
; %bb.44:                               ;   in Loop: Header=BB312_15 Depth=1
	v_dual_mov_b32 v43, 0 :: v_dual_mov_b32 v44, 0
	v_dual_mov_b32 v20, 0 :: v_dual_mov_b32 v21, 0
	;; [unrolled: 1-line block ×4, first 2 shown]
	s_and_not1_b32 vcc_lo, exec_lo, s34
	s_cbranch_vccnz .LBB312_49
; %bb.45:                               ;   in Loop: Header=BB312_15 Depth=1
	v_mov_b32_e32 v19, v7
	v_dual_mov_b32 v15, 0 :: v_dual_mov_b32 v18, v6
	s_mov_b32 s41, s7
.LBB312_46:                             ;   Parent Loop BB312_15 Depth=1
                                        ; =>  This Inner Loop Header: Depth=2
	flat_load_b64 v[20:21], v[18:19]
	v_add_co_u32 v18, vcc_lo, v18, s22
	v_add_co_ci_u32_e32 v19, vcc_lo, s23, v19, vcc_lo
	s_add_i32 s41, s41, -1
	s_delay_alu instid0(SALU_CYCLE_1)
	s_cmp_eq_u32 s41, 0
	s_waitcnt vmcnt(0) lgkmcnt(0)
	scratch_store_b64 v15, v[20:21], off
	v_add_nc_u32_e32 v15, 8, v15
	s_cbranch_scc0 .LBB312_46
; %bb.47:                               ;   in Loop: Header=BB312_15 Depth=1
	v_dual_mov_b32 v24, 0 :: v_dual_mov_b32 v19, v17
	v_dual_mov_b32 v18, v16 :: v_dual_mov_b32 v15, v42
	;; [unrolled: 1-line block ×5, first 2 shown]
	v_mov_b32_e32 v43, 0
	s_mov_b32 s41, s7
.LBB312_48:                             ;   Parent Loop BB312_15 Depth=1
                                        ; =>  This Inner Loop Header: Depth=2
	v_add_co_u32 v49, vcc_lo, v18, s28
	v_add_co_ci_u32_e32 v50, vcc_lo, s29, v19, vcc_lo
	v_add_co_u32 v51, vcc_lo, v18, s26
	scratch_load_b64 v[45:46], v15, off offset:-4
	flat_load_b64 v[47:48], v[18:19]
	v_add_co_ci_u32_e32 v52, vcc_lo, s27, v19, vcc_lo
	v_add_co_u32 v53, vcc_lo, v18, s38
	v_add_co_ci_u32_e32 v54, vcc_lo, s37, v19, vcc_lo
	s_clause 0x2
	flat_load_b64 v[49:50], v[49:50]
	flat_load_b64 v[51:52], v[51:52]
	;; [unrolled: 1-line block ×3, first 2 shown]
	v_add_nc_u32_e32 v15, 8, v15
	v_add_co_u32 v18, vcc_lo, v18, 8
	v_add_co_ci_u32_e32 v19, vcc_lo, 0, v19, vcc_lo
	s_add_i32 s41, s41, -1
	s_delay_alu instid0(SALU_CYCLE_1) | instskip(SKIP_3) | instid1(VALU_DEP_2)
	s_cmp_lg_u32 s41, 0
	s_waitcnt vmcnt(3) lgkmcnt(3)
	v_mul_f32_e32 v55, v46, v48
	v_mul_f32_e32 v48, v45, v48
	v_fma_f32 v55, v45, v47, -v55
	s_delay_alu instid0(VALU_DEP_2)
	v_fmac_f32_e32 v48, v46, v47
	s_waitcnt vmcnt(2) lgkmcnt(2)
	v_mul_f32_e32 v47, v46, v50
	v_mul_f32_e32 v50, v45, v50
	s_waitcnt vmcnt(1) lgkmcnt(1)
	v_dual_mul_f32 v56, v46, v52 :: v_dual_add_f32 v43, v43, v55
	v_mul_f32_e32 v52, v45, v52
	v_fma_f32 v47, v45, v49, -v47
	v_fmac_f32_e32 v50, v46, v49
	s_delay_alu instid0(VALU_DEP_3) | instskip(NEXT) | instid1(VALU_DEP_2)
	v_fmac_f32_e32 v52, v46, v51
	v_dual_add_f32 v20, v20, v47 :: v_dual_add_f32 v21, v21, v50
	s_waitcnt vmcnt(0) lgkmcnt(0)
	v_dual_mul_f32 v57, v46, v54 :: v_dual_add_f32 v44, v44, v48
	v_mul_f32_e32 v54, v45, v54
	v_fma_f32 v48, v45, v51, -v56
	s_delay_alu instid0(VALU_DEP_3) | instskip(NEXT) | instid1(VALU_DEP_1)
	v_fma_f32 v45, v45, v53, -v57
	v_dual_add_f32 v22, v22, v48 :: v_dual_add_f32 v25, v25, v45
	s_delay_alu instid0(VALU_DEP_4) | instskip(NEXT) | instid1(VALU_DEP_1)
	v_dual_add_f32 v23, v23, v52 :: v_dual_fmac_f32 v54, v46, v53
	v_add_f32_e32 v24, v24, v54
	s_cbranch_scc1 .LBB312_48
.LBB312_49:                             ;   in Loop: Header=BB312_15 Depth=1
	s_or_b32 exec_lo, exec_lo, s40
	s_delay_alu instid0(SALU_CYCLE_1)
	s_or_b32 exec_lo, exec_lo, s39
	s_and_saveexec_b32 s39, s0
	s_cbranch_execnz .LBB312_18
	s_branch .LBB312_19
.LBB312_50:                             ;   in Loop: Header=BB312_15 Depth=1
	ds_load_b64 v[18:19], v40
	s_or_b32 exec_lo, exec_lo, s39
	s_and_saveexec_b32 s39, s0
	s_cbranch_execz .LBB312_23
.LBB312_51:                             ;   in Loop: Header=BB312_15 Depth=1
	s_waitcnt lgkmcnt(0)
	ds_bpermute_b32 v15, v37, v18
	ds_bpermute_b32 v43, v37, v19
	s_waitcnt lgkmcnt(1)
	v_add_f32_e32 v15, v18, v15
	s_waitcnt lgkmcnt(0)
	v_add_f32_e32 v18, v19, v43
	ds_bpermute_b32 v19, v38, v15
	ds_bpermute_b32 v43, v38, v18
	s_waitcnt lgkmcnt(1)
	v_add_f32_e32 v15, v15, v19
	s_waitcnt lgkmcnt(0)
	v_add_f32_e32 v19, v18, v43
	ds_bpermute_b32 v18, v39, v15
	s_waitcnt lgkmcnt(0)
	v_add_f32_e32 v18, v15, v18
	ds_bpermute_b32 v43, v39, v19
	s_waitcnt lgkmcnt(0)
	v_add_f32_e32 v19, v19, v43
	s_or_b32 exec_lo, exec_lo, s39
	s_and_saveexec_b32 s39, s0
	s_cbranch_execnz .LBB312_24
	s_branch .LBB312_25
.LBB312_52:                             ;   in Loop: Header=BB312_15 Depth=1
	ds_load_b64 v[20:21], v40
	s_or_b32 exec_lo, exec_lo, s39
	s_and_saveexec_b32 s39, s0
	s_cbranch_execz .LBB312_29
.LBB312_53:                             ;   in Loop: Header=BB312_15 Depth=1
	s_waitcnt lgkmcnt(0)
	ds_bpermute_b32 v15, v37, v20
	ds_bpermute_b32 v43, v37, v21
	s_waitcnt lgkmcnt(1)
	v_add_f32_e32 v15, v20, v15
	s_waitcnt lgkmcnt(0)
	v_add_f32_e32 v20, v21, v43
	ds_bpermute_b32 v21, v38, v15
	s_waitcnt lgkmcnt(0)
	v_add_f32_e32 v15, v15, v21
	ds_bpermute_b32 v43, v38, v20
	;; [unrolled: 3-line block ×4, first 2 shown]
	s_waitcnt lgkmcnt(0)
	v_add_f32_e32 v21, v21, v43
	s_or_b32 exec_lo, exec_lo, s39
	s_and_saveexec_b32 s39, s0
	s_cbranch_execnz .LBB312_30
	s_branch .LBB312_31
.LBB312_54:                             ;   in Loop: Header=BB312_15 Depth=1
	ds_load_b64 v[22:23], v40
	s_or_b32 exec_lo, exec_lo, s39
	s_and_saveexec_b32 s39, s0
	s_cbranch_execz .LBB312_35
.LBB312_55:                             ;   in Loop: Header=BB312_15 Depth=1
	s_waitcnt lgkmcnt(0)
	ds_bpermute_b32 v15, v37, v22
	ds_bpermute_b32 v43, v37, v23
	s_waitcnt lgkmcnt(1)
	v_add_f32_e32 v15, v22, v15
	s_waitcnt lgkmcnt(0)
	v_add_f32_e32 v22, v23, v43
	ds_bpermute_b32 v23, v38, v15
	ds_bpermute_b32 v43, v38, v22
	s_waitcnt lgkmcnt(1)
	v_add_f32_e32 v15, v15, v23
	s_waitcnt lgkmcnt(0)
	v_add_f32_e32 v23, v22, v43
	ds_bpermute_b32 v22, v39, v15
	s_waitcnt lgkmcnt(0)
	v_add_f32_e32 v22, v15, v22
	ds_bpermute_b32 v43, v39, v23
	s_waitcnt lgkmcnt(0)
	v_add_f32_e32 v23, v23, v43
	s_or_b32 exec_lo, exec_lo, s39
	s_and_saveexec_b32 s39, s0
	s_cbranch_execnz .LBB312_36
	s_branch .LBB312_37
.LBB312_56:                             ;   in Loop: Header=BB312_15 Depth=1
	ds_load_b64 v[24:25], v40
	s_or_b32 exec_lo, exec_lo, s39
	s_and_saveexec_b32 s39, s0
	s_cbranch_execz .LBB312_41
.LBB312_57:                             ;   in Loop: Header=BB312_15 Depth=1
	s_waitcnt lgkmcnt(0)
	ds_bpermute_b32 v15, v37, v24
	ds_bpermute_b32 v43, v37, v25
	s_waitcnt lgkmcnt(1)
	v_add_f32_e32 v15, v24, v15
	s_waitcnt lgkmcnt(0)
	v_add_f32_e32 v24, v25, v43
	ds_bpermute_b32 v25, v38, v15
	s_waitcnt lgkmcnt(0)
	v_add_f32_e32 v15, v15, v25
	ds_bpermute_b32 v43, v38, v24
	;; [unrolled: 3-line block ×4, first 2 shown]
	s_waitcnt lgkmcnt(0)
	v_add_f32_e32 v25, v25, v43
	s_or_b32 exec_lo, exec_lo, s39
	s_and_saveexec_b32 s39, s5
	s_cbranch_execz .LBB312_14
.LBB312_58:                             ;   in Loop: Header=BB312_15 Depth=1
	v_mul_f32_e32 v44, s10, v19
	v_mul_f32_e32 v15, s11, v19
	s_mul_hi_u32 s41, s15, s6
	s_mul_i32 s40, s15, s6
	s_delay_alu instid0(VALU_DEP_2)
	v_dual_mul_f32 v19, s10, v21 :: v_dual_fmac_f32 v44, s11, v18
	s_lshl_b64 s[40:41], s[40:41], 3
	v_fma_f32 v43, v18, s10, -v15
	s_add_u32 s40, s35, s40
	s_addc_u32 s41, s36, s41
	v_mul_f32_e32 v15, s11, v21
	v_mul_f32_e32 v21, s10, v23
	global_store_b64 v14, v[43:44], s[40:41]
	s_or_b32 s40, s15, 1
	v_fmac_f32_e32 v19, s11, v20
	s_mul_hi_u32 s41, s40, s6
	s_mul_i32 s40, s40, s6
	v_fma_f32 v18, v20, s10, -v15
	s_lshl_b64 s[40:41], s[40:41], 3
	v_mul_f32_e32 v15, s11, v23
	s_add_u32 s40, s35, s40
	s_addc_u32 s41, s36, s41
	s_or_b32 s42, s15, 2
	s_waitcnt lgkmcnt(0)
	v_mul_f32_e32 v23, s10, v25
	s_mul_hi_u32 s43, s42, s6
	s_mul_i32 s42, s42, s6
	v_fma_f32 v20, v22, s10, -v15
	s_lshl_b64 s[42:43], s[42:43], 3
	v_mul_f32_e32 v15, s11, v25
	s_add_u32 s42, s35, s42
	s_addc_u32 s43, s36, s43
	s_or_b32 s44, s15, 3
	v_fmac_f32_e32 v21, s11, v22
	s_mul_hi_u32 s45, s44, s6
	s_mul_i32 s44, s44, s6
	v_fma_f32 v22, v24, s10, -v15
	v_fmac_f32_e32 v23, s11, v24
	s_lshl_b64 s[44:45], s[44:45], 3
	global_store_b64 v14, v[18:19], s[40:41]
	s_add_u32 s40, s35, s44
	s_addc_u32 s41, s36, s45
	s_clause 0x1
	global_store_b64 v14, v[20:21], s[42:43]
	global_store_b64 v14, v[22:23], s[40:41]
	s_branch .LBB312_14
.LBB312_59:
	s_mov_b32 s15, 0
.LBB312_60:
	s_delay_alu instid0(SALU_CYCLE_1)
	s_cmp_ge_i32 s15, s9
	s_cbranch_scc1 .LBB312_82
; %bb.61:
	v_cmp_gt_u32_e64 s1, 16, v32
	v_mad_i64_i32 v[12:13], null, s20, v27, 0
	s_cmp_gt_i32 s7, 0
	s_mov_b32 s23, 0
	s_delay_alu instid0(VALU_DEP_2)
	v_cndmask_b32_e64 v6, 0, 1, s1
	v_cmp_gt_u32_e64 s1, 24, v32
	s_mov_b32 s22, s14
	s_cselect_b32 s24, -1, 0
	s_lshl_b64 s[22:23], s[22:23], 3
	v_lshlrev_b32_e32 v6, 4, v6
	v_cndmask_b32_e64 v7, 0, 1, s1
	v_cmp_gt_u32_e64 s1, 28, v32
	v_cmp_ge_i32_e32 vcc_lo, s8, v33
	v_cmp_ge_i32_e64 s4, s8, v34
	v_add_lshl_u32 v17, v6, v32, 2
	v_lshlrev_b32_e32 v7, 3, v7
	v_cndmask_b32_e64 v8, 0, 1, s1
	v_cmp_gt_u32_e64 s1, 30, v32
	s_add_u32 s8, s30, s22
	s_addc_u32 s14, s31, s23
	v_add_lshl_u32 v18, v7, v32, 2
	v_lshlrev_b32_e32 v8, 2, v8
	v_cndmask_b32_e64 v9, 0, 1, s1
	v_cmp_ne_u32_e64 s1, 31, v32
	v_mad_i64_i32 v[6:7], null, s20, v5, 0
	s_delay_alu instid0(VALU_DEP_4) | instskip(NEXT) | instid1(VALU_DEP_4)
	v_add_lshl_u32 v19, v8, v32, 2
	v_lshlrev_b32_e32 v9, 1, v9
	s_delay_alu instid0(VALU_DEP_4) | instskip(SKIP_2) | instid1(VALU_DEP_2)
	v_add_co_ci_u32_e64 v10, s1, 0, v32, s1
	s_mul_i32 s22, s13, s15
	s_mul_hi_u32 s23, s12, s15
	v_add_lshl_u32 v20, v9, v32, 2
	v_mad_i64_i32 v[8:9], null, s20, v30, 0
	v_lshlrev_b32_e32 v21, 2, v10
	v_mad_i64_i32 v[10:11], null, s20, v28, 0
	v_lshlrev_b64 v[5:6], 3, v[6:7]
	v_cmp_gt_u32_e64 s0, 32, v0
	v_lshlrev_b32_e32 v16, 3, v29
	v_lshlrev_b64 v[7:8], 3, v[8:9]
	v_cmp_eq_u32_e64 s1, 0, v29
	v_and_b32_e32 v22, 56, v31
	v_add_co_u32 v5, s5, s18, v5
	v_lshlrev_b64 v[9:10], 3, v[10:11]
	v_add_co_ci_u32_e64 v6, s5, s19, v6, s5
	v_add_co_u32 v7, s5, s18, v7
	v_lshlrev_b64 v[11:12], 3, v[12:13]
	v_mov_b32_e32 v13, 0
	v_add_co_ci_u32_e64 v8, s5, s19, v8, s5
	v_add_co_u32 v9, s5, s18, v9
	s_delay_alu instid0(VALU_DEP_1) | instskip(SKIP_1) | instid1(VALU_DEP_1)
	v_add_co_ci_u32_e64 v10, s5, s19, v10, s5
	v_add_co_u32 v11, s5, s18, v11
	v_add_co_ci_u32_e64 v12, s5, s19, v12, s5
	s_add_i32 s19, s23, s22
	s_mul_i32 s18, s12, s15
	s_and_b32 s5, s24, s4
	s_lshl_b64 s[22:23], s[18:19], 3
	s_lshl_b64 s[18:19], s[20:21], 3
	s_add_u32 s4, s16, s22
	s_addc_u32 s16, s17, s23
	v_add_co_u32 v3, s4, s4, v3
	v_cmp_gt_u32_e64 s2, 8, v0
	v_cmp_eq_u32_e64 s3, 0, v0
	v_add_co_ci_u32_e64 v4, s4, s16, v4, s4
	s_lshl_b64 s[16:17], s[12:13], 3
	s_branch .LBB312_63
.LBB312_62:                             ;   in Loop: Header=BB312_63 Depth=1
	s_or_b32 exec_lo, exec_lo, s4
	v_add_co_u32 v3, s4, v3, s16
	s_delay_alu instid0(VALU_DEP_1) | instskip(SKIP_1) | instid1(SALU_CYCLE_1)
	v_add_co_ci_u32_e64 v4, s4, s17, v4, s4
	s_add_i32 s15, s15, 1
	s_cmp_lt_i32 s15, s9
	s_cbranch_scc0 .LBB312_82
.LBB312_63:                             ; =>This Loop Header: Depth=1
                                        ;     Child Loop BB312_75 Depth 2
                                        ;     Child Loop BB312_77 Depth 2
                                        ; implicit-def: $vgpr0
                                        ; implicit-def: $vgpr23
	s_and_saveexec_b32 s4, vcc_lo
	s_delay_alu instid0(SALU_CYCLE_1)
	s_xor_b32 s20, exec_lo, s4
	s_cbranch_execnz .LBB312_72
; %bb.64:                               ;   in Loop: Header=BB312_63 Depth=1
	s_and_not1_saveexec_b32 s20, s20
	s_cbranch_execnz .LBB312_73
.LBB312_65:                             ;   in Loop: Header=BB312_63 Depth=1
	s_or_b32 exec_lo, exec_lo, s20
	s_and_saveexec_b32 s4, s0
	s_cbranch_execz .LBB312_67
.LBB312_66:                             ;   in Loop: Header=BB312_63 Depth=1
	s_waitcnt lgkmcnt(0)
	v_mov_b32_e32 v14, v13
	ds_store_b64 v16, v[13:14]
.LBB312_67:                             ;   in Loop: Header=BB312_63 Depth=1
	s_or_b32 exec_lo, exec_lo, s4
	s_waitcnt lgkmcnt(0)
	ds_bpermute_b32 v14, v17, v0
	ds_bpermute_b32 v15, v17, v23
	s_waitcnt lgkmcnt(0)
	s_waitcnt_vscnt null, 0x0
	s_barrier
	buffer_gl0_inv
	v_add_f32_e32 v0, v0, v14
	v_add_f32_e32 v14, v23, v15
	ds_bpermute_b32 v15, v18, v0
	ds_bpermute_b32 v23, v18, v14
	s_waitcnt lgkmcnt(1)
	v_add_f32_e32 v0, v0, v15
	s_waitcnt lgkmcnt(0)
	v_add_f32_e32 v14, v14, v23
	ds_bpermute_b32 v15, v19, v0
	ds_bpermute_b32 v23, v19, v14
	s_waitcnt lgkmcnt(1)
	v_add_f32_e32 v0, v0, v15
	s_waitcnt lgkmcnt(0)
	;; [unrolled: 6-line block ×3, first 2 shown]
	v_add_f32_e32 v14, v14, v23
	ds_bpermute_b32 v15, v21, v0
	ds_bpermute_b32 v23, v21, v14
	s_and_saveexec_b32 s4, s1
	s_cbranch_execz .LBB312_69
; %bb.68:                               ;   in Loop: Header=BB312_63 Depth=1
	s_waitcnt lgkmcnt(0)
	v_add_f32_e32 v24, v14, v23
	v_add_f32_e32 v23, v0, v15
	ds_store_b64 v22, v[23:24]
.LBB312_69:                             ;   in Loop: Header=BB312_63 Depth=1
	s_or_b32 exec_lo, exec_lo, s4
	s_waitcnt lgkmcnt(1)
	v_dual_mov_b32 v15, 0 :: v_dual_mov_b32 v14, 0
	s_waitcnt lgkmcnt(0)
	s_barrier
	buffer_gl0_inv
	s_and_saveexec_b32 s4, s2
	s_cbranch_execnz .LBB312_79
; %bb.70:                               ;   in Loop: Header=BB312_63 Depth=1
	s_or_b32 exec_lo, exec_lo, s4
	s_and_saveexec_b32 s4, s0
	s_cbranch_execnz .LBB312_80
.LBB312_71:                             ;   in Loop: Header=BB312_63 Depth=1
	s_or_b32 exec_lo, exec_lo, s4
	s_and_saveexec_b32 s4, s3
	s_cbranch_execz .LBB312_62
	s_branch .LBB312_81
.LBB312_72:                             ;   in Loop: Header=BB312_63 Depth=1
	s_clause 0x3
	flat_load_b64 v[27:28], v[5:6]
	flat_load_b64 v[29:30], v[7:8]
	;; [unrolled: 1-line block ×4, first 2 shown]
	s_mul_i32 s4, s15, s13
	s_mul_hi_u32 s21, s15, s12
	s_mul_i32 s22, s15, s12
	s_add_i32 s23, s21, s4
	s_waitcnt vmcnt(2) lgkmcnt(2)
	scratch_store_b128 off, v[27:30], off
	s_waitcnt vmcnt(0) lgkmcnt(0)
	scratch_store_b128 off, v[31:34], off offset:16
	s_lshl_b64 s[22:23], s[22:23], 3
	s_delay_alu instid0(SALU_CYCLE_1) | instskip(NEXT) | instid1(VALU_DEP_1)
	v_add_co_u32 v14, s4, v1, s22
	v_add_co_ci_u32_e64 v15, s4, s23, v2, s4
	s_clause 0x1
	flat_load_b128 v[35:38], v[14:15]
	flat_load_b128 v[39:42], v[14:15] offset:16
	s_waitcnt vmcnt(1) lgkmcnt(1)
	v_dual_mul_f32 v14, v27, v36 :: v_dual_mul_f32 v23, v29, v38
	v_dual_mul_f32 v0, v28, v36 :: v_dual_mul_f32 v15, v30, v38
	s_waitcnt vmcnt(0) lgkmcnt(0)
	s_delay_alu instid0(VALU_DEP_2) | instskip(SKIP_1) | instid1(VALU_DEP_3)
	v_dual_mul_f32 v25, v31, v40 :: v_dual_fmac_f32 v14, v28, v35
	v_mul_f32_e32 v24, v32, v40
	v_fma_f32 v0, v27, v35, -v0
	v_mul_f32_e32 v27, v34, v42
	s_delay_alu instid0(VALU_DEP_4)
	v_dual_fmac_f32 v23, v30, v37 :: v_dual_add_f32 v14, 0, v14
	v_fmac_f32_e32 v25, v32, v39
	v_fma_f32 v15, v29, v37, -v15
	v_add_f32_e32 v0, 0, v0
	v_mul_f32_e32 v28, v33, v42
	v_add_f32_e32 v14, v14, v23
	v_fma_f32 v24, v31, v39, -v24
	s_delay_alu instid0(VALU_DEP_3) | instskip(NEXT) | instid1(VALU_DEP_3)
	v_fmac_f32_e32 v28, v34, v41
	v_add_f32_e32 v14, v14, v25
	v_add_f32_e32 v0, v0, v15
	v_fma_f32 v15, v33, v41, -v27
	s_delay_alu instid0(VALU_DEP_3) | instskip(NEXT) | instid1(VALU_DEP_3)
	v_add_f32_e32 v23, v14, v28
	v_add_f32_e32 v0, v0, v24
	s_delay_alu instid0(VALU_DEP_1)
	v_add_f32_e32 v0, v0, v15
	s_and_not1_saveexec_b32 s20, s20
	s_cbranch_execz .LBB312_65
.LBB312_73:                             ;   in Loop: Header=BB312_63 Depth=1
	v_dual_mov_b32 v0, 0 :: v_dual_mov_b32 v23, 0
	s_and_saveexec_b32 s21, s5
	s_cbranch_execz .LBB312_78
; %bb.74:                               ;   in Loop: Header=BB312_63 Depth=1
	s_waitcnt lgkmcnt(0)
	v_dual_mov_b32 v0, 0 :: v_dual_mov_b32 v15, v6
	v_mov_b32_e32 v14, v5
	s_mov_b32 s22, s7
.LBB312_75:                             ;   Parent Loop BB312_63 Depth=1
                                        ; =>  This Inner Loop Header: Depth=2
	s_waitcnt lgkmcnt(0)
	flat_load_b64 v[23:24], v[14:15]
	v_add_co_u32 v14, s4, v14, s18
	s_delay_alu instid0(VALU_DEP_1) | instskip(SKIP_1) | instid1(SALU_CYCLE_1)
	v_add_co_ci_u32_e64 v15, s4, s19, v15, s4
	s_add_i32 s22, s22, -1
	s_cmp_eq_u32 s22, 0
	s_waitcnt vmcnt(0) lgkmcnt(0)
	scratch_store_b64 v0, v[23:24], off
	v_add_nc_u32_e32 v0, 8, v0
	s_cbranch_scc0 .LBB312_75
; %bb.76:                               ;   in Loop: Header=BB312_63 Depth=1
	v_dual_mov_b32 v0, 0 :: v_dual_mov_b32 v15, v4
	v_dual_mov_b32 v14, v3 :: v_dual_mov_b32 v23, 0
	v_mov_b32_e32 v24, v26
	s_mov_b32 s22, s7
	.p2align	6
.LBB312_77:                             ;   Parent Loop BB312_63 Depth=1
                                        ; =>  This Inner Loop Header: Depth=2
	flat_load_b64 v[27:28], v[14:15]
	scratch_load_b64 v[29:30], v24, off offset:-4
	v_add_co_u32 v14, s4, v14, 8
	v_add_nc_u32_e32 v24, 8, v24
	v_add_co_ci_u32_e64 v15, s4, 0, v15, s4
	s_add_i32 s22, s22, -1
	s_delay_alu instid0(SALU_CYCLE_1) | instskip(SKIP_3) | instid1(VALU_DEP_2)
	s_cmp_lg_u32 s22, 0
	s_waitcnt vmcnt(0) lgkmcnt(0)
	v_mul_f32_e32 v25, v30, v28
	v_mul_f32_e32 v28, v29, v28
	v_fma_f32 v25, v29, v27, -v25
	s_delay_alu instid0(VALU_DEP_2) | instskip(NEXT) | instid1(VALU_DEP_1)
	v_fmac_f32_e32 v28, v30, v27
	v_dual_add_f32 v0, v0, v25 :: v_dual_add_f32 v23, v23, v28
	s_cbranch_scc1 .LBB312_77
.LBB312_78:                             ;   in Loop: Header=BB312_63 Depth=1
	s_or_b32 exec_lo, exec_lo, s21
	s_delay_alu instid0(SALU_CYCLE_1)
	s_or_b32 exec_lo, exec_lo, s20
	s_and_saveexec_b32 s4, s0
	s_cbranch_execnz .LBB312_66
	s_branch .LBB312_67
.LBB312_79:                             ;   in Loop: Header=BB312_63 Depth=1
	ds_load_b64 v[14:15], v16
	s_or_b32 exec_lo, exec_lo, s4
	s_and_saveexec_b32 s4, s0
	s_cbranch_execz .LBB312_71
.LBB312_80:                             ;   in Loop: Header=BB312_63 Depth=1
	s_waitcnt lgkmcnt(0)
	ds_bpermute_b32 v0, v19, v14
	ds_bpermute_b32 v23, v19, v15
	s_waitcnt lgkmcnt(1)
	v_add_f32_e32 v0, v14, v0
	s_waitcnt lgkmcnt(0)
	v_add_f32_e32 v14, v15, v23
	ds_bpermute_b32 v15, v20, v0
	ds_bpermute_b32 v23, v20, v14
	s_waitcnt lgkmcnt(1)
	v_add_f32_e32 v0, v0, v15
	s_waitcnt lgkmcnt(0)
	v_add_f32_e32 v15, v14, v23
	ds_bpermute_b32 v14, v21, v0
	s_waitcnt lgkmcnt(0)
	v_add_f32_e32 v14, v0, v14
	ds_bpermute_b32 v23, v21, v15
	s_waitcnt lgkmcnt(0)
	v_add_f32_e32 v15, v15, v23
	s_or_b32 exec_lo, exec_lo, s4
	s_and_saveexec_b32 s4, s3
	s_cbranch_execz .LBB312_62
.LBB312_81:                             ;   in Loop: Header=BB312_63 Depth=1
	s_waitcnt lgkmcnt(0)
	v_mul_f32_e32 v0, s11, v15
	v_mul_f32_e32 v24, s10, v15
	s_mul_hi_u32 s21, s15, s6
	s_mul_i32 s20, s15, s6
	s_delay_alu instid0(SALU_CYCLE_1)
	s_lshl_b64 s[20:21], s[20:21], 3
	v_fma_f32 v23, v14, s10, -v0
	v_fmac_f32_e32 v24, s11, v14
	s_add_u32 s20, s8, s20
	s_addc_u32 s21, s14, s21
	global_store_b64 v13, v[23:24], s[20:21]
	s_branch .LBB312_62
.LBB312_82:
	s_nop 0
	s_sendmsg sendmsg(MSG_DEALLOC_VGPRS)
	s_endpgm
	.section	.rodata,"a",@progbits
	.p2align	6, 0x0
	.amdhsa_kernel _ZL23rocblas_gemvt_sn_kernelILb0ELi256ELi4ElPK19rocblas_complex_numIfES1_S1_EviiT4_lPKT3_lilS7_lilPT5_i
		.amdhsa_group_segment_fixed_size 256
		.amdhsa_private_segment_fixed_size 48
		.amdhsa_kernarg_size 360
		.amdhsa_user_sgpr_count 14
		.amdhsa_user_sgpr_dispatch_ptr 0
		.amdhsa_user_sgpr_queue_ptr 0
		.amdhsa_user_sgpr_kernarg_segment_ptr 1
		.amdhsa_user_sgpr_dispatch_id 0
		.amdhsa_user_sgpr_private_segment_size 0
		.amdhsa_wavefront_size32 1
		.amdhsa_uses_dynamic_stack 0
		.amdhsa_enable_private_segment 1
		.amdhsa_system_sgpr_workgroup_id_x 1
		.amdhsa_system_sgpr_workgroup_id_y 0
		.amdhsa_system_sgpr_workgroup_id_z 1
		.amdhsa_system_sgpr_workgroup_info 0
		.amdhsa_system_vgpr_workitem_id 0
		.amdhsa_next_free_vgpr 90
		.amdhsa_next_free_sgpr 53
		.amdhsa_reserve_vcc 1
		.amdhsa_float_round_mode_32 0
		.amdhsa_float_round_mode_16_64 0
		.amdhsa_float_denorm_mode_32 3
		.amdhsa_float_denorm_mode_16_64 3
		.amdhsa_dx10_clamp 1
		.amdhsa_ieee_mode 1
		.amdhsa_fp16_overflow 0
		.amdhsa_workgroup_processor_mode 1
		.amdhsa_memory_ordered 1
		.amdhsa_forward_progress 0
		.amdhsa_shared_vgpr_count 0
		.amdhsa_exception_fp_ieee_invalid_op 0
		.amdhsa_exception_fp_denorm_src 0
		.amdhsa_exception_fp_ieee_div_zero 0
		.amdhsa_exception_fp_ieee_overflow 0
		.amdhsa_exception_fp_ieee_underflow 0
		.amdhsa_exception_fp_ieee_inexact 0
		.amdhsa_exception_int_div_zero 0
	.end_amdhsa_kernel
	.section	.text._ZL23rocblas_gemvt_sn_kernelILb0ELi256ELi4ElPK19rocblas_complex_numIfES1_S1_EviiT4_lPKT3_lilS7_lilPT5_i,"axG",@progbits,_ZL23rocblas_gemvt_sn_kernelILb0ELi256ELi4ElPK19rocblas_complex_numIfES1_S1_EviiT4_lPKT3_lilS7_lilPT5_i,comdat
.Lfunc_end312:
	.size	_ZL23rocblas_gemvt_sn_kernelILb0ELi256ELi4ElPK19rocblas_complex_numIfES1_S1_EviiT4_lPKT3_lilS7_lilPT5_i, .Lfunc_end312-_ZL23rocblas_gemvt_sn_kernelILb0ELi256ELi4ElPK19rocblas_complex_numIfES1_S1_EviiT4_lPKT3_lilS7_lilPT5_i
                                        ; -- End function
	.section	.AMDGPU.csdata,"",@progbits
; Kernel info:
; codeLenInByte = 5524
; NumSgprs: 55
; NumVgprs: 90
; ScratchSize: 48
; MemoryBound: 0
; FloatMode: 240
; IeeeMode: 1
; LDSByteSize: 256 bytes/workgroup (compile time only)
; SGPRBlocks: 6
; VGPRBlocks: 11
; NumSGPRsForWavesPerEU: 55
; NumVGPRsForWavesPerEU: 90
; Occupancy: 16
; WaveLimiterHint : 0
; COMPUTE_PGM_RSRC2:SCRATCH_EN: 1
; COMPUTE_PGM_RSRC2:USER_SGPR: 14
; COMPUTE_PGM_RSRC2:TRAP_HANDLER: 0
; COMPUTE_PGM_RSRC2:TGID_X_EN: 1
; COMPUTE_PGM_RSRC2:TGID_Y_EN: 0
; COMPUTE_PGM_RSRC2:TGID_Z_EN: 1
; COMPUTE_PGM_RSRC2:TIDIG_COMP_CNT: 0
	.section	.text._ZL23rocblas_gemvt_sn_reduceILi256ELi8E19rocblas_complex_numIfES1_KPS1_EviT2_lPT3_lilPT1_i,"axG",@progbits,_ZL23rocblas_gemvt_sn_reduceILi256ELi8E19rocblas_complex_numIfES1_KPS1_EviT2_lPT3_lilPT1_i,comdat
	.globl	_ZL23rocblas_gemvt_sn_reduceILi256ELi8E19rocblas_complex_numIfES1_KPS1_EviT2_lPT3_lilPT1_i ; -- Begin function _ZL23rocblas_gemvt_sn_reduceILi256ELi8E19rocblas_complex_numIfES1_KPS1_EviT2_lPT3_lilPT1_i
	.p2align	8
	.type	_ZL23rocblas_gemvt_sn_reduceILi256ELi8E19rocblas_complex_numIfES1_KPS1_EviT2_lPT3_lilPT1_i,@function
_ZL23rocblas_gemvt_sn_reduceILi256ELi8E19rocblas_complex_numIfES1_KPS1_EviT2_lPT3_lilPT1_i: ; @_ZL23rocblas_gemvt_sn_reduceILi256ELi8E19rocblas_complex_numIfES1_KPS1_EviT2_lPT3_lilPT1_i
; %bb.0:
	s_clause 0x1
	s_load_b128 s[8:11], s[0:1], 0x18
	s_load_b128 s[4:7], s[0:1], 0x0
	s_waitcnt lgkmcnt(0)
	s_load_b32 s7, s[0:1], 0x4c
	s_mov_b32 s2, s15
	s_mov_b32 s3, 0
	v_dual_mov_b32 v4, 0 :: v_dual_lshlrev_b32 v5, 3, v0
	s_lshl_b64 s[12:13], s[2:3], 3
	v_mov_b32_e32 v3, 0
	s_add_u32 s8, s8, s12
	s_addc_u32 s9, s9, s13
	s_load_b64 s[12:13], s[0:1], 0x38
	s_load_b64 s[8:9], s[8:9], 0x0
	s_ashr_i32 s15, s4, 31
	s_waitcnt lgkmcnt(0)
	s_mul_i32 s2, s7, s2
	s_add_u32 s18, s0, 0x48
	s_addc_u32 s19, s1, 0
	s_add_i32 s2, s2, s14
	s_lshr_b32 s7, s15, 29
	s_mul_i32 s15, s2, s15
	s_add_i32 s7, s4, s7
	s_mul_hi_u32 s16, s2, s4
	s_and_b32 s7, s7, -8
	s_add_i32 s17, s16, s15
	s_mul_i32 s16, s2, s4
	s_mov_b32 s15, exec_lo
	v_cmpx_gt_i32_e64 s7, v5
	s_cbranch_execz .LBB313_4
; %bb.1:
	s_load_b32 s2, s[18:19], 0xc
	v_dual_mov_b32 v4, 0 :: v_dual_lshlrev_b32 v1, 6, v0
	s_lshl_b64 s[20:21], s[16:17], 3
	v_mov_b32_e32 v3, 0
	s_waitcnt lgkmcnt(0)
	s_and_b32 s2, s2, 0xffff
	s_delay_alu instid0(SALU_CYCLE_1) | instskip(SKIP_3) | instid1(VALU_DEP_1)
	s_lshl_b32 s18, s2, 3
	s_add_u32 s19, s12, s20
	s_addc_u32 s20, s13, s21
	v_add_co_u32 v1, s19, s19, v1
	v_add_co_ci_u32_e64 v2, null, s20, 0, s19
	s_lshl_b32 s19, s2, 6
	s_delay_alu instid0(VALU_DEP_2) | instskip(NEXT) | instid1(VALU_DEP_2)
	v_add_co_u32 v1, vcc_lo, v1, 60
	v_add_co_ci_u32_e32 v2, vcc_lo, 0, v2, vcc_lo
	s_set_inst_prefetch_distance 0x1
	.p2align	6
.LBB313_2:                              ; =>This Inner Loop Header: Depth=1
	s_clause 0x3
	global_load_b128 v[6:9], v[1:2], off offset:-60
	global_load_b128 v[10:13], v[1:2], off offset:-44
	;; [unrolled: 1-line block ×4, first 2 shown]
	v_add_co_u32 v1, vcc_lo, v1, s19
	v_add_co_ci_u32_e32 v2, vcc_lo, 0, v2, vcc_lo
	s_waitcnt vmcnt(3)
	v_dual_add_f32 v4, v4, v6 :: v_dual_add_f32 v3, v3, v7
	s_delay_alu instid0(VALU_DEP_1) | instskip(SKIP_1) | instid1(VALU_DEP_1)
	v_dual_add_f32 v4, v4, v8 :: v_dual_add_f32 v3, v3, v9
	s_waitcnt vmcnt(2)
	v_dual_add_f32 v4, v4, v10 :: v_dual_add_f32 v3, v3, v11
	s_delay_alu instid0(VALU_DEP_1) | instskip(SKIP_1) | instid1(VALU_DEP_1)
	v_dual_add_f32 v4, v4, v12 :: v_dual_add_f32 v3, v3, v13
	;; [unrolled: 4-line block ×3, first 2 shown]
	s_waitcnt vmcnt(0)
	v_dual_add_f32 v4, v4, v18 :: v_dual_add_nc_u32 v5, s18, v5
	s_delay_alu instid0(VALU_DEP_2) | instskip(NEXT) | instid1(VALU_DEP_2)
	v_add_f32_e32 v3, v3, v19
	v_cmp_le_i32_e64 s2, s7, v5
	s_delay_alu instid0(VALU_DEP_2) | instskip(NEXT) | instid1(VALU_DEP_2)
	v_dual_add_f32 v4, v4, v20 :: v_dual_add_f32 v3, v3, v21
	s_or_b32 s3, s2, s3
	s_delay_alu instid0(SALU_CYCLE_1)
	s_and_not1_b32 exec_lo, exec_lo, s3
	s_cbranch_execnz .LBB313_2
; %bb.3:
	s_set_inst_prefetch_distance 0x2
	s_or_b32 exec_lo, exec_lo, s3
.LBB313_4:
	s_delay_alu instid0(SALU_CYCLE_1) | instskip(SKIP_1) | instid1(SALU_CYCLE_1)
	s_or_b32 exec_lo, exec_lo, s15
	s_sub_i32 s2, s4, s7
	v_cmp_gt_u32_e32 vcc_lo, s2, v0
	s_and_saveexec_b32 s2, vcc_lo
	s_cbranch_execz .LBB313_6
; %bb.5:
	v_xad_u32 v1, v0, -1, s4
	v_mov_b32_e32 v2, 0
	s_lshl_b64 s[16:17], s[16:17], 3
	s_delay_alu instid0(SALU_CYCLE_1) | instskip(SKIP_1) | instid1(VALU_DEP_1)
	s_add_u32 s3, s12, s16
	s_addc_u32 s4, s13, s17
	v_lshlrev_b64 v[1:2], 3, v[1:2]
	s_delay_alu instid0(VALU_DEP_1) | instskip(NEXT) | instid1(VALU_DEP_2)
	v_add_co_u32 v1, vcc_lo, s3, v1
	v_add_co_ci_u32_e32 v2, vcc_lo, s4, v2, vcc_lo
	global_load_b64 v[1:2], v[1:2], off
	s_waitcnt vmcnt(0)
	v_dual_add_f32 v4, v4, v1 :: v_dual_add_f32 v3, v3, v2
.LBB313_6:
	s_or_b32 exec_lo, exec_lo, s2
	v_and_b32_e32 v1, 31, v0
	v_cmp_gt_u32_e32 vcc_lo, 32, v0
	s_delay_alu instid0(VALU_DEP_2)
	v_lshlrev_b32_e32 v5, 3, v1
	s_and_saveexec_b32 s2, vcc_lo
	s_cbranch_execz .LBB313_8
; %bb.7:
	v_mov_b32_e32 v6, 0
	s_delay_alu instid0(VALU_DEP_1)
	v_mov_b32_e32 v7, v6
	ds_store_b64 v5, v[6:7]
.LBB313_8:
	s_or_b32 exec_lo, exec_lo, s2
	v_mbcnt_lo_u32_b32 v2, -1, 0
	s_mov_b32 s3, exec_lo
	s_waitcnt lgkmcnt(0)
	s_barrier
	buffer_gl0_inv
	v_cmp_gt_u32_e64 s2, 16, v2
	s_delay_alu instid0(VALU_DEP_1) | instskip(SKIP_1) | instid1(VALU_DEP_2)
	v_cndmask_b32_e64 v6, 0, 1, s2
	v_cmp_gt_u32_e64 s2, 24, v2
	v_lshlrev_b32_e32 v6, 4, v6
	s_delay_alu instid0(VALU_DEP_2) | instskip(SKIP_1) | instid1(VALU_DEP_3)
	v_cndmask_b32_e64 v8, 0, 1, s2
	v_cmp_gt_u32_e64 s2, 28, v2
	v_add_lshl_u32 v6, v6, v2, 2
	s_delay_alu instid0(VALU_DEP_3)
	v_lshlrev_b32_e32 v8, 3, v8
	ds_bpermute_b32 v7, v6, v4
	ds_bpermute_b32 v6, v6, v3
	v_add_lshl_u32 v8, v8, v2, 2
	s_waitcnt lgkmcnt(1)
	v_add_f32_e32 v4, v4, v7
	s_waitcnt lgkmcnt(0)
	v_add_f32_e32 v6, v3, v6
	v_cndmask_b32_e64 v3, 0, 1, s2
	v_cmp_gt_u32_e64 s2, 30, v2
	ds_bpermute_b32 v7, v8, v4
	v_lshlrev_b32_e32 v3, 2, v3
	ds_bpermute_b32 v8, v8, v6
	v_add_lshl_u32 v3, v3, v2, 2
	s_waitcnt lgkmcnt(1)
	v_add_f32_e32 v7, v4, v7
	v_cndmask_b32_e64 v4, 0, 1, s2
	v_cmp_ne_u32_e64 s2, 31, v2
	s_waitcnt lgkmcnt(0)
	v_add_f32_e32 v6, v6, v8
	ds_bpermute_b32 v8, v3, v7
	v_lshlrev_b32_e32 v4, 1, v4
	ds_bpermute_b32 v9, v3, v6
	v_add_lshl_u32 v4, v4, v2, 2
	v_add_co_ci_u32_e64 v2, s2, 0, v2, s2
	s_waitcnt lgkmcnt(0)
	v_dual_add_f32 v7, v7, v8 :: v_dual_add_f32 v8, v6, v9
	s_delay_alu instid0(VALU_DEP_2)
	v_lshlrev_b32_e32 v6, 2, v2
	ds_bpermute_b32 v9, v4, v7
	ds_bpermute_b32 v10, v4, v8
	s_waitcnt lgkmcnt(1)
	v_add_f32_e32 v2, v7, v9
	s_waitcnt lgkmcnt(0)
	v_add_f32_e32 v8, v8, v10
	ds_bpermute_b32 v7, v6, v2
	ds_bpermute_b32 v9, v6, v8
	v_cmpx_eq_u32_e32 0, v1
	s_cbranch_execz .LBB313_10
; %bb.9:
	v_lshrrev_b32_e32 v1, 2, v0
	s_waitcnt lgkmcnt(0)
	v_dual_add_f32 v8, v8, v9 :: v_dual_add_f32 v7, v2, v7
	s_delay_alu instid0(VALU_DEP_2)
	v_and_b32_e32 v1, 56, v1
	ds_store_b64 v1, v[7:8]
.LBB313_10:
	s_or_b32 exec_lo, exec_lo, s3
	v_dual_mov_b32 v2, 0 :: v_dual_mov_b32 v1, 0
	s_mov_b32 s3, exec_lo
	s_waitcnt lgkmcnt(0)
	s_barrier
	buffer_gl0_inv
	v_cmpx_gt_u32_e32 8, v0
	s_cbranch_execz .LBB313_12
; %bb.11:
	ds_load_b64 v[1:2], v5
.LBB313_12:
	s_or_b32 exec_lo, exec_lo, s3
	s_and_saveexec_b32 s2, vcc_lo
	s_cbranch_execz .LBB313_14
; %bb.13:
	s_waitcnt lgkmcnt(0)
	ds_bpermute_b32 v5, v3, v1
	ds_bpermute_b32 v3, v3, v2
	s_waitcnt lgkmcnt(0)
	v_dual_add_f32 v1, v1, v5 :: v_dual_add_f32 v2, v2, v3
	ds_bpermute_b32 v3, v4, v1
	ds_bpermute_b32 v4, v4, v2
	s_waitcnt lgkmcnt(0)
	v_dual_add_f32 v1, v1, v3 :: v_dual_add_f32 v2, v2, v4
	;; [unrolled: 4-line block ×3, first 2 shown]
.LBB313_14:
	s_or_b32 exec_lo, exec_lo, s2
	s_delay_alu instid0(SALU_CYCLE_1)
	s_mov_b32 s2, exec_lo
	v_cmpx_eq_u32_e32 0, v0
	s_cbranch_execz .LBB313_18
; %bb.15:
	s_load_b32 s4, s[0:1], 0x28
	v_cmp_neq_f32_e64 s7, s5, 0
	v_cmp_neq_f32_e64 s12, s6, 0
	s_lshl_b64 s[0:1], s[10:11], 3
	s_waitcnt lgkmcnt(0)
	s_ashr_i32 s10, s4, 31
	s_add_u32 s2, s8, s0
	s_addc_u32 s3, s9, s1
	s_or_b32 s0, s7, s12
	s_mul_hi_u32 s1, s4, s14
	s_mul_i32 s10, s10, s14
	s_and_not1_b32 vcc_lo, exec_lo, s0
	s_add_i32 s1, s1, s10
	s_mul_i32 s0, s4, s14
	s_cbranch_vccnz .LBB313_17
; %bb.16:
	s_lshl_b64 s[8:9], s[0:1], 3
	s_delay_alu instid0(SALU_CYCLE_1)
	s_add_u32 s8, s2, s8
	s_addc_u32 s9, s3, s9
	s_load_b64 s[8:9], s[8:9], 0x0
	s_waitcnt lgkmcnt(0)
	v_mul_f32_e64 v0, s6, s9
	v_mul_f32_e64 v3, s5, s9
	s_delay_alu instid0(VALU_DEP_2) | instskip(NEXT) | instid1(VALU_DEP_2)
	v_fma_f32 v0, s5, s8, -v0
	v_fmac_f32_e64 v3, s6, s8
	s_delay_alu instid0(VALU_DEP_1)
	v_dual_add_f32 v1, v0, v1 :: v_dual_add_f32 v2, v3, v2
.LBB313_17:
	s_lshl_b64 s[0:1], s[0:1], 3
	v_mov_b32_e32 v0, 0
	s_add_u32 s0, s2, s0
	s_addc_u32 s1, s3, s1
	global_store_b64 v0, v[1:2], s[0:1]
.LBB313_18:
	s_nop 0
	s_sendmsg sendmsg(MSG_DEALLOC_VGPRS)
	s_endpgm
	.section	.rodata,"a",@progbits
	.p2align	6, 0x0
	.amdhsa_kernel _ZL23rocblas_gemvt_sn_reduceILi256ELi8E19rocblas_complex_numIfES1_KPS1_EviT2_lPT3_lilPT1_i
		.amdhsa_group_segment_fixed_size 256
		.amdhsa_private_segment_fixed_size 0
		.amdhsa_kernarg_size 328
		.amdhsa_user_sgpr_count 13
		.amdhsa_user_sgpr_dispatch_ptr 0
		.amdhsa_user_sgpr_queue_ptr 0
		.amdhsa_user_sgpr_kernarg_segment_ptr 1
		.amdhsa_user_sgpr_dispatch_id 0
		.amdhsa_user_sgpr_private_segment_size 0
		.amdhsa_wavefront_size32 1
		.amdhsa_uses_dynamic_stack 0
		.amdhsa_enable_private_segment 0
		.amdhsa_system_sgpr_workgroup_id_x 1
		.amdhsa_system_sgpr_workgroup_id_y 1
		.amdhsa_system_sgpr_workgroup_id_z 1
		.amdhsa_system_sgpr_workgroup_info 0
		.amdhsa_system_vgpr_workitem_id 0
		.amdhsa_next_free_vgpr 22
		.amdhsa_next_free_sgpr 22
		.amdhsa_reserve_vcc 1
		.amdhsa_float_round_mode_32 0
		.amdhsa_float_round_mode_16_64 0
		.amdhsa_float_denorm_mode_32 3
		.amdhsa_float_denorm_mode_16_64 3
		.amdhsa_dx10_clamp 1
		.amdhsa_ieee_mode 1
		.amdhsa_fp16_overflow 0
		.amdhsa_workgroup_processor_mode 1
		.amdhsa_memory_ordered 1
		.amdhsa_forward_progress 0
		.amdhsa_shared_vgpr_count 0
		.amdhsa_exception_fp_ieee_invalid_op 0
		.amdhsa_exception_fp_denorm_src 0
		.amdhsa_exception_fp_ieee_div_zero 0
		.amdhsa_exception_fp_ieee_overflow 0
		.amdhsa_exception_fp_ieee_underflow 0
		.amdhsa_exception_fp_ieee_inexact 0
		.amdhsa_exception_int_div_zero 0
	.end_amdhsa_kernel
	.section	.text._ZL23rocblas_gemvt_sn_reduceILi256ELi8E19rocblas_complex_numIfES1_KPS1_EviT2_lPT3_lilPT1_i,"axG",@progbits,_ZL23rocblas_gemvt_sn_reduceILi256ELi8E19rocblas_complex_numIfES1_KPS1_EviT2_lPT3_lilPT1_i,comdat
.Lfunc_end313:
	.size	_ZL23rocblas_gemvt_sn_reduceILi256ELi8E19rocblas_complex_numIfES1_KPS1_EviT2_lPT3_lilPT1_i, .Lfunc_end313-_ZL23rocblas_gemvt_sn_reduceILi256ELi8E19rocblas_complex_numIfES1_KPS1_EviT2_lPT3_lilPT1_i
                                        ; -- End function
	.section	.AMDGPU.csdata,"",@progbits
; Kernel info:
; codeLenInByte = 1284
; NumSgprs: 24
; NumVgprs: 22
; ScratchSize: 0
; MemoryBound: 0
; FloatMode: 240
; IeeeMode: 1
; LDSByteSize: 256 bytes/workgroup (compile time only)
; SGPRBlocks: 2
; VGPRBlocks: 2
; NumSGPRsForWavesPerEU: 24
; NumVGPRsForWavesPerEU: 22
; Occupancy: 16
; WaveLimiterHint : 1
; COMPUTE_PGM_RSRC2:SCRATCH_EN: 0
; COMPUTE_PGM_RSRC2:USER_SGPR: 13
; COMPUTE_PGM_RSRC2:TRAP_HANDLER: 0
; COMPUTE_PGM_RSRC2:TGID_X_EN: 1
; COMPUTE_PGM_RSRC2:TGID_Y_EN: 1
; COMPUTE_PGM_RSRC2:TGID_Z_EN: 1
; COMPUTE_PGM_RSRC2:TIDIG_COMP_CNT: 0
	.section	.text._ZL32rocblas_gemvt_warp_reduce_kernelILb0ELi256EiPK19rocblas_complex_numIfES3_KPS1_EviiT3_lPKT2_lT1_lS9_lSA_lS6_lPT4_lSA_li,"axG",@progbits,_ZL32rocblas_gemvt_warp_reduce_kernelILb0ELi256EiPK19rocblas_complex_numIfES3_KPS1_EviiT3_lPKT2_lT1_lS9_lSA_lS6_lPT4_lSA_li,comdat
	.globl	_ZL32rocblas_gemvt_warp_reduce_kernelILb0ELi256EiPK19rocblas_complex_numIfES3_KPS1_EviiT3_lPKT2_lT1_lS9_lSA_lS6_lPT4_lSA_li ; -- Begin function _ZL32rocblas_gemvt_warp_reduce_kernelILb0ELi256EiPK19rocblas_complex_numIfES3_KPS1_EviiT3_lPKT2_lT1_lS9_lSA_lS6_lPT4_lSA_li
	.p2align	8
	.type	_ZL32rocblas_gemvt_warp_reduce_kernelILb0ELi256EiPK19rocblas_complex_numIfES3_KPS1_EviiT3_lPKT2_lT1_lS9_lSA_lS6_lPT4_lSA_li,@function
_ZL32rocblas_gemvt_warp_reduce_kernelILb0ELi256EiPK19rocblas_complex_numIfES3_KPS1_EviiT3_lPKT2_lT1_lS9_lSA_lS6_lPT4_lSA_li: ; @_ZL32rocblas_gemvt_warp_reduce_kernelILb0ELi256EiPK19rocblas_complex_numIfES3_KPS1_EviiT3_lPKT2_lT1_lS9_lSA_lS6_lPT4_lSA_li
; %bb.0:
	s_clause 0x1
	s_load_b256 s[16:23], s[0:1], 0x8
	s_load_b256 s[4:11], s[0:1], 0x58
	s_mov_b32 s2, s15
	s_waitcnt lgkmcnt(0)
	s_mul_i32 s3, s15, s19
	s_mul_hi_u32 s13, s15, s18
	s_mul_i32 s12, s15, s18
	s_add_i32 s13, s13, s3
	s_mul_i32 s3, s15, s7
	s_lshl_b64 s[12:13], s[12:13], 3
	s_mul_hi_u32 s7, s15, s6
	s_add_u32 s12, s16, s12
	s_addc_u32 s13, s17, s13
	s_mul_i32 s6, s15, s6
	s_load_b64 s[12:13], s[12:13], 0x0
	s_add_i32 s7, s7, s3
	s_delay_alu instid0(SALU_CYCLE_1) | instskip(NEXT) | instid1(SALU_CYCLE_1)
	s_lshl_b64 s[6:7], s[6:7], 3
	s_add_u32 s4, s4, s6
	s_addc_u32 s5, s5, s7
	s_load_b64 s[4:5], s[4:5], 0x0
	s_waitcnt lgkmcnt(0)
	v_cmp_neq_f32_e64 s3, s12, 0
	v_cmp_neq_f32_e64 s6, s13, 0
	s_delay_alu instid0(VALU_DEP_1)
	s_or_b32 s6, s3, s6
	s_mov_b32 s3, 0
	s_and_b32 vcc_lo, exec_lo, s6
	s_mov_b32 s6, -1
	s_cbranch_vccnz .LBB314_2
; %bb.1:
	v_cmp_neq_f32_e64 s6, s4, 1.0
	v_cmp_neq_f32_e64 s7, s5, 0
	s_delay_alu instid0(VALU_DEP_1)
	s_or_b32 s6, s6, s7
.LBB314_2:
	s_delay_alu instid0(SALU_CYCLE_1)
	s_and_not1_b32 vcc_lo, exec_lo, s6
	s_cbranch_vccnz .LBB314_32
; %bb.3:
	s_or_b32 s6, s12, s13
	s_mov_b64 s[16:17], 0
	s_bitset0_b32 s6, 31
	s_delay_alu instid0(SALU_CYCLE_1) | instskip(SKIP_4) | instid1(SALU_CYCLE_1)
	s_cmp_lg_u32 s6, 0
	s_cselect_b32 s15, -1, 0
	s_cmp_eq_u32 s6, 0
	s_mov_b64 s[6:7], 0
	s_cselect_b32 s18, -1, 0
	s_and_b32 vcc_lo, exec_lo, s18
	s_cbranch_vccnz .LBB314_5
; %bb.4:
	s_lshl_b64 s[16:17], s[2:3], 3
	s_delay_alu instid0(SALU_CYCLE_1)
	s_add_u32 s16, s20, s16
	s_addc_u32 s17, s21, s17
	s_lshl_b64 s[20:21], s[22:23], 3
	s_load_b64 s[16:17], s[16:17], 0x0
	s_waitcnt lgkmcnt(0)
	s_add_u32 s16, s16, s20
	s_addc_u32 s17, s17, s21
.LBB314_5:
	s_and_not1_b32 vcc_lo, exec_lo, s15
	s_cbranch_vccnz .LBB314_7
; %bb.6:
	s_load_b128 s[20:23], s[0:1], 0x38
	s_lshl_b64 s[6:7], s[2:3], 3
	s_waitcnt lgkmcnt(0)
	s_add_u32 s6, s20, s6
	s_addc_u32 s7, s21, s7
	s_lshl_b64 s[20:21], s[22:23], 3
	s_load_b64 s[6:7], s[6:7], 0x0
	s_waitcnt lgkmcnt(0)
	s_add_u32 s6, s6, s20
	s_addc_u32 s7, s7, s21
.LBB314_7:
	s_lshl_b64 s[2:3], s[2:3], 3
	s_delay_alu instid0(SALU_CYCLE_1)
	s_add_u32 s2, s8, s2
	s_addc_u32 s3, s9, s3
	s_lshl_b64 s[10:11], s[10:11], 3
	s_load_b64 s[8:9], s[2:3], 0x0
	s_load_b32 s15, s[0:1], 0x78
	v_cmp_eq_u32_e64 s2, 0, v0
	s_waitcnt lgkmcnt(0)
	s_add_u32 s8, s8, s10
	s_addc_u32 s9, s9, s11
	s_and_not1_b32 vcc_lo, exec_lo, s18
	s_mov_b32 s10, -1
	s_cbranch_vccnz .LBB314_13
; %bb.8:
	s_mov_b32 s10, 0
	s_and_saveexec_b32 s11, s2
	s_cbranch_execz .LBB314_12
; %bb.9:
	v_cmp_neq_f32_e64 s2, s4, 0
	v_cmp_neq_f32_e64 s3, s5, 0
	v_dual_mov_b32 v3, 0 :: v_dual_mov_b32 v2, 0
	v_mov_b32_e32 v1, 0
	s_delay_alu instid0(VALU_DEP_3)
	s_or_b32 s3, s2, s3
	s_mul_i32 s2, s14, s15
	s_and_not1_b32 vcc_lo, exec_lo, s3
	s_ashr_i32 s3, s2, 31
	s_cbranch_vccnz .LBB314_11
; %bb.10:
	s_lshl_b64 s[18:19], s[2:3], 3
	s_delay_alu instid0(SALU_CYCLE_1)
	s_add_u32 s18, s8, s18
	s_addc_u32 s19, s9, s19
	s_load_b64 s[18:19], s[18:19], 0x0
	s_waitcnt lgkmcnt(0)
	v_mul_f32_e64 v1, s5, s19
	v_mul_f32_e64 v2, s4, s19
	s_delay_alu instid0(VALU_DEP_2) | instskip(NEXT) | instid1(VALU_DEP_2)
	v_fma_f32 v1, s4, s18, -v1
	v_fmac_f32_e64 v2, s5, s18
.LBB314_11:
	s_lshl_b64 s[2:3], s[2:3], 3
	s_delay_alu instid0(SALU_CYCLE_1)
	s_add_u32 s2, s8, s2
	s_addc_u32 s3, s9, s3
	global_store_b64 v3, v[1:2], s[2:3]
.LBB314_12:
	s_or_b32 exec_lo, exec_lo, s11
.LBB314_13:
	s_delay_alu instid0(SALU_CYCLE_1)
	s_and_not1_b32 vcc_lo, exec_lo, s10
	s_cbranch_vccnz .LBB314_32
; %bb.14:
	s_clause 0x2
	s_load_b32 s3, s[0:1], 0x28
	s_load_b32 s2, s[0:1], 0x0
	;; [unrolled: 1-line block ×3, first 2 shown]
	v_dual_mov_b32 v7, 0 :: v_dual_mov_b32 v8, 0
	s_waitcnt lgkmcnt(0)
	s_mul_i32 s10, s14, s3
	v_cmp_gt_i32_e32 vcc_lo, s2, v0
	s_ashr_i32 s11, s10, 31
	s_delay_alu instid0(SALU_CYCLE_1) | instskip(SKIP_4) | instid1(SALU_CYCLE_1)
	s_lshl_b64 s[10:11], s[10:11], 3
	v_cndmask_b32_e32 v1, 0, v0, vcc_lo
	s_add_u32 s3, s10, s16
	s_addc_u32 s10, s11, s17
	s_ashr_i32 s0, s2, 31
	s_lshr_b32 s0, s0, 24
	v_lshlrev_b32_e32 v1, 3, v1
	s_add_i32 s0, s2, s0
	s_delay_alu instid0(SALU_CYCLE_1) | instskip(NEXT) | instid1(VALU_DEP_1)
	s_and_b32 s0, s0, 0xffffff00
	v_add_co_u32 v1, s3, s3, v1
	s_delay_alu instid0(VALU_DEP_1)
	v_add_co_ci_u32_e64 v2, null, s10, 0, s3
	s_mov_b32 s3, exec_lo
	v_cmpx_gt_i32_e64 s0, v0
	s_cbranch_execz .LBB314_18
; %bb.15:
	v_mul_lo_u32 v3, v0, s1
	v_dual_mov_b32 v7, 0 :: v_dual_mov_b32 v6, v2
	v_dual_mov_b32 v5, v1 :: v_dual_mov_b32 v8, 0
	v_mov_b32_e32 v9, v0
	s_lshl_b32 s11, s1, 8
	s_mov_b32 s10, 0
	.p2align	6
.LBB314_16:                             ; =>This Inner Loop Header: Depth=1
	s_delay_alu instid0(VALU_DEP_4) | instskip(NEXT) | instid1(VALU_DEP_1)
	v_ashrrev_i32_e32 v4, 31, v3
	v_lshlrev_b64 v[10:11], 3, v[3:4]
	v_add_nc_u32_e32 v3, s11, v3
	s_delay_alu instid0(VALU_DEP_2) | instskip(NEXT) | instid1(VALU_DEP_3)
	v_add_co_u32 v10, vcc_lo, s6, v10
	v_add_co_ci_u32_e32 v11, vcc_lo, s7, v11, vcc_lo
	flat_load_b64 v[12:13], v[5:6]
	flat_load_b64 v[10:11], v[10:11]
	v_add_co_u32 v5, vcc_lo, 0x800, v5
	v_add_co_ci_u32_e32 v6, vcc_lo, 0, v6, vcc_lo
	s_waitcnt vmcnt(0) lgkmcnt(0)
	v_mul_f32_e32 v4, v11, v13
	v_mul_f32_e32 v13, v10, v13
	s_delay_alu instid0(VALU_DEP_2) | instskip(SKIP_1) | instid1(VALU_DEP_3)
	v_fma_f32 v4, v10, v12, -v4
	v_add_nc_u32_e32 v9, 0x100, v9
	v_fmac_f32_e32 v13, v11, v12
	s_delay_alu instid0(VALU_DEP_3) | instskip(NEXT) | instid1(VALU_DEP_3)
	v_add_f32_e32 v8, v8, v4
	v_cmp_le_i32_e32 vcc_lo, s0, v9
	s_delay_alu instid0(VALU_DEP_3) | instskip(SKIP_1) | instid1(SALU_CYCLE_1)
	v_add_f32_e32 v7, v7, v13
	s_or_b32 s10, vcc_lo, s10
	s_and_not1_b32 exec_lo, exec_lo, s10
	s_cbranch_execnz .LBB314_16
; %bb.17:
	s_or_b32 exec_lo, exec_lo, s10
.LBB314_18:
	s_delay_alu instid0(SALU_CYCLE_1) | instskip(SKIP_1) | instid1(VALU_DEP_1)
	s_or_b32 exec_lo, exec_lo, s3
	v_add_nc_u32_e32 v3, s0, v0
	v_cmp_gt_i32_e32 vcc_lo, s2, v3
	s_and_saveexec_b32 s2, vcc_lo
	s_cbranch_execz .LBB314_20
; %bb.19:
	v_mul_lo_u32 v3, v3, s1
	s_ashr_i32 s1, s0, 31
	s_delay_alu instid0(SALU_CYCLE_1) | instskip(NEXT) | instid1(SALU_CYCLE_1)
	s_lshl_b64 s[0:1], s[0:1], 3
	v_add_co_u32 v1, vcc_lo, v1, s0
	v_add_co_ci_u32_e32 v2, vcc_lo, s1, v2, vcc_lo
	s_delay_alu instid0(VALU_DEP_3) | instskip(NEXT) | instid1(VALU_DEP_1)
	v_ashrrev_i32_e32 v4, 31, v3
	v_lshlrev_b64 v[3:4], 3, v[3:4]
	s_delay_alu instid0(VALU_DEP_1) | instskip(NEXT) | instid1(VALU_DEP_2)
	v_add_co_u32 v3, vcc_lo, s6, v3
	v_add_co_ci_u32_e32 v4, vcc_lo, s7, v4, vcc_lo
	flat_load_b64 v[1:2], v[1:2]
	flat_load_b64 v[3:4], v[3:4]
	s_waitcnt vmcnt(0) lgkmcnt(0)
	v_mul_f32_e32 v5, v4, v2
	v_mul_f32_e32 v2, v3, v2
	s_delay_alu instid0(VALU_DEP_2) | instskip(NEXT) | instid1(VALU_DEP_2)
	v_fma_f32 v3, v3, v1, -v5
	v_fmac_f32_e32 v2, v4, v1
	s_delay_alu instid0(VALU_DEP_1)
	v_dual_add_f32 v8, v8, v3 :: v_dual_add_f32 v7, v7, v2
.LBB314_20:
	s_or_b32 exec_lo, exec_lo, s2
	v_and_b32_e32 v1, 31, v0
	v_cmp_gt_u32_e32 vcc_lo, 32, v0
	s_delay_alu instid0(VALU_DEP_2)
	v_lshlrev_b32_e32 v3, 3, v1
	s_and_saveexec_b32 s0, vcc_lo
	s_cbranch_execz .LBB314_22
; %bb.21:
	v_mov_b32_e32 v4, 0
	s_delay_alu instid0(VALU_DEP_1)
	v_mov_b32_e32 v5, v4
	ds_store_b64 v3, v[4:5]
.LBB314_22:
	s_or_b32 exec_lo, exec_lo, s0
	v_mbcnt_lo_u32_b32 v2, -1, 0
	s_mov_b32 s1, exec_lo
	s_waitcnt lgkmcnt(0)
	s_waitcnt_vscnt null, 0x0
	s_barrier
	buffer_gl0_inv
	v_cmp_gt_u32_e64 s0, 16, v2
	s_delay_alu instid0(VALU_DEP_1) | instskip(SKIP_1) | instid1(VALU_DEP_2)
	v_cndmask_b32_e64 v4, 0, 1, s0
	v_cmp_gt_u32_e64 s0, 24, v2
	v_lshlrev_b32_e32 v4, 4, v4
	s_delay_alu instid0(VALU_DEP_2) | instskip(SKIP_1) | instid1(VALU_DEP_3)
	v_cndmask_b32_e64 v6, 0, 1, s0
	v_cmp_gt_u32_e64 s0, 28, v2
	v_add_lshl_u32 v4, v4, v2, 2
	ds_bpermute_b32 v5, v4, v8
	ds_bpermute_b32 v4, v4, v7
	s_waitcnt lgkmcnt(1)
	v_dual_add_f32 v5, v8, v5 :: v_dual_lshlrev_b32 v6, 3, v6
	s_waitcnt lgkmcnt(0)
	v_add_f32_e32 v7, v7, v4
	s_delay_alu instid0(VALU_DEP_2)
	v_add_lshl_u32 v6, v6, v2, 2
	v_cndmask_b32_e64 v4, 0, 1, s0
	v_cmp_gt_u32_e64 s0, 30, v2
	ds_bpermute_b32 v8, v6, v5
	ds_bpermute_b32 v6, v6, v7
	s_waitcnt lgkmcnt(1)
	v_add_f32_e32 v8, v5, v8
	v_cndmask_b32_e64 v5, 0, 1, s0
	s_waitcnt lgkmcnt(0)
	v_add_f32_e32 v6, v7, v6
	v_cmp_ne_u32_e64 s0, 31, v2
	s_delay_alu instid0(VALU_DEP_3) | instskip(SKIP_1) | instid1(VALU_DEP_2)
	v_lshlrev_b32_e32 v5, 1, v5
	v_lshlrev_b32_e32 v4, 2, v4
	v_add_lshl_u32 v5, v5, v2, 2
	s_delay_alu instid0(VALU_DEP_2)
	v_add_lshl_u32 v4, v4, v2, 2
	v_add_co_ci_u32_e64 v2, s0, 0, v2, s0
	ds_bpermute_b32 v7, v4, v8
	ds_bpermute_b32 v9, v4, v6
	s_waitcnt lgkmcnt(0)
	v_dual_add_f32 v7, v8, v7 :: v_dual_add_f32 v8, v6, v9
	v_lshlrev_b32_e32 v6, 2, v2
	ds_bpermute_b32 v9, v5, v7
	ds_bpermute_b32 v10, v5, v8
	s_waitcnt lgkmcnt(1)
	v_add_f32_e32 v2, v7, v9
	s_waitcnt lgkmcnt(0)
	v_add_f32_e32 v8, v8, v10
	ds_bpermute_b32 v7, v6, v2
	ds_bpermute_b32 v9, v6, v8
	v_cmpx_eq_u32_e32 0, v1
	s_cbranch_execz .LBB314_24
; %bb.23:
	v_lshrrev_b32_e32 v1, 2, v0
	s_waitcnt lgkmcnt(0)
	v_dual_add_f32 v8, v8, v9 :: v_dual_add_f32 v7, v2, v7
	s_delay_alu instid0(VALU_DEP_2)
	v_and_b32_e32 v1, 56, v1
	ds_store_b64 v1, v[7:8]
.LBB314_24:
	s_or_b32 exec_lo, exec_lo, s1
	v_dual_mov_b32 v2, 0 :: v_dual_mov_b32 v1, 0
	s_mov_b32 s1, exec_lo
	s_waitcnt lgkmcnt(0)
	s_barrier
	buffer_gl0_inv
	v_cmpx_gt_u32_e32 8, v0
	s_cbranch_execz .LBB314_26
; %bb.25:
	ds_load_b64 v[1:2], v3
.LBB314_26:
	s_or_b32 exec_lo, exec_lo, s1
	s_and_saveexec_b32 s0, vcc_lo
	s_cbranch_execz .LBB314_28
; %bb.27:
	s_waitcnt lgkmcnt(0)
	ds_bpermute_b32 v3, v4, v1
	ds_bpermute_b32 v4, v4, v2
	s_waitcnt lgkmcnt(0)
	v_dual_add_f32 v1, v1, v3 :: v_dual_add_f32 v2, v2, v4
	ds_bpermute_b32 v3, v5, v1
	ds_bpermute_b32 v4, v5, v2
	s_waitcnt lgkmcnt(0)
	v_dual_add_f32 v1, v1, v3 :: v_dual_add_f32 v2, v2, v4
	;; [unrolled: 4-line block ×3, first 2 shown]
.LBB314_28:
	s_or_b32 exec_lo, exec_lo, s0
	s_delay_alu instid0(SALU_CYCLE_1)
	s_mov_b32 s0, exec_lo
	v_cmpx_eq_u32_e32 0, v0
	s_cbranch_execz .LBB314_32
; %bb.29:
	s_waitcnt lgkmcnt(0)
	v_mul_f32_e32 v3, s12, v2
	v_mul_f32_e32 v0, s13, v2
	v_cmp_neq_f32_e64 s0, s4, 0
	v_cmp_neq_f32_e64 s1, s5, 0
	s_delay_alu instid0(VALU_DEP_4) | instskip(NEXT) | instid1(VALU_DEP_4)
	v_fmac_f32_e32 v3, s13, v1
	v_fma_f32 v2, v1, s12, -v0
	s_delay_alu instid0(VALU_DEP_3)
	s_or_b32 s1, s0, s1
	s_mul_i32 s0, s14, s15
	s_and_not1_b32 vcc_lo, exec_lo, s1
	s_ashr_i32 s1, s0, 31
	s_cbranch_vccnz .LBB314_31
; %bb.30:
	s_lshl_b64 s[2:3], s[0:1], 3
	v_mov_b32_e32 v0, 0
	s_add_u32 s2, s8, s2
	s_addc_u32 s3, s9, s3
	global_load_b64 v[0:1], v0, s[2:3]
	s_waitcnt vmcnt(0)
	v_mul_f32_e32 v4, s5, v1
	v_mul_f32_e32 v1, s4, v1
	s_delay_alu instid0(VALU_DEP_1) | instskip(NEXT) | instid1(VALU_DEP_3)
	v_fmac_f32_e32 v1, s5, v0
	v_fma_f32 v4, s4, v0, -v4
	s_delay_alu instid0(VALU_DEP_1)
	v_dual_add_f32 v3, v3, v1 :: v_dual_add_f32 v2, v2, v4
.LBB314_31:
	s_lshl_b64 s[0:1], s[0:1], 3
	v_mov_b32_e32 v0, 0
	s_add_u32 s0, s8, s0
	s_addc_u32 s1, s9, s1
	global_store_b64 v0, v[2:3], s[0:1]
.LBB314_32:
	s_nop 0
	s_sendmsg sendmsg(MSG_DEALLOC_VGPRS)
	s_endpgm
	.section	.rodata,"a",@progbits
	.p2align	6, 0x0
	.amdhsa_kernel _ZL32rocblas_gemvt_warp_reduce_kernelILb0ELi256EiPK19rocblas_complex_numIfES3_KPS1_EviiT3_lPKT2_lT1_lS9_lSA_lS6_lPT4_lSA_li
		.amdhsa_group_segment_fixed_size 256
		.amdhsa_private_segment_fixed_size 0
		.amdhsa_kernarg_size 140
		.amdhsa_user_sgpr_count 14
		.amdhsa_user_sgpr_dispatch_ptr 0
		.amdhsa_user_sgpr_queue_ptr 0
		.amdhsa_user_sgpr_kernarg_segment_ptr 1
		.amdhsa_user_sgpr_dispatch_id 0
		.amdhsa_user_sgpr_private_segment_size 0
		.amdhsa_wavefront_size32 1
		.amdhsa_uses_dynamic_stack 0
		.amdhsa_enable_private_segment 0
		.amdhsa_system_sgpr_workgroup_id_x 1
		.amdhsa_system_sgpr_workgroup_id_y 0
		.amdhsa_system_sgpr_workgroup_id_z 1
		.amdhsa_system_sgpr_workgroup_info 0
		.amdhsa_system_vgpr_workitem_id 0
		.amdhsa_next_free_vgpr 14
		.amdhsa_next_free_sgpr 24
		.amdhsa_reserve_vcc 1
		.amdhsa_float_round_mode_32 0
		.amdhsa_float_round_mode_16_64 0
		.amdhsa_float_denorm_mode_32 3
		.amdhsa_float_denorm_mode_16_64 3
		.amdhsa_dx10_clamp 1
		.amdhsa_ieee_mode 1
		.amdhsa_fp16_overflow 0
		.amdhsa_workgroup_processor_mode 1
		.amdhsa_memory_ordered 1
		.amdhsa_forward_progress 0
		.amdhsa_shared_vgpr_count 0
		.amdhsa_exception_fp_ieee_invalid_op 0
		.amdhsa_exception_fp_denorm_src 0
		.amdhsa_exception_fp_ieee_div_zero 0
		.amdhsa_exception_fp_ieee_overflow 0
		.amdhsa_exception_fp_ieee_underflow 0
		.amdhsa_exception_fp_ieee_inexact 0
		.amdhsa_exception_int_div_zero 0
	.end_amdhsa_kernel
	.section	.text._ZL32rocblas_gemvt_warp_reduce_kernelILb0ELi256EiPK19rocblas_complex_numIfES3_KPS1_EviiT3_lPKT2_lT1_lS9_lSA_lS6_lPT4_lSA_li,"axG",@progbits,_ZL32rocblas_gemvt_warp_reduce_kernelILb0ELi256EiPK19rocblas_complex_numIfES3_KPS1_EviiT3_lPKT2_lT1_lS9_lSA_lS6_lPT4_lSA_li,comdat
.Lfunc_end314:
	.size	_ZL32rocblas_gemvt_warp_reduce_kernelILb0ELi256EiPK19rocblas_complex_numIfES3_KPS1_EviiT3_lPKT2_lT1_lS9_lSA_lS6_lPT4_lSA_li, .Lfunc_end314-_ZL32rocblas_gemvt_warp_reduce_kernelILb0ELi256EiPK19rocblas_complex_numIfES3_KPS1_EviiT3_lPKT2_lT1_lS9_lSA_lS6_lPT4_lSA_li
                                        ; -- End function
	.section	.AMDGPU.csdata,"",@progbits
; Kernel info:
; codeLenInByte = 1768
; NumSgprs: 26
; NumVgprs: 14
; ScratchSize: 0
; MemoryBound: 0
; FloatMode: 240
; IeeeMode: 1
; LDSByteSize: 256 bytes/workgroup (compile time only)
; SGPRBlocks: 3
; VGPRBlocks: 1
; NumSGPRsForWavesPerEU: 26
; NumVGPRsForWavesPerEU: 14
; Occupancy: 16
; WaveLimiterHint : 1
; COMPUTE_PGM_RSRC2:SCRATCH_EN: 0
; COMPUTE_PGM_RSRC2:USER_SGPR: 14
; COMPUTE_PGM_RSRC2:TRAP_HANDLER: 0
; COMPUTE_PGM_RSRC2:TGID_X_EN: 1
; COMPUTE_PGM_RSRC2:TGID_Y_EN: 0
; COMPUTE_PGM_RSRC2:TGID_Z_EN: 1
; COMPUTE_PGM_RSRC2:TIDIG_COMP_CNT: 0
	.section	.text._ZL32rocblas_gemvt_warp_reduce_kernelILb0ELi256ElPK19rocblas_complex_numIfES3_KPS1_EviiT3_lPKT2_lT1_lS9_lSA_lS6_lPT4_lSA_li,"axG",@progbits,_ZL32rocblas_gemvt_warp_reduce_kernelILb0ELi256ElPK19rocblas_complex_numIfES3_KPS1_EviiT3_lPKT2_lT1_lS9_lSA_lS6_lPT4_lSA_li,comdat
	.globl	_ZL32rocblas_gemvt_warp_reduce_kernelILb0ELi256ElPK19rocblas_complex_numIfES3_KPS1_EviiT3_lPKT2_lT1_lS9_lSA_lS6_lPT4_lSA_li ; -- Begin function _ZL32rocblas_gemvt_warp_reduce_kernelILb0ELi256ElPK19rocblas_complex_numIfES3_KPS1_EviiT3_lPKT2_lT1_lS9_lSA_lS6_lPT4_lSA_li
	.p2align	8
	.type	_ZL32rocblas_gemvt_warp_reduce_kernelILb0ELi256ElPK19rocblas_complex_numIfES3_KPS1_EviiT3_lPKT2_lT1_lS9_lSA_lS6_lPT4_lSA_li,@function
_ZL32rocblas_gemvt_warp_reduce_kernelILb0ELi256ElPK19rocblas_complex_numIfES3_KPS1_EviiT3_lPKT2_lT1_lS9_lSA_lS6_lPT4_lSA_li: ; @_ZL32rocblas_gemvt_warp_reduce_kernelILb0ELi256ElPK19rocblas_complex_numIfES3_KPS1_EviiT3_lPKT2_lT1_lS9_lSA_lS6_lPT4_lSA_li
; %bb.0:
	s_clause 0x1
	s_load_b256 s[16:23], s[0:1], 0x8
	s_load_b256 s[4:11], s[0:1], 0x58
	s_mov_b32 s2, s15
	s_waitcnt lgkmcnt(0)
	s_mul_i32 s3, s15, s19
	s_mul_hi_u32 s13, s15, s18
	s_mul_i32 s12, s15, s18
	s_add_i32 s13, s13, s3
	s_mul_i32 s3, s15, s7
	s_lshl_b64 s[12:13], s[12:13], 3
	s_mul_hi_u32 s7, s15, s6
	s_add_u32 s12, s16, s12
	s_addc_u32 s13, s17, s13
	s_mul_i32 s6, s15, s6
	s_load_b64 s[16:17], s[12:13], 0x0
	s_add_i32 s7, s7, s3
	s_delay_alu instid0(SALU_CYCLE_1) | instskip(NEXT) | instid1(SALU_CYCLE_1)
	s_lshl_b64 s[6:7], s[6:7], 3
	s_add_u32 s4, s4, s6
	s_addc_u32 s5, s5, s7
	s_load_b64 s[12:13], s[4:5], 0x0
	s_waitcnt lgkmcnt(0)
	v_cmp_neq_f32_e64 s3, s16, 0
	v_cmp_neq_f32_e64 s4, s17, 0
	s_delay_alu instid0(VALU_DEP_1)
	s_or_b32 s4, s3, s4
	s_mov_b32 s3, 0
	s_and_b32 vcc_lo, exec_lo, s4
	s_mov_b32 s4, -1
	s_cbranch_vccnz .LBB315_2
; %bb.1:
	v_cmp_neq_f32_e64 s4, s12, 1.0
	v_cmp_neq_f32_e64 s5, s13, 0
	s_delay_alu instid0(VALU_DEP_1)
	s_or_b32 s4, s4, s5
.LBB315_2:
	s_delay_alu instid0(SALU_CYCLE_1)
	s_and_not1_b32 vcc_lo, exec_lo, s4
	s_cbranch_vccnz .LBB315_32
; %bb.3:
	s_clause 0x1
	s_load_b64 s[26:27], s[0:1], 0x28
	s_load_b64 s[18:19], s[0:1], 0x78
	s_or_b32 s4, s16, s17
	s_mov_b64 s[24:25], 0
	s_bitset0_b32 s4, 31
	s_mov_b64 s[28:29], 0
	s_cmp_lg_u32 s4, 0
	s_cselect_b32 s30, -1, 0
	s_cmp_eq_u32 s4, 0
	s_cselect_b32 s15, -1, 0
	s_delay_alu instid0(SALU_CYCLE_1)
	s_and_b32 vcc_lo, exec_lo, s15
	s_cbranch_vccnz .LBB315_5
; %bb.4:
	s_lshl_b64 s[4:5], s[2:3], 3
	s_delay_alu instid0(SALU_CYCLE_1)
	s_add_u32 s4, s20, s4
	s_addc_u32 s5, s21, s5
	s_lshl_b64 s[6:7], s[22:23], 3
	s_load_b64 s[4:5], s[4:5], 0x0
	s_waitcnt lgkmcnt(0)
	s_add_u32 s28, s4, s6
	s_addc_u32 s29, s5, s7
.LBB315_5:
	s_clause 0x1
	s_load_b128 s[4:7], s[0:1], 0x38
	s_load_b64 s[20:21], s[0:1], 0x48
	s_and_not1_b32 vcc_lo, exec_lo, s30
	s_cbranch_vccnz .LBB315_7
; %bb.6:
	s_lshl_b64 s[22:23], s[2:3], 3
	s_waitcnt lgkmcnt(0)
	s_add_u32 s4, s4, s22
	s_addc_u32 s5, s5, s23
	s_lshl_b64 s[6:7], s[6:7], 3
	s_load_b64 s[4:5], s[4:5], 0x0
	s_waitcnt lgkmcnt(0)
	s_add_u32 s24, s4, s6
	s_addc_u32 s25, s5, s7
.LBB315_7:
	s_lshl_b64 s[2:3], s[2:3], 3
	s_delay_alu instid0(SALU_CYCLE_1)
	s_add_u32 s2, s8, s2
	s_addc_u32 s3, s9, s3
	s_waitcnt lgkmcnt(0)
	s_lshl_b64 s[6:7], s[10:11], 3
	s_load_b64 s[4:5], s[2:3], 0x0
	v_cmp_eq_u32_e64 s2, 0, v0
	s_waitcnt lgkmcnt(0)
	s_add_u32 s6, s4, s6
	s_addc_u32 s7, s5, s7
	s_and_not1_b32 vcc_lo, exec_lo, s15
	s_mov_b32 s4, -1
	s_cbranch_vccnz .LBB315_13
; %bb.8:
	s_mov_b32 s4, 0
	s_and_saveexec_b32 s5, s2
	s_cbranch_execz .LBB315_12
; %bb.9:
	v_cmp_neq_f32_e64 s2, s12, 0
	v_cmp_neq_f32_e64 s3, s13, 0
	s_mul_i32 s8, s14, s19
	s_ashr_i32 s9, s14, 31
	v_dual_mov_b32 v3, 0 :: v_dual_mov_b32 v2, 0
	s_delay_alu instid0(VALU_DEP_2)
	s_or_b32 s2, s2, s3
	s_mul_hi_u32 s3, s14, s18
	v_mov_b32_e32 v1, 0
	s_add_i32 s3, s3, s8
	s_mul_i32 s9, s9, s18
	s_and_not1_b32 vcc_lo, exec_lo, s2
	s_add_i32 s3, s3, s9
	s_mul_i32 s2, s14, s18
	s_cbranch_vccnz .LBB315_11
; %bb.10:
	s_lshl_b64 s[8:9], s[2:3], 3
	s_delay_alu instid0(SALU_CYCLE_1)
	s_add_u32 s8, s6, s8
	s_addc_u32 s9, s7, s9
	s_load_b64 s[8:9], s[8:9], 0x0
	s_waitcnt lgkmcnt(0)
	v_mul_f32_e64 v1, s13, s9
	v_mul_f32_e64 v2, s12, s9
	s_delay_alu instid0(VALU_DEP_2) | instskip(NEXT) | instid1(VALU_DEP_2)
	v_fma_f32 v1, s12, s8, -v1
	v_fmac_f32_e64 v2, s13, s8
.LBB315_11:
	s_lshl_b64 s[2:3], s[2:3], 3
	s_delay_alu instid0(SALU_CYCLE_1)
	s_add_u32 s2, s6, s2
	s_addc_u32 s3, s7, s3
	global_store_b64 v3, v[1:2], s[2:3]
.LBB315_12:
	s_or_b32 exec_lo, exec_lo, s5
.LBB315_13:
	s_delay_alu instid0(SALU_CYCLE_1)
	s_and_not1_b32 vcc_lo, exec_lo, s4
	s_cbranch_vccnz .LBB315_32
; %bb.14:
	s_load_b32 s3, s[0:1], 0x0
	s_mul_i32 s0, s14, s27
	s_mul_hi_u32 s2, s14, s26
	s_ashr_i32 s1, s14, 31
	s_add_i32 s0, s2, s0
	s_mul_i32 s2, s1, s26
	s_mul_i32 s4, s14, s26
	s_add_i32 s5, s0, s2
	v_mov_b32_e32 v7, 0
	s_lshl_b64 s[4:5], s[4:5], 3
	s_mov_b32 s8, exec_lo
	s_add_u32 s0, s4, s28
	s_addc_u32 s4, s5, s29
	v_mov_b32_e32 v8, 0
	s_waitcnt lgkmcnt(0)
	v_cmp_gt_i32_e32 vcc_lo, s3, v0
	s_ashr_i32 s2, s3, 31
	s_delay_alu instid0(SALU_CYCLE_1) | instskip(SKIP_2) | instid1(SALU_CYCLE_1)
	s_lshr_b32 s2, s2, 24
	v_cndmask_b32_e32 v1, 0, v0, vcc_lo
	s_add_i32 s2, s3, s2
	s_and_b32 s2, s2, 0xffffff00
	s_delay_alu instid0(VALU_DEP_1) | instskip(NEXT) | instid1(VALU_DEP_1)
	v_lshlrev_b32_e32 v1, 3, v1
	v_add_co_u32 v1, s0, s0, v1
	s_delay_alu instid0(VALU_DEP_1)
	v_add_co_ci_u32_e64 v2, null, s4, 0, s0
	v_cmpx_gt_i32_e64 s2, v0
	s_cbranch_execz .LBB315_18
; %bb.15:
	v_mad_u64_u32 v[3:4], null, s20, v0, 0
	v_dual_mov_b32 v9, v0 :: v_dual_mov_b32 v8, 0
	s_lshl_b64 s[4:5], s[20:21], 11
	s_mov_b32 s9, 0
	v_mov_b32_e32 v7, 0
	s_delay_alu instid0(VALU_DEP_3) | instskip(NEXT) | instid1(VALU_DEP_1)
	v_mad_u64_u32 v[5:6], null, s21, v0, v[4:5]
	v_mov_b32_e32 v4, v5
	s_delay_alu instid0(VALU_DEP_1) | instskip(SKIP_1) | instid1(VALU_DEP_2)
	v_lshlrev_b64 v[5:6], 3, v[3:4]
	v_dual_mov_b32 v4, v2 :: v_dual_mov_b32 v3, v1
	v_add_co_u32 v5, vcc_lo, s24, v5
	s_delay_alu instid0(VALU_DEP_3)
	v_add_co_ci_u32_e32 v6, vcc_lo, s25, v6, vcc_lo
	.p2align	6
.LBB315_16:                             ; =>This Inner Loop Header: Depth=1
	flat_load_b64 v[10:11], v[3:4]
	flat_load_b64 v[12:13], v[5:6]
	v_add_nc_u32_e32 v9, 0x100, v9
	v_add_co_u32 v3, vcc_lo, 0x800, v3
	v_add_co_ci_u32_e32 v4, vcc_lo, 0, v4, vcc_lo
	v_add_co_u32 v5, vcc_lo, v5, s4
	v_add_co_ci_u32_e32 v6, vcc_lo, s5, v6, vcc_lo
	s_waitcnt vmcnt(0) lgkmcnt(0)
	v_mul_f32_e32 v14, v13, v11
	v_mul_f32_e32 v11, v12, v11
	v_cmp_le_i32_e64 s0, s2, v9
	s_delay_alu instid0(VALU_DEP_3) | instskip(NEXT) | instid1(VALU_DEP_3)
	v_fma_f32 v12, v12, v10, -v14
	v_fmac_f32_e32 v11, v13, v10
	s_delay_alu instid0(VALU_DEP_3) | instskip(NEXT) | instid1(VALU_DEP_1)
	s_or_b32 s9, s0, s9
	v_dual_add_f32 v8, v8, v12 :: v_dual_add_f32 v7, v7, v11
	s_and_not1_b32 exec_lo, exec_lo, s9
	s_cbranch_execnz .LBB315_16
; %bb.17:
	s_or_b32 exec_lo, exec_lo, s9
.LBB315_18:
	s_delay_alu instid0(SALU_CYCLE_1) | instskip(SKIP_2) | instid1(VALU_DEP_1)
	s_or_b32 exec_lo, exec_lo, s8
	v_add_nc_u32_e32 v3, s2, v0
	s_mov_b32 s0, exec_lo
	v_cmpx_gt_i32_e64 s3, v3
	s_cbranch_execz .LBB315_20
; %bb.19:
	v_ashrrev_i32_e32 v6, 31, v3
	v_mul_lo_u32 v9, v3, s21
	v_mad_u64_u32 v[4:5], null, v3, s20, 0
	s_ashr_i32 s3, s2, 31
	s_delay_alu instid0(VALU_DEP_3) | instskip(SKIP_1) | instid1(SALU_CYCLE_1)
	v_mul_lo_u32 v3, v6, s20
	s_lshl_b64 s[2:3], s[2:3], 3
	v_add_co_u32 v1, vcc_lo, v1, s2
	v_add_co_ci_u32_e32 v2, vcc_lo, s3, v2, vcc_lo
	s_delay_alu instid0(VALU_DEP_3) | instskip(NEXT) | instid1(VALU_DEP_1)
	v_add3_u32 v5, v5, v9, v3
	v_lshlrev_b64 v[3:4], 3, v[4:5]
	s_delay_alu instid0(VALU_DEP_1) | instskip(NEXT) | instid1(VALU_DEP_2)
	v_add_co_u32 v3, vcc_lo, s24, v3
	v_add_co_ci_u32_e32 v4, vcc_lo, s25, v4, vcc_lo
	flat_load_b64 v[1:2], v[1:2]
	flat_load_b64 v[3:4], v[3:4]
	s_waitcnt vmcnt(0) lgkmcnt(0)
	v_mul_f32_e32 v5, v4, v2
	v_mul_f32_e32 v2, v3, v2
	s_delay_alu instid0(VALU_DEP_2) | instskip(NEXT) | instid1(VALU_DEP_2)
	v_fma_f32 v3, v3, v1, -v5
	v_fmac_f32_e32 v2, v4, v1
	s_delay_alu instid0(VALU_DEP_1)
	v_dual_add_f32 v8, v8, v3 :: v_dual_add_f32 v7, v7, v2
.LBB315_20:
	s_or_b32 exec_lo, exec_lo, s0
	v_and_b32_e32 v1, 31, v0
	v_cmp_gt_u32_e32 vcc_lo, 32, v0
	s_delay_alu instid0(VALU_DEP_2)
	v_lshlrev_b32_e32 v3, 3, v1
	s_and_saveexec_b32 s0, vcc_lo
	s_cbranch_execz .LBB315_22
; %bb.21:
	v_mov_b32_e32 v4, 0
	s_delay_alu instid0(VALU_DEP_1)
	v_mov_b32_e32 v5, v4
	ds_store_b64 v3, v[4:5]
.LBB315_22:
	s_or_b32 exec_lo, exec_lo, s0
	v_mbcnt_lo_u32_b32 v2, -1, 0
	s_mov_b32 s2, exec_lo
	s_waitcnt lgkmcnt(0)
	s_waitcnt_vscnt null, 0x0
	s_barrier
	buffer_gl0_inv
	v_cmp_gt_u32_e64 s0, 16, v2
	s_delay_alu instid0(VALU_DEP_1) | instskip(SKIP_1) | instid1(VALU_DEP_2)
	v_cndmask_b32_e64 v4, 0, 1, s0
	v_cmp_gt_u32_e64 s0, 24, v2
	v_lshlrev_b32_e32 v4, 4, v4
	s_delay_alu instid0(VALU_DEP_2) | instskip(SKIP_1) | instid1(VALU_DEP_3)
	v_cndmask_b32_e64 v6, 0, 1, s0
	v_cmp_gt_u32_e64 s0, 28, v2
	v_add_lshl_u32 v4, v4, v2, 2
	ds_bpermute_b32 v5, v4, v8
	ds_bpermute_b32 v4, v4, v7
	s_waitcnt lgkmcnt(1)
	v_dual_add_f32 v5, v8, v5 :: v_dual_lshlrev_b32 v6, 3, v6
	s_waitcnt lgkmcnt(0)
	v_add_f32_e32 v7, v7, v4
	s_delay_alu instid0(VALU_DEP_2)
	v_add_lshl_u32 v6, v6, v2, 2
	v_cndmask_b32_e64 v4, 0, 1, s0
	v_cmp_gt_u32_e64 s0, 30, v2
	ds_bpermute_b32 v8, v6, v5
	ds_bpermute_b32 v6, v6, v7
	s_waitcnt lgkmcnt(1)
	v_add_f32_e32 v8, v5, v8
	v_cndmask_b32_e64 v5, 0, 1, s0
	s_waitcnt lgkmcnt(0)
	v_add_f32_e32 v6, v7, v6
	v_cmp_ne_u32_e64 s0, 31, v2
	s_delay_alu instid0(VALU_DEP_3) | instskip(SKIP_1) | instid1(VALU_DEP_2)
	v_lshlrev_b32_e32 v5, 1, v5
	v_lshlrev_b32_e32 v4, 2, v4
	v_add_lshl_u32 v5, v5, v2, 2
	s_delay_alu instid0(VALU_DEP_2)
	v_add_lshl_u32 v4, v4, v2, 2
	v_add_co_ci_u32_e64 v2, s0, 0, v2, s0
	ds_bpermute_b32 v7, v4, v8
	ds_bpermute_b32 v9, v4, v6
	s_waitcnt lgkmcnt(0)
	v_dual_add_f32 v7, v8, v7 :: v_dual_add_f32 v8, v6, v9
	v_lshlrev_b32_e32 v6, 2, v2
	ds_bpermute_b32 v9, v5, v7
	ds_bpermute_b32 v10, v5, v8
	s_waitcnt lgkmcnt(1)
	v_add_f32_e32 v2, v7, v9
	s_waitcnt lgkmcnt(0)
	v_add_f32_e32 v8, v8, v10
	ds_bpermute_b32 v7, v6, v2
	ds_bpermute_b32 v9, v6, v8
	v_cmpx_eq_u32_e32 0, v1
	s_cbranch_execz .LBB315_24
; %bb.23:
	v_lshrrev_b32_e32 v1, 2, v0
	s_waitcnt lgkmcnt(0)
	v_dual_add_f32 v8, v8, v9 :: v_dual_add_f32 v7, v2, v7
	s_delay_alu instid0(VALU_DEP_2)
	v_and_b32_e32 v1, 56, v1
	ds_store_b64 v1, v[7:8]
.LBB315_24:
	s_or_b32 exec_lo, exec_lo, s2
	v_dual_mov_b32 v2, 0 :: v_dual_mov_b32 v1, 0
	s_mov_b32 s2, exec_lo
	s_waitcnt lgkmcnt(0)
	s_barrier
	buffer_gl0_inv
	v_cmpx_gt_u32_e32 8, v0
	s_cbranch_execz .LBB315_26
; %bb.25:
	ds_load_b64 v[1:2], v3
.LBB315_26:
	s_or_b32 exec_lo, exec_lo, s2
	s_and_saveexec_b32 s0, vcc_lo
	s_cbranch_execz .LBB315_28
; %bb.27:
	s_waitcnt lgkmcnt(0)
	ds_bpermute_b32 v3, v4, v1
	ds_bpermute_b32 v4, v4, v2
	s_waitcnt lgkmcnt(0)
	v_dual_add_f32 v1, v1, v3 :: v_dual_add_f32 v2, v2, v4
	ds_bpermute_b32 v3, v5, v1
	ds_bpermute_b32 v4, v5, v2
	s_waitcnt lgkmcnt(0)
	v_dual_add_f32 v1, v1, v3 :: v_dual_add_f32 v2, v2, v4
	;; [unrolled: 4-line block ×3, first 2 shown]
.LBB315_28:
	s_or_b32 exec_lo, exec_lo, s0
	s_delay_alu instid0(SALU_CYCLE_1)
	s_mov_b32 s0, exec_lo
	v_cmpx_eq_u32_e32 0, v0
	s_cbranch_execz .LBB315_32
; %bb.29:
	v_cmp_neq_f32_e64 s0, s12, 0
	v_cmp_neq_f32_e64 s2, s13, 0
	s_waitcnt lgkmcnt(0)
	v_mul_f32_e32 v0, s17, v2
	v_mul_f32_e32 v4, s16, v2
	s_mul_hi_u32 s3, s14, s18
	s_mul_i32 s1, s1, s18
	s_or_b32 s0, s0, s2
	s_mul_i32 s2, s14, s19
	v_fma_f32 v3, v1, s16, -v0
	v_fmac_f32_e32 v4, s17, v1
	s_add_i32 s2, s3, s2
	s_and_not1_b32 vcc_lo, exec_lo, s0
	s_add_i32 s1, s2, s1
	s_mul_i32 s0, s14, s18
	s_cbranch_vccnz .LBB315_31
; %bb.30:
	s_lshl_b64 s[2:3], s[0:1], 3
	v_mov_b32_e32 v0, 0
	s_add_u32 s2, s6, s2
	s_addc_u32 s3, s7, s3
	global_load_b64 v[0:1], v0, s[2:3]
	s_waitcnt vmcnt(0)
	v_mul_f32_e32 v2, s13, v1
	v_mul_f32_e32 v1, s12, v1
	s_delay_alu instid0(VALU_DEP_1) | instskip(NEXT) | instid1(VALU_DEP_3)
	v_fmac_f32_e32 v1, s13, v0
	v_fma_f32 v2, s12, v0, -v2
	s_delay_alu instid0(VALU_DEP_1)
	v_dual_add_f32 v4, v4, v1 :: v_dual_add_f32 v3, v3, v2
.LBB315_31:
	s_lshl_b64 s[0:1], s[0:1], 3
	v_mov_b32_e32 v0, 0
	s_add_u32 s0, s6, s0
	s_addc_u32 s1, s7, s1
	global_store_b64 v0, v[3:4], s[0:1]
.LBB315_32:
	s_nop 0
	s_sendmsg sendmsg(MSG_DEALLOC_VGPRS)
	s_endpgm
	.section	.rodata,"a",@progbits
	.p2align	6, 0x0
	.amdhsa_kernel _ZL32rocblas_gemvt_warp_reduce_kernelILb0ELi256ElPK19rocblas_complex_numIfES3_KPS1_EviiT3_lPKT2_lT1_lS9_lSA_lS6_lPT4_lSA_li
		.amdhsa_group_segment_fixed_size 256
		.amdhsa_private_segment_fixed_size 0
		.amdhsa_kernarg_size 140
		.amdhsa_user_sgpr_count 14
		.amdhsa_user_sgpr_dispatch_ptr 0
		.amdhsa_user_sgpr_queue_ptr 0
		.amdhsa_user_sgpr_kernarg_segment_ptr 1
		.amdhsa_user_sgpr_dispatch_id 0
		.amdhsa_user_sgpr_private_segment_size 0
		.amdhsa_wavefront_size32 1
		.amdhsa_uses_dynamic_stack 0
		.amdhsa_enable_private_segment 0
		.amdhsa_system_sgpr_workgroup_id_x 1
		.amdhsa_system_sgpr_workgroup_id_y 0
		.amdhsa_system_sgpr_workgroup_id_z 1
		.amdhsa_system_sgpr_workgroup_info 0
		.amdhsa_system_vgpr_workitem_id 0
		.amdhsa_next_free_vgpr 15
		.amdhsa_next_free_sgpr 31
		.amdhsa_reserve_vcc 1
		.amdhsa_float_round_mode_32 0
		.amdhsa_float_round_mode_16_64 0
		.amdhsa_float_denorm_mode_32 3
		.amdhsa_float_denorm_mode_16_64 3
		.amdhsa_dx10_clamp 1
		.amdhsa_ieee_mode 1
		.amdhsa_fp16_overflow 0
		.amdhsa_workgroup_processor_mode 1
		.amdhsa_memory_ordered 1
		.amdhsa_forward_progress 0
		.amdhsa_shared_vgpr_count 0
		.amdhsa_exception_fp_ieee_invalid_op 0
		.amdhsa_exception_fp_denorm_src 0
		.amdhsa_exception_fp_ieee_div_zero 0
		.amdhsa_exception_fp_ieee_overflow 0
		.amdhsa_exception_fp_ieee_underflow 0
		.amdhsa_exception_fp_ieee_inexact 0
		.amdhsa_exception_int_div_zero 0
	.end_amdhsa_kernel
	.section	.text._ZL32rocblas_gemvt_warp_reduce_kernelILb0ELi256ElPK19rocblas_complex_numIfES3_KPS1_EviiT3_lPKT2_lT1_lS9_lSA_lS6_lPT4_lSA_li,"axG",@progbits,_ZL32rocblas_gemvt_warp_reduce_kernelILb0ELi256ElPK19rocblas_complex_numIfES3_KPS1_EviiT3_lPKT2_lT1_lS9_lSA_lS6_lPT4_lSA_li,comdat
.Lfunc_end315:
	.size	_ZL32rocblas_gemvt_warp_reduce_kernelILb0ELi256ElPK19rocblas_complex_numIfES3_KPS1_EviiT3_lPKT2_lT1_lS9_lSA_lS6_lPT4_lSA_li, .Lfunc_end315-_ZL32rocblas_gemvt_warp_reduce_kernelILb0ELi256ElPK19rocblas_complex_numIfES3_KPS1_EviiT3_lPKT2_lT1_lS9_lSA_lS6_lPT4_lSA_li
                                        ; -- End function
	.section	.AMDGPU.csdata,"",@progbits
; Kernel info:
; codeLenInByte = 1872
; NumSgprs: 33
; NumVgprs: 15
; ScratchSize: 0
; MemoryBound: 0
; FloatMode: 240
; IeeeMode: 1
; LDSByteSize: 256 bytes/workgroup (compile time only)
; SGPRBlocks: 4
; VGPRBlocks: 1
; NumSGPRsForWavesPerEU: 33
; NumVGPRsForWavesPerEU: 15
; Occupancy: 16
; WaveLimiterHint : 1
; COMPUTE_PGM_RSRC2:SCRATCH_EN: 0
; COMPUTE_PGM_RSRC2:USER_SGPR: 14
; COMPUTE_PGM_RSRC2:TRAP_HANDLER: 0
; COMPUTE_PGM_RSRC2:TGID_X_EN: 1
; COMPUTE_PGM_RSRC2:TGID_Y_EN: 0
; COMPUTE_PGM_RSRC2:TGID_Z_EN: 1
; COMPUTE_PGM_RSRC2:TIDIG_COMP_CNT: 0
	.section	.text._ZL32rocblas_gemvt_warp_reduce_kernelILb0ELi256EiPK19rocblas_complex_numIfES1_KPS1_EviiT3_lPKT2_lT1_lS9_lSA_lS6_lPT4_lSA_li,"axG",@progbits,_ZL32rocblas_gemvt_warp_reduce_kernelILb0ELi256EiPK19rocblas_complex_numIfES1_KPS1_EviiT3_lPKT2_lT1_lS9_lSA_lS6_lPT4_lSA_li,comdat
	.globl	_ZL32rocblas_gemvt_warp_reduce_kernelILb0ELi256EiPK19rocblas_complex_numIfES1_KPS1_EviiT3_lPKT2_lT1_lS9_lSA_lS6_lPT4_lSA_li ; -- Begin function _ZL32rocblas_gemvt_warp_reduce_kernelILb0ELi256EiPK19rocblas_complex_numIfES1_KPS1_EviiT3_lPKT2_lT1_lS9_lSA_lS6_lPT4_lSA_li
	.p2align	8
	.type	_ZL32rocblas_gemvt_warp_reduce_kernelILb0ELi256EiPK19rocblas_complex_numIfES1_KPS1_EviiT3_lPKT2_lT1_lS9_lSA_lS6_lPT4_lSA_li,@function
_ZL32rocblas_gemvt_warp_reduce_kernelILb0ELi256EiPK19rocblas_complex_numIfES1_KPS1_EviiT3_lPKT2_lT1_lS9_lSA_lS6_lPT4_lSA_li: ; @_ZL32rocblas_gemvt_warp_reduce_kernelILb0ELi256EiPK19rocblas_complex_numIfES1_KPS1_EviiT3_lPKT2_lT1_lS9_lSA_lS6_lPT4_lSA_li
; %bb.0:
	s_clause 0x1
	s_load_b64 s[6:7], s[0:1], 0x8
	s_load_b64 s[4:5], s[0:1], 0x58
	s_mov_b32 s2, s15
	s_waitcnt lgkmcnt(0)
	v_cmp_neq_f32_e64 s3, s6, 0
	v_cmp_neq_f32_e64 s8, s7, 0
	s_delay_alu instid0(VALU_DEP_1) | instskip(NEXT) | instid1(SALU_CYCLE_1)
	s_or_b32 s3, s3, s8
	s_and_b32 vcc_lo, exec_lo, s3
	s_mov_b32 s3, -1
	s_cbranch_vccnz .LBB316_2
; %bb.1:
	v_cmp_neq_f32_e64 s3, s4, 1.0
	v_cmp_neq_f32_e64 s8, s5, 0
	s_delay_alu instid0(VALU_DEP_1)
	s_or_b32 s3, s3, s8
.LBB316_2:
	s_delay_alu instid0(SALU_CYCLE_1)
	s_and_not1_b32 vcc_lo, exec_lo, s3
	s_cbranch_vccnz .LBB316_34
; %bb.3:
	s_or_b32 s3, s6, s7
	s_delay_alu instid0(SALU_CYCLE_1) | instskip(NEXT) | instid1(SALU_CYCLE_1)
	s_bitset0_b32 s3, 31
	s_cmp_lg_u32 s3, 0
	s_cselect_b32 s8, -1, 0
	s_cmp_eq_u32 s3, 0
	s_mov_b32 s3, 0
	s_cselect_b32 s16, -1, 0
	s_and_b32 vcc_lo, exec_lo, s8
	s_cbranch_vccnz .LBB316_5
; %bb.4:
	s_mov_b64 s[10:11], 0
	s_and_not1_b32 vcc_lo, exec_lo, s3
	s_cbranch_vccz .LBB316_6
	s_branch .LBB316_7
.LBB316_5:
	s_mov_b32 s3, -1
                                        ; implicit-def: $sgpr10_sgpr11
.LBB316_6:
	s_load_b128 s[20:23], s[0:1], 0x18
	s_mov_b32 s3, 0
	s_delay_alu instid0(SALU_CYCLE_1)
	s_lshl_b64 s[10:11], s[2:3], 3
	s_waitcnt lgkmcnt(0)
	s_add_u32 s10, s20, s10
	s_addc_u32 s11, s21, s11
	s_lshl_b64 s[12:13], s[22:23], 3
	s_load_b64 s[10:11], s[10:11], 0x0
	s_waitcnt lgkmcnt(0)
	s_add_u32 s10, s10, s12
	s_addc_u32 s11, s11, s13
.LBB316_7:
	s_and_not1_b32 vcc_lo, exec_lo, s8
	s_mov_b64 s[8:9], 0
	s_cbranch_vccnz .LBB316_9
; %bb.8:
	s_load_b128 s[20:23], s[0:1], 0x38
	s_lshl_b64 s[8:9], s[2:3], 3
	s_waitcnt lgkmcnt(0)
	s_add_u32 s8, s20, s8
	s_addc_u32 s9, s21, s9
	s_lshl_b64 s[12:13], s[22:23], 3
	s_load_b64 s[8:9], s[8:9], 0x0
	s_waitcnt lgkmcnt(0)
	s_add_u32 s8, s8, s12
	s_addc_u32 s9, s9, s13
.LBB316_9:
	s_clause 0x1
	s_load_b128 s[20:23], s[0:1], 0x68
	s_load_b32 s15, s[0:1], 0x78
	s_lshl_b64 s[2:3], s[2:3], 3
	s_waitcnt lgkmcnt(0)
	s_add_u32 s2, s20, s2
	s_addc_u32 s3, s21, s3
	s_lshl_b64 s[18:19], s[22:23], 3
	s_load_b64 s[12:13], s[2:3], 0x0
	v_cmp_eq_u32_e64 s2, 0, v0
	s_waitcnt lgkmcnt(0)
	s_add_u32 s12, s12, s18
	s_addc_u32 s13, s13, s19
	s_and_not1_b32 vcc_lo, exec_lo, s16
	s_mov_b32 s16, -1
	s_cbranch_vccnz .LBB316_15
; %bb.10:
	s_mov_b32 s16, 0
	s_and_saveexec_b32 s17, s2
	s_cbranch_execz .LBB316_14
; %bb.11:
	v_cmp_neq_f32_e64 s2, s4, 0
	v_cmp_neq_f32_e64 s3, s5, 0
	v_dual_mov_b32 v3, 0 :: v_dual_mov_b32 v2, 0
	v_mov_b32_e32 v1, 0
	s_delay_alu instid0(VALU_DEP_3)
	s_or_b32 s3, s2, s3
	s_mul_i32 s2, s14, s15
	s_and_not1_b32 vcc_lo, exec_lo, s3
	s_ashr_i32 s3, s2, 31
	s_cbranch_vccnz .LBB316_13
; %bb.12:
	s_lshl_b64 s[18:19], s[2:3], 3
	s_delay_alu instid0(SALU_CYCLE_1)
	s_add_u32 s18, s12, s18
	s_addc_u32 s19, s13, s19
	s_load_b64 s[18:19], s[18:19], 0x0
	s_waitcnt lgkmcnt(0)
	v_mul_f32_e64 v1, s5, s19
	v_mul_f32_e64 v2, s4, s19
	s_delay_alu instid0(VALU_DEP_2) | instskip(NEXT) | instid1(VALU_DEP_2)
	v_fma_f32 v1, s4, s18, -v1
	v_fmac_f32_e64 v2, s5, s18
.LBB316_13:
	s_lshl_b64 s[2:3], s[2:3], 3
	s_delay_alu instid0(SALU_CYCLE_1)
	s_add_u32 s2, s12, s2
	s_addc_u32 s3, s13, s3
	global_store_b64 v3, v[1:2], s[2:3]
.LBB316_14:
	s_or_b32 exec_lo, exec_lo, s17
.LBB316_15:
	s_delay_alu instid0(SALU_CYCLE_1)
	s_and_not1_b32 vcc_lo, exec_lo, s16
	s_cbranch_vccnz .LBB316_34
; %bb.16:
	s_clause 0x2
	s_load_b32 s3, s[0:1], 0x28
	s_load_b32 s2, s[0:1], 0x0
	;; [unrolled: 1-line block ×3, first 2 shown]
	v_dual_mov_b32 v7, 0 :: v_dual_mov_b32 v8, 0
	s_waitcnt lgkmcnt(0)
	s_mul_i32 s16, s14, s3
	v_cmp_gt_i32_e32 vcc_lo, s2, v0
	s_ashr_i32 s17, s16, 31
	s_delay_alu instid0(SALU_CYCLE_1) | instskip(SKIP_4) | instid1(SALU_CYCLE_1)
	s_lshl_b64 s[16:17], s[16:17], 3
	v_cndmask_b32_e32 v1, 0, v0, vcc_lo
	s_add_u32 s3, s16, s10
	s_addc_u32 s10, s17, s11
	s_ashr_i32 s0, s2, 31
	s_lshr_b32 s0, s0, 24
	v_lshlrev_b32_e32 v1, 3, v1
	s_add_i32 s0, s2, s0
	s_delay_alu instid0(SALU_CYCLE_1) | instskip(NEXT) | instid1(VALU_DEP_1)
	s_and_b32 s0, s0, 0xffffff00
	v_add_co_u32 v1, s3, s3, v1
	s_delay_alu instid0(VALU_DEP_1)
	v_add_co_ci_u32_e64 v2, null, s10, 0, s3
	s_mov_b32 s3, exec_lo
	v_cmpx_gt_i32_e64 s0, v0
	s_cbranch_execz .LBB316_20
; %bb.17:
	v_mul_lo_u32 v3, v0, s1
	v_dual_mov_b32 v7, 0 :: v_dual_mov_b32 v6, v2
	v_dual_mov_b32 v5, v1 :: v_dual_mov_b32 v8, 0
	v_mov_b32_e32 v9, v0
	s_lshl_b32 s11, s1, 8
	s_mov_b32 s10, 0
	.p2align	6
.LBB316_18:                             ; =>This Inner Loop Header: Depth=1
	s_delay_alu instid0(VALU_DEP_4) | instskip(NEXT) | instid1(VALU_DEP_1)
	v_ashrrev_i32_e32 v4, 31, v3
	v_lshlrev_b64 v[10:11], 3, v[3:4]
	v_add_nc_u32_e32 v3, s11, v3
	s_delay_alu instid0(VALU_DEP_2) | instskip(NEXT) | instid1(VALU_DEP_3)
	v_add_co_u32 v10, vcc_lo, s8, v10
	v_add_co_ci_u32_e32 v11, vcc_lo, s9, v11, vcc_lo
	flat_load_b64 v[12:13], v[5:6]
	flat_load_b64 v[10:11], v[10:11]
	v_add_co_u32 v5, vcc_lo, 0x800, v5
	v_add_co_ci_u32_e32 v6, vcc_lo, 0, v6, vcc_lo
	s_waitcnt vmcnt(0) lgkmcnt(0)
	v_mul_f32_e32 v4, v11, v13
	v_mul_f32_e32 v13, v10, v13
	s_delay_alu instid0(VALU_DEP_2) | instskip(SKIP_1) | instid1(VALU_DEP_3)
	v_fma_f32 v4, v10, v12, -v4
	v_add_nc_u32_e32 v9, 0x100, v9
	v_fmac_f32_e32 v13, v11, v12
	s_delay_alu instid0(VALU_DEP_3) | instskip(NEXT) | instid1(VALU_DEP_3)
	v_add_f32_e32 v8, v8, v4
	v_cmp_le_i32_e32 vcc_lo, s0, v9
	s_delay_alu instid0(VALU_DEP_3) | instskip(SKIP_1) | instid1(SALU_CYCLE_1)
	v_add_f32_e32 v7, v7, v13
	s_or_b32 s10, vcc_lo, s10
	s_and_not1_b32 exec_lo, exec_lo, s10
	s_cbranch_execnz .LBB316_18
; %bb.19:
	s_or_b32 exec_lo, exec_lo, s10
.LBB316_20:
	s_delay_alu instid0(SALU_CYCLE_1) | instskip(SKIP_1) | instid1(VALU_DEP_1)
	s_or_b32 exec_lo, exec_lo, s3
	v_add_nc_u32_e32 v3, s0, v0
	v_cmp_gt_i32_e32 vcc_lo, s2, v3
	s_and_saveexec_b32 s2, vcc_lo
	s_cbranch_execz .LBB316_22
; %bb.21:
	v_mul_lo_u32 v3, v3, s1
	s_ashr_i32 s1, s0, 31
	s_delay_alu instid0(SALU_CYCLE_1) | instskip(NEXT) | instid1(SALU_CYCLE_1)
	s_lshl_b64 s[0:1], s[0:1], 3
	v_add_co_u32 v1, vcc_lo, v1, s0
	v_add_co_ci_u32_e32 v2, vcc_lo, s1, v2, vcc_lo
	s_delay_alu instid0(VALU_DEP_3) | instskip(NEXT) | instid1(VALU_DEP_1)
	v_ashrrev_i32_e32 v4, 31, v3
	v_lshlrev_b64 v[3:4], 3, v[3:4]
	s_delay_alu instid0(VALU_DEP_1) | instskip(NEXT) | instid1(VALU_DEP_2)
	v_add_co_u32 v3, vcc_lo, s8, v3
	v_add_co_ci_u32_e32 v4, vcc_lo, s9, v4, vcc_lo
	flat_load_b64 v[1:2], v[1:2]
	flat_load_b64 v[3:4], v[3:4]
	s_waitcnt vmcnt(0) lgkmcnt(0)
	v_mul_f32_e32 v5, v4, v2
	v_mul_f32_e32 v2, v3, v2
	s_delay_alu instid0(VALU_DEP_2) | instskip(NEXT) | instid1(VALU_DEP_2)
	v_fma_f32 v3, v3, v1, -v5
	v_fmac_f32_e32 v2, v4, v1
	s_delay_alu instid0(VALU_DEP_1)
	v_dual_add_f32 v8, v8, v3 :: v_dual_add_f32 v7, v7, v2
.LBB316_22:
	s_or_b32 exec_lo, exec_lo, s2
	v_and_b32_e32 v1, 31, v0
	v_cmp_gt_u32_e32 vcc_lo, 32, v0
	s_delay_alu instid0(VALU_DEP_2)
	v_lshlrev_b32_e32 v3, 3, v1
	s_and_saveexec_b32 s0, vcc_lo
	s_cbranch_execz .LBB316_24
; %bb.23:
	v_mov_b32_e32 v4, 0
	s_delay_alu instid0(VALU_DEP_1)
	v_mov_b32_e32 v5, v4
	ds_store_b64 v3, v[4:5]
.LBB316_24:
	s_or_b32 exec_lo, exec_lo, s0
	v_mbcnt_lo_u32_b32 v2, -1, 0
	s_mov_b32 s1, exec_lo
	s_waitcnt lgkmcnt(0)
	s_waitcnt_vscnt null, 0x0
	s_barrier
	buffer_gl0_inv
	v_cmp_gt_u32_e64 s0, 16, v2
	s_delay_alu instid0(VALU_DEP_1) | instskip(SKIP_1) | instid1(VALU_DEP_2)
	v_cndmask_b32_e64 v4, 0, 1, s0
	v_cmp_gt_u32_e64 s0, 24, v2
	v_lshlrev_b32_e32 v4, 4, v4
	s_delay_alu instid0(VALU_DEP_2) | instskip(SKIP_1) | instid1(VALU_DEP_3)
	v_cndmask_b32_e64 v6, 0, 1, s0
	v_cmp_gt_u32_e64 s0, 28, v2
	v_add_lshl_u32 v4, v4, v2, 2
	ds_bpermute_b32 v5, v4, v8
	ds_bpermute_b32 v4, v4, v7
	s_waitcnt lgkmcnt(1)
	v_dual_add_f32 v5, v8, v5 :: v_dual_lshlrev_b32 v6, 3, v6
	s_waitcnt lgkmcnt(0)
	v_add_f32_e32 v7, v7, v4
	s_delay_alu instid0(VALU_DEP_2)
	v_add_lshl_u32 v6, v6, v2, 2
	v_cndmask_b32_e64 v4, 0, 1, s0
	v_cmp_gt_u32_e64 s0, 30, v2
	ds_bpermute_b32 v8, v6, v5
	ds_bpermute_b32 v6, v6, v7
	s_waitcnt lgkmcnt(1)
	v_add_f32_e32 v8, v5, v8
	v_cndmask_b32_e64 v5, 0, 1, s0
	s_waitcnt lgkmcnt(0)
	v_add_f32_e32 v6, v7, v6
	v_cmp_ne_u32_e64 s0, 31, v2
	s_delay_alu instid0(VALU_DEP_3) | instskip(SKIP_1) | instid1(VALU_DEP_2)
	v_lshlrev_b32_e32 v5, 1, v5
	v_lshlrev_b32_e32 v4, 2, v4
	v_add_lshl_u32 v5, v5, v2, 2
	s_delay_alu instid0(VALU_DEP_2)
	v_add_lshl_u32 v4, v4, v2, 2
	v_add_co_ci_u32_e64 v2, s0, 0, v2, s0
	ds_bpermute_b32 v7, v4, v8
	ds_bpermute_b32 v9, v4, v6
	s_waitcnt lgkmcnt(0)
	v_dual_add_f32 v7, v8, v7 :: v_dual_add_f32 v8, v6, v9
	v_lshlrev_b32_e32 v6, 2, v2
	ds_bpermute_b32 v9, v5, v7
	ds_bpermute_b32 v10, v5, v8
	s_waitcnt lgkmcnt(1)
	v_add_f32_e32 v2, v7, v9
	s_waitcnt lgkmcnt(0)
	v_add_f32_e32 v8, v8, v10
	ds_bpermute_b32 v7, v6, v2
	ds_bpermute_b32 v9, v6, v8
	v_cmpx_eq_u32_e32 0, v1
	s_cbranch_execz .LBB316_26
; %bb.25:
	v_lshrrev_b32_e32 v1, 2, v0
	s_waitcnt lgkmcnt(0)
	v_dual_add_f32 v8, v8, v9 :: v_dual_add_f32 v7, v2, v7
	s_delay_alu instid0(VALU_DEP_2)
	v_and_b32_e32 v1, 56, v1
	ds_store_b64 v1, v[7:8]
.LBB316_26:
	s_or_b32 exec_lo, exec_lo, s1
	v_dual_mov_b32 v2, 0 :: v_dual_mov_b32 v1, 0
	s_mov_b32 s1, exec_lo
	s_waitcnt lgkmcnt(0)
	s_barrier
	buffer_gl0_inv
	v_cmpx_gt_u32_e32 8, v0
	s_cbranch_execz .LBB316_28
; %bb.27:
	ds_load_b64 v[1:2], v3
.LBB316_28:
	s_or_b32 exec_lo, exec_lo, s1
	s_and_saveexec_b32 s0, vcc_lo
	s_cbranch_execz .LBB316_30
; %bb.29:
	s_waitcnt lgkmcnt(0)
	ds_bpermute_b32 v3, v4, v1
	ds_bpermute_b32 v4, v4, v2
	s_waitcnt lgkmcnt(0)
	v_dual_add_f32 v1, v1, v3 :: v_dual_add_f32 v2, v2, v4
	ds_bpermute_b32 v3, v5, v1
	ds_bpermute_b32 v4, v5, v2
	s_waitcnt lgkmcnt(0)
	v_dual_add_f32 v1, v1, v3 :: v_dual_add_f32 v2, v2, v4
	;; [unrolled: 4-line block ×3, first 2 shown]
.LBB316_30:
	s_or_b32 exec_lo, exec_lo, s0
	s_delay_alu instid0(SALU_CYCLE_1)
	s_mov_b32 s0, exec_lo
	v_cmpx_eq_u32_e32 0, v0
	s_cbranch_execz .LBB316_34
; %bb.31:
	s_waitcnt lgkmcnt(0)
	v_mul_f32_e32 v3, s6, v2
	v_mul_f32_e32 v0, s7, v2
	v_cmp_neq_f32_e64 s0, s4, 0
	v_cmp_neq_f32_e64 s1, s5, 0
	s_delay_alu instid0(VALU_DEP_4) | instskip(NEXT) | instid1(VALU_DEP_4)
	v_fmac_f32_e32 v3, s7, v1
	v_fma_f32 v2, v1, s6, -v0
	s_delay_alu instid0(VALU_DEP_3)
	s_or_b32 s1, s0, s1
	s_mul_i32 s0, s14, s15
	s_and_not1_b32 vcc_lo, exec_lo, s1
	s_ashr_i32 s1, s0, 31
	s_cbranch_vccnz .LBB316_33
; %bb.32:
	s_lshl_b64 s[2:3], s[0:1], 3
	v_mov_b32_e32 v0, 0
	s_add_u32 s2, s12, s2
	s_addc_u32 s3, s13, s3
	global_load_b64 v[0:1], v0, s[2:3]
	s_waitcnt vmcnt(0)
	v_mul_f32_e32 v4, s5, v1
	v_mul_f32_e32 v1, s4, v1
	s_delay_alu instid0(VALU_DEP_1) | instskip(NEXT) | instid1(VALU_DEP_3)
	v_fmac_f32_e32 v1, s5, v0
	v_fma_f32 v4, s4, v0, -v4
	s_delay_alu instid0(VALU_DEP_1)
	v_dual_add_f32 v3, v3, v1 :: v_dual_add_f32 v2, v2, v4
.LBB316_33:
	s_lshl_b64 s[0:1], s[0:1], 3
	v_mov_b32_e32 v0, 0
	s_add_u32 s0, s12, s0
	s_addc_u32 s1, s13, s1
	global_store_b64 v0, v[2:3], s[0:1]
.LBB316_34:
	s_nop 0
	s_sendmsg sendmsg(MSG_DEALLOC_VGPRS)
	s_endpgm
	.section	.rodata,"a",@progbits
	.p2align	6, 0x0
	.amdhsa_kernel _ZL32rocblas_gemvt_warp_reduce_kernelILb0ELi256EiPK19rocblas_complex_numIfES1_KPS1_EviiT3_lPKT2_lT1_lS9_lSA_lS6_lPT4_lSA_li
		.amdhsa_group_segment_fixed_size 256
		.amdhsa_private_segment_fixed_size 0
		.amdhsa_kernarg_size 140
		.amdhsa_user_sgpr_count 14
		.amdhsa_user_sgpr_dispatch_ptr 0
		.amdhsa_user_sgpr_queue_ptr 0
		.amdhsa_user_sgpr_kernarg_segment_ptr 1
		.amdhsa_user_sgpr_dispatch_id 0
		.amdhsa_user_sgpr_private_segment_size 0
		.amdhsa_wavefront_size32 1
		.amdhsa_uses_dynamic_stack 0
		.amdhsa_enable_private_segment 0
		.amdhsa_system_sgpr_workgroup_id_x 1
		.amdhsa_system_sgpr_workgroup_id_y 0
		.amdhsa_system_sgpr_workgroup_id_z 1
		.amdhsa_system_sgpr_workgroup_info 0
		.amdhsa_system_vgpr_workitem_id 0
		.amdhsa_next_free_vgpr 14
		.amdhsa_next_free_sgpr 24
		.amdhsa_reserve_vcc 1
		.amdhsa_float_round_mode_32 0
		.amdhsa_float_round_mode_16_64 0
		.amdhsa_float_denorm_mode_32 3
		.amdhsa_float_denorm_mode_16_64 3
		.amdhsa_dx10_clamp 1
		.amdhsa_ieee_mode 1
		.amdhsa_fp16_overflow 0
		.amdhsa_workgroup_processor_mode 1
		.amdhsa_memory_ordered 1
		.amdhsa_forward_progress 0
		.amdhsa_shared_vgpr_count 0
		.amdhsa_exception_fp_ieee_invalid_op 0
		.amdhsa_exception_fp_denorm_src 0
		.amdhsa_exception_fp_ieee_div_zero 0
		.amdhsa_exception_fp_ieee_overflow 0
		.amdhsa_exception_fp_ieee_underflow 0
		.amdhsa_exception_fp_ieee_inexact 0
		.amdhsa_exception_int_div_zero 0
	.end_amdhsa_kernel
	.section	.text._ZL32rocblas_gemvt_warp_reduce_kernelILb0ELi256EiPK19rocblas_complex_numIfES1_KPS1_EviiT3_lPKT2_lT1_lS9_lSA_lS6_lPT4_lSA_li,"axG",@progbits,_ZL32rocblas_gemvt_warp_reduce_kernelILb0ELi256EiPK19rocblas_complex_numIfES1_KPS1_EviiT3_lPKT2_lT1_lS9_lSA_lS6_lPT4_lSA_li,comdat
.Lfunc_end316:
	.size	_ZL32rocblas_gemvt_warp_reduce_kernelILb0ELi256EiPK19rocblas_complex_numIfES1_KPS1_EviiT3_lPKT2_lT1_lS9_lSA_lS6_lPT4_lSA_li, .Lfunc_end316-_ZL32rocblas_gemvt_warp_reduce_kernelILb0ELi256EiPK19rocblas_complex_numIfES1_KPS1_EviiT3_lPKT2_lT1_lS9_lSA_lS6_lPT4_lSA_li
                                        ; -- End function
	.section	.AMDGPU.csdata,"",@progbits
; Kernel info:
; codeLenInByte = 1732
; NumSgprs: 26
; NumVgprs: 14
; ScratchSize: 0
; MemoryBound: 0
; FloatMode: 240
; IeeeMode: 1
; LDSByteSize: 256 bytes/workgroup (compile time only)
; SGPRBlocks: 3
; VGPRBlocks: 1
; NumSGPRsForWavesPerEU: 26
; NumVGPRsForWavesPerEU: 14
; Occupancy: 16
; WaveLimiterHint : 1
; COMPUTE_PGM_RSRC2:SCRATCH_EN: 0
; COMPUTE_PGM_RSRC2:USER_SGPR: 14
; COMPUTE_PGM_RSRC2:TRAP_HANDLER: 0
; COMPUTE_PGM_RSRC2:TGID_X_EN: 1
; COMPUTE_PGM_RSRC2:TGID_Y_EN: 0
; COMPUTE_PGM_RSRC2:TGID_Z_EN: 1
; COMPUTE_PGM_RSRC2:TIDIG_COMP_CNT: 0
	.section	.text._ZL32rocblas_gemvt_warp_reduce_kernelILb0ELi256ElPK19rocblas_complex_numIfES1_KPS1_EviiT3_lPKT2_lT1_lS9_lSA_lS6_lPT4_lSA_li,"axG",@progbits,_ZL32rocblas_gemvt_warp_reduce_kernelILb0ELi256ElPK19rocblas_complex_numIfES1_KPS1_EviiT3_lPKT2_lT1_lS9_lSA_lS6_lPT4_lSA_li,comdat
	.globl	_ZL32rocblas_gemvt_warp_reduce_kernelILb0ELi256ElPK19rocblas_complex_numIfES1_KPS1_EviiT3_lPKT2_lT1_lS9_lSA_lS6_lPT4_lSA_li ; -- Begin function _ZL32rocblas_gemvt_warp_reduce_kernelILb0ELi256ElPK19rocblas_complex_numIfES1_KPS1_EviiT3_lPKT2_lT1_lS9_lSA_lS6_lPT4_lSA_li
	.p2align	8
	.type	_ZL32rocblas_gemvt_warp_reduce_kernelILb0ELi256ElPK19rocblas_complex_numIfES1_KPS1_EviiT3_lPKT2_lT1_lS9_lSA_lS6_lPT4_lSA_li,@function
_ZL32rocblas_gemvt_warp_reduce_kernelILb0ELi256ElPK19rocblas_complex_numIfES1_KPS1_EviiT3_lPKT2_lT1_lS9_lSA_lS6_lPT4_lSA_li: ; @_ZL32rocblas_gemvt_warp_reduce_kernelILb0ELi256ElPK19rocblas_complex_numIfES1_KPS1_EviiT3_lPKT2_lT1_lS9_lSA_lS6_lPT4_lSA_li
; %bb.0:
	s_clause 0x1
	s_load_b64 s[10:11], s[0:1], 0x8
	s_load_b64 s[8:9], s[0:1], 0x58
	s_mov_b32 s2, s15
	s_waitcnt lgkmcnt(0)
	v_cmp_neq_f32_e64 s3, s10, 0
	v_cmp_neq_f32_e64 s4, s11, 0
	s_delay_alu instid0(VALU_DEP_1) | instskip(NEXT) | instid1(SALU_CYCLE_1)
	s_or_b32 s3, s3, s4
	s_and_b32 vcc_lo, exec_lo, s3
	s_mov_b32 s3, -1
	s_cbranch_vccnz .LBB317_2
; %bb.1:
	v_cmp_neq_f32_e64 s3, s8, 1.0
	v_cmp_neq_f32_e64 s4, s9, 0
	s_delay_alu instid0(VALU_DEP_1)
	s_or_b32 s3, s3, s4
.LBB317_2:
	s_delay_alu instid0(SALU_CYCLE_1)
	s_and_not1_b32 vcc_lo, exec_lo, s3
	s_cbranch_vccnz .LBB317_34
; %bb.3:
	s_clause 0x1
	s_load_b128 s[4:7], s[0:1], 0x18
	s_load_b64 s[18:19], s[0:1], 0x28
	s_or_b32 s3, s10, s11
	s_delay_alu instid0(SALU_CYCLE_1) | instskip(NEXT) | instid1(SALU_CYCLE_1)
	s_bitset0_b32 s3, 31
	s_cmp_lg_u32 s3, 0
	s_cselect_b32 s15, -1, 0
	s_cmp_eq_u32 s3, 0
	s_mov_b32 s3, 0
	s_cselect_b32 s23, -1, 0
	s_and_b32 vcc_lo, exec_lo, s15
	s_cbranch_vccnz .LBB317_5
; %bb.4:
	s_mov_b64 s[20:21], 0
	s_and_not1_b32 vcc_lo, exec_lo, s3
	s_cbranch_vccz .LBB317_6
	s_branch .LBB317_7
.LBB317_5:
	s_mov_b32 s3, -1
                                        ; implicit-def: $sgpr20_sgpr21
.LBB317_6:
	s_mov_b32 s3, 0
	s_delay_alu instid0(SALU_CYCLE_1)
	s_lshl_b64 s[12:13], s[2:3], 3
	s_waitcnt lgkmcnt(0)
	s_add_u32 s4, s4, s12
	s_addc_u32 s5, s5, s13
	s_lshl_b64 s[6:7], s[6:7], 3
	s_load_b64 s[4:5], s[4:5], 0x0
	s_waitcnt lgkmcnt(0)
	s_add_u32 s20, s4, s6
	s_addc_u32 s21, s5, s7
.LBB317_7:
	s_waitcnt lgkmcnt(0)
	s_clause 0x1
	s_load_b128 s[4:7], s[0:1], 0x38
	s_load_b64 s[12:13], s[0:1], 0x48
	s_and_not1_b32 vcc_lo, exec_lo, s15
	s_mov_b64 s[16:17], 0
	s_cbranch_vccnz .LBB317_9
; %bb.8:
	s_lshl_b64 s[16:17], s[2:3], 3
	s_waitcnt lgkmcnt(0)
	s_add_u32 s4, s4, s16
	s_addc_u32 s5, s5, s17
	s_lshl_b64 s[6:7], s[6:7], 3
	s_load_b64 s[4:5], s[4:5], 0x0
	s_waitcnt lgkmcnt(0)
	s_add_u32 s16, s4, s6
	s_addc_u32 s17, s5, s7
.LBB317_9:
	s_load_b128 s[24:27], s[0:1], 0x68
	s_waitcnt lgkmcnt(0)
	s_load_b64 s[4:5], s[0:1], 0x78
	s_lshl_b64 s[2:3], s[2:3], 3
	s_delay_alu instid0(SALU_CYCLE_1)
	s_add_u32 s2, s24, s2
	s_addc_u32 s3, s25, s3
	s_lshl_b64 s[24:25], s[26:27], 3
	s_load_b64 s[6:7], s[2:3], 0x0
	v_cmp_eq_u32_e64 s2, 0, v0
	s_waitcnt lgkmcnt(0)
	s_add_u32 s15, s6, s24
	s_addc_u32 s22, s7, s25
	s_and_not1_b32 vcc_lo, exec_lo, s23
	s_mov_b32 s6, -1
	s_cbranch_vccnz .LBB317_15
; %bb.10:
	s_mov_b32 s6, 0
	s_and_saveexec_b32 s7, s2
	s_cbranch_execz .LBB317_14
; %bb.11:
	v_cmp_neq_f32_e64 s2, s8, 0
	v_cmp_neq_f32_e64 s3, s9, 0
	s_mul_i32 s23, s14, s5
	s_ashr_i32 s24, s14, 31
	v_dual_mov_b32 v3, 0 :: v_dual_mov_b32 v2, 0
	s_delay_alu instid0(VALU_DEP_2)
	s_or_b32 s2, s2, s3
	s_mul_hi_u32 s3, s14, s4
	v_mov_b32_e32 v1, 0
	s_add_i32 s3, s3, s23
	s_mul_i32 s24, s24, s4
	s_and_not1_b32 vcc_lo, exec_lo, s2
	s_add_i32 s3, s3, s24
	s_mul_i32 s2, s14, s4
	s_cbranch_vccnz .LBB317_13
; %bb.12:
	s_lshl_b64 s[24:25], s[2:3], 3
	s_delay_alu instid0(SALU_CYCLE_1)
	s_add_u32 s24, s15, s24
	s_addc_u32 s25, s22, s25
	s_load_b64 s[24:25], s[24:25], 0x0
	s_waitcnt lgkmcnt(0)
	v_mul_f32_e64 v1, s9, s25
	v_mul_f32_e64 v2, s8, s25
	s_delay_alu instid0(VALU_DEP_2) | instskip(NEXT) | instid1(VALU_DEP_2)
	v_fma_f32 v1, s8, s24, -v1
	v_fmac_f32_e64 v2, s9, s24
.LBB317_13:
	s_lshl_b64 s[2:3], s[2:3], 3
	s_delay_alu instid0(SALU_CYCLE_1)
	s_add_u32 s2, s15, s2
	s_addc_u32 s3, s22, s3
	global_store_b64 v3, v[1:2], s[2:3]
.LBB317_14:
	s_or_b32 exec_lo, exec_lo, s7
.LBB317_15:
	s_delay_alu instid0(SALU_CYCLE_1)
	s_and_not1_b32 vcc_lo, exec_lo, s6
	s_cbranch_vccnz .LBB317_34
; %bb.16:
	s_load_b32 s3, s[0:1], 0x0
	s_mul_i32 s0, s14, s19
	s_mul_hi_u32 s2, s14, s18
	s_ashr_i32 s1, s14, 31
	s_add_i32 s0, s2, s0
	s_mul_i32 s2, s1, s18
	s_mul_i32 s6, s14, s18
	s_add_i32 s7, s0, s2
	v_mov_b32_e32 v7, 0
	s_lshl_b64 s[6:7], s[6:7], 3
	s_mov_b32 s18, exec_lo
	s_add_u32 s0, s6, s20
	s_addc_u32 s6, s7, s21
	v_mov_b32_e32 v8, 0
	s_waitcnt lgkmcnt(0)
	v_cmp_gt_i32_e32 vcc_lo, s3, v0
	s_ashr_i32 s2, s3, 31
	s_delay_alu instid0(SALU_CYCLE_1) | instskip(SKIP_2) | instid1(SALU_CYCLE_1)
	s_lshr_b32 s2, s2, 24
	v_cndmask_b32_e32 v1, 0, v0, vcc_lo
	s_add_i32 s2, s3, s2
	s_and_b32 s2, s2, 0xffffff00
	s_delay_alu instid0(VALU_DEP_1) | instskip(NEXT) | instid1(VALU_DEP_1)
	v_lshlrev_b32_e32 v1, 3, v1
	v_add_co_u32 v1, s0, s0, v1
	s_delay_alu instid0(VALU_DEP_1)
	v_add_co_ci_u32_e64 v2, null, s6, 0, s0
	v_cmpx_gt_i32_e64 s2, v0
	s_cbranch_execz .LBB317_20
; %bb.17:
	v_mad_u64_u32 v[3:4], null, s12, v0, 0
	v_dual_mov_b32 v9, v0 :: v_dual_mov_b32 v8, 0
	s_lshl_b64 s[6:7], s[12:13], 11
	s_mov_b32 s19, 0
	v_mov_b32_e32 v7, 0
	s_delay_alu instid0(VALU_DEP_3) | instskip(NEXT) | instid1(VALU_DEP_1)
	v_mad_u64_u32 v[5:6], null, s13, v0, v[4:5]
	v_mov_b32_e32 v4, v5
	s_delay_alu instid0(VALU_DEP_1) | instskip(SKIP_1) | instid1(VALU_DEP_2)
	v_lshlrev_b64 v[5:6], 3, v[3:4]
	v_dual_mov_b32 v4, v2 :: v_dual_mov_b32 v3, v1
	v_add_co_u32 v5, vcc_lo, s16, v5
	s_delay_alu instid0(VALU_DEP_3)
	v_add_co_ci_u32_e32 v6, vcc_lo, s17, v6, vcc_lo
	.p2align	6
.LBB317_18:                             ; =>This Inner Loop Header: Depth=1
	flat_load_b64 v[10:11], v[3:4]
	flat_load_b64 v[12:13], v[5:6]
	v_add_nc_u32_e32 v9, 0x100, v9
	v_add_co_u32 v3, vcc_lo, 0x800, v3
	v_add_co_ci_u32_e32 v4, vcc_lo, 0, v4, vcc_lo
	v_add_co_u32 v5, vcc_lo, v5, s6
	v_add_co_ci_u32_e32 v6, vcc_lo, s7, v6, vcc_lo
	s_waitcnt vmcnt(0) lgkmcnt(0)
	v_mul_f32_e32 v14, v13, v11
	v_mul_f32_e32 v11, v12, v11
	v_cmp_le_i32_e64 s0, s2, v9
	s_delay_alu instid0(VALU_DEP_3) | instskip(NEXT) | instid1(VALU_DEP_3)
	v_fma_f32 v12, v12, v10, -v14
	v_fmac_f32_e32 v11, v13, v10
	s_delay_alu instid0(VALU_DEP_3) | instskip(NEXT) | instid1(VALU_DEP_1)
	s_or_b32 s19, s0, s19
	v_dual_add_f32 v8, v8, v12 :: v_dual_add_f32 v7, v7, v11
	s_and_not1_b32 exec_lo, exec_lo, s19
	s_cbranch_execnz .LBB317_18
; %bb.19:
	s_or_b32 exec_lo, exec_lo, s19
.LBB317_20:
	s_delay_alu instid0(SALU_CYCLE_1) | instskip(SKIP_2) | instid1(VALU_DEP_1)
	s_or_b32 exec_lo, exec_lo, s18
	v_add_nc_u32_e32 v3, s2, v0
	s_mov_b32 s0, exec_lo
	v_cmpx_gt_i32_e64 s3, v3
	s_cbranch_execz .LBB317_22
; %bb.21:
	v_ashrrev_i32_e32 v6, 31, v3
	v_mul_lo_u32 v9, v3, s13
	v_mad_u64_u32 v[4:5], null, v3, s12, 0
	s_ashr_i32 s3, s2, 31
	s_delay_alu instid0(VALU_DEP_3) | instskip(SKIP_1) | instid1(SALU_CYCLE_1)
	v_mul_lo_u32 v3, v6, s12
	s_lshl_b64 s[2:3], s[2:3], 3
	v_add_co_u32 v1, vcc_lo, v1, s2
	v_add_co_ci_u32_e32 v2, vcc_lo, s3, v2, vcc_lo
	s_delay_alu instid0(VALU_DEP_3) | instskip(NEXT) | instid1(VALU_DEP_1)
	v_add3_u32 v5, v5, v9, v3
	v_lshlrev_b64 v[3:4], 3, v[4:5]
	s_delay_alu instid0(VALU_DEP_1) | instskip(NEXT) | instid1(VALU_DEP_2)
	v_add_co_u32 v3, vcc_lo, s16, v3
	v_add_co_ci_u32_e32 v4, vcc_lo, s17, v4, vcc_lo
	flat_load_b64 v[1:2], v[1:2]
	flat_load_b64 v[3:4], v[3:4]
	s_waitcnt vmcnt(0) lgkmcnt(0)
	v_mul_f32_e32 v5, v4, v2
	v_mul_f32_e32 v2, v3, v2
	s_delay_alu instid0(VALU_DEP_2) | instskip(NEXT) | instid1(VALU_DEP_2)
	v_fma_f32 v3, v3, v1, -v5
	v_fmac_f32_e32 v2, v4, v1
	s_delay_alu instid0(VALU_DEP_1)
	v_dual_add_f32 v8, v8, v3 :: v_dual_add_f32 v7, v7, v2
.LBB317_22:
	s_or_b32 exec_lo, exec_lo, s0
	v_and_b32_e32 v1, 31, v0
	v_cmp_gt_u32_e32 vcc_lo, 32, v0
	s_delay_alu instid0(VALU_DEP_2)
	v_lshlrev_b32_e32 v3, 3, v1
	s_and_saveexec_b32 s0, vcc_lo
	s_cbranch_execz .LBB317_24
; %bb.23:
	v_mov_b32_e32 v4, 0
	s_delay_alu instid0(VALU_DEP_1)
	v_mov_b32_e32 v5, v4
	ds_store_b64 v3, v[4:5]
.LBB317_24:
	s_or_b32 exec_lo, exec_lo, s0
	v_mbcnt_lo_u32_b32 v2, -1, 0
	s_mov_b32 s2, exec_lo
	s_waitcnt lgkmcnt(0)
	s_waitcnt_vscnt null, 0x0
	s_barrier
	buffer_gl0_inv
	v_cmp_gt_u32_e64 s0, 16, v2
	s_delay_alu instid0(VALU_DEP_1) | instskip(SKIP_1) | instid1(VALU_DEP_2)
	v_cndmask_b32_e64 v4, 0, 1, s0
	v_cmp_gt_u32_e64 s0, 24, v2
	v_lshlrev_b32_e32 v4, 4, v4
	s_delay_alu instid0(VALU_DEP_2) | instskip(SKIP_1) | instid1(VALU_DEP_3)
	v_cndmask_b32_e64 v6, 0, 1, s0
	v_cmp_gt_u32_e64 s0, 28, v2
	v_add_lshl_u32 v4, v4, v2, 2
	ds_bpermute_b32 v5, v4, v8
	ds_bpermute_b32 v4, v4, v7
	s_waitcnt lgkmcnt(1)
	v_dual_add_f32 v5, v8, v5 :: v_dual_lshlrev_b32 v6, 3, v6
	s_waitcnt lgkmcnt(0)
	v_add_f32_e32 v7, v7, v4
	s_delay_alu instid0(VALU_DEP_2)
	v_add_lshl_u32 v6, v6, v2, 2
	v_cndmask_b32_e64 v4, 0, 1, s0
	v_cmp_gt_u32_e64 s0, 30, v2
	ds_bpermute_b32 v8, v6, v5
	ds_bpermute_b32 v6, v6, v7
	s_waitcnt lgkmcnt(1)
	v_add_f32_e32 v8, v5, v8
	v_cndmask_b32_e64 v5, 0, 1, s0
	s_waitcnt lgkmcnt(0)
	v_add_f32_e32 v6, v7, v6
	v_cmp_ne_u32_e64 s0, 31, v2
	s_delay_alu instid0(VALU_DEP_3) | instskip(SKIP_1) | instid1(VALU_DEP_2)
	v_lshlrev_b32_e32 v5, 1, v5
	v_lshlrev_b32_e32 v4, 2, v4
	v_add_lshl_u32 v5, v5, v2, 2
	s_delay_alu instid0(VALU_DEP_2)
	v_add_lshl_u32 v4, v4, v2, 2
	v_add_co_ci_u32_e64 v2, s0, 0, v2, s0
	ds_bpermute_b32 v7, v4, v8
	ds_bpermute_b32 v9, v4, v6
	s_waitcnt lgkmcnt(0)
	v_dual_add_f32 v7, v8, v7 :: v_dual_add_f32 v8, v6, v9
	v_lshlrev_b32_e32 v6, 2, v2
	ds_bpermute_b32 v9, v5, v7
	ds_bpermute_b32 v10, v5, v8
	s_waitcnt lgkmcnt(1)
	v_add_f32_e32 v2, v7, v9
	s_waitcnt lgkmcnt(0)
	v_add_f32_e32 v8, v8, v10
	ds_bpermute_b32 v7, v6, v2
	ds_bpermute_b32 v9, v6, v8
	v_cmpx_eq_u32_e32 0, v1
	s_cbranch_execz .LBB317_26
; %bb.25:
	v_lshrrev_b32_e32 v1, 2, v0
	s_waitcnt lgkmcnt(0)
	v_dual_add_f32 v8, v8, v9 :: v_dual_add_f32 v7, v2, v7
	s_delay_alu instid0(VALU_DEP_2)
	v_and_b32_e32 v1, 56, v1
	ds_store_b64 v1, v[7:8]
.LBB317_26:
	s_or_b32 exec_lo, exec_lo, s2
	v_dual_mov_b32 v2, 0 :: v_dual_mov_b32 v1, 0
	s_mov_b32 s2, exec_lo
	s_waitcnt lgkmcnt(0)
	s_barrier
	buffer_gl0_inv
	v_cmpx_gt_u32_e32 8, v0
	s_cbranch_execz .LBB317_28
; %bb.27:
	ds_load_b64 v[1:2], v3
.LBB317_28:
	s_or_b32 exec_lo, exec_lo, s2
	s_and_saveexec_b32 s0, vcc_lo
	s_cbranch_execz .LBB317_30
; %bb.29:
	s_waitcnt lgkmcnt(0)
	ds_bpermute_b32 v3, v4, v1
	ds_bpermute_b32 v4, v4, v2
	s_waitcnt lgkmcnt(0)
	v_dual_add_f32 v1, v1, v3 :: v_dual_add_f32 v2, v2, v4
	ds_bpermute_b32 v3, v5, v1
	ds_bpermute_b32 v4, v5, v2
	s_waitcnt lgkmcnt(0)
	v_dual_add_f32 v1, v1, v3 :: v_dual_add_f32 v2, v2, v4
	;; [unrolled: 4-line block ×3, first 2 shown]
.LBB317_30:
	s_or_b32 exec_lo, exec_lo, s0
	s_delay_alu instid0(SALU_CYCLE_1)
	s_mov_b32 s0, exec_lo
	v_cmpx_eq_u32_e32 0, v0
	s_cbranch_execz .LBB317_34
; %bb.31:
	v_cmp_neq_f32_e64 s0, s8, 0
	v_cmp_neq_f32_e64 s2, s9, 0
	s_waitcnt lgkmcnt(0)
	v_mul_f32_e32 v0, s11, v2
	v_mul_f32_e32 v4, s10, v2
	s_mul_hi_u32 s3, s14, s4
	s_mul_i32 s1, s1, s4
	s_or_b32 s0, s0, s2
	s_mul_i32 s2, s14, s5
	v_fma_f32 v3, v1, s10, -v0
	v_fmac_f32_e32 v4, s11, v1
	s_add_i32 s2, s3, s2
	s_and_not1_b32 vcc_lo, exec_lo, s0
	s_add_i32 s1, s2, s1
	s_mul_i32 s0, s14, s4
	s_cbranch_vccnz .LBB317_33
; %bb.32:
	s_lshl_b64 s[2:3], s[0:1], 3
	v_mov_b32_e32 v0, 0
	s_add_u32 s2, s15, s2
	s_addc_u32 s3, s22, s3
	global_load_b64 v[0:1], v0, s[2:3]
	s_waitcnt vmcnt(0)
	v_mul_f32_e32 v2, s9, v1
	v_mul_f32_e32 v1, s8, v1
	s_delay_alu instid0(VALU_DEP_1) | instskip(NEXT) | instid1(VALU_DEP_3)
	v_fmac_f32_e32 v1, s9, v0
	v_fma_f32 v2, s8, v0, -v2
	s_delay_alu instid0(VALU_DEP_1)
	v_dual_add_f32 v4, v4, v1 :: v_dual_add_f32 v3, v3, v2
.LBB317_33:
	s_lshl_b64 s[0:1], s[0:1], 3
	v_mov_b32_e32 v0, 0
	s_add_u32 s0, s15, s0
	s_addc_u32 s1, s22, s1
	global_store_b64 v0, v[3:4], s[0:1]
.LBB317_34:
	s_nop 0
	s_sendmsg sendmsg(MSG_DEALLOC_VGPRS)
	s_endpgm
	.section	.rodata,"a",@progbits
	.p2align	6, 0x0
	.amdhsa_kernel _ZL32rocblas_gemvt_warp_reduce_kernelILb0ELi256ElPK19rocblas_complex_numIfES1_KPS1_EviiT3_lPKT2_lT1_lS9_lSA_lS6_lPT4_lSA_li
		.amdhsa_group_segment_fixed_size 256
		.amdhsa_private_segment_fixed_size 0
		.amdhsa_kernarg_size 140
		.amdhsa_user_sgpr_count 14
		.amdhsa_user_sgpr_dispatch_ptr 0
		.amdhsa_user_sgpr_queue_ptr 0
		.amdhsa_user_sgpr_kernarg_segment_ptr 1
		.amdhsa_user_sgpr_dispatch_id 0
		.amdhsa_user_sgpr_private_segment_size 0
		.amdhsa_wavefront_size32 1
		.amdhsa_uses_dynamic_stack 0
		.amdhsa_enable_private_segment 0
		.amdhsa_system_sgpr_workgroup_id_x 1
		.amdhsa_system_sgpr_workgroup_id_y 0
		.amdhsa_system_sgpr_workgroup_id_z 1
		.amdhsa_system_sgpr_workgroup_info 0
		.amdhsa_system_vgpr_workitem_id 0
		.amdhsa_next_free_vgpr 15
		.amdhsa_next_free_sgpr 28
		.amdhsa_reserve_vcc 1
		.amdhsa_float_round_mode_32 0
		.amdhsa_float_round_mode_16_64 0
		.amdhsa_float_denorm_mode_32 3
		.amdhsa_float_denorm_mode_16_64 3
		.amdhsa_dx10_clamp 1
		.amdhsa_ieee_mode 1
		.amdhsa_fp16_overflow 0
		.amdhsa_workgroup_processor_mode 1
		.amdhsa_memory_ordered 1
		.amdhsa_forward_progress 0
		.amdhsa_shared_vgpr_count 0
		.amdhsa_exception_fp_ieee_invalid_op 0
		.amdhsa_exception_fp_denorm_src 0
		.amdhsa_exception_fp_ieee_div_zero 0
		.amdhsa_exception_fp_ieee_overflow 0
		.amdhsa_exception_fp_ieee_underflow 0
		.amdhsa_exception_fp_ieee_inexact 0
		.amdhsa_exception_int_div_zero 0
	.end_amdhsa_kernel
	.section	.text._ZL32rocblas_gemvt_warp_reduce_kernelILb0ELi256ElPK19rocblas_complex_numIfES1_KPS1_EviiT3_lPKT2_lT1_lS9_lSA_lS6_lPT4_lSA_li,"axG",@progbits,_ZL32rocblas_gemvt_warp_reduce_kernelILb0ELi256ElPK19rocblas_complex_numIfES1_KPS1_EviiT3_lPKT2_lT1_lS9_lSA_lS6_lPT4_lSA_li,comdat
.Lfunc_end317:
	.size	_ZL32rocblas_gemvt_warp_reduce_kernelILb0ELi256ElPK19rocblas_complex_numIfES1_KPS1_EviiT3_lPKT2_lT1_lS9_lSA_lS6_lPT4_lSA_li, .Lfunc_end317-_ZL32rocblas_gemvt_warp_reduce_kernelILb0ELi256ElPK19rocblas_complex_numIfES1_KPS1_EviiT3_lPKT2_lT1_lS9_lSA_lS6_lPT4_lSA_li
                                        ; -- End function
	.section	.AMDGPU.csdata,"",@progbits
; Kernel info:
; codeLenInByte = 1836
; NumSgprs: 30
; NumVgprs: 15
; ScratchSize: 0
; MemoryBound: 0
; FloatMode: 240
; IeeeMode: 1
; LDSByteSize: 256 bytes/workgroup (compile time only)
; SGPRBlocks: 3
; VGPRBlocks: 1
; NumSGPRsForWavesPerEU: 30
; NumVGPRsForWavesPerEU: 15
; Occupancy: 16
; WaveLimiterHint : 1
; COMPUTE_PGM_RSRC2:SCRATCH_EN: 0
; COMPUTE_PGM_RSRC2:USER_SGPR: 14
; COMPUTE_PGM_RSRC2:TRAP_HANDLER: 0
; COMPUTE_PGM_RSRC2:TGID_X_EN: 1
; COMPUTE_PGM_RSRC2:TGID_Y_EN: 0
; COMPUTE_PGM_RSRC2:TGID_Z_EN: 1
; COMPUTE_PGM_RSRC2:TIDIG_COMP_CNT: 0
	.section	.text._ZL20rocblas_gemvt_kernelILb0ELi256EPK19rocblas_complex_numIfES3_KPS1_EviiT2_lPKT1_lilS9_lilS6_lPT3_lili,"axG",@progbits,_ZL20rocblas_gemvt_kernelILb0ELi256EPK19rocblas_complex_numIfES3_KPS1_EviiT2_lPKT1_lilS9_lilS6_lPT3_lili,comdat
	.globl	_ZL20rocblas_gemvt_kernelILb0ELi256EPK19rocblas_complex_numIfES3_KPS1_EviiT2_lPKT1_lilS9_lilS6_lPT3_lili ; -- Begin function _ZL20rocblas_gemvt_kernelILb0ELi256EPK19rocblas_complex_numIfES3_KPS1_EviiT2_lPKT1_lilS9_lilS6_lPT3_lili
	.p2align	8
	.type	_ZL20rocblas_gemvt_kernelILb0ELi256EPK19rocblas_complex_numIfES3_KPS1_EviiT2_lPKT1_lilS9_lilS6_lPT3_lili,@function
_ZL20rocblas_gemvt_kernelILb0ELi256EPK19rocblas_complex_numIfES3_KPS1_EviiT2_lPKT1_lilS9_lilS6_lPT3_lili: ; @_ZL20rocblas_gemvt_kernelILb0ELi256EPK19rocblas_complex_numIfES3_KPS1_EviiT2_lPKT1_lilS9_lilS6_lPT3_lili
; %bb.0:
	s_clause 0x1
	s_load_b256 s[16:23], s[0:1], 0x8
	s_load_b256 s[4:11], s[0:1], 0x58
	s_mov_b32 s2, s15
	s_waitcnt lgkmcnt(0)
	s_mul_i32 s3, s15, s19
	s_mul_hi_u32 s13, s15, s18
	s_mul_i32 s12, s15, s18
	s_add_i32 s13, s13, s3
	s_mul_i32 s3, s15, s7
	s_lshl_b64 s[12:13], s[12:13], 3
	s_mul_hi_u32 s7, s15, s6
	s_add_u32 s12, s16, s12
	s_addc_u32 s13, s17, s13
	s_mul_i32 s6, s15, s6
	s_load_b64 s[12:13], s[12:13], 0x0
	s_add_i32 s7, s7, s3
	s_delay_alu instid0(SALU_CYCLE_1) | instskip(NEXT) | instid1(SALU_CYCLE_1)
	s_lshl_b64 s[6:7], s[6:7], 3
	s_add_u32 s4, s4, s6
	s_addc_u32 s5, s5, s7
	s_load_b64 s[4:5], s[4:5], 0x0
	s_waitcnt lgkmcnt(0)
	v_cmp_neq_f32_e64 s3, s12, 0
	v_cmp_neq_f32_e64 s6, s13, 0
	s_delay_alu instid0(VALU_DEP_1)
	s_or_b32 s6, s3, s6
	s_mov_b32 s3, 0
	s_and_b32 vcc_lo, exec_lo, s6
	s_mov_b32 s6, -1
	s_cbranch_vccnz .LBB318_2
; %bb.1:
	v_cmp_neq_f32_e64 s6, s4, 1.0
	v_cmp_neq_f32_e64 s7, s5, 0
	s_delay_alu instid0(VALU_DEP_1)
	s_or_b32 s6, s6, s7
.LBB318_2:
	s_delay_alu instid0(SALU_CYCLE_1)
	s_and_not1_b32 vcc_lo, exec_lo, s6
	s_cbranch_vccnz .LBB318_39
; %bb.3:
	s_or_b32 s6, s12, s13
	s_mov_b64 s[16:17], 0
	s_bitset0_b32 s6, 31
	s_delay_alu instid0(SALU_CYCLE_1) | instskip(SKIP_4) | instid1(SALU_CYCLE_1)
	s_cmp_lg_u32 s6, 0
	s_cselect_b32 s15, -1, 0
	s_cmp_eq_u32 s6, 0
	s_mov_b64 s[6:7], 0
	s_cselect_b32 s18, -1, 0
	s_and_b32 vcc_lo, exec_lo, s18
	s_cbranch_vccnz .LBB318_5
; %bb.4:
	s_lshl_b64 s[16:17], s[2:3], 3
	s_delay_alu instid0(SALU_CYCLE_1)
	s_add_u32 s16, s20, s16
	s_addc_u32 s17, s21, s17
	s_lshl_b64 s[20:21], s[22:23], 3
	s_load_b64 s[16:17], s[16:17], 0x0
	s_waitcnt lgkmcnt(0)
	s_add_u32 s16, s16, s20
	s_addc_u32 s17, s17, s21
.LBB318_5:
	s_and_not1_b32 vcc_lo, exec_lo, s15
	s_cbranch_vccnz .LBB318_7
; %bb.6:
	s_load_b128 s[20:23], s[0:1], 0x38
	s_lshl_b64 s[6:7], s[2:3], 3
	s_waitcnt lgkmcnt(0)
	s_add_u32 s6, s20, s6
	s_addc_u32 s7, s21, s7
	s_lshl_b64 s[20:21], s[22:23], 3
	s_load_b64 s[6:7], s[6:7], 0x0
	s_waitcnt lgkmcnt(0)
	s_add_u32 s6, s6, s20
	s_addc_u32 s7, s7, s21
.LBB318_7:
	s_lshl_b64 s[2:3], s[2:3], 3
	s_delay_alu instid0(SALU_CYCLE_1)
	s_add_u32 s2, s8, s2
	s_addc_u32 s3, s9, s3
	s_lshl_b64 s[10:11], s[10:11], 3
	s_load_b64 s[8:9], s[2:3], 0x0
	s_load_b32 s15, s[0:1], 0x78
	v_cmp_eq_u32_e64 s2, 0, v0
	s_waitcnt lgkmcnt(0)
	s_add_u32 s10, s8, s10
	s_addc_u32 s11, s9, s11
	s_and_not1_b32 vcc_lo, exec_lo, s18
	s_mov_b32 s8, -1
	s_cbranch_vccnz .LBB318_13
; %bb.8:
	s_mov_b32 s8, 0
	s_and_saveexec_b32 s9, s2
	s_cbranch_execz .LBB318_12
; %bb.9:
	v_cmp_neq_f32_e64 s2, s4, 0
	v_cmp_neq_f32_e64 s3, s5, 0
	v_dual_mov_b32 v3, 0 :: v_dual_mov_b32 v2, 0
	v_mov_b32_e32 v1, 0
	s_delay_alu instid0(VALU_DEP_3)
	s_or_b32 s2, s2, s3
	s_mul_hi_i32 s3, s15, s14
	s_and_not1_b32 vcc_lo, exec_lo, s2
	s_mul_i32 s2, s15, s14
	s_cbranch_vccnz .LBB318_11
; %bb.10:
	s_lshl_b64 s[18:19], s[2:3], 3
	s_delay_alu instid0(SALU_CYCLE_1)
	s_add_u32 s18, s10, s18
	s_addc_u32 s19, s11, s19
	s_load_b64 s[18:19], s[18:19], 0x0
	s_waitcnt lgkmcnt(0)
	v_mul_f32_e64 v1, s5, s19
	v_mul_f32_e64 v2, s4, s19
	s_delay_alu instid0(VALU_DEP_2) | instskip(NEXT) | instid1(VALU_DEP_2)
	v_fma_f32 v1, s4, s18, -v1
	v_fmac_f32_e64 v2, s5, s18
.LBB318_11:
	s_lshl_b64 s[2:3], s[2:3], 3
	s_delay_alu instid0(SALU_CYCLE_1)
	s_add_u32 s2, s10, s2
	s_addc_u32 s3, s11, s3
	global_store_b64 v3, v[1:2], s[2:3]
.LBB318_12:
	s_or_b32 exec_lo, exec_lo, s9
.LBB318_13:
	s_delay_alu instid0(SALU_CYCLE_1)
	s_and_not1_b32 vcc_lo, exec_lo, s8
	s_cbranch_vccnz .LBB318_39
; %bb.14:
	s_clause 0x2
	s_load_b32 s2, s[0:1], 0x28
	s_load_b32 s3, s[0:1], 0x0
	;; [unrolled: 1-line block ×3, first 2 shown]
	v_mov_b32_e32 v2, 0
	s_waitcnt lgkmcnt(0)
	s_mul_hi_i32 s9, s2, s14
	v_cmp_gt_i32_e32 vcc_lo, s3, v0
	s_mul_i32 s8, s2, s14
	s_delay_alu instid0(SALU_CYCLE_1) | instskip(SKIP_4) | instid1(SALU_CYCLE_1)
	s_lshl_b64 s[8:9], s[8:9], 3
	v_cndmask_b32_e32 v1, 0, v0, vcc_lo
	s_add_u32 s1, s8, s16
	s_addc_u32 s2, s9, s17
	s_ashr_i32 s8, s3, 31
	s_lshr_b32 s8, s8, 24
	v_lshlrev_b32_e32 v1, 3, v1
	s_add_i32 s8, s3, s8
	s_delay_alu instid0(VALU_DEP_1) | instskip(NEXT) | instid1(VALU_DEP_1)
	v_add_co_u32 v3, s1, s1, v1
	v_add_co_ci_u32_e64 v4, null, s2, 0, s1
	v_mov_b32_e32 v1, v2
	s_and_b32 s2, s8, 0xffffff00
	s_cmpk_lt_i32 s3, 0x100
	s_cbranch_scc1 .LBB318_17
; %bb.15:
	v_mad_i64_i32 v[1:2], null, s0, v0, 0
	s_ashr_i32 s1, s0, 31
	s_delay_alu instid0(SALU_CYCLE_1) | instskip(SKIP_1) | instid1(VALU_DEP_1)
	s_lshl_b64 s[8:9], s[0:1], 11
	s_mov_b32 s1, 0
	v_lshlrev_b64 v[7:8], 3, v[1:2]
	v_mov_b32_e32 v2, 0
	v_dual_mov_b32 v6, v4 :: v_dual_mov_b32 v5, v3
	s_delay_alu instid0(VALU_DEP_2) | instskip(NEXT) | instid1(VALU_DEP_4)
	v_mov_b32_e32 v1, v2
	v_add_co_u32 v7, vcc_lo, s6, v7
	v_add_co_ci_u32_e32 v8, vcc_lo, s7, v8, vcc_lo
	.p2align	6
.LBB318_16:                             ; =>This Inner Loop Header: Depth=1
	flat_load_b64 v[9:10], v[5:6]
	flat_load_b64 v[11:12], v[7:8]
	v_add_co_u32 v7, vcc_lo, v7, s8
	v_add_co_ci_u32_e32 v8, vcc_lo, s9, v8, vcc_lo
	v_add_co_u32 v5, vcc_lo, 0x800, v5
	v_add_co_ci_u32_e32 v6, vcc_lo, 0, v6, vcc_lo
	s_addk_i32 s1, 0x100
	s_delay_alu instid0(SALU_CYCLE_1) | instskip(SKIP_3) | instid1(VALU_DEP_2)
	s_cmp_ge_i32 s1, s2
	s_waitcnt vmcnt(0) lgkmcnt(0)
	v_mul_f32_e32 v13, v12, v10
	v_mul_f32_e32 v10, v11, v10
	v_fma_f32 v11, v11, v9, -v13
	s_delay_alu instid0(VALU_DEP_1) | instskip(NEXT) | instid1(VALU_DEP_1)
	v_dual_add_f32 v1, v1, v11 :: v_dual_fmac_f32 v10, v12, v9
	v_add_f32_e32 v2, v2, v10
	s_cbranch_scc0 .LBB318_16
.LBB318_17:
	v_add_nc_u32_e32 v5, s2, v0
	s_mov_b32 s1, exec_lo
	s_delay_alu instid0(VALU_DEP_1)
	v_cmpx_gt_i32_e64 s3, v5
	s_cbranch_execz .LBB318_19
; %bb.18:
	v_mad_i64_i32 v[6:7], null, s0, v5, 0
	s_ashr_i32 s3, s2, 31
	s_delay_alu instid0(SALU_CYCLE_1) | instskip(NEXT) | instid1(SALU_CYCLE_1)
	s_lshl_b64 s[2:3], s[2:3], 3
	v_add_co_u32 v3, vcc_lo, v3, s2
	s_delay_alu instid0(VALU_DEP_2) | instskip(SKIP_1) | instid1(VALU_DEP_2)
	v_lshlrev_b64 v[5:6], 3, v[6:7]
	v_add_co_ci_u32_e32 v4, vcc_lo, s3, v4, vcc_lo
	v_add_co_u32 v5, vcc_lo, s6, v5
	s_delay_alu instid0(VALU_DEP_3)
	v_add_co_ci_u32_e32 v6, vcc_lo, s7, v6, vcc_lo
	flat_load_b64 v[3:4], v[3:4]
	flat_load_b64 v[5:6], v[5:6]
	s_waitcnt vmcnt(0) lgkmcnt(0)
	v_mul_f32_e32 v7, v6, v4
	v_mul_f32_e32 v4, v5, v4
	s_delay_alu instid0(VALU_DEP_2) | instskip(NEXT) | instid1(VALU_DEP_1)
	v_fma_f32 v5, v5, v3, -v7
	v_dual_fmac_f32 v4, v6, v3 :: v_dual_add_f32 v1, v1, v5
	s_delay_alu instid0(VALU_DEP_1)
	v_add_f32_e32 v2, v2, v4
.LBB318_19:
	s_or_b32 exec_lo, exec_lo, s1
	v_lshlrev_b32_e32 v3, 3, v0
	s_mov_b32 s0, exec_lo
	ds_store_b64 v3, v[1:2]
	s_waitcnt lgkmcnt(0)
	s_waitcnt_vscnt null, 0x0
	s_barrier
	buffer_gl0_inv
	v_cmpx_gt_u32_e32 0x80, v0
	s_cbranch_execz .LBB318_21
; %bb.20:
	ds_load_2addr_stride64_b64 v[4:7], v3 offset1:2
	s_waitcnt lgkmcnt(0)
	v_dual_add_f32 v1, v6, v4 :: v_dual_add_f32 v2, v7, v5
	ds_store_b64 v3, v[1:2]
.LBB318_21:
	s_or_b32 exec_lo, exec_lo, s0
	s_delay_alu instid0(SALU_CYCLE_1)
	s_mov_b32 s0, exec_lo
	s_waitcnt lgkmcnt(0)
	s_barrier
	buffer_gl0_inv
	v_cmpx_gt_u32_e32 64, v0
	s_cbranch_execz .LBB318_23
; %bb.22:
	ds_load_2addr_stride64_b64 v[4:7], v3 offset1:1
	s_waitcnt lgkmcnt(0)
	v_dual_add_f32 v1, v6, v4 :: v_dual_add_f32 v2, v7, v5
	ds_store_b64 v3, v[1:2]
.LBB318_23:
	s_or_b32 exec_lo, exec_lo, s0
	s_delay_alu instid0(SALU_CYCLE_1)
	s_mov_b32 s0, exec_lo
	s_waitcnt lgkmcnt(0)
	s_barrier
	buffer_gl0_inv
	v_cmpx_gt_u32_e32 32, v0
	s_cbranch_execz .LBB318_25
; %bb.24:
	ds_load_2addr_b64 v[4:7], v3 offset1:32
	s_waitcnt lgkmcnt(0)
	v_dual_add_f32 v1, v6, v4 :: v_dual_add_f32 v2, v7, v5
	ds_store_b64 v3, v[1:2]
.LBB318_25:
	s_or_b32 exec_lo, exec_lo, s0
	s_delay_alu instid0(SALU_CYCLE_1)
	s_mov_b32 s0, exec_lo
	s_waitcnt lgkmcnt(0)
	s_barrier
	buffer_gl0_inv
	v_cmpx_gt_u32_e32 16, v0
	s_cbranch_execz .LBB318_27
; %bb.26:
	ds_load_2addr_b64 v[4:7], v3 offset1:16
	s_waitcnt lgkmcnt(0)
	v_dual_add_f32 v1, v6, v4 :: v_dual_add_f32 v2, v7, v5
	ds_store_b64 v3, v[1:2]
.LBB318_27:
	;; [unrolled: 14-line block ×5, first 2 shown]
	s_or_b32 exec_lo, exec_lo, s0
	v_cmp_eq_u32_e32 vcc_lo, 0, v0
	s_waitcnt lgkmcnt(0)
	s_barrier
	buffer_gl0_inv
	s_and_saveexec_b32 s0, vcc_lo
	s_cbranch_execz .LBB318_35
; %bb.34:
	v_mov_b32_e32 v4, 0
	ds_load_b128 v[0:3], v4
	s_waitcnt lgkmcnt(0)
	v_dual_add_f32 v1, v3, v1 :: v_dual_add_f32 v0, v2, v0
	ds_store_b64 v4, v[0:1]
.LBB318_35:
	s_or_b32 exec_lo, exec_lo, s0
	s_waitcnt lgkmcnt(0)
	s_barrier
	buffer_gl0_inv
	s_and_saveexec_b32 s0, vcc_lo
	s_cbranch_execz .LBB318_39
; %bb.36:
	v_mov_b32_e32 v2, 0
	v_cmp_neq_f32_e64 s0, s4, 0
	v_cmp_neq_f32_e64 s1, s5, 0
	ds_load_b64 v[3:4], v2
	s_or_b32 s0, s0, s1
	s_mul_hi_i32 s1, s15, s14
	s_and_not1_b32 vcc_lo, exec_lo, s0
	s_mul_i32 s0, s15, s14
	s_waitcnt lgkmcnt(0)
	v_mul_f32_e32 v1, s12, v4
	s_delay_alu instid0(VALU_DEP_1) | instskip(NEXT) | instid1(VALU_DEP_1)
	v_dual_mul_f32 v0, s13, v4 :: v_dual_fmac_f32 v1, s13, v3
	v_fma_f32 v0, v3, s12, -v0
	s_cbranch_vccnz .LBB318_38
; %bb.37:
	s_lshl_b64 s[2:3], s[0:1], 3
	s_delay_alu instid0(SALU_CYCLE_1)
	s_add_u32 s2, s10, s2
	s_addc_u32 s3, s11, s3
	global_load_b64 v[3:4], v2, s[2:3]
	s_waitcnt vmcnt(0)
	v_mul_f32_e32 v5, s5, v4
	v_mul_f32_e32 v4, s4, v4
	s_delay_alu instid0(VALU_DEP_1) | instskip(NEXT) | instid1(VALU_DEP_3)
	v_fmac_f32_e32 v4, s5, v3
	v_fma_f32 v5, s4, v3, -v5
	s_delay_alu instid0(VALU_DEP_1)
	v_dual_add_f32 v1, v1, v4 :: v_dual_add_f32 v0, v0, v5
.LBB318_38:
	s_lshl_b64 s[0:1], s[0:1], 3
	s_delay_alu instid0(SALU_CYCLE_1)
	s_add_u32 s0, s10, s0
	s_addc_u32 s1, s11, s1
	global_store_b64 v2, v[0:1], s[0:1]
.LBB318_39:
	s_nop 0
	s_sendmsg sendmsg(MSG_DEALLOC_VGPRS)
	s_endpgm
	.section	.rodata,"a",@progbits
	.p2align	6, 0x0
	.amdhsa_kernel _ZL20rocblas_gemvt_kernelILb0ELi256EPK19rocblas_complex_numIfES3_KPS1_EviiT2_lPKT1_lilS9_lilS6_lPT3_lili
		.amdhsa_group_segment_fixed_size 2048
		.amdhsa_private_segment_fixed_size 0
		.amdhsa_kernarg_size 140
		.amdhsa_user_sgpr_count 14
		.amdhsa_user_sgpr_dispatch_ptr 0
		.amdhsa_user_sgpr_queue_ptr 0
		.amdhsa_user_sgpr_kernarg_segment_ptr 1
		.amdhsa_user_sgpr_dispatch_id 0
		.amdhsa_user_sgpr_private_segment_size 0
		.amdhsa_wavefront_size32 1
		.amdhsa_uses_dynamic_stack 0
		.amdhsa_enable_private_segment 0
		.amdhsa_system_sgpr_workgroup_id_x 1
		.amdhsa_system_sgpr_workgroup_id_y 0
		.amdhsa_system_sgpr_workgroup_id_z 1
		.amdhsa_system_sgpr_workgroup_info 0
		.amdhsa_system_vgpr_workitem_id 0
		.amdhsa_next_free_vgpr 14
		.amdhsa_next_free_sgpr 24
		.amdhsa_reserve_vcc 1
		.amdhsa_float_round_mode_32 0
		.amdhsa_float_round_mode_16_64 0
		.amdhsa_float_denorm_mode_32 3
		.amdhsa_float_denorm_mode_16_64 3
		.amdhsa_dx10_clamp 1
		.amdhsa_ieee_mode 1
		.amdhsa_fp16_overflow 0
		.amdhsa_workgroup_processor_mode 1
		.amdhsa_memory_ordered 1
		.amdhsa_forward_progress 0
		.amdhsa_shared_vgpr_count 0
		.amdhsa_exception_fp_ieee_invalid_op 0
		.amdhsa_exception_fp_denorm_src 0
		.amdhsa_exception_fp_ieee_div_zero 0
		.amdhsa_exception_fp_ieee_overflow 0
		.amdhsa_exception_fp_ieee_underflow 0
		.amdhsa_exception_fp_ieee_inexact 0
		.amdhsa_exception_int_div_zero 0
	.end_amdhsa_kernel
	.section	.text._ZL20rocblas_gemvt_kernelILb0ELi256EPK19rocblas_complex_numIfES3_KPS1_EviiT2_lPKT1_lilS9_lilS6_lPT3_lili,"axG",@progbits,_ZL20rocblas_gemvt_kernelILb0ELi256EPK19rocblas_complex_numIfES3_KPS1_EviiT2_lPKT1_lilS9_lilS6_lPT3_lili,comdat
.Lfunc_end318:
	.size	_ZL20rocblas_gemvt_kernelILb0ELi256EPK19rocblas_complex_numIfES3_KPS1_EviiT2_lPKT1_lilS9_lilS6_lPT3_lili, .Lfunc_end318-_ZL20rocblas_gemvt_kernelILb0ELi256EPK19rocblas_complex_numIfES3_KPS1_EviiT2_lPKT1_lilS9_lilS6_lPT3_lili
                                        ; -- End function
	.section	.AMDGPU.csdata,"",@progbits
; Kernel info:
; codeLenInByte = 1716
; NumSgprs: 26
; NumVgprs: 14
; ScratchSize: 0
; MemoryBound: 0
; FloatMode: 240
; IeeeMode: 1
; LDSByteSize: 2048 bytes/workgroup (compile time only)
; SGPRBlocks: 3
; VGPRBlocks: 1
; NumSGPRsForWavesPerEU: 26
; NumVGPRsForWavesPerEU: 14
; Occupancy: 16
; WaveLimiterHint : 1
; COMPUTE_PGM_RSRC2:SCRATCH_EN: 0
; COMPUTE_PGM_RSRC2:USER_SGPR: 14
; COMPUTE_PGM_RSRC2:TRAP_HANDLER: 0
; COMPUTE_PGM_RSRC2:TGID_X_EN: 1
; COMPUTE_PGM_RSRC2:TGID_Y_EN: 0
; COMPUTE_PGM_RSRC2:TGID_Z_EN: 1
; COMPUTE_PGM_RSRC2:TIDIG_COMP_CNT: 0
	.section	.text._ZL20rocblas_gemvt_kernelILb0ELi256EPK19rocblas_complex_numIfES1_KPS1_EviiT2_lPKT1_lilS9_lilS6_lPT3_lili,"axG",@progbits,_ZL20rocblas_gemvt_kernelILb0ELi256EPK19rocblas_complex_numIfES1_KPS1_EviiT2_lPKT1_lilS9_lilS6_lPT3_lili,comdat
	.globl	_ZL20rocblas_gemvt_kernelILb0ELi256EPK19rocblas_complex_numIfES1_KPS1_EviiT2_lPKT1_lilS9_lilS6_lPT3_lili ; -- Begin function _ZL20rocblas_gemvt_kernelILb0ELi256EPK19rocblas_complex_numIfES1_KPS1_EviiT2_lPKT1_lilS9_lilS6_lPT3_lili
	.p2align	8
	.type	_ZL20rocblas_gemvt_kernelILb0ELi256EPK19rocblas_complex_numIfES1_KPS1_EviiT2_lPKT1_lilS9_lilS6_lPT3_lili,@function
_ZL20rocblas_gemvt_kernelILb0ELi256EPK19rocblas_complex_numIfES1_KPS1_EviiT2_lPKT1_lilS9_lilS6_lPT3_lili: ; @_ZL20rocblas_gemvt_kernelILb0ELi256EPK19rocblas_complex_numIfES1_KPS1_EviiT2_lPKT1_lilS9_lilS6_lPT3_lili
; %bb.0:
	s_clause 0x1
	s_load_b64 s[6:7], s[0:1], 0x8
	s_load_b64 s[4:5], s[0:1], 0x58
	s_mov_b32 s2, s15
	s_waitcnt lgkmcnt(0)
	v_cmp_neq_f32_e64 s3, s6, 0
	v_cmp_neq_f32_e64 s8, s7, 0
	s_delay_alu instid0(VALU_DEP_1) | instskip(NEXT) | instid1(SALU_CYCLE_1)
	s_or_b32 s3, s3, s8
	s_and_b32 vcc_lo, exec_lo, s3
	s_mov_b32 s3, -1
	s_cbranch_vccnz .LBB319_2
; %bb.1:
	v_cmp_neq_f32_e64 s3, s4, 1.0
	v_cmp_neq_f32_e64 s8, s5, 0
	s_delay_alu instid0(VALU_DEP_1)
	s_or_b32 s3, s3, s8
.LBB319_2:
	s_delay_alu instid0(SALU_CYCLE_1)
	s_and_not1_b32 vcc_lo, exec_lo, s3
	s_cbranch_vccnz .LBB319_41
; %bb.3:
	s_or_b32 s3, s6, s7
	s_delay_alu instid0(SALU_CYCLE_1) | instskip(NEXT) | instid1(SALU_CYCLE_1)
	s_bitset0_b32 s3, 31
	s_cmp_lg_u32 s3, 0
	s_cselect_b32 s8, -1, 0
	s_cmp_eq_u32 s3, 0
	s_mov_b32 s3, 0
	s_cselect_b32 s16, -1, 0
	s_and_b32 vcc_lo, exec_lo, s8
	s_cbranch_vccnz .LBB319_5
; %bb.4:
	s_mov_b64 s[10:11], 0
	s_and_not1_b32 vcc_lo, exec_lo, s3
	s_cbranch_vccz .LBB319_6
	s_branch .LBB319_7
.LBB319_5:
	s_mov_b32 s3, -1
                                        ; implicit-def: $sgpr10_sgpr11
.LBB319_6:
	s_load_b128 s[20:23], s[0:1], 0x18
	s_mov_b32 s3, 0
	s_delay_alu instid0(SALU_CYCLE_1)
	s_lshl_b64 s[10:11], s[2:3], 3
	s_waitcnt lgkmcnt(0)
	s_add_u32 s10, s20, s10
	s_addc_u32 s11, s21, s11
	s_lshl_b64 s[12:13], s[22:23], 3
	s_load_b64 s[10:11], s[10:11], 0x0
	s_waitcnt lgkmcnt(0)
	s_add_u32 s10, s10, s12
	s_addc_u32 s11, s11, s13
.LBB319_7:
	s_and_not1_b32 vcc_lo, exec_lo, s8
	s_mov_b64 s[8:9], 0
	s_cbranch_vccnz .LBB319_9
; %bb.8:
	s_load_b128 s[20:23], s[0:1], 0x38
	s_lshl_b64 s[8:9], s[2:3], 3
	s_waitcnt lgkmcnt(0)
	s_add_u32 s8, s20, s8
	s_addc_u32 s9, s21, s9
	s_lshl_b64 s[12:13], s[22:23], 3
	s_load_b64 s[8:9], s[8:9], 0x0
	s_waitcnt lgkmcnt(0)
	s_add_u32 s8, s8, s12
	s_addc_u32 s9, s9, s13
.LBB319_9:
	s_clause 0x1
	s_load_b128 s[20:23], s[0:1], 0x68
	s_load_b32 s15, s[0:1], 0x78
	s_lshl_b64 s[2:3], s[2:3], 3
	s_waitcnt lgkmcnt(0)
	s_add_u32 s2, s20, s2
	s_addc_u32 s3, s21, s3
	s_lshl_b64 s[18:19], s[22:23], 3
	s_load_b64 s[12:13], s[2:3], 0x0
	v_cmp_eq_u32_e64 s2, 0, v0
	s_waitcnt lgkmcnt(0)
	s_add_u32 s12, s12, s18
	s_addc_u32 s13, s13, s19
	s_and_not1_b32 vcc_lo, exec_lo, s16
	s_mov_b32 s16, -1
	s_cbranch_vccnz .LBB319_15
; %bb.10:
	s_mov_b32 s16, 0
	s_and_saveexec_b32 s17, s2
	s_cbranch_execz .LBB319_14
; %bb.11:
	v_cmp_neq_f32_e64 s2, s4, 0
	v_cmp_neq_f32_e64 s3, s5, 0
	v_dual_mov_b32 v3, 0 :: v_dual_mov_b32 v2, 0
	v_mov_b32_e32 v1, 0
	s_delay_alu instid0(VALU_DEP_3)
	s_or_b32 s2, s2, s3
	s_mul_hi_i32 s3, s15, s14
	s_and_not1_b32 vcc_lo, exec_lo, s2
	s_mul_i32 s2, s15, s14
	s_cbranch_vccnz .LBB319_13
; %bb.12:
	s_lshl_b64 s[18:19], s[2:3], 3
	s_delay_alu instid0(SALU_CYCLE_1)
	s_add_u32 s18, s12, s18
	s_addc_u32 s19, s13, s19
	s_load_b64 s[18:19], s[18:19], 0x0
	s_waitcnt lgkmcnt(0)
	v_mul_f32_e64 v1, s5, s19
	v_mul_f32_e64 v2, s4, s19
	s_delay_alu instid0(VALU_DEP_2) | instskip(NEXT) | instid1(VALU_DEP_2)
	v_fma_f32 v1, s4, s18, -v1
	v_fmac_f32_e64 v2, s5, s18
.LBB319_13:
	s_lshl_b64 s[2:3], s[2:3], 3
	s_delay_alu instid0(SALU_CYCLE_1)
	s_add_u32 s2, s12, s2
	s_addc_u32 s3, s13, s3
	global_store_b64 v3, v[1:2], s[2:3]
.LBB319_14:
	s_or_b32 exec_lo, exec_lo, s17
.LBB319_15:
	s_delay_alu instid0(SALU_CYCLE_1)
	s_and_not1_b32 vcc_lo, exec_lo, s16
	s_cbranch_vccnz .LBB319_41
; %bb.16:
	s_clause 0x2
	s_load_b32 s2, s[0:1], 0x28
	s_load_b32 s3, s[0:1], 0x0
	;; [unrolled: 1-line block ×3, first 2 shown]
	v_mov_b32_e32 v2, 0
	s_waitcnt lgkmcnt(0)
	s_mul_hi_i32 s17, s2, s14
	v_cmp_gt_i32_e32 vcc_lo, s3, v0
	s_mul_i32 s16, s2, s14
	s_delay_alu instid0(SALU_CYCLE_1) | instskip(SKIP_4) | instid1(SALU_CYCLE_1)
	s_lshl_b64 s[16:17], s[16:17], 3
	v_cndmask_b32_e32 v1, 0, v0, vcc_lo
	s_add_u32 s1, s16, s10
	s_addc_u32 s2, s17, s11
	s_ashr_i32 s10, s3, 31
	s_lshr_b32 s10, s10, 24
	v_lshlrev_b32_e32 v1, 3, v1
	s_add_i32 s10, s3, s10
	s_delay_alu instid0(VALU_DEP_1) | instskip(NEXT) | instid1(VALU_DEP_1)
	v_add_co_u32 v3, s1, s1, v1
	v_add_co_ci_u32_e64 v4, null, s2, 0, s1
	v_mov_b32_e32 v1, v2
	s_and_b32 s2, s10, 0xffffff00
	s_cmpk_lt_i32 s3, 0x100
	s_cbranch_scc1 .LBB319_19
; %bb.17:
	v_mad_i64_i32 v[1:2], null, s0, v0, 0
	s_ashr_i32 s1, s0, 31
	s_delay_alu instid0(SALU_CYCLE_1) | instskip(SKIP_1) | instid1(VALU_DEP_1)
	s_lshl_b64 s[10:11], s[0:1], 11
	s_mov_b32 s1, 0
	v_lshlrev_b64 v[7:8], 3, v[1:2]
	v_mov_b32_e32 v2, 0
	v_dual_mov_b32 v6, v4 :: v_dual_mov_b32 v5, v3
	s_delay_alu instid0(VALU_DEP_2) | instskip(NEXT) | instid1(VALU_DEP_4)
	v_mov_b32_e32 v1, v2
	v_add_co_u32 v7, vcc_lo, s8, v7
	v_add_co_ci_u32_e32 v8, vcc_lo, s9, v8, vcc_lo
	.p2align	6
.LBB319_18:                             ; =>This Inner Loop Header: Depth=1
	flat_load_b64 v[9:10], v[5:6]
	flat_load_b64 v[11:12], v[7:8]
	v_add_co_u32 v7, vcc_lo, v7, s10
	v_add_co_ci_u32_e32 v8, vcc_lo, s11, v8, vcc_lo
	v_add_co_u32 v5, vcc_lo, 0x800, v5
	v_add_co_ci_u32_e32 v6, vcc_lo, 0, v6, vcc_lo
	s_addk_i32 s1, 0x100
	s_delay_alu instid0(SALU_CYCLE_1) | instskip(SKIP_3) | instid1(VALU_DEP_2)
	s_cmp_ge_i32 s1, s2
	s_waitcnt vmcnt(0) lgkmcnt(0)
	v_mul_f32_e32 v13, v12, v10
	v_mul_f32_e32 v10, v11, v10
	v_fma_f32 v11, v11, v9, -v13
	s_delay_alu instid0(VALU_DEP_1) | instskip(NEXT) | instid1(VALU_DEP_1)
	v_dual_add_f32 v1, v1, v11 :: v_dual_fmac_f32 v10, v12, v9
	v_add_f32_e32 v2, v2, v10
	s_cbranch_scc0 .LBB319_18
.LBB319_19:
	v_add_nc_u32_e32 v5, s2, v0
	s_mov_b32 s1, exec_lo
	s_delay_alu instid0(VALU_DEP_1)
	v_cmpx_gt_i32_e64 s3, v5
	s_cbranch_execz .LBB319_21
; %bb.20:
	v_mad_i64_i32 v[6:7], null, s0, v5, 0
	s_ashr_i32 s3, s2, 31
	s_delay_alu instid0(SALU_CYCLE_1) | instskip(NEXT) | instid1(SALU_CYCLE_1)
	s_lshl_b64 s[2:3], s[2:3], 3
	v_add_co_u32 v3, vcc_lo, v3, s2
	s_delay_alu instid0(VALU_DEP_2) | instskip(SKIP_1) | instid1(VALU_DEP_2)
	v_lshlrev_b64 v[5:6], 3, v[6:7]
	v_add_co_ci_u32_e32 v4, vcc_lo, s3, v4, vcc_lo
	v_add_co_u32 v5, vcc_lo, s8, v5
	s_delay_alu instid0(VALU_DEP_3)
	v_add_co_ci_u32_e32 v6, vcc_lo, s9, v6, vcc_lo
	flat_load_b64 v[3:4], v[3:4]
	flat_load_b64 v[5:6], v[5:6]
	s_waitcnt vmcnt(0) lgkmcnt(0)
	v_mul_f32_e32 v7, v6, v4
	v_mul_f32_e32 v4, v5, v4
	s_delay_alu instid0(VALU_DEP_2) | instskip(NEXT) | instid1(VALU_DEP_1)
	v_fma_f32 v5, v5, v3, -v7
	v_dual_fmac_f32 v4, v6, v3 :: v_dual_add_f32 v1, v1, v5
	s_delay_alu instid0(VALU_DEP_1)
	v_add_f32_e32 v2, v2, v4
.LBB319_21:
	s_or_b32 exec_lo, exec_lo, s1
	v_lshlrev_b32_e32 v3, 3, v0
	s_mov_b32 s0, exec_lo
	ds_store_b64 v3, v[1:2]
	s_waitcnt lgkmcnt(0)
	s_waitcnt_vscnt null, 0x0
	s_barrier
	buffer_gl0_inv
	v_cmpx_gt_u32_e32 0x80, v0
	s_cbranch_execz .LBB319_23
; %bb.22:
	ds_load_2addr_stride64_b64 v[4:7], v3 offset1:2
	s_waitcnt lgkmcnt(0)
	v_dual_add_f32 v1, v6, v4 :: v_dual_add_f32 v2, v7, v5
	ds_store_b64 v3, v[1:2]
.LBB319_23:
	s_or_b32 exec_lo, exec_lo, s0
	s_delay_alu instid0(SALU_CYCLE_1)
	s_mov_b32 s0, exec_lo
	s_waitcnt lgkmcnt(0)
	s_barrier
	buffer_gl0_inv
	v_cmpx_gt_u32_e32 64, v0
	s_cbranch_execz .LBB319_25
; %bb.24:
	ds_load_2addr_stride64_b64 v[4:7], v3 offset1:1
	s_waitcnt lgkmcnt(0)
	v_dual_add_f32 v1, v6, v4 :: v_dual_add_f32 v2, v7, v5
	ds_store_b64 v3, v[1:2]
.LBB319_25:
	s_or_b32 exec_lo, exec_lo, s0
	s_delay_alu instid0(SALU_CYCLE_1)
	s_mov_b32 s0, exec_lo
	s_waitcnt lgkmcnt(0)
	s_barrier
	buffer_gl0_inv
	v_cmpx_gt_u32_e32 32, v0
	s_cbranch_execz .LBB319_27
; %bb.26:
	ds_load_2addr_b64 v[4:7], v3 offset1:32
	s_waitcnt lgkmcnt(0)
	v_dual_add_f32 v1, v6, v4 :: v_dual_add_f32 v2, v7, v5
	ds_store_b64 v3, v[1:2]
.LBB319_27:
	s_or_b32 exec_lo, exec_lo, s0
	s_delay_alu instid0(SALU_CYCLE_1)
	s_mov_b32 s0, exec_lo
	s_waitcnt lgkmcnt(0)
	s_barrier
	buffer_gl0_inv
	v_cmpx_gt_u32_e32 16, v0
	s_cbranch_execz .LBB319_29
; %bb.28:
	ds_load_2addr_b64 v[4:7], v3 offset1:16
	s_waitcnt lgkmcnt(0)
	v_dual_add_f32 v1, v6, v4 :: v_dual_add_f32 v2, v7, v5
	ds_store_b64 v3, v[1:2]
.LBB319_29:
	;; [unrolled: 14-line block ×5, first 2 shown]
	s_or_b32 exec_lo, exec_lo, s0
	v_cmp_eq_u32_e32 vcc_lo, 0, v0
	s_waitcnt lgkmcnt(0)
	s_barrier
	buffer_gl0_inv
	s_and_saveexec_b32 s0, vcc_lo
	s_cbranch_execz .LBB319_37
; %bb.36:
	v_mov_b32_e32 v4, 0
	ds_load_b128 v[0:3], v4
	s_waitcnt lgkmcnt(0)
	v_dual_add_f32 v1, v3, v1 :: v_dual_add_f32 v0, v2, v0
	ds_store_b64 v4, v[0:1]
.LBB319_37:
	s_or_b32 exec_lo, exec_lo, s0
	s_waitcnt lgkmcnt(0)
	s_barrier
	buffer_gl0_inv
	s_and_saveexec_b32 s0, vcc_lo
	s_cbranch_execz .LBB319_41
; %bb.38:
	v_mov_b32_e32 v2, 0
	v_cmp_neq_f32_e64 s0, s4, 0
	v_cmp_neq_f32_e64 s1, s5, 0
	ds_load_b64 v[3:4], v2
	s_or_b32 s0, s0, s1
	s_mul_hi_i32 s1, s15, s14
	s_and_not1_b32 vcc_lo, exec_lo, s0
	s_mul_i32 s0, s15, s14
	s_waitcnt lgkmcnt(0)
	v_mul_f32_e32 v1, s6, v4
	s_delay_alu instid0(VALU_DEP_1) | instskip(NEXT) | instid1(VALU_DEP_1)
	v_dual_mul_f32 v0, s7, v4 :: v_dual_fmac_f32 v1, s7, v3
	v_fma_f32 v0, v3, s6, -v0
	s_cbranch_vccnz .LBB319_40
; %bb.39:
	s_lshl_b64 s[2:3], s[0:1], 3
	s_delay_alu instid0(SALU_CYCLE_1)
	s_add_u32 s2, s12, s2
	s_addc_u32 s3, s13, s3
	global_load_b64 v[3:4], v2, s[2:3]
	s_waitcnt vmcnt(0)
	v_mul_f32_e32 v5, s5, v4
	v_mul_f32_e32 v4, s4, v4
	s_delay_alu instid0(VALU_DEP_1) | instskip(NEXT) | instid1(VALU_DEP_3)
	v_fmac_f32_e32 v4, s5, v3
	v_fma_f32 v5, s4, v3, -v5
	s_delay_alu instid0(VALU_DEP_1)
	v_dual_add_f32 v1, v1, v4 :: v_dual_add_f32 v0, v0, v5
.LBB319_40:
	s_lshl_b64 s[0:1], s[0:1], 3
	s_delay_alu instid0(SALU_CYCLE_1)
	s_add_u32 s0, s12, s0
	s_addc_u32 s1, s13, s1
	global_store_b64 v2, v[0:1], s[0:1]
.LBB319_41:
	s_nop 0
	s_sendmsg sendmsg(MSG_DEALLOC_VGPRS)
	s_endpgm
	.section	.rodata,"a",@progbits
	.p2align	6, 0x0
	.amdhsa_kernel _ZL20rocblas_gemvt_kernelILb0ELi256EPK19rocblas_complex_numIfES1_KPS1_EviiT2_lPKT1_lilS9_lilS6_lPT3_lili
		.amdhsa_group_segment_fixed_size 2048
		.amdhsa_private_segment_fixed_size 0
		.amdhsa_kernarg_size 140
		.amdhsa_user_sgpr_count 14
		.amdhsa_user_sgpr_dispatch_ptr 0
		.amdhsa_user_sgpr_queue_ptr 0
		.amdhsa_user_sgpr_kernarg_segment_ptr 1
		.amdhsa_user_sgpr_dispatch_id 0
		.amdhsa_user_sgpr_private_segment_size 0
		.amdhsa_wavefront_size32 1
		.amdhsa_uses_dynamic_stack 0
		.amdhsa_enable_private_segment 0
		.amdhsa_system_sgpr_workgroup_id_x 1
		.amdhsa_system_sgpr_workgroup_id_y 0
		.amdhsa_system_sgpr_workgroup_id_z 1
		.amdhsa_system_sgpr_workgroup_info 0
		.amdhsa_system_vgpr_workitem_id 0
		.amdhsa_next_free_vgpr 14
		.amdhsa_next_free_sgpr 24
		.amdhsa_reserve_vcc 1
		.amdhsa_float_round_mode_32 0
		.amdhsa_float_round_mode_16_64 0
		.amdhsa_float_denorm_mode_32 3
		.amdhsa_float_denorm_mode_16_64 3
		.amdhsa_dx10_clamp 1
		.amdhsa_ieee_mode 1
		.amdhsa_fp16_overflow 0
		.amdhsa_workgroup_processor_mode 1
		.amdhsa_memory_ordered 1
		.amdhsa_forward_progress 0
		.amdhsa_shared_vgpr_count 0
		.amdhsa_exception_fp_ieee_invalid_op 0
		.amdhsa_exception_fp_denorm_src 0
		.amdhsa_exception_fp_ieee_div_zero 0
		.amdhsa_exception_fp_ieee_overflow 0
		.amdhsa_exception_fp_ieee_underflow 0
		.amdhsa_exception_fp_ieee_inexact 0
		.amdhsa_exception_int_div_zero 0
	.end_amdhsa_kernel
	.section	.text._ZL20rocblas_gemvt_kernelILb0ELi256EPK19rocblas_complex_numIfES1_KPS1_EviiT2_lPKT1_lilS9_lilS6_lPT3_lili,"axG",@progbits,_ZL20rocblas_gemvt_kernelILb0ELi256EPK19rocblas_complex_numIfES1_KPS1_EviiT2_lPKT1_lilS9_lilS6_lPT3_lili,comdat
.Lfunc_end319:
	.size	_ZL20rocblas_gemvt_kernelILb0ELi256EPK19rocblas_complex_numIfES1_KPS1_EviiT2_lPKT1_lilS9_lilS6_lPT3_lili, .Lfunc_end319-_ZL20rocblas_gemvt_kernelILb0ELi256EPK19rocblas_complex_numIfES1_KPS1_EviiT2_lPKT1_lilS9_lilS6_lPT3_lili
                                        ; -- End function
	.section	.AMDGPU.csdata,"",@progbits
; Kernel info:
; codeLenInByte = 1680
; NumSgprs: 26
; NumVgprs: 14
; ScratchSize: 0
; MemoryBound: 0
; FloatMode: 240
; IeeeMode: 1
; LDSByteSize: 2048 bytes/workgroup (compile time only)
; SGPRBlocks: 3
; VGPRBlocks: 1
; NumSGPRsForWavesPerEU: 26
; NumVGPRsForWavesPerEU: 14
; Occupancy: 16
; WaveLimiterHint : 1
; COMPUTE_PGM_RSRC2:SCRATCH_EN: 0
; COMPUTE_PGM_RSRC2:USER_SGPR: 14
; COMPUTE_PGM_RSRC2:TRAP_HANDLER: 0
; COMPUTE_PGM_RSRC2:TGID_X_EN: 1
; COMPUTE_PGM_RSRC2:TGID_Y_EN: 0
; COMPUTE_PGM_RSRC2:TGID_Z_EN: 1
; COMPUTE_PGM_RSRC2:TIDIG_COMP_CNT: 0
	.section	.text._ZL32rocblas_gemvt_warp_reduce_kernelILb0ELi1024EiPK19rocblas_complex_numIfES3_KPS1_EviiT3_lPKT2_lT1_lS9_lSA_lS6_lPT4_lSA_li,"axG",@progbits,_ZL32rocblas_gemvt_warp_reduce_kernelILb0ELi1024EiPK19rocblas_complex_numIfES3_KPS1_EviiT3_lPKT2_lT1_lS9_lSA_lS6_lPT4_lSA_li,comdat
	.globl	_ZL32rocblas_gemvt_warp_reduce_kernelILb0ELi1024EiPK19rocblas_complex_numIfES3_KPS1_EviiT3_lPKT2_lT1_lS9_lSA_lS6_lPT4_lSA_li ; -- Begin function _ZL32rocblas_gemvt_warp_reduce_kernelILb0ELi1024EiPK19rocblas_complex_numIfES3_KPS1_EviiT3_lPKT2_lT1_lS9_lSA_lS6_lPT4_lSA_li
	.p2align	8
	.type	_ZL32rocblas_gemvt_warp_reduce_kernelILb0ELi1024EiPK19rocblas_complex_numIfES3_KPS1_EviiT3_lPKT2_lT1_lS9_lSA_lS6_lPT4_lSA_li,@function
_ZL32rocblas_gemvt_warp_reduce_kernelILb0ELi1024EiPK19rocblas_complex_numIfES3_KPS1_EviiT3_lPKT2_lT1_lS9_lSA_lS6_lPT4_lSA_li: ; @_ZL32rocblas_gemvt_warp_reduce_kernelILb0ELi1024EiPK19rocblas_complex_numIfES3_KPS1_EviiT3_lPKT2_lT1_lS9_lSA_lS6_lPT4_lSA_li
; %bb.0:
	s_clause 0x1
	s_load_b256 s[16:23], s[0:1], 0x8
	s_load_b256 s[4:11], s[0:1], 0x58
	s_mov_b32 s2, s15
	s_waitcnt lgkmcnt(0)
	s_mul_i32 s3, s15, s19
	s_mul_hi_u32 s13, s15, s18
	s_mul_i32 s12, s15, s18
	s_add_i32 s13, s13, s3
	s_mul_i32 s3, s15, s7
	s_lshl_b64 s[12:13], s[12:13], 3
	s_mul_hi_u32 s7, s15, s6
	s_add_u32 s12, s16, s12
	s_addc_u32 s13, s17, s13
	s_mul_i32 s6, s15, s6
	s_load_b64 s[12:13], s[12:13], 0x0
	s_add_i32 s7, s7, s3
	s_delay_alu instid0(SALU_CYCLE_1) | instskip(NEXT) | instid1(SALU_CYCLE_1)
	s_lshl_b64 s[6:7], s[6:7], 3
	s_add_u32 s4, s4, s6
	s_addc_u32 s5, s5, s7
	s_load_b64 s[4:5], s[4:5], 0x0
	s_waitcnt lgkmcnt(0)
	v_cmp_neq_f32_e64 s3, s12, 0
	v_cmp_neq_f32_e64 s6, s13, 0
	s_delay_alu instid0(VALU_DEP_1)
	s_or_b32 s6, s3, s6
	s_mov_b32 s3, 0
	s_and_b32 vcc_lo, exec_lo, s6
	s_mov_b32 s6, -1
	s_cbranch_vccnz .LBB320_2
; %bb.1:
	v_cmp_neq_f32_e64 s6, s4, 1.0
	v_cmp_neq_f32_e64 s7, s5, 0
	s_delay_alu instid0(VALU_DEP_1)
	s_or_b32 s6, s6, s7
.LBB320_2:
	s_delay_alu instid0(SALU_CYCLE_1)
	s_and_not1_b32 vcc_lo, exec_lo, s6
	s_cbranch_vccnz .LBB320_32
; %bb.3:
	s_or_b32 s6, s12, s13
	s_mov_b64 s[16:17], 0
	s_bitset0_b32 s6, 31
	s_delay_alu instid0(SALU_CYCLE_1) | instskip(SKIP_4) | instid1(SALU_CYCLE_1)
	s_cmp_lg_u32 s6, 0
	s_cselect_b32 s15, -1, 0
	s_cmp_eq_u32 s6, 0
	s_mov_b64 s[6:7], 0
	s_cselect_b32 s18, -1, 0
	s_and_b32 vcc_lo, exec_lo, s18
	s_cbranch_vccnz .LBB320_5
; %bb.4:
	s_lshl_b64 s[16:17], s[2:3], 3
	s_delay_alu instid0(SALU_CYCLE_1)
	s_add_u32 s16, s20, s16
	s_addc_u32 s17, s21, s17
	s_lshl_b64 s[20:21], s[22:23], 3
	s_load_b64 s[16:17], s[16:17], 0x0
	s_waitcnt lgkmcnt(0)
	s_add_u32 s16, s16, s20
	s_addc_u32 s17, s17, s21
.LBB320_5:
	s_and_not1_b32 vcc_lo, exec_lo, s15
	s_cbranch_vccnz .LBB320_7
; %bb.6:
	s_load_b128 s[20:23], s[0:1], 0x38
	s_lshl_b64 s[6:7], s[2:3], 3
	s_waitcnt lgkmcnt(0)
	s_add_u32 s6, s20, s6
	s_addc_u32 s7, s21, s7
	s_lshl_b64 s[20:21], s[22:23], 3
	s_load_b64 s[6:7], s[6:7], 0x0
	s_waitcnt lgkmcnt(0)
	s_add_u32 s6, s6, s20
	s_addc_u32 s7, s7, s21
.LBB320_7:
	s_lshl_b64 s[2:3], s[2:3], 3
	s_delay_alu instid0(SALU_CYCLE_1)
	s_add_u32 s2, s8, s2
	s_addc_u32 s3, s9, s3
	s_lshl_b64 s[10:11], s[10:11], 3
	s_load_b64 s[8:9], s[2:3], 0x0
	s_load_b32 s15, s[0:1], 0x78
	v_cmp_eq_u32_e64 s2, 0, v0
	s_waitcnt lgkmcnt(0)
	s_add_u32 s8, s8, s10
	s_addc_u32 s9, s9, s11
	s_and_not1_b32 vcc_lo, exec_lo, s18
	s_mov_b32 s10, -1
	s_cbranch_vccnz .LBB320_13
; %bb.8:
	s_mov_b32 s10, 0
	s_and_saveexec_b32 s11, s2
	s_cbranch_execz .LBB320_12
; %bb.9:
	v_cmp_neq_f32_e64 s2, s4, 0
	v_cmp_neq_f32_e64 s3, s5, 0
	v_dual_mov_b32 v3, 0 :: v_dual_mov_b32 v2, 0
	v_mov_b32_e32 v1, 0
	s_delay_alu instid0(VALU_DEP_3)
	s_or_b32 s3, s2, s3
	s_mul_i32 s2, s14, s15
	s_and_not1_b32 vcc_lo, exec_lo, s3
	s_ashr_i32 s3, s2, 31
	s_cbranch_vccnz .LBB320_11
; %bb.10:
	s_lshl_b64 s[18:19], s[2:3], 3
	s_delay_alu instid0(SALU_CYCLE_1)
	s_add_u32 s18, s8, s18
	s_addc_u32 s19, s9, s19
	s_load_b64 s[18:19], s[18:19], 0x0
	s_waitcnt lgkmcnt(0)
	v_mul_f32_e64 v1, s5, s19
	v_mul_f32_e64 v2, s4, s19
	s_delay_alu instid0(VALU_DEP_2) | instskip(NEXT) | instid1(VALU_DEP_2)
	v_fma_f32 v1, s4, s18, -v1
	v_fmac_f32_e64 v2, s5, s18
.LBB320_11:
	s_lshl_b64 s[2:3], s[2:3], 3
	s_delay_alu instid0(SALU_CYCLE_1)
	s_add_u32 s2, s8, s2
	s_addc_u32 s3, s9, s3
	global_store_b64 v3, v[1:2], s[2:3]
.LBB320_12:
	s_or_b32 exec_lo, exec_lo, s11
.LBB320_13:
	s_delay_alu instid0(SALU_CYCLE_1)
	s_and_not1_b32 vcc_lo, exec_lo, s10
	s_cbranch_vccnz .LBB320_32
; %bb.14:
	s_clause 0x2
	s_load_b32 s3, s[0:1], 0x28
	s_load_b32 s2, s[0:1], 0x0
	;; [unrolled: 1-line block ×3, first 2 shown]
	v_dual_mov_b32 v7, 0 :: v_dual_mov_b32 v8, 0
	s_waitcnt lgkmcnt(0)
	s_mul_i32 s10, s14, s3
	v_cmp_gt_i32_e32 vcc_lo, s2, v0
	s_ashr_i32 s11, s10, 31
	s_delay_alu instid0(SALU_CYCLE_1) | instskip(SKIP_4) | instid1(SALU_CYCLE_1)
	s_lshl_b64 s[10:11], s[10:11], 3
	v_cndmask_b32_e32 v1, 0, v0, vcc_lo
	s_add_u32 s3, s10, s16
	s_addc_u32 s10, s11, s17
	s_ashr_i32 s0, s2, 31
	s_lshr_b32 s0, s0, 22
	v_lshlrev_b32_e32 v1, 3, v1
	s_add_i32 s0, s2, s0
	s_delay_alu instid0(SALU_CYCLE_1) | instskip(NEXT) | instid1(VALU_DEP_1)
	s_and_b32 s0, s0, 0xfffffc00
	v_add_co_u32 v1, s3, s3, v1
	s_delay_alu instid0(VALU_DEP_1)
	v_add_co_ci_u32_e64 v2, null, s10, 0, s3
	s_mov_b32 s3, exec_lo
	v_cmpx_gt_i32_e64 s0, v0
	s_cbranch_execz .LBB320_18
; %bb.15:
	v_mul_lo_u32 v3, v0, s1
	v_dual_mov_b32 v7, 0 :: v_dual_mov_b32 v6, v2
	v_dual_mov_b32 v5, v1 :: v_dual_mov_b32 v8, 0
	v_mov_b32_e32 v9, v0
	s_lshl_b32 s11, s1, 10
	s_mov_b32 s10, 0
	.p2align	6
.LBB320_16:                             ; =>This Inner Loop Header: Depth=1
	s_delay_alu instid0(VALU_DEP_4) | instskip(NEXT) | instid1(VALU_DEP_1)
	v_ashrrev_i32_e32 v4, 31, v3
	v_lshlrev_b64 v[10:11], 3, v[3:4]
	v_add_nc_u32_e32 v3, s11, v3
	s_delay_alu instid0(VALU_DEP_2) | instskip(NEXT) | instid1(VALU_DEP_3)
	v_add_co_u32 v10, vcc_lo, s6, v10
	v_add_co_ci_u32_e32 v11, vcc_lo, s7, v11, vcc_lo
	flat_load_b64 v[12:13], v[5:6]
	flat_load_b64 v[10:11], v[10:11]
	v_add_co_u32 v5, vcc_lo, 0x2000, v5
	v_add_co_ci_u32_e32 v6, vcc_lo, 0, v6, vcc_lo
	s_waitcnt vmcnt(0) lgkmcnt(0)
	v_mul_f32_e32 v4, v11, v13
	v_mul_f32_e32 v13, v10, v13
	s_delay_alu instid0(VALU_DEP_2) | instskip(SKIP_1) | instid1(VALU_DEP_3)
	v_fma_f32 v4, v10, v12, -v4
	v_add_nc_u32_e32 v9, 0x400, v9
	v_fmac_f32_e32 v13, v11, v12
	s_delay_alu instid0(VALU_DEP_3) | instskip(NEXT) | instid1(VALU_DEP_3)
	v_add_f32_e32 v8, v8, v4
	v_cmp_le_i32_e32 vcc_lo, s0, v9
	s_delay_alu instid0(VALU_DEP_3) | instskip(SKIP_1) | instid1(SALU_CYCLE_1)
	v_add_f32_e32 v7, v7, v13
	s_or_b32 s10, vcc_lo, s10
	s_and_not1_b32 exec_lo, exec_lo, s10
	s_cbranch_execnz .LBB320_16
; %bb.17:
	s_or_b32 exec_lo, exec_lo, s10
.LBB320_18:
	s_delay_alu instid0(SALU_CYCLE_1) | instskip(SKIP_1) | instid1(VALU_DEP_1)
	s_or_b32 exec_lo, exec_lo, s3
	v_or_b32_e32 v3, s0, v0
	v_cmp_gt_i32_e32 vcc_lo, s2, v3
	s_and_saveexec_b32 s2, vcc_lo
	s_cbranch_execz .LBB320_20
; %bb.19:
	v_mul_lo_u32 v3, v3, s1
	s_ashr_i32 s1, s0, 31
	s_delay_alu instid0(SALU_CYCLE_1) | instskip(NEXT) | instid1(SALU_CYCLE_1)
	s_lshl_b64 s[0:1], s[0:1], 3
	v_add_co_u32 v1, vcc_lo, v1, s0
	v_add_co_ci_u32_e32 v2, vcc_lo, s1, v2, vcc_lo
	s_delay_alu instid0(VALU_DEP_3) | instskip(NEXT) | instid1(VALU_DEP_1)
	v_ashrrev_i32_e32 v4, 31, v3
	v_lshlrev_b64 v[3:4], 3, v[3:4]
	s_delay_alu instid0(VALU_DEP_1) | instskip(NEXT) | instid1(VALU_DEP_2)
	v_add_co_u32 v3, vcc_lo, s6, v3
	v_add_co_ci_u32_e32 v4, vcc_lo, s7, v4, vcc_lo
	flat_load_b64 v[1:2], v[1:2]
	flat_load_b64 v[3:4], v[3:4]
	s_waitcnt vmcnt(0) lgkmcnt(0)
	v_mul_f32_e32 v5, v4, v2
	v_mul_f32_e32 v2, v3, v2
	s_delay_alu instid0(VALU_DEP_2) | instskip(NEXT) | instid1(VALU_DEP_2)
	v_fma_f32 v3, v3, v1, -v5
	v_fmac_f32_e32 v2, v4, v1
	s_delay_alu instid0(VALU_DEP_1)
	v_dual_add_f32 v8, v8, v3 :: v_dual_add_f32 v7, v7, v2
.LBB320_20:
	s_or_b32 exec_lo, exec_lo, s2
	v_and_b32_e32 v1, 31, v0
	v_cmp_gt_u32_e32 vcc_lo, 32, v0
	s_delay_alu instid0(VALU_DEP_2)
	v_lshlrev_b32_e32 v3, 3, v1
	s_and_saveexec_b32 s0, vcc_lo
	s_cbranch_execz .LBB320_22
; %bb.21:
	v_mov_b32_e32 v4, 0
	s_delay_alu instid0(VALU_DEP_1)
	v_mov_b32_e32 v5, v4
	ds_store_b64 v3, v[4:5]
.LBB320_22:
	s_or_b32 exec_lo, exec_lo, s0
	v_mbcnt_lo_u32_b32 v2, -1, 0
	s_mov_b32 s1, exec_lo
	s_waitcnt lgkmcnt(0)
	s_waitcnt_vscnt null, 0x0
	s_barrier
	buffer_gl0_inv
	v_cmp_gt_u32_e64 s0, 16, v2
	s_delay_alu instid0(VALU_DEP_1) | instskip(SKIP_1) | instid1(VALU_DEP_2)
	v_cndmask_b32_e64 v4, 0, 1, s0
	v_cmp_gt_u32_e64 s0, 24, v2
	v_lshlrev_b32_e32 v4, 4, v4
	s_delay_alu instid0(VALU_DEP_2) | instskip(SKIP_1) | instid1(VALU_DEP_3)
	v_cndmask_b32_e64 v5, 0, 1, s0
	v_cmp_gt_u32_e64 s0, 28, v2
	v_add_lshl_u32 v4, v4, v2, 2
	ds_bpermute_b32 v6, v4, v8
	ds_bpermute_b32 v9, v4, v7
	s_waitcnt lgkmcnt(1)
	v_dual_add_f32 v8, v8, v6 :: v_dual_lshlrev_b32 v5, 3, v5
	s_delay_alu instid0(VALU_DEP_1)
	v_add_lshl_u32 v5, v5, v2, 2
	s_waitcnt lgkmcnt(0)
	v_add_f32_e32 v7, v7, v9
	v_cndmask_b32_e64 v6, 0, 1, s0
	v_cmp_gt_u32_e64 s0, 30, v2
	ds_bpermute_b32 v9, v5, v8
	ds_bpermute_b32 v10, v5, v7
	s_waitcnt lgkmcnt(0)
	v_dual_add_f32 v8, v8, v9 :: v_dual_add_f32 v9, v7, v10
	v_lshlrev_b32_e32 v6, 2, v6
	v_cndmask_b32_e64 v7, 0, 1, s0
	v_cmp_ne_u32_e64 s0, 31, v2
	s_delay_alu instid0(VALU_DEP_3) | instskip(SKIP_4) | instid1(VALU_DEP_1)
	v_add_lshl_u32 v6, v6, v2, 2
	ds_bpermute_b32 v10, v6, v8
	ds_bpermute_b32 v11, v6, v9
	s_waitcnt lgkmcnt(1)
	v_dual_add_f32 v10, v8, v10 :: v_dual_lshlrev_b32 v7, 1, v7
	v_add_lshl_u32 v7, v7, v2, 2
	s_waitcnt lgkmcnt(0)
	v_add_f32_e32 v9, v9, v11
	v_add_co_ci_u32_e64 v2, s0, 0, v2, s0
	ds_bpermute_b32 v11, v7, v10
	ds_bpermute_b32 v12, v7, v9
	v_lshlrev_b32_e32 v8, 2, v2
	s_waitcnt lgkmcnt(1)
	v_add_f32_e32 v2, v10, v11
	s_waitcnt lgkmcnt(0)
	v_add_f32_e32 v10, v9, v12
	ds_bpermute_b32 v9, v8, v2
	ds_bpermute_b32 v11, v8, v10
	v_cmpx_eq_u32_e32 0, v1
	s_cbranch_execz .LBB320_24
; %bb.23:
	v_lshrrev_b32_e32 v1, 2, v0
	s_waitcnt lgkmcnt(0)
	v_add_f32_e32 v10, v10, v11
	v_add_f32_e32 v9, v2, v9
	s_delay_alu instid0(VALU_DEP_3)
	v_and_b32_e32 v1, 0xf8, v1
	ds_store_b64 v1, v[9:10]
.LBB320_24:
	s_or_b32 exec_lo, exec_lo, s1
	v_dual_mov_b32 v2, 0 :: v_dual_mov_b32 v1, 0
	s_waitcnt lgkmcnt(0)
	s_barrier
	buffer_gl0_inv
	s_and_saveexec_b32 s0, vcc_lo
	s_cbranch_execz .LBB320_26
; %bb.25:
	ds_load_b64 v[1:2], v3
.LBB320_26:
	s_or_b32 exec_lo, exec_lo, s0
	s_and_saveexec_b32 s0, vcc_lo
	s_cbranch_execz .LBB320_28
; %bb.27:
	s_waitcnt lgkmcnt(0)
	ds_bpermute_b32 v3, v4, v1
	ds_bpermute_b32 v4, v4, v2
	s_waitcnt lgkmcnt(0)
	v_dual_add_f32 v1, v1, v3 :: v_dual_add_f32 v2, v2, v4
	ds_bpermute_b32 v3, v5, v1
	ds_bpermute_b32 v4, v5, v2
	s_waitcnt lgkmcnt(0)
	v_dual_add_f32 v1, v1, v3 :: v_dual_add_f32 v2, v2, v4
	;; [unrolled: 4-line block ×5, first 2 shown]
.LBB320_28:
	s_or_b32 exec_lo, exec_lo, s0
	s_delay_alu instid0(SALU_CYCLE_1)
	s_mov_b32 s0, exec_lo
	v_cmpx_eq_u32_e32 0, v0
	s_cbranch_execz .LBB320_32
; %bb.29:
	s_waitcnt lgkmcnt(0)
	v_mul_f32_e32 v3, s12, v2
	v_mul_f32_e32 v0, s13, v2
	v_cmp_neq_f32_e64 s0, s4, 0
	v_cmp_neq_f32_e64 s1, s5, 0
	s_delay_alu instid0(VALU_DEP_4) | instskip(NEXT) | instid1(VALU_DEP_4)
	v_fmac_f32_e32 v3, s13, v1
	v_fma_f32 v2, v1, s12, -v0
	s_delay_alu instid0(VALU_DEP_3)
	s_or_b32 s1, s0, s1
	s_mul_i32 s0, s14, s15
	s_and_not1_b32 vcc_lo, exec_lo, s1
	s_ashr_i32 s1, s0, 31
	s_cbranch_vccnz .LBB320_31
; %bb.30:
	s_lshl_b64 s[2:3], s[0:1], 3
	v_mov_b32_e32 v0, 0
	s_add_u32 s2, s8, s2
	s_addc_u32 s3, s9, s3
	global_load_b64 v[0:1], v0, s[2:3]
	s_waitcnt vmcnt(0)
	v_mul_f32_e32 v4, s5, v1
	v_mul_f32_e32 v1, s4, v1
	s_delay_alu instid0(VALU_DEP_1) | instskip(NEXT) | instid1(VALU_DEP_3)
	v_fmac_f32_e32 v1, s5, v0
	v_fma_f32 v4, s4, v0, -v4
	s_delay_alu instid0(VALU_DEP_1)
	v_dual_add_f32 v3, v3, v1 :: v_dual_add_f32 v2, v2, v4
.LBB320_31:
	s_lshl_b64 s[0:1], s[0:1], 3
	v_mov_b32_e32 v0, 0
	s_add_u32 s0, s8, s0
	s_addc_u32 s1, s9, s1
	global_store_b64 v0, v[2:3], s[0:1]
.LBB320_32:
	s_nop 0
	s_sendmsg sendmsg(MSG_DEALLOC_VGPRS)
	s_endpgm
	.section	.rodata,"a",@progbits
	.p2align	6, 0x0
	.amdhsa_kernel _ZL32rocblas_gemvt_warp_reduce_kernelILb0ELi1024EiPK19rocblas_complex_numIfES3_KPS1_EviiT3_lPKT2_lT1_lS9_lSA_lS6_lPT4_lSA_li
		.amdhsa_group_segment_fixed_size 256
		.amdhsa_private_segment_fixed_size 0
		.amdhsa_kernarg_size 140
		.amdhsa_user_sgpr_count 14
		.amdhsa_user_sgpr_dispatch_ptr 0
		.amdhsa_user_sgpr_queue_ptr 0
		.amdhsa_user_sgpr_kernarg_segment_ptr 1
		.amdhsa_user_sgpr_dispatch_id 0
		.amdhsa_user_sgpr_private_segment_size 0
		.amdhsa_wavefront_size32 1
		.amdhsa_uses_dynamic_stack 0
		.amdhsa_enable_private_segment 0
		.amdhsa_system_sgpr_workgroup_id_x 1
		.amdhsa_system_sgpr_workgroup_id_y 0
		.amdhsa_system_sgpr_workgroup_id_z 1
		.amdhsa_system_sgpr_workgroup_info 0
		.amdhsa_system_vgpr_workitem_id 0
		.amdhsa_next_free_vgpr 14
		.amdhsa_next_free_sgpr 24
		.amdhsa_reserve_vcc 1
		.amdhsa_float_round_mode_32 0
		.amdhsa_float_round_mode_16_64 0
		.amdhsa_float_denorm_mode_32 3
		.amdhsa_float_denorm_mode_16_64 3
		.amdhsa_dx10_clamp 1
		.amdhsa_ieee_mode 1
		.amdhsa_fp16_overflow 0
		.amdhsa_workgroup_processor_mode 1
		.amdhsa_memory_ordered 1
		.amdhsa_forward_progress 0
		.amdhsa_shared_vgpr_count 0
		.amdhsa_exception_fp_ieee_invalid_op 0
		.amdhsa_exception_fp_denorm_src 0
		.amdhsa_exception_fp_ieee_div_zero 0
		.amdhsa_exception_fp_ieee_overflow 0
		.amdhsa_exception_fp_ieee_underflow 0
		.amdhsa_exception_fp_ieee_inexact 0
		.amdhsa_exception_int_div_zero 0
	.end_amdhsa_kernel
	.section	.text._ZL32rocblas_gemvt_warp_reduce_kernelILb0ELi1024EiPK19rocblas_complex_numIfES3_KPS1_EviiT3_lPKT2_lT1_lS9_lSA_lS6_lPT4_lSA_li,"axG",@progbits,_ZL32rocblas_gemvt_warp_reduce_kernelILb0ELi1024EiPK19rocblas_complex_numIfES3_KPS1_EviiT3_lPKT2_lT1_lS9_lSA_lS6_lPT4_lSA_li,comdat
.Lfunc_end320:
	.size	_ZL32rocblas_gemvt_warp_reduce_kernelILb0ELi1024EiPK19rocblas_complex_numIfES3_KPS1_EviiT3_lPKT2_lT1_lS9_lSA_lS6_lPT4_lSA_li, .Lfunc_end320-_ZL32rocblas_gemvt_warp_reduce_kernelILb0ELi1024EiPK19rocblas_complex_numIfES3_KPS1_EviiT3_lPKT2_lT1_lS9_lSA_lS6_lPT4_lSA_li
                                        ; -- End function
	.section	.AMDGPU.csdata,"",@progbits
; Kernel info:
; codeLenInByte = 1820
; NumSgprs: 26
; NumVgprs: 14
; ScratchSize: 0
; MemoryBound: 0
; FloatMode: 240
; IeeeMode: 1
; LDSByteSize: 256 bytes/workgroup (compile time only)
; SGPRBlocks: 3
; VGPRBlocks: 1
; NumSGPRsForWavesPerEU: 26
; NumVGPRsForWavesPerEU: 14
; Occupancy: 16
; WaveLimiterHint : 1
; COMPUTE_PGM_RSRC2:SCRATCH_EN: 0
; COMPUTE_PGM_RSRC2:USER_SGPR: 14
; COMPUTE_PGM_RSRC2:TRAP_HANDLER: 0
; COMPUTE_PGM_RSRC2:TGID_X_EN: 1
; COMPUTE_PGM_RSRC2:TGID_Y_EN: 0
; COMPUTE_PGM_RSRC2:TGID_Z_EN: 1
; COMPUTE_PGM_RSRC2:TIDIG_COMP_CNT: 0
	.section	.text._ZL32rocblas_gemvt_warp_reduce_kernelILb0ELi1024ElPK19rocblas_complex_numIfES3_KPS1_EviiT3_lPKT2_lT1_lS9_lSA_lS6_lPT4_lSA_li,"axG",@progbits,_ZL32rocblas_gemvt_warp_reduce_kernelILb0ELi1024ElPK19rocblas_complex_numIfES3_KPS1_EviiT3_lPKT2_lT1_lS9_lSA_lS6_lPT4_lSA_li,comdat
	.globl	_ZL32rocblas_gemvt_warp_reduce_kernelILb0ELi1024ElPK19rocblas_complex_numIfES3_KPS1_EviiT3_lPKT2_lT1_lS9_lSA_lS6_lPT4_lSA_li ; -- Begin function _ZL32rocblas_gemvt_warp_reduce_kernelILb0ELi1024ElPK19rocblas_complex_numIfES3_KPS1_EviiT3_lPKT2_lT1_lS9_lSA_lS6_lPT4_lSA_li
	.p2align	8
	.type	_ZL32rocblas_gemvt_warp_reduce_kernelILb0ELi1024ElPK19rocblas_complex_numIfES3_KPS1_EviiT3_lPKT2_lT1_lS9_lSA_lS6_lPT4_lSA_li,@function
_ZL32rocblas_gemvt_warp_reduce_kernelILb0ELi1024ElPK19rocblas_complex_numIfES3_KPS1_EviiT3_lPKT2_lT1_lS9_lSA_lS6_lPT4_lSA_li: ; @_ZL32rocblas_gemvt_warp_reduce_kernelILb0ELi1024ElPK19rocblas_complex_numIfES3_KPS1_EviiT3_lPKT2_lT1_lS9_lSA_lS6_lPT4_lSA_li
; %bb.0:
	s_clause 0x1
	s_load_b256 s[16:23], s[0:1], 0x8
	s_load_b256 s[4:11], s[0:1], 0x58
	s_mov_b32 s2, s15
	s_waitcnt lgkmcnt(0)
	s_mul_i32 s3, s15, s19
	s_mul_hi_u32 s13, s15, s18
	s_mul_i32 s12, s15, s18
	s_add_i32 s13, s13, s3
	s_mul_i32 s3, s15, s7
	s_lshl_b64 s[12:13], s[12:13], 3
	s_mul_hi_u32 s7, s15, s6
	s_add_u32 s12, s16, s12
	s_addc_u32 s13, s17, s13
	s_mul_i32 s6, s15, s6
	s_load_b64 s[16:17], s[12:13], 0x0
	s_add_i32 s7, s7, s3
	s_delay_alu instid0(SALU_CYCLE_1) | instskip(NEXT) | instid1(SALU_CYCLE_1)
	s_lshl_b64 s[6:7], s[6:7], 3
	s_add_u32 s4, s4, s6
	s_addc_u32 s5, s5, s7
	s_load_b64 s[12:13], s[4:5], 0x0
	s_waitcnt lgkmcnt(0)
	v_cmp_neq_f32_e64 s3, s16, 0
	v_cmp_neq_f32_e64 s4, s17, 0
	s_delay_alu instid0(VALU_DEP_1)
	s_or_b32 s4, s3, s4
	s_mov_b32 s3, 0
	s_and_b32 vcc_lo, exec_lo, s4
	s_mov_b32 s4, -1
	s_cbranch_vccnz .LBB321_2
; %bb.1:
	v_cmp_neq_f32_e64 s4, s12, 1.0
	v_cmp_neq_f32_e64 s5, s13, 0
	s_delay_alu instid0(VALU_DEP_1)
	s_or_b32 s4, s4, s5
.LBB321_2:
	s_delay_alu instid0(SALU_CYCLE_1)
	s_and_not1_b32 vcc_lo, exec_lo, s4
	s_cbranch_vccnz .LBB321_32
; %bb.3:
	s_clause 0x1
	s_load_b64 s[26:27], s[0:1], 0x28
	s_load_b64 s[18:19], s[0:1], 0x78
	s_or_b32 s4, s16, s17
	s_mov_b64 s[24:25], 0
	s_bitset0_b32 s4, 31
	s_mov_b64 s[28:29], 0
	s_cmp_lg_u32 s4, 0
	s_cselect_b32 s30, -1, 0
	s_cmp_eq_u32 s4, 0
	s_cselect_b32 s15, -1, 0
	s_delay_alu instid0(SALU_CYCLE_1)
	s_and_b32 vcc_lo, exec_lo, s15
	s_cbranch_vccnz .LBB321_5
; %bb.4:
	s_lshl_b64 s[4:5], s[2:3], 3
	s_delay_alu instid0(SALU_CYCLE_1)
	s_add_u32 s4, s20, s4
	s_addc_u32 s5, s21, s5
	s_lshl_b64 s[6:7], s[22:23], 3
	s_load_b64 s[4:5], s[4:5], 0x0
	s_waitcnt lgkmcnt(0)
	s_add_u32 s28, s4, s6
	s_addc_u32 s29, s5, s7
.LBB321_5:
	s_clause 0x1
	s_load_b128 s[4:7], s[0:1], 0x38
	s_load_b64 s[20:21], s[0:1], 0x48
	s_and_not1_b32 vcc_lo, exec_lo, s30
	s_cbranch_vccnz .LBB321_7
; %bb.6:
	s_lshl_b64 s[22:23], s[2:3], 3
	s_waitcnt lgkmcnt(0)
	s_add_u32 s4, s4, s22
	s_addc_u32 s5, s5, s23
	s_lshl_b64 s[6:7], s[6:7], 3
	s_load_b64 s[4:5], s[4:5], 0x0
	s_waitcnt lgkmcnt(0)
	s_add_u32 s24, s4, s6
	s_addc_u32 s25, s5, s7
.LBB321_7:
	s_lshl_b64 s[2:3], s[2:3], 3
	s_delay_alu instid0(SALU_CYCLE_1)
	s_add_u32 s2, s8, s2
	s_addc_u32 s3, s9, s3
	s_waitcnt lgkmcnt(0)
	s_lshl_b64 s[6:7], s[10:11], 3
	s_load_b64 s[4:5], s[2:3], 0x0
	v_cmp_eq_u32_e64 s2, 0, v0
	s_waitcnt lgkmcnt(0)
	s_add_u32 s6, s4, s6
	s_addc_u32 s7, s5, s7
	s_and_not1_b32 vcc_lo, exec_lo, s15
	s_mov_b32 s4, -1
	s_cbranch_vccnz .LBB321_13
; %bb.8:
	s_mov_b32 s4, 0
	s_and_saveexec_b32 s5, s2
	s_cbranch_execz .LBB321_12
; %bb.9:
	v_cmp_neq_f32_e64 s2, s12, 0
	v_cmp_neq_f32_e64 s3, s13, 0
	s_mul_i32 s8, s14, s19
	s_ashr_i32 s9, s14, 31
	v_dual_mov_b32 v3, 0 :: v_dual_mov_b32 v2, 0
	s_delay_alu instid0(VALU_DEP_2)
	s_or_b32 s2, s2, s3
	s_mul_hi_u32 s3, s14, s18
	v_mov_b32_e32 v1, 0
	s_add_i32 s3, s3, s8
	s_mul_i32 s9, s9, s18
	s_and_not1_b32 vcc_lo, exec_lo, s2
	s_add_i32 s3, s3, s9
	s_mul_i32 s2, s14, s18
	s_cbranch_vccnz .LBB321_11
; %bb.10:
	s_lshl_b64 s[8:9], s[2:3], 3
	s_delay_alu instid0(SALU_CYCLE_1)
	s_add_u32 s8, s6, s8
	s_addc_u32 s9, s7, s9
	s_load_b64 s[8:9], s[8:9], 0x0
	s_waitcnt lgkmcnt(0)
	v_mul_f32_e64 v1, s13, s9
	v_mul_f32_e64 v2, s12, s9
	s_delay_alu instid0(VALU_DEP_2) | instskip(NEXT) | instid1(VALU_DEP_2)
	v_fma_f32 v1, s12, s8, -v1
	v_fmac_f32_e64 v2, s13, s8
.LBB321_11:
	s_lshl_b64 s[2:3], s[2:3], 3
	s_delay_alu instid0(SALU_CYCLE_1)
	s_add_u32 s2, s6, s2
	s_addc_u32 s3, s7, s3
	global_store_b64 v3, v[1:2], s[2:3]
.LBB321_12:
	s_or_b32 exec_lo, exec_lo, s5
.LBB321_13:
	s_delay_alu instid0(SALU_CYCLE_1)
	s_and_not1_b32 vcc_lo, exec_lo, s4
	s_cbranch_vccnz .LBB321_32
; %bb.14:
	s_load_b32 s3, s[0:1], 0x0
	s_mul_i32 s0, s14, s27
	s_mul_hi_u32 s2, s14, s26
	s_ashr_i32 s1, s14, 31
	s_add_i32 s0, s2, s0
	s_mul_i32 s2, s1, s26
	s_mul_i32 s4, s14, s26
	s_add_i32 s5, s0, s2
	v_mov_b32_e32 v7, 0
	s_lshl_b64 s[4:5], s[4:5], 3
	s_mov_b32 s8, exec_lo
	s_add_u32 s0, s4, s28
	s_addc_u32 s4, s5, s29
	v_mov_b32_e32 v8, 0
	s_waitcnt lgkmcnt(0)
	v_cmp_gt_i32_e32 vcc_lo, s3, v0
	s_ashr_i32 s2, s3, 31
	s_delay_alu instid0(SALU_CYCLE_1) | instskip(SKIP_2) | instid1(SALU_CYCLE_1)
	s_lshr_b32 s2, s2, 22
	v_cndmask_b32_e32 v1, 0, v0, vcc_lo
	s_add_i32 s2, s3, s2
	s_and_b32 s2, s2, 0xfffffc00
	s_delay_alu instid0(VALU_DEP_1) | instskip(NEXT) | instid1(VALU_DEP_1)
	v_lshlrev_b32_e32 v1, 3, v1
	v_add_co_u32 v1, s0, s0, v1
	s_delay_alu instid0(VALU_DEP_1)
	v_add_co_ci_u32_e64 v2, null, s4, 0, s0
	v_cmpx_gt_i32_e64 s2, v0
	s_cbranch_execz .LBB321_18
; %bb.15:
	v_mad_u64_u32 v[3:4], null, s20, v0, 0
	v_dual_mov_b32 v9, v0 :: v_dual_mov_b32 v8, 0
	s_lshl_b64 s[4:5], s[20:21], 13
	s_mov_b32 s9, 0
	v_mov_b32_e32 v7, 0
	s_delay_alu instid0(VALU_DEP_3) | instskip(NEXT) | instid1(VALU_DEP_1)
	v_mad_u64_u32 v[5:6], null, s21, v0, v[4:5]
	v_mov_b32_e32 v4, v5
	s_delay_alu instid0(VALU_DEP_1) | instskip(SKIP_1) | instid1(VALU_DEP_2)
	v_lshlrev_b64 v[5:6], 3, v[3:4]
	v_dual_mov_b32 v4, v2 :: v_dual_mov_b32 v3, v1
	v_add_co_u32 v5, vcc_lo, s24, v5
	s_delay_alu instid0(VALU_DEP_3)
	v_add_co_ci_u32_e32 v6, vcc_lo, s25, v6, vcc_lo
	.p2align	6
.LBB321_16:                             ; =>This Inner Loop Header: Depth=1
	flat_load_b64 v[10:11], v[3:4]
	flat_load_b64 v[12:13], v[5:6]
	v_add_nc_u32_e32 v9, 0x400, v9
	v_add_co_u32 v3, vcc_lo, 0x2000, v3
	v_add_co_ci_u32_e32 v4, vcc_lo, 0, v4, vcc_lo
	v_add_co_u32 v5, vcc_lo, v5, s4
	v_add_co_ci_u32_e32 v6, vcc_lo, s5, v6, vcc_lo
	s_waitcnt vmcnt(0) lgkmcnt(0)
	v_mul_f32_e32 v14, v13, v11
	v_mul_f32_e32 v11, v12, v11
	v_cmp_le_i32_e64 s0, s2, v9
	s_delay_alu instid0(VALU_DEP_3) | instskip(NEXT) | instid1(VALU_DEP_3)
	v_fma_f32 v12, v12, v10, -v14
	v_fmac_f32_e32 v11, v13, v10
	s_delay_alu instid0(VALU_DEP_3) | instskip(NEXT) | instid1(VALU_DEP_1)
	s_or_b32 s9, s0, s9
	v_dual_add_f32 v8, v8, v12 :: v_dual_add_f32 v7, v7, v11
	s_and_not1_b32 exec_lo, exec_lo, s9
	s_cbranch_execnz .LBB321_16
; %bb.17:
	s_or_b32 exec_lo, exec_lo, s9
.LBB321_18:
	s_delay_alu instid0(SALU_CYCLE_1) | instskip(SKIP_2) | instid1(VALU_DEP_1)
	s_or_b32 exec_lo, exec_lo, s8
	v_or_b32_e32 v3, s2, v0
	s_mov_b32 s0, exec_lo
	v_cmpx_gt_i32_e64 s3, v3
	s_cbranch_execz .LBB321_20
; %bb.19:
	v_ashrrev_i32_e32 v6, 31, v3
	v_mul_lo_u32 v9, v3, s21
	v_mad_u64_u32 v[4:5], null, v3, s20, 0
	s_ashr_i32 s3, s2, 31
	s_delay_alu instid0(VALU_DEP_3) | instskip(SKIP_1) | instid1(SALU_CYCLE_1)
	v_mul_lo_u32 v3, v6, s20
	s_lshl_b64 s[2:3], s[2:3], 3
	v_add_co_u32 v1, vcc_lo, v1, s2
	v_add_co_ci_u32_e32 v2, vcc_lo, s3, v2, vcc_lo
	s_delay_alu instid0(VALU_DEP_3) | instskip(NEXT) | instid1(VALU_DEP_1)
	v_add3_u32 v5, v5, v9, v3
	v_lshlrev_b64 v[3:4], 3, v[4:5]
	s_delay_alu instid0(VALU_DEP_1) | instskip(NEXT) | instid1(VALU_DEP_2)
	v_add_co_u32 v3, vcc_lo, s24, v3
	v_add_co_ci_u32_e32 v4, vcc_lo, s25, v4, vcc_lo
	flat_load_b64 v[1:2], v[1:2]
	flat_load_b64 v[3:4], v[3:4]
	s_waitcnt vmcnt(0) lgkmcnt(0)
	v_mul_f32_e32 v5, v4, v2
	v_mul_f32_e32 v2, v3, v2
	s_delay_alu instid0(VALU_DEP_2) | instskip(NEXT) | instid1(VALU_DEP_2)
	v_fma_f32 v3, v3, v1, -v5
	v_fmac_f32_e32 v2, v4, v1
	s_delay_alu instid0(VALU_DEP_1)
	v_dual_add_f32 v8, v8, v3 :: v_dual_add_f32 v7, v7, v2
.LBB321_20:
	s_or_b32 exec_lo, exec_lo, s0
	v_and_b32_e32 v1, 31, v0
	v_cmp_gt_u32_e32 vcc_lo, 32, v0
	s_delay_alu instid0(VALU_DEP_2)
	v_lshlrev_b32_e32 v3, 3, v1
	s_and_saveexec_b32 s0, vcc_lo
	s_cbranch_execz .LBB321_22
; %bb.21:
	v_mov_b32_e32 v4, 0
	s_delay_alu instid0(VALU_DEP_1)
	v_mov_b32_e32 v5, v4
	ds_store_b64 v3, v[4:5]
.LBB321_22:
	s_or_b32 exec_lo, exec_lo, s0
	v_mbcnt_lo_u32_b32 v2, -1, 0
	s_mov_b32 s2, exec_lo
	s_waitcnt lgkmcnt(0)
	s_waitcnt_vscnt null, 0x0
	s_barrier
	buffer_gl0_inv
	v_cmp_gt_u32_e64 s0, 16, v2
	s_delay_alu instid0(VALU_DEP_1) | instskip(SKIP_1) | instid1(VALU_DEP_2)
	v_cndmask_b32_e64 v4, 0, 1, s0
	v_cmp_gt_u32_e64 s0, 24, v2
	v_lshlrev_b32_e32 v4, 4, v4
	s_delay_alu instid0(VALU_DEP_2) | instskip(SKIP_1) | instid1(VALU_DEP_3)
	v_cndmask_b32_e64 v5, 0, 1, s0
	v_cmp_gt_u32_e64 s0, 28, v2
	v_add_lshl_u32 v4, v4, v2, 2
	ds_bpermute_b32 v6, v4, v8
	ds_bpermute_b32 v9, v4, v7
	s_waitcnt lgkmcnt(1)
	v_dual_add_f32 v8, v8, v6 :: v_dual_lshlrev_b32 v5, 3, v5
	s_delay_alu instid0(VALU_DEP_1)
	v_add_lshl_u32 v5, v5, v2, 2
	s_waitcnt lgkmcnt(0)
	v_add_f32_e32 v7, v7, v9
	v_cndmask_b32_e64 v6, 0, 1, s0
	v_cmp_gt_u32_e64 s0, 30, v2
	ds_bpermute_b32 v9, v5, v8
	ds_bpermute_b32 v10, v5, v7
	s_waitcnt lgkmcnt(0)
	v_dual_add_f32 v8, v8, v9 :: v_dual_add_f32 v9, v7, v10
	v_lshlrev_b32_e32 v6, 2, v6
	v_cndmask_b32_e64 v7, 0, 1, s0
	v_cmp_ne_u32_e64 s0, 31, v2
	s_delay_alu instid0(VALU_DEP_3) | instskip(SKIP_4) | instid1(VALU_DEP_1)
	v_add_lshl_u32 v6, v6, v2, 2
	ds_bpermute_b32 v10, v6, v8
	ds_bpermute_b32 v11, v6, v9
	s_waitcnt lgkmcnt(1)
	v_dual_add_f32 v10, v8, v10 :: v_dual_lshlrev_b32 v7, 1, v7
	v_add_lshl_u32 v7, v7, v2, 2
	s_waitcnt lgkmcnt(0)
	v_add_f32_e32 v9, v9, v11
	v_add_co_ci_u32_e64 v2, s0, 0, v2, s0
	ds_bpermute_b32 v11, v7, v10
	ds_bpermute_b32 v12, v7, v9
	v_lshlrev_b32_e32 v8, 2, v2
	s_waitcnt lgkmcnt(1)
	v_add_f32_e32 v2, v10, v11
	s_waitcnt lgkmcnt(0)
	v_add_f32_e32 v10, v9, v12
	ds_bpermute_b32 v9, v8, v2
	ds_bpermute_b32 v11, v8, v10
	v_cmpx_eq_u32_e32 0, v1
	s_cbranch_execz .LBB321_24
; %bb.23:
	v_lshrrev_b32_e32 v1, 2, v0
	s_waitcnt lgkmcnt(0)
	v_add_f32_e32 v10, v10, v11
	v_add_f32_e32 v9, v2, v9
	s_delay_alu instid0(VALU_DEP_3)
	v_and_b32_e32 v1, 0xf8, v1
	ds_store_b64 v1, v[9:10]
.LBB321_24:
	s_or_b32 exec_lo, exec_lo, s2
	v_dual_mov_b32 v2, 0 :: v_dual_mov_b32 v1, 0
	s_waitcnt lgkmcnt(0)
	s_barrier
	buffer_gl0_inv
	s_and_saveexec_b32 s0, vcc_lo
	s_cbranch_execz .LBB321_26
; %bb.25:
	ds_load_b64 v[1:2], v3
.LBB321_26:
	s_or_b32 exec_lo, exec_lo, s0
	s_and_saveexec_b32 s0, vcc_lo
	s_cbranch_execz .LBB321_28
; %bb.27:
	s_waitcnt lgkmcnt(0)
	ds_bpermute_b32 v3, v4, v1
	ds_bpermute_b32 v4, v4, v2
	s_waitcnt lgkmcnt(0)
	v_dual_add_f32 v1, v1, v3 :: v_dual_add_f32 v2, v2, v4
	ds_bpermute_b32 v3, v5, v1
	ds_bpermute_b32 v4, v5, v2
	s_waitcnt lgkmcnt(0)
	v_dual_add_f32 v1, v1, v3 :: v_dual_add_f32 v2, v2, v4
	;; [unrolled: 4-line block ×5, first 2 shown]
.LBB321_28:
	s_or_b32 exec_lo, exec_lo, s0
	s_delay_alu instid0(SALU_CYCLE_1)
	s_mov_b32 s0, exec_lo
	v_cmpx_eq_u32_e32 0, v0
	s_cbranch_execz .LBB321_32
; %bb.29:
	v_cmp_neq_f32_e64 s0, s12, 0
	v_cmp_neq_f32_e64 s2, s13, 0
	s_waitcnt lgkmcnt(0)
	v_mul_f32_e32 v0, s17, v2
	v_mul_f32_e32 v4, s16, v2
	s_mul_hi_u32 s3, s14, s18
	s_mul_i32 s1, s1, s18
	s_or_b32 s0, s0, s2
	s_mul_i32 s2, s14, s19
	v_fma_f32 v3, v1, s16, -v0
	v_fmac_f32_e32 v4, s17, v1
	s_add_i32 s2, s3, s2
	s_and_not1_b32 vcc_lo, exec_lo, s0
	s_add_i32 s1, s2, s1
	s_mul_i32 s0, s14, s18
	s_cbranch_vccnz .LBB321_31
; %bb.30:
	s_lshl_b64 s[2:3], s[0:1], 3
	v_mov_b32_e32 v0, 0
	s_add_u32 s2, s6, s2
	s_addc_u32 s3, s7, s3
	global_load_b64 v[0:1], v0, s[2:3]
	s_waitcnt vmcnt(0)
	v_mul_f32_e32 v2, s13, v1
	v_mul_f32_e32 v1, s12, v1
	s_delay_alu instid0(VALU_DEP_1) | instskip(NEXT) | instid1(VALU_DEP_3)
	v_fmac_f32_e32 v1, s13, v0
	v_fma_f32 v2, s12, v0, -v2
	s_delay_alu instid0(VALU_DEP_1)
	v_dual_add_f32 v4, v4, v1 :: v_dual_add_f32 v3, v3, v2
.LBB321_31:
	s_lshl_b64 s[0:1], s[0:1], 3
	v_mov_b32_e32 v0, 0
	s_add_u32 s0, s6, s0
	s_addc_u32 s1, s7, s1
	global_store_b64 v0, v[3:4], s[0:1]
.LBB321_32:
	s_nop 0
	s_sendmsg sendmsg(MSG_DEALLOC_VGPRS)
	s_endpgm
	.section	.rodata,"a",@progbits
	.p2align	6, 0x0
	.amdhsa_kernel _ZL32rocblas_gemvt_warp_reduce_kernelILb0ELi1024ElPK19rocblas_complex_numIfES3_KPS1_EviiT3_lPKT2_lT1_lS9_lSA_lS6_lPT4_lSA_li
		.amdhsa_group_segment_fixed_size 256
		.amdhsa_private_segment_fixed_size 0
		.amdhsa_kernarg_size 140
		.amdhsa_user_sgpr_count 14
		.amdhsa_user_sgpr_dispatch_ptr 0
		.amdhsa_user_sgpr_queue_ptr 0
		.amdhsa_user_sgpr_kernarg_segment_ptr 1
		.amdhsa_user_sgpr_dispatch_id 0
		.amdhsa_user_sgpr_private_segment_size 0
		.amdhsa_wavefront_size32 1
		.amdhsa_uses_dynamic_stack 0
		.amdhsa_enable_private_segment 0
		.amdhsa_system_sgpr_workgroup_id_x 1
		.amdhsa_system_sgpr_workgroup_id_y 0
		.amdhsa_system_sgpr_workgroup_id_z 1
		.amdhsa_system_sgpr_workgroup_info 0
		.amdhsa_system_vgpr_workitem_id 0
		.amdhsa_next_free_vgpr 15
		.amdhsa_next_free_sgpr 31
		.amdhsa_reserve_vcc 1
		.amdhsa_float_round_mode_32 0
		.amdhsa_float_round_mode_16_64 0
		.amdhsa_float_denorm_mode_32 3
		.amdhsa_float_denorm_mode_16_64 3
		.amdhsa_dx10_clamp 1
		.amdhsa_ieee_mode 1
		.amdhsa_fp16_overflow 0
		.amdhsa_workgroup_processor_mode 1
		.amdhsa_memory_ordered 1
		.amdhsa_forward_progress 0
		.amdhsa_shared_vgpr_count 0
		.amdhsa_exception_fp_ieee_invalid_op 0
		.amdhsa_exception_fp_denorm_src 0
		.amdhsa_exception_fp_ieee_div_zero 0
		.amdhsa_exception_fp_ieee_overflow 0
		.amdhsa_exception_fp_ieee_underflow 0
		.amdhsa_exception_fp_ieee_inexact 0
		.amdhsa_exception_int_div_zero 0
	.end_amdhsa_kernel
	.section	.text._ZL32rocblas_gemvt_warp_reduce_kernelILb0ELi1024ElPK19rocblas_complex_numIfES3_KPS1_EviiT3_lPKT2_lT1_lS9_lSA_lS6_lPT4_lSA_li,"axG",@progbits,_ZL32rocblas_gemvt_warp_reduce_kernelILb0ELi1024ElPK19rocblas_complex_numIfES3_KPS1_EviiT3_lPKT2_lT1_lS9_lSA_lS6_lPT4_lSA_li,comdat
.Lfunc_end321:
	.size	_ZL32rocblas_gemvt_warp_reduce_kernelILb0ELi1024ElPK19rocblas_complex_numIfES3_KPS1_EviiT3_lPKT2_lT1_lS9_lSA_lS6_lPT4_lSA_li, .Lfunc_end321-_ZL32rocblas_gemvt_warp_reduce_kernelILb0ELi1024ElPK19rocblas_complex_numIfES3_KPS1_EviiT3_lPKT2_lT1_lS9_lSA_lS6_lPT4_lSA_li
                                        ; -- End function
	.section	.AMDGPU.csdata,"",@progbits
; Kernel info:
; codeLenInByte = 1924
; NumSgprs: 33
; NumVgprs: 15
; ScratchSize: 0
; MemoryBound: 0
; FloatMode: 240
; IeeeMode: 1
; LDSByteSize: 256 bytes/workgroup (compile time only)
; SGPRBlocks: 4
; VGPRBlocks: 1
; NumSGPRsForWavesPerEU: 33
; NumVGPRsForWavesPerEU: 15
; Occupancy: 16
; WaveLimiterHint : 1
; COMPUTE_PGM_RSRC2:SCRATCH_EN: 0
; COMPUTE_PGM_RSRC2:USER_SGPR: 14
; COMPUTE_PGM_RSRC2:TRAP_HANDLER: 0
; COMPUTE_PGM_RSRC2:TGID_X_EN: 1
; COMPUTE_PGM_RSRC2:TGID_Y_EN: 0
; COMPUTE_PGM_RSRC2:TGID_Z_EN: 1
; COMPUTE_PGM_RSRC2:TIDIG_COMP_CNT: 0
	.section	.text._ZL32rocblas_gemvt_warp_reduce_kernelILb0ELi1024EiPK19rocblas_complex_numIfES1_KPS1_EviiT3_lPKT2_lT1_lS9_lSA_lS6_lPT4_lSA_li,"axG",@progbits,_ZL32rocblas_gemvt_warp_reduce_kernelILb0ELi1024EiPK19rocblas_complex_numIfES1_KPS1_EviiT3_lPKT2_lT1_lS9_lSA_lS6_lPT4_lSA_li,comdat
	.globl	_ZL32rocblas_gemvt_warp_reduce_kernelILb0ELi1024EiPK19rocblas_complex_numIfES1_KPS1_EviiT3_lPKT2_lT1_lS9_lSA_lS6_lPT4_lSA_li ; -- Begin function _ZL32rocblas_gemvt_warp_reduce_kernelILb0ELi1024EiPK19rocblas_complex_numIfES1_KPS1_EviiT3_lPKT2_lT1_lS9_lSA_lS6_lPT4_lSA_li
	.p2align	8
	.type	_ZL32rocblas_gemvt_warp_reduce_kernelILb0ELi1024EiPK19rocblas_complex_numIfES1_KPS1_EviiT3_lPKT2_lT1_lS9_lSA_lS6_lPT4_lSA_li,@function
_ZL32rocblas_gemvt_warp_reduce_kernelILb0ELi1024EiPK19rocblas_complex_numIfES1_KPS1_EviiT3_lPKT2_lT1_lS9_lSA_lS6_lPT4_lSA_li: ; @_ZL32rocblas_gemvt_warp_reduce_kernelILb0ELi1024EiPK19rocblas_complex_numIfES1_KPS1_EviiT3_lPKT2_lT1_lS9_lSA_lS6_lPT4_lSA_li
; %bb.0:
	s_clause 0x1
	s_load_b64 s[6:7], s[0:1], 0x8
	s_load_b64 s[4:5], s[0:1], 0x58
	s_mov_b32 s2, s15
	s_waitcnt lgkmcnt(0)
	v_cmp_neq_f32_e64 s3, s6, 0
	v_cmp_neq_f32_e64 s8, s7, 0
	s_delay_alu instid0(VALU_DEP_1) | instskip(NEXT) | instid1(SALU_CYCLE_1)
	s_or_b32 s3, s3, s8
	s_and_b32 vcc_lo, exec_lo, s3
	s_mov_b32 s3, -1
	s_cbranch_vccnz .LBB322_2
; %bb.1:
	v_cmp_neq_f32_e64 s3, s4, 1.0
	v_cmp_neq_f32_e64 s8, s5, 0
	s_delay_alu instid0(VALU_DEP_1)
	s_or_b32 s3, s3, s8
.LBB322_2:
	s_delay_alu instid0(SALU_CYCLE_1)
	s_and_not1_b32 vcc_lo, exec_lo, s3
	s_cbranch_vccnz .LBB322_34
; %bb.3:
	s_or_b32 s3, s6, s7
	s_delay_alu instid0(SALU_CYCLE_1) | instskip(NEXT) | instid1(SALU_CYCLE_1)
	s_bitset0_b32 s3, 31
	s_cmp_lg_u32 s3, 0
	s_cselect_b32 s8, -1, 0
	s_cmp_eq_u32 s3, 0
	s_mov_b32 s3, 0
	s_cselect_b32 s16, -1, 0
	s_and_b32 vcc_lo, exec_lo, s8
	s_cbranch_vccnz .LBB322_5
; %bb.4:
	s_mov_b64 s[10:11], 0
	s_and_not1_b32 vcc_lo, exec_lo, s3
	s_cbranch_vccz .LBB322_6
	s_branch .LBB322_7
.LBB322_5:
	s_mov_b32 s3, -1
                                        ; implicit-def: $sgpr10_sgpr11
.LBB322_6:
	s_load_b128 s[20:23], s[0:1], 0x18
	s_mov_b32 s3, 0
	s_delay_alu instid0(SALU_CYCLE_1)
	s_lshl_b64 s[10:11], s[2:3], 3
	s_waitcnt lgkmcnt(0)
	s_add_u32 s10, s20, s10
	s_addc_u32 s11, s21, s11
	s_lshl_b64 s[12:13], s[22:23], 3
	s_load_b64 s[10:11], s[10:11], 0x0
	s_waitcnt lgkmcnt(0)
	s_add_u32 s10, s10, s12
	s_addc_u32 s11, s11, s13
.LBB322_7:
	s_and_not1_b32 vcc_lo, exec_lo, s8
	s_mov_b64 s[8:9], 0
	s_cbranch_vccnz .LBB322_9
; %bb.8:
	s_load_b128 s[20:23], s[0:1], 0x38
	s_lshl_b64 s[8:9], s[2:3], 3
	s_waitcnt lgkmcnt(0)
	s_add_u32 s8, s20, s8
	s_addc_u32 s9, s21, s9
	s_lshl_b64 s[12:13], s[22:23], 3
	s_load_b64 s[8:9], s[8:9], 0x0
	s_waitcnt lgkmcnt(0)
	s_add_u32 s8, s8, s12
	s_addc_u32 s9, s9, s13
.LBB322_9:
	s_clause 0x1
	s_load_b128 s[20:23], s[0:1], 0x68
	s_load_b32 s15, s[0:1], 0x78
	s_lshl_b64 s[2:3], s[2:3], 3
	s_waitcnt lgkmcnt(0)
	s_add_u32 s2, s20, s2
	s_addc_u32 s3, s21, s3
	s_lshl_b64 s[18:19], s[22:23], 3
	s_load_b64 s[12:13], s[2:3], 0x0
	v_cmp_eq_u32_e64 s2, 0, v0
	s_waitcnt lgkmcnt(0)
	s_add_u32 s12, s12, s18
	s_addc_u32 s13, s13, s19
	s_and_not1_b32 vcc_lo, exec_lo, s16
	s_mov_b32 s16, -1
	s_cbranch_vccnz .LBB322_15
; %bb.10:
	s_mov_b32 s16, 0
	s_and_saveexec_b32 s17, s2
	s_cbranch_execz .LBB322_14
; %bb.11:
	v_cmp_neq_f32_e64 s2, s4, 0
	v_cmp_neq_f32_e64 s3, s5, 0
	v_dual_mov_b32 v3, 0 :: v_dual_mov_b32 v2, 0
	v_mov_b32_e32 v1, 0
	s_delay_alu instid0(VALU_DEP_3)
	s_or_b32 s3, s2, s3
	s_mul_i32 s2, s14, s15
	s_and_not1_b32 vcc_lo, exec_lo, s3
	s_ashr_i32 s3, s2, 31
	s_cbranch_vccnz .LBB322_13
; %bb.12:
	s_lshl_b64 s[18:19], s[2:3], 3
	s_delay_alu instid0(SALU_CYCLE_1)
	s_add_u32 s18, s12, s18
	s_addc_u32 s19, s13, s19
	s_load_b64 s[18:19], s[18:19], 0x0
	s_waitcnt lgkmcnt(0)
	v_mul_f32_e64 v1, s5, s19
	v_mul_f32_e64 v2, s4, s19
	s_delay_alu instid0(VALU_DEP_2) | instskip(NEXT) | instid1(VALU_DEP_2)
	v_fma_f32 v1, s4, s18, -v1
	v_fmac_f32_e64 v2, s5, s18
.LBB322_13:
	s_lshl_b64 s[2:3], s[2:3], 3
	s_delay_alu instid0(SALU_CYCLE_1)
	s_add_u32 s2, s12, s2
	s_addc_u32 s3, s13, s3
	global_store_b64 v3, v[1:2], s[2:3]
.LBB322_14:
	s_or_b32 exec_lo, exec_lo, s17
.LBB322_15:
	s_delay_alu instid0(SALU_CYCLE_1)
	s_and_not1_b32 vcc_lo, exec_lo, s16
	s_cbranch_vccnz .LBB322_34
; %bb.16:
	s_clause 0x2
	s_load_b32 s3, s[0:1], 0x28
	s_load_b32 s2, s[0:1], 0x0
	;; [unrolled: 1-line block ×3, first 2 shown]
	v_dual_mov_b32 v7, 0 :: v_dual_mov_b32 v8, 0
	s_waitcnt lgkmcnt(0)
	s_mul_i32 s16, s14, s3
	v_cmp_gt_i32_e32 vcc_lo, s2, v0
	s_ashr_i32 s17, s16, 31
	s_delay_alu instid0(SALU_CYCLE_1) | instskip(SKIP_4) | instid1(SALU_CYCLE_1)
	s_lshl_b64 s[16:17], s[16:17], 3
	v_cndmask_b32_e32 v1, 0, v0, vcc_lo
	s_add_u32 s3, s16, s10
	s_addc_u32 s10, s17, s11
	s_ashr_i32 s0, s2, 31
	s_lshr_b32 s0, s0, 22
	v_lshlrev_b32_e32 v1, 3, v1
	s_add_i32 s0, s2, s0
	s_delay_alu instid0(SALU_CYCLE_1) | instskip(NEXT) | instid1(VALU_DEP_1)
	s_and_b32 s0, s0, 0xfffffc00
	v_add_co_u32 v1, s3, s3, v1
	s_delay_alu instid0(VALU_DEP_1)
	v_add_co_ci_u32_e64 v2, null, s10, 0, s3
	s_mov_b32 s3, exec_lo
	v_cmpx_gt_i32_e64 s0, v0
	s_cbranch_execz .LBB322_20
; %bb.17:
	v_mul_lo_u32 v3, v0, s1
	v_dual_mov_b32 v7, 0 :: v_dual_mov_b32 v6, v2
	v_dual_mov_b32 v5, v1 :: v_dual_mov_b32 v8, 0
	v_mov_b32_e32 v9, v0
	s_lshl_b32 s11, s1, 10
	s_mov_b32 s10, 0
	.p2align	6
.LBB322_18:                             ; =>This Inner Loop Header: Depth=1
	s_delay_alu instid0(VALU_DEP_4) | instskip(NEXT) | instid1(VALU_DEP_1)
	v_ashrrev_i32_e32 v4, 31, v3
	v_lshlrev_b64 v[10:11], 3, v[3:4]
	v_add_nc_u32_e32 v3, s11, v3
	s_delay_alu instid0(VALU_DEP_2) | instskip(NEXT) | instid1(VALU_DEP_3)
	v_add_co_u32 v10, vcc_lo, s8, v10
	v_add_co_ci_u32_e32 v11, vcc_lo, s9, v11, vcc_lo
	flat_load_b64 v[12:13], v[5:6]
	flat_load_b64 v[10:11], v[10:11]
	v_add_co_u32 v5, vcc_lo, 0x2000, v5
	v_add_co_ci_u32_e32 v6, vcc_lo, 0, v6, vcc_lo
	s_waitcnt vmcnt(0) lgkmcnt(0)
	v_mul_f32_e32 v4, v11, v13
	v_mul_f32_e32 v13, v10, v13
	s_delay_alu instid0(VALU_DEP_2) | instskip(SKIP_1) | instid1(VALU_DEP_3)
	v_fma_f32 v4, v10, v12, -v4
	v_add_nc_u32_e32 v9, 0x400, v9
	v_fmac_f32_e32 v13, v11, v12
	s_delay_alu instid0(VALU_DEP_3) | instskip(NEXT) | instid1(VALU_DEP_3)
	v_add_f32_e32 v8, v8, v4
	v_cmp_le_i32_e32 vcc_lo, s0, v9
	s_delay_alu instid0(VALU_DEP_3) | instskip(SKIP_1) | instid1(SALU_CYCLE_1)
	v_add_f32_e32 v7, v7, v13
	s_or_b32 s10, vcc_lo, s10
	s_and_not1_b32 exec_lo, exec_lo, s10
	s_cbranch_execnz .LBB322_18
; %bb.19:
	s_or_b32 exec_lo, exec_lo, s10
.LBB322_20:
	s_delay_alu instid0(SALU_CYCLE_1) | instskip(SKIP_1) | instid1(VALU_DEP_1)
	s_or_b32 exec_lo, exec_lo, s3
	v_or_b32_e32 v3, s0, v0
	v_cmp_gt_i32_e32 vcc_lo, s2, v3
	s_and_saveexec_b32 s2, vcc_lo
	s_cbranch_execz .LBB322_22
; %bb.21:
	v_mul_lo_u32 v3, v3, s1
	s_ashr_i32 s1, s0, 31
	s_delay_alu instid0(SALU_CYCLE_1) | instskip(NEXT) | instid1(SALU_CYCLE_1)
	s_lshl_b64 s[0:1], s[0:1], 3
	v_add_co_u32 v1, vcc_lo, v1, s0
	v_add_co_ci_u32_e32 v2, vcc_lo, s1, v2, vcc_lo
	s_delay_alu instid0(VALU_DEP_3) | instskip(NEXT) | instid1(VALU_DEP_1)
	v_ashrrev_i32_e32 v4, 31, v3
	v_lshlrev_b64 v[3:4], 3, v[3:4]
	s_delay_alu instid0(VALU_DEP_1) | instskip(NEXT) | instid1(VALU_DEP_2)
	v_add_co_u32 v3, vcc_lo, s8, v3
	v_add_co_ci_u32_e32 v4, vcc_lo, s9, v4, vcc_lo
	flat_load_b64 v[1:2], v[1:2]
	flat_load_b64 v[3:4], v[3:4]
	s_waitcnt vmcnt(0) lgkmcnt(0)
	v_mul_f32_e32 v5, v4, v2
	v_mul_f32_e32 v2, v3, v2
	s_delay_alu instid0(VALU_DEP_2) | instskip(NEXT) | instid1(VALU_DEP_2)
	v_fma_f32 v3, v3, v1, -v5
	v_fmac_f32_e32 v2, v4, v1
	s_delay_alu instid0(VALU_DEP_1)
	v_dual_add_f32 v8, v8, v3 :: v_dual_add_f32 v7, v7, v2
.LBB322_22:
	s_or_b32 exec_lo, exec_lo, s2
	v_and_b32_e32 v1, 31, v0
	v_cmp_gt_u32_e32 vcc_lo, 32, v0
	s_delay_alu instid0(VALU_DEP_2)
	v_lshlrev_b32_e32 v3, 3, v1
	s_and_saveexec_b32 s0, vcc_lo
	s_cbranch_execz .LBB322_24
; %bb.23:
	v_mov_b32_e32 v4, 0
	s_delay_alu instid0(VALU_DEP_1)
	v_mov_b32_e32 v5, v4
	ds_store_b64 v3, v[4:5]
.LBB322_24:
	s_or_b32 exec_lo, exec_lo, s0
	v_mbcnt_lo_u32_b32 v2, -1, 0
	s_mov_b32 s1, exec_lo
	s_waitcnt lgkmcnt(0)
	s_waitcnt_vscnt null, 0x0
	s_barrier
	buffer_gl0_inv
	v_cmp_gt_u32_e64 s0, 16, v2
	s_delay_alu instid0(VALU_DEP_1) | instskip(SKIP_1) | instid1(VALU_DEP_2)
	v_cndmask_b32_e64 v4, 0, 1, s0
	v_cmp_gt_u32_e64 s0, 24, v2
	v_lshlrev_b32_e32 v4, 4, v4
	s_delay_alu instid0(VALU_DEP_2) | instskip(SKIP_1) | instid1(VALU_DEP_3)
	v_cndmask_b32_e64 v5, 0, 1, s0
	v_cmp_gt_u32_e64 s0, 28, v2
	v_add_lshl_u32 v4, v4, v2, 2
	ds_bpermute_b32 v6, v4, v8
	ds_bpermute_b32 v9, v4, v7
	s_waitcnt lgkmcnt(1)
	v_dual_add_f32 v8, v8, v6 :: v_dual_lshlrev_b32 v5, 3, v5
	s_delay_alu instid0(VALU_DEP_1)
	v_add_lshl_u32 v5, v5, v2, 2
	s_waitcnt lgkmcnt(0)
	v_add_f32_e32 v7, v7, v9
	v_cndmask_b32_e64 v6, 0, 1, s0
	v_cmp_gt_u32_e64 s0, 30, v2
	ds_bpermute_b32 v9, v5, v8
	ds_bpermute_b32 v10, v5, v7
	s_waitcnt lgkmcnt(0)
	v_dual_add_f32 v8, v8, v9 :: v_dual_add_f32 v9, v7, v10
	v_lshlrev_b32_e32 v6, 2, v6
	v_cndmask_b32_e64 v7, 0, 1, s0
	v_cmp_ne_u32_e64 s0, 31, v2
	s_delay_alu instid0(VALU_DEP_3) | instskip(SKIP_4) | instid1(VALU_DEP_1)
	v_add_lshl_u32 v6, v6, v2, 2
	ds_bpermute_b32 v10, v6, v8
	ds_bpermute_b32 v11, v6, v9
	s_waitcnt lgkmcnt(1)
	v_dual_add_f32 v10, v8, v10 :: v_dual_lshlrev_b32 v7, 1, v7
	v_add_lshl_u32 v7, v7, v2, 2
	s_waitcnt lgkmcnt(0)
	v_add_f32_e32 v9, v9, v11
	v_add_co_ci_u32_e64 v2, s0, 0, v2, s0
	ds_bpermute_b32 v11, v7, v10
	ds_bpermute_b32 v12, v7, v9
	v_lshlrev_b32_e32 v8, 2, v2
	s_waitcnt lgkmcnt(1)
	v_add_f32_e32 v2, v10, v11
	s_waitcnt lgkmcnt(0)
	v_add_f32_e32 v10, v9, v12
	ds_bpermute_b32 v9, v8, v2
	ds_bpermute_b32 v11, v8, v10
	v_cmpx_eq_u32_e32 0, v1
	s_cbranch_execz .LBB322_26
; %bb.25:
	v_lshrrev_b32_e32 v1, 2, v0
	s_waitcnt lgkmcnt(0)
	v_add_f32_e32 v10, v10, v11
	v_add_f32_e32 v9, v2, v9
	s_delay_alu instid0(VALU_DEP_3)
	v_and_b32_e32 v1, 0xf8, v1
	ds_store_b64 v1, v[9:10]
.LBB322_26:
	s_or_b32 exec_lo, exec_lo, s1
	v_dual_mov_b32 v2, 0 :: v_dual_mov_b32 v1, 0
	s_waitcnt lgkmcnt(0)
	s_barrier
	buffer_gl0_inv
	s_and_saveexec_b32 s0, vcc_lo
	s_cbranch_execz .LBB322_28
; %bb.27:
	ds_load_b64 v[1:2], v3
.LBB322_28:
	s_or_b32 exec_lo, exec_lo, s0
	s_and_saveexec_b32 s0, vcc_lo
	s_cbranch_execz .LBB322_30
; %bb.29:
	s_waitcnt lgkmcnt(0)
	ds_bpermute_b32 v3, v4, v1
	ds_bpermute_b32 v4, v4, v2
	s_waitcnt lgkmcnt(0)
	v_dual_add_f32 v1, v1, v3 :: v_dual_add_f32 v2, v2, v4
	ds_bpermute_b32 v3, v5, v1
	ds_bpermute_b32 v4, v5, v2
	s_waitcnt lgkmcnt(0)
	v_dual_add_f32 v1, v1, v3 :: v_dual_add_f32 v2, v2, v4
	;; [unrolled: 4-line block ×5, first 2 shown]
.LBB322_30:
	s_or_b32 exec_lo, exec_lo, s0
	s_delay_alu instid0(SALU_CYCLE_1)
	s_mov_b32 s0, exec_lo
	v_cmpx_eq_u32_e32 0, v0
	s_cbranch_execz .LBB322_34
; %bb.31:
	s_waitcnt lgkmcnt(0)
	v_mul_f32_e32 v3, s6, v2
	v_mul_f32_e32 v0, s7, v2
	v_cmp_neq_f32_e64 s0, s4, 0
	v_cmp_neq_f32_e64 s1, s5, 0
	s_delay_alu instid0(VALU_DEP_4) | instskip(NEXT) | instid1(VALU_DEP_4)
	v_fmac_f32_e32 v3, s7, v1
	v_fma_f32 v2, v1, s6, -v0
	s_delay_alu instid0(VALU_DEP_3)
	s_or_b32 s1, s0, s1
	s_mul_i32 s0, s14, s15
	s_and_not1_b32 vcc_lo, exec_lo, s1
	s_ashr_i32 s1, s0, 31
	s_cbranch_vccnz .LBB322_33
; %bb.32:
	s_lshl_b64 s[2:3], s[0:1], 3
	v_mov_b32_e32 v0, 0
	s_add_u32 s2, s12, s2
	s_addc_u32 s3, s13, s3
	global_load_b64 v[0:1], v0, s[2:3]
	s_waitcnt vmcnt(0)
	v_mul_f32_e32 v4, s5, v1
	v_mul_f32_e32 v1, s4, v1
	s_delay_alu instid0(VALU_DEP_1) | instskip(NEXT) | instid1(VALU_DEP_3)
	v_fmac_f32_e32 v1, s5, v0
	v_fma_f32 v4, s4, v0, -v4
	s_delay_alu instid0(VALU_DEP_1)
	v_dual_add_f32 v3, v3, v1 :: v_dual_add_f32 v2, v2, v4
.LBB322_33:
	s_lshl_b64 s[0:1], s[0:1], 3
	v_mov_b32_e32 v0, 0
	s_add_u32 s0, s12, s0
	s_addc_u32 s1, s13, s1
	global_store_b64 v0, v[2:3], s[0:1]
.LBB322_34:
	s_nop 0
	s_sendmsg sendmsg(MSG_DEALLOC_VGPRS)
	s_endpgm
	.section	.rodata,"a",@progbits
	.p2align	6, 0x0
	.amdhsa_kernel _ZL32rocblas_gemvt_warp_reduce_kernelILb0ELi1024EiPK19rocblas_complex_numIfES1_KPS1_EviiT3_lPKT2_lT1_lS9_lSA_lS6_lPT4_lSA_li
		.amdhsa_group_segment_fixed_size 256
		.amdhsa_private_segment_fixed_size 0
		.amdhsa_kernarg_size 140
		.amdhsa_user_sgpr_count 14
		.amdhsa_user_sgpr_dispatch_ptr 0
		.amdhsa_user_sgpr_queue_ptr 0
		.amdhsa_user_sgpr_kernarg_segment_ptr 1
		.amdhsa_user_sgpr_dispatch_id 0
		.amdhsa_user_sgpr_private_segment_size 0
		.amdhsa_wavefront_size32 1
		.amdhsa_uses_dynamic_stack 0
		.amdhsa_enable_private_segment 0
		.amdhsa_system_sgpr_workgroup_id_x 1
		.amdhsa_system_sgpr_workgroup_id_y 0
		.amdhsa_system_sgpr_workgroup_id_z 1
		.amdhsa_system_sgpr_workgroup_info 0
		.amdhsa_system_vgpr_workitem_id 0
		.amdhsa_next_free_vgpr 14
		.amdhsa_next_free_sgpr 24
		.amdhsa_reserve_vcc 1
		.amdhsa_float_round_mode_32 0
		.amdhsa_float_round_mode_16_64 0
		.amdhsa_float_denorm_mode_32 3
		.amdhsa_float_denorm_mode_16_64 3
		.amdhsa_dx10_clamp 1
		.amdhsa_ieee_mode 1
		.amdhsa_fp16_overflow 0
		.amdhsa_workgroup_processor_mode 1
		.amdhsa_memory_ordered 1
		.amdhsa_forward_progress 0
		.amdhsa_shared_vgpr_count 0
		.amdhsa_exception_fp_ieee_invalid_op 0
		.amdhsa_exception_fp_denorm_src 0
		.amdhsa_exception_fp_ieee_div_zero 0
		.amdhsa_exception_fp_ieee_overflow 0
		.amdhsa_exception_fp_ieee_underflow 0
		.amdhsa_exception_fp_ieee_inexact 0
		.amdhsa_exception_int_div_zero 0
	.end_amdhsa_kernel
	.section	.text._ZL32rocblas_gemvt_warp_reduce_kernelILb0ELi1024EiPK19rocblas_complex_numIfES1_KPS1_EviiT3_lPKT2_lT1_lS9_lSA_lS6_lPT4_lSA_li,"axG",@progbits,_ZL32rocblas_gemvt_warp_reduce_kernelILb0ELi1024EiPK19rocblas_complex_numIfES1_KPS1_EviiT3_lPKT2_lT1_lS9_lSA_lS6_lPT4_lSA_li,comdat
.Lfunc_end322:
	.size	_ZL32rocblas_gemvt_warp_reduce_kernelILb0ELi1024EiPK19rocblas_complex_numIfES1_KPS1_EviiT3_lPKT2_lT1_lS9_lSA_lS6_lPT4_lSA_li, .Lfunc_end322-_ZL32rocblas_gemvt_warp_reduce_kernelILb0ELi1024EiPK19rocblas_complex_numIfES1_KPS1_EviiT3_lPKT2_lT1_lS9_lSA_lS6_lPT4_lSA_li
                                        ; -- End function
	.section	.AMDGPU.csdata,"",@progbits
; Kernel info:
; codeLenInByte = 1784
; NumSgprs: 26
; NumVgprs: 14
; ScratchSize: 0
; MemoryBound: 0
; FloatMode: 240
; IeeeMode: 1
; LDSByteSize: 256 bytes/workgroup (compile time only)
; SGPRBlocks: 3
; VGPRBlocks: 1
; NumSGPRsForWavesPerEU: 26
; NumVGPRsForWavesPerEU: 14
; Occupancy: 16
; WaveLimiterHint : 1
; COMPUTE_PGM_RSRC2:SCRATCH_EN: 0
; COMPUTE_PGM_RSRC2:USER_SGPR: 14
; COMPUTE_PGM_RSRC2:TRAP_HANDLER: 0
; COMPUTE_PGM_RSRC2:TGID_X_EN: 1
; COMPUTE_PGM_RSRC2:TGID_Y_EN: 0
; COMPUTE_PGM_RSRC2:TGID_Z_EN: 1
; COMPUTE_PGM_RSRC2:TIDIG_COMP_CNT: 0
	.section	.text._ZL32rocblas_gemvt_warp_reduce_kernelILb0ELi1024ElPK19rocblas_complex_numIfES1_KPS1_EviiT3_lPKT2_lT1_lS9_lSA_lS6_lPT4_lSA_li,"axG",@progbits,_ZL32rocblas_gemvt_warp_reduce_kernelILb0ELi1024ElPK19rocblas_complex_numIfES1_KPS1_EviiT3_lPKT2_lT1_lS9_lSA_lS6_lPT4_lSA_li,comdat
	.globl	_ZL32rocblas_gemvt_warp_reduce_kernelILb0ELi1024ElPK19rocblas_complex_numIfES1_KPS1_EviiT3_lPKT2_lT1_lS9_lSA_lS6_lPT4_lSA_li ; -- Begin function _ZL32rocblas_gemvt_warp_reduce_kernelILb0ELi1024ElPK19rocblas_complex_numIfES1_KPS1_EviiT3_lPKT2_lT1_lS9_lSA_lS6_lPT4_lSA_li
	.p2align	8
	.type	_ZL32rocblas_gemvt_warp_reduce_kernelILb0ELi1024ElPK19rocblas_complex_numIfES1_KPS1_EviiT3_lPKT2_lT1_lS9_lSA_lS6_lPT4_lSA_li,@function
_ZL32rocblas_gemvt_warp_reduce_kernelILb0ELi1024ElPK19rocblas_complex_numIfES1_KPS1_EviiT3_lPKT2_lT1_lS9_lSA_lS6_lPT4_lSA_li: ; @_ZL32rocblas_gemvt_warp_reduce_kernelILb0ELi1024ElPK19rocblas_complex_numIfES1_KPS1_EviiT3_lPKT2_lT1_lS9_lSA_lS6_lPT4_lSA_li
; %bb.0:
	s_clause 0x1
	s_load_b64 s[10:11], s[0:1], 0x8
	s_load_b64 s[8:9], s[0:1], 0x58
	s_mov_b32 s2, s15
	s_waitcnt lgkmcnt(0)
	v_cmp_neq_f32_e64 s3, s10, 0
	v_cmp_neq_f32_e64 s4, s11, 0
	s_delay_alu instid0(VALU_DEP_1) | instskip(NEXT) | instid1(SALU_CYCLE_1)
	s_or_b32 s3, s3, s4
	s_and_b32 vcc_lo, exec_lo, s3
	s_mov_b32 s3, -1
	s_cbranch_vccnz .LBB323_2
; %bb.1:
	v_cmp_neq_f32_e64 s3, s8, 1.0
	v_cmp_neq_f32_e64 s4, s9, 0
	s_delay_alu instid0(VALU_DEP_1)
	s_or_b32 s3, s3, s4
.LBB323_2:
	s_delay_alu instid0(SALU_CYCLE_1)
	s_and_not1_b32 vcc_lo, exec_lo, s3
	s_cbranch_vccnz .LBB323_34
; %bb.3:
	s_clause 0x1
	s_load_b128 s[4:7], s[0:1], 0x18
	s_load_b64 s[18:19], s[0:1], 0x28
	s_or_b32 s3, s10, s11
	s_delay_alu instid0(SALU_CYCLE_1) | instskip(NEXT) | instid1(SALU_CYCLE_1)
	s_bitset0_b32 s3, 31
	s_cmp_lg_u32 s3, 0
	s_cselect_b32 s15, -1, 0
	s_cmp_eq_u32 s3, 0
	s_mov_b32 s3, 0
	s_cselect_b32 s23, -1, 0
	s_and_b32 vcc_lo, exec_lo, s15
	s_cbranch_vccnz .LBB323_5
; %bb.4:
	s_mov_b64 s[20:21], 0
	s_and_not1_b32 vcc_lo, exec_lo, s3
	s_cbranch_vccz .LBB323_6
	s_branch .LBB323_7
.LBB323_5:
	s_mov_b32 s3, -1
                                        ; implicit-def: $sgpr20_sgpr21
.LBB323_6:
	s_mov_b32 s3, 0
	s_delay_alu instid0(SALU_CYCLE_1)
	s_lshl_b64 s[12:13], s[2:3], 3
	s_waitcnt lgkmcnt(0)
	s_add_u32 s4, s4, s12
	s_addc_u32 s5, s5, s13
	s_lshl_b64 s[6:7], s[6:7], 3
	s_load_b64 s[4:5], s[4:5], 0x0
	s_waitcnt lgkmcnt(0)
	s_add_u32 s20, s4, s6
	s_addc_u32 s21, s5, s7
.LBB323_7:
	s_waitcnt lgkmcnt(0)
	s_clause 0x1
	s_load_b128 s[4:7], s[0:1], 0x38
	s_load_b64 s[12:13], s[0:1], 0x48
	s_and_not1_b32 vcc_lo, exec_lo, s15
	s_mov_b64 s[16:17], 0
	s_cbranch_vccnz .LBB323_9
; %bb.8:
	s_lshl_b64 s[16:17], s[2:3], 3
	s_waitcnt lgkmcnt(0)
	s_add_u32 s4, s4, s16
	s_addc_u32 s5, s5, s17
	s_lshl_b64 s[6:7], s[6:7], 3
	s_load_b64 s[4:5], s[4:5], 0x0
	s_waitcnt lgkmcnt(0)
	s_add_u32 s16, s4, s6
	s_addc_u32 s17, s5, s7
.LBB323_9:
	s_load_b128 s[24:27], s[0:1], 0x68
	s_waitcnt lgkmcnt(0)
	s_load_b64 s[4:5], s[0:1], 0x78
	s_lshl_b64 s[2:3], s[2:3], 3
	s_delay_alu instid0(SALU_CYCLE_1)
	s_add_u32 s2, s24, s2
	s_addc_u32 s3, s25, s3
	s_lshl_b64 s[24:25], s[26:27], 3
	s_load_b64 s[6:7], s[2:3], 0x0
	v_cmp_eq_u32_e64 s2, 0, v0
	s_waitcnt lgkmcnt(0)
	s_add_u32 s15, s6, s24
	s_addc_u32 s22, s7, s25
	s_and_not1_b32 vcc_lo, exec_lo, s23
	s_mov_b32 s6, -1
	s_cbranch_vccnz .LBB323_15
; %bb.10:
	s_mov_b32 s6, 0
	s_and_saveexec_b32 s7, s2
	s_cbranch_execz .LBB323_14
; %bb.11:
	v_cmp_neq_f32_e64 s2, s8, 0
	v_cmp_neq_f32_e64 s3, s9, 0
	s_mul_i32 s23, s14, s5
	s_ashr_i32 s24, s14, 31
	v_dual_mov_b32 v3, 0 :: v_dual_mov_b32 v2, 0
	s_delay_alu instid0(VALU_DEP_2)
	s_or_b32 s2, s2, s3
	s_mul_hi_u32 s3, s14, s4
	v_mov_b32_e32 v1, 0
	s_add_i32 s3, s3, s23
	s_mul_i32 s24, s24, s4
	s_and_not1_b32 vcc_lo, exec_lo, s2
	s_add_i32 s3, s3, s24
	s_mul_i32 s2, s14, s4
	s_cbranch_vccnz .LBB323_13
; %bb.12:
	s_lshl_b64 s[24:25], s[2:3], 3
	s_delay_alu instid0(SALU_CYCLE_1)
	s_add_u32 s24, s15, s24
	s_addc_u32 s25, s22, s25
	s_load_b64 s[24:25], s[24:25], 0x0
	s_waitcnt lgkmcnt(0)
	v_mul_f32_e64 v1, s9, s25
	v_mul_f32_e64 v2, s8, s25
	s_delay_alu instid0(VALU_DEP_2) | instskip(NEXT) | instid1(VALU_DEP_2)
	v_fma_f32 v1, s8, s24, -v1
	v_fmac_f32_e64 v2, s9, s24
.LBB323_13:
	s_lshl_b64 s[2:3], s[2:3], 3
	s_delay_alu instid0(SALU_CYCLE_1)
	s_add_u32 s2, s15, s2
	s_addc_u32 s3, s22, s3
	global_store_b64 v3, v[1:2], s[2:3]
.LBB323_14:
	s_or_b32 exec_lo, exec_lo, s7
.LBB323_15:
	s_delay_alu instid0(SALU_CYCLE_1)
	s_and_not1_b32 vcc_lo, exec_lo, s6
	s_cbranch_vccnz .LBB323_34
; %bb.16:
	s_load_b32 s3, s[0:1], 0x0
	s_mul_i32 s0, s14, s19
	s_mul_hi_u32 s2, s14, s18
	s_ashr_i32 s1, s14, 31
	s_add_i32 s0, s2, s0
	s_mul_i32 s2, s1, s18
	s_mul_i32 s6, s14, s18
	s_add_i32 s7, s0, s2
	v_mov_b32_e32 v7, 0
	s_lshl_b64 s[6:7], s[6:7], 3
	s_mov_b32 s18, exec_lo
	s_add_u32 s0, s6, s20
	s_addc_u32 s6, s7, s21
	v_mov_b32_e32 v8, 0
	s_waitcnt lgkmcnt(0)
	v_cmp_gt_i32_e32 vcc_lo, s3, v0
	s_ashr_i32 s2, s3, 31
	s_delay_alu instid0(SALU_CYCLE_1) | instskip(SKIP_2) | instid1(SALU_CYCLE_1)
	s_lshr_b32 s2, s2, 22
	v_cndmask_b32_e32 v1, 0, v0, vcc_lo
	s_add_i32 s2, s3, s2
	s_and_b32 s2, s2, 0xfffffc00
	s_delay_alu instid0(VALU_DEP_1) | instskip(NEXT) | instid1(VALU_DEP_1)
	v_lshlrev_b32_e32 v1, 3, v1
	v_add_co_u32 v1, s0, s0, v1
	s_delay_alu instid0(VALU_DEP_1)
	v_add_co_ci_u32_e64 v2, null, s6, 0, s0
	v_cmpx_gt_i32_e64 s2, v0
	s_cbranch_execz .LBB323_20
; %bb.17:
	v_mad_u64_u32 v[3:4], null, s12, v0, 0
	v_dual_mov_b32 v9, v0 :: v_dual_mov_b32 v8, 0
	s_lshl_b64 s[6:7], s[12:13], 13
	s_mov_b32 s19, 0
	v_mov_b32_e32 v7, 0
	s_delay_alu instid0(VALU_DEP_3) | instskip(NEXT) | instid1(VALU_DEP_1)
	v_mad_u64_u32 v[5:6], null, s13, v0, v[4:5]
	v_mov_b32_e32 v4, v5
	s_delay_alu instid0(VALU_DEP_1) | instskip(SKIP_1) | instid1(VALU_DEP_2)
	v_lshlrev_b64 v[5:6], 3, v[3:4]
	v_dual_mov_b32 v4, v2 :: v_dual_mov_b32 v3, v1
	v_add_co_u32 v5, vcc_lo, s16, v5
	s_delay_alu instid0(VALU_DEP_3)
	v_add_co_ci_u32_e32 v6, vcc_lo, s17, v6, vcc_lo
	.p2align	6
.LBB323_18:                             ; =>This Inner Loop Header: Depth=1
	flat_load_b64 v[10:11], v[3:4]
	flat_load_b64 v[12:13], v[5:6]
	v_add_nc_u32_e32 v9, 0x400, v9
	v_add_co_u32 v3, vcc_lo, 0x2000, v3
	v_add_co_ci_u32_e32 v4, vcc_lo, 0, v4, vcc_lo
	v_add_co_u32 v5, vcc_lo, v5, s6
	v_add_co_ci_u32_e32 v6, vcc_lo, s7, v6, vcc_lo
	s_waitcnt vmcnt(0) lgkmcnt(0)
	v_mul_f32_e32 v14, v13, v11
	v_mul_f32_e32 v11, v12, v11
	v_cmp_le_i32_e64 s0, s2, v9
	s_delay_alu instid0(VALU_DEP_3) | instskip(NEXT) | instid1(VALU_DEP_3)
	v_fma_f32 v12, v12, v10, -v14
	v_fmac_f32_e32 v11, v13, v10
	s_delay_alu instid0(VALU_DEP_3) | instskip(NEXT) | instid1(VALU_DEP_1)
	s_or_b32 s19, s0, s19
	v_dual_add_f32 v8, v8, v12 :: v_dual_add_f32 v7, v7, v11
	s_and_not1_b32 exec_lo, exec_lo, s19
	s_cbranch_execnz .LBB323_18
; %bb.19:
	s_or_b32 exec_lo, exec_lo, s19
.LBB323_20:
	s_delay_alu instid0(SALU_CYCLE_1) | instskip(SKIP_2) | instid1(VALU_DEP_1)
	s_or_b32 exec_lo, exec_lo, s18
	v_or_b32_e32 v3, s2, v0
	s_mov_b32 s0, exec_lo
	v_cmpx_gt_i32_e64 s3, v3
	s_cbranch_execz .LBB323_22
; %bb.21:
	v_ashrrev_i32_e32 v6, 31, v3
	v_mul_lo_u32 v9, v3, s13
	v_mad_u64_u32 v[4:5], null, v3, s12, 0
	s_ashr_i32 s3, s2, 31
	s_delay_alu instid0(VALU_DEP_3) | instskip(SKIP_1) | instid1(SALU_CYCLE_1)
	v_mul_lo_u32 v3, v6, s12
	s_lshl_b64 s[2:3], s[2:3], 3
	v_add_co_u32 v1, vcc_lo, v1, s2
	v_add_co_ci_u32_e32 v2, vcc_lo, s3, v2, vcc_lo
	s_delay_alu instid0(VALU_DEP_3) | instskip(NEXT) | instid1(VALU_DEP_1)
	v_add3_u32 v5, v5, v9, v3
	v_lshlrev_b64 v[3:4], 3, v[4:5]
	s_delay_alu instid0(VALU_DEP_1) | instskip(NEXT) | instid1(VALU_DEP_2)
	v_add_co_u32 v3, vcc_lo, s16, v3
	v_add_co_ci_u32_e32 v4, vcc_lo, s17, v4, vcc_lo
	flat_load_b64 v[1:2], v[1:2]
	flat_load_b64 v[3:4], v[3:4]
	s_waitcnt vmcnt(0) lgkmcnt(0)
	v_mul_f32_e32 v5, v4, v2
	v_mul_f32_e32 v2, v3, v2
	s_delay_alu instid0(VALU_DEP_2) | instskip(NEXT) | instid1(VALU_DEP_2)
	v_fma_f32 v3, v3, v1, -v5
	v_fmac_f32_e32 v2, v4, v1
	s_delay_alu instid0(VALU_DEP_1)
	v_dual_add_f32 v8, v8, v3 :: v_dual_add_f32 v7, v7, v2
.LBB323_22:
	s_or_b32 exec_lo, exec_lo, s0
	v_and_b32_e32 v1, 31, v0
	v_cmp_gt_u32_e32 vcc_lo, 32, v0
	s_delay_alu instid0(VALU_DEP_2)
	v_lshlrev_b32_e32 v3, 3, v1
	s_and_saveexec_b32 s0, vcc_lo
	s_cbranch_execz .LBB323_24
; %bb.23:
	v_mov_b32_e32 v4, 0
	s_delay_alu instid0(VALU_DEP_1)
	v_mov_b32_e32 v5, v4
	ds_store_b64 v3, v[4:5]
.LBB323_24:
	s_or_b32 exec_lo, exec_lo, s0
	v_mbcnt_lo_u32_b32 v2, -1, 0
	s_mov_b32 s2, exec_lo
	s_waitcnt lgkmcnt(0)
	s_waitcnt_vscnt null, 0x0
	s_barrier
	buffer_gl0_inv
	v_cmp_gt_u32_e64 s0, 16, v2
	s_delay_alu instid0(VALU_DEP_1) | instskip(SKIP_1) | instid1(VALU_DEP_2)
	v_cndmask_b32_e64 v4, 0, 1, s0
	v_cmp_gt_u32_e64 s0, 24, v2
	v_lshlrev_b32_e32 v4, 4, v4
	s_delay_alu instid0(VALU_DEP_2) | instskip(SKIP_1) | instid1(VALU_DEP_3)
	v_cndmask_b32_e64 v5, 0, 1, s0
	v_cmp_gt_u32_e64 s0, 28, v2
	v_add_lshl_u32 v4, v4, v2, 2
	ds_bpermute_b32 v6, v4, v8
	ds_bpermute_b32 v9, v4, v7
	s_waitcnt lgkmcnt(1)
	v_dual_add_f32 v8, v8, v6 :: v_dual_lshlrev_b32 v5, 3, v5
	s_delay_alu instid0(VALU_DEP_1)
	v_add_lshl_u32 v5, v5, v2, 2
	s_waitcnt lgkmcnt(0)
	v_add_f32_e32 v7, v7, v9
	v_cndmask_b32_e64 v6, 0, 1, s0
	v_cmp_gt_u32_e64 s0, 30, v2
	ds_bpermute_b32 v9, v5, v8
	ds_bpermute_b32 v10, v5, v7
	s_waitcnt lgkmcnt(0)
	v_dual_add_f32 v8, v8, v9 :: v_dual_add_f32 v9, v7, v10
	v_lshlrev_b32_e32 v6, 2, v6
	v_cndmask_b32_e64 v7, 0, 1, s0
	v_cmp_ne_u32_e64 s0, 31, v2
	s_delay_alu instid0(VALU_DEP_3) | instskip(SKIP_4) | instid1(VALU_DEP_1)
	v_add_lshl_u32 v6, v6, v2, 2
	ds_bpermute_b32 v10, v6, v8
	ds_bpermute_b32 v11, v6, v9
	s_waitcnt lgkmcnt(1)
	v_dual_add_f32 v10, v8, v10 :: v_dual_lshlrev_b32 v7, 1, v7
	v_add_lshl_u32 v7, v7, v2, 2
	s_waitcnt lgkmcnt(0)
	v_add_f32_e32 v9, v9, v11
	v_add_co_ci_u32_e64 v2, s0, 0, v2, s0
	ds_bpermute_b32 v11, v7, v10
	ds_bpermute_b32 v12, v7, v9
	v_lshlrev_b32_e32 v8, 2, v2
	s_waitcnt lgkmcnt(1)
	v_add_f32_e32 v2, v10, v11
	s_waitcnt lgkmcnt(0)
	v_add_f32_e32 v10, v9, v12
	ds_bpermute_b32 v9, v8, v2
	ds_bpermute_b32 v11, v8, v10
	v_cmpx_eq_u32_e32 0, v1
	s_cbranch_execz .LBB323_26
; %bb.25:
	v_lshrrev_b32_e32 v1, 2, v0
	s_waitcnt lgkmcnt(0)
	v_add_f32_e32 v10, v10, v11
	v_add_f32_e32 v9, v2, v9
	s_delay_alu instid0(VALU_DEP_3)
	v_and_b32_e32 v1, 0xf8, v1
	ds_store_b64 v1, v[9:10]
.LBB323_26:
	s_or_b32 exec_lo, exec_lo, s2
	v_dual_mov_b32 v2, 0 :: v_dual_mov_b32 v1, 0
	s_waitcnt lgkmcnt(0)
	s_barrier
	buffer_gl0_inv
	s_and_saveexec_b32 s0, vcc_lo
	s_cbranch_execz .LBB323_28
; %bb.27:
	ds_load_b64 v[1:2], v3
.LBB323_28:
	s_or_b32 exec_lo, exec_lo, s0
	s_and_saveexec_b32 s0, vcc_lo
	s_cbranch_execz .LBB323_30
; %bb.29:
	s_waitcnt lgkmcnt(0)
	ds_bpermute_b32 v3, v4, v1
	ds_bpermute_b32 v4, v4, v2
	s_waitcnt lgkmcnt(0)
	v_dual_add_f32 v1, v1, v3 :: v_dual_add_f32 v2, v2, v4
	ds_bpermute_b32 v3, v5, v1
	ds_bpermute_b32 v4, v5, v2
	s_waitcnt lgkmcnt(0)
	v_dual_add_f32 v1, v1, v3 :: v_dual_add_f32 v2, v2, v4
	;; [unrolled: 4-line block ×5, first 2 shown]
.LBB323_30:
	s_or_b32 exec_lo, exec_lo, s0
	s_delay_alu instid0(SALU_CYCLE_1)
	s_mov_b32 s0, exec_lo
	v_cmpx_eq_u32_e32 0, v0
	s_cbranch_execz .LBB323_34
; %bb.31:
	v_cmp_neq_f32_e64 s0, s8, 0
	v_cmp_neq_f32_e64 s2, s9, 0
	s_waitcnt lgkmcnt(0)
	v_mul_f32_e32 v0, s11, v2
	v_mul_f32_e32 v4, s10, v2
	s_mul_hi_u32 s3, s14, s4
	s_mul_i32 s1, s1, s4
	s_or_b32 s0, s0, s2
	s_mul_i32 s2, s14, s5
	v_fma_f32 v3, v1, s10, -v0
	v_fmac_f32_e32 v4, s11, v1
	s_add_i32 s2, s3, s2
	s_and_not1_b32 vcc_lo, exec_lo, s0
	s_add_i32 s1, s2, s1
	s_mul_i32 s0, s14, s4
	s_cbranch_vccnz .LBB323_33
; %bb.32:
	s_lshl_b64 s[2:3], s[0:1], 3
	v_mov_b32_e32 v0, 0
	s_add_u32 s2, s15, s2
	s_addc_u32 s3, s22, s3
	global_load_b64 v[0:1], v0, s[2:3]
	s_waitcnt vmcnt(0)
	v_mul_f32_e32 v2, s9, v1
	v_mul_f32_e32 v1, s8, v1
	s_delay_alu instid0(VALU_DEP_1) | instskip(NEXT) | instid1(VALU_DEP_3)
	v_fmac_f32_e32 v1, s9, v0
	v_fma_f32 v2, s8, v0, -v2
	s_delay_alu instid0(VALU_DEP_1)
	v_dual_add_f32 v4, v4, v1 :: v_dual_add_f32 v3, v3, v2
.LBB323_33:
	s_lshl_b64 s[0:1], s[0:1], 3
	v_mov_b32_e32 v0, 0
	s_add_u32 s0, s15, s0
	s_addc_u32 s1, s22, s1
	global_store_b64 v0, v[3:4], s[0:1]
.LBB323_34:
	s_nop 0
	s_sendmsg sendmsg(MSG_DEALLOC_VGPRS)
	s_endpgm
	.section	.rodata,"a",@progbits
	.p2align	6, 0x0
	.amdhsa_kernel _ZL32rocblas_gemvt_warp_reduce_kernelILb0ELi1024ElPK19rocblas_complex_numIfES1_KPS1_EviiT3_lPKT2_lT1_lS9_lSA_lS6_lPT4_lSA_li
		.amdhsa_group_segment_fixed_size 256
		.amdhsa_private_segment_fixed_size 0
		.amdhsa_kernarg_size 140
		.amdhsa_user_sgpr_count 14
		.amdhsa_user_sgpr_dispatch_ptr 0
		.amdhsa_user_sgpr_queue_ptr 0
		.amdhsa_user_sgpr_kernarg_segment_ptr 1
		.amdhsa_user_sgpr_dispatch_id 0
		.amdhsa_user_sgpr_private_segment_size 0
		.amdhsa_wavefront_size32 1
		.amdhsa_uses_dynamic_stack 0
		.amdhsa_enable_private_segment 0
		.amdhsa_system_sgpr_workgroup_id_x 1
		.amdhsa_system_sgpr_workgroup_id_y 0
		.amdhsa_system_sgpr_workgroup_id_z 1
		.amdhsa_system_sgpr_workgroup_info 0
		.amdhsa_system_vgpr_workitem_id 0
		.amdhsa_next_free_vgpr 15
		.amdhsa_next_free_sgpr 28
		.amdhsa_reserve_vcc 1
		.amdhsa_float_round_mode_32 0
		.amdhsa_float_round_mode_16_64 0
		.amdhsa_float_denorm_mode_32 3
		.amdhsa_float_denorm_mode_16_64 3
		.amdhsa_dx10_clamp 1
		.amdhsa_ieee_mode 1
		.amdhsa_fp16_overflow 0
		.amdhsa_workgroup_processor_mode 1
		.amdhsa_memory_ordered 1
		.amdhsa_forward_progress 0
		.amdhsa_shared_vgpr_count 0
		.amdhsa_exception_fp_ieee_invalid_op 0
		.amdhsa_exception_fp_denorm_src 0
		.amdhsa_exception_fp_ieee_div_zero 0
		.amdhsa_exception_fp_ieee_overflow 0
		.amdhsa_exception_fp_ieee_underflow 0
		.amdhsa_exception_fp_ieee_inexact 0
		.amdhsa_exception_int_div_zero 0
	.end_amdhsa_kernel
	.section	.text._ZL32rocblas_gemvt_warp_reduce_kernelILb0ELi1024ElPK19rocblas_complex_numIfES1_KPS1_EviiT3_lPKT2_lT1_lS9_lSA_lS6_lPT4_lSA_li,"axG",@progbits,_ZL32rocblas_gemvt_warp_reduce_kernelILb0ELi1024ElPK19rocblas_complex_numIfES1_KPS1_EviiT3_lPKT2_lT1_lS9_lSA_lS6_lPT4_lSA_li,comdat
.Lfunc_end323:
	.size	_ZL32rocblas_gemvt_warp_reduce_kernelILb0ELi1024ElPK19rocblas_complex_numIfES1_KPS1_EviiT3_lPKT2_lT1_lS9_lSA_lS6_lPT4_lSA_li, .Lfunc_end323-_ZL32rocblas_gemvt_warp_reduce_kernelILb0ELi1024ElPK19rocblas_complex_numIfES1_KPS1_EviiT3_lPKT2_lT1_lS9_lSA_lS6_lPT4_lSA_li
                                        ; -- End function
	.section	.AMDGPU.csdata,"",@progbits
; Kernel info:
; codeLenInByte = 1888
; NumSgprs: 30
; NumVgprs: 15
; ScratchSize: 0
; MemoryBound: 0
; FloatMode: 240
; IeeeMode: 1
; LDSByteSize: 256 bytes/workgroup (compile time only)
; SGPRBlocks: 3
; VGPRBlocks: 1
; NumSGPRsForWavesPerEU: 30
; NumVGPRsForWavesPerEU: 15
; Occupancy: 16
; WaveLimiterHint : 1
; COMPUTE_PGM_RSRC2:SCRATCH_EN: 0
; COMPUTE_PGM_RSRC2:USER_SGPR: 14
; COMPUTE_PGM_RSRC2:TRAP_HANDLER: 0
; COMPUTE_PGM_RSRC2:TGID_X_EN: 1
; COMPUTE_PGM_RSRC2:TGID_Y_EN: 0
; COMPUTE_PGM_RSRC2:TGID_Z_EN: 1
; COMPUTE_PGM_RSRC2:TIDIG_COMP_CNT: 0
	.section	.text._ZL22rocblas_gemvtsm_kernelILb1ELi256EPK19rocblas_complex_numIfES3_KPS1_EviiT2_lPKT1_lilS9_lilS6_lPT3_lil,"axG",@progbits,_ZL22rocblas_gemvtsm_kernelILb1ELi256EPK19rocblas_complex_numIfES3_KPS1_EviiT2_lPKT1_lilS9_lilS6_lPT3_lil,comdat
	.globl	_ZL22rocblas_gemvtsm_kernelILb1ELi256EPK19rocblas_complex_numIfES3_KPS1_EviiT2_lPKT1_lilS9_lilS6_lPT3_lil ; -- Begin function _ZL22rocblas_gemvtsm_kernelILb1ELi256EPK19rocblas_complex_numIfES3_KPS1_EviiT2_lPKT1_lilS9_lilS6_lPT3_lil
	.p2align	8
	.type	_ZL22rocblas_gemvtsm_kernelILb1ELi256EPK19rocblas_complex_numIfES3_KPS1_EviiT2_lPKT1_lilS9_lilS6_lPT3_lil,@function
_ZL22rocblas_gemvtsm_kernelILb1ELi256EPK19rocblas_complex_numIfES3_KPS1_EviiT2_lPKT1_lilS9_lilS6_lPT3_lil: ; @_ZL22rocblas_gemvtsm_kernelILb1ELi256EPK19rocblas_complex_numIfES3_KPS1_EviiT2_lPKT1_lilS9_lilS6_lPT3_lil
; %bb.0:
	s_mov_b32 s22, s15
	s_clause 0x1
	s_load_b256 s[12:19], s[0:1], 0x8
	s_load_b256 s[4:11], s[0:1], 0x58
	s_mov_b32 s23, 0
	s_waitcnt lgkmcnt(0)
	s_mul_i32 s3, s22, s15
	s_mul_hi_u32 s15, s22, s14
	s_mul_i32 s2, s22, s14
	s_add_i32 s3, s15, s3
	s_delay_alu instid0(SALU_CYCLE_1) | instskip(NEXT) | instid1(SALU_CYCLE_1)
	s_lshl_b64 s[2:3], s[2:3], 3
	s_add_u32 s2, s12, s2
	s_addc_u32 s3, s13, s3
	s_load_b64 s[14:15], s[2:3], 0x0
	s_mul_i32 s3, s22, s7
	s_mul_hi_u32 s7, s22, s6
	s_mul_i32 s2, s22, s6
	s_add_i32 s3, s7, s3
	s_delay_alu instid0(SALU_CYCLE_1) | instskip(NEXT) | instid1(SALU_CYCLE_1)
	s_lshl_b64 s[2:3], s[2:3], 3
	s_add_u32 s2, s4, s2
	s_addc_u32 s3, s5, s3
	s_load_b64 s[2:3], s[2:3], 0x0
	s_waitcnt lgkmcnt(0)
	v_cmp_neq_f32_e64 s4, s14, 0
	v_cmp_neq_f32_e64 s5, s15, 0
	s_delay_alu instid0(VALU_DEP_1) | instskip(NEXT) | instid1(SALU_CYCLE_1)
	s_or_b32 s4, s4, s5
	s_and_b32 vcc_lo, exec_lo, s4
	s_mov_b32 s4, -1
	s_cbranch_vccnz .LBB324_2
; %bb.1:
	v_cmp_neq_f32_e64 s4, s2, 1.0
	v_cmp_neq_f32_e64 s5, s3, 0
	s_delay_alu instid0(VALU_DEP_1)
	s_or_b32 s4, s4, s5
.LBB324_2:
	s_delay_alu instid0(SALU_CYCLE_1)
	s_and_not1_b32 vcc_lo, exec_lo, s4
	s_cbranch_vccnz .LBB324_40
; %bb.3:
	s_or_b32 s4, s14, s15
	s_mov_b64 s[20:21], 0
	s_and_b32 s5, s4, 0x7fffffff
	s_mov_b64 s[12:13], 0
	s_cmp_lg_u32 s5, 0
	s_cselect_b32 s4, -1, 0
	s_cmp_eq_u32 s5, 0
	s_cselect_b32 s7, -1, 0
	s_delay_alu instid0(SALU_CYCLE_1)
	s_and_b32 vcc_lo, exec_lo, s7
	s_cbranch_vccnz .LBB324_5
; %bb.4:
	s_lshl_b64 s[12:13], s[22:23], 3
	s_delay_alu instid0(SALU_CYCLE_1)
	s_add_u32 s12, s16, s12
	s_addc_u32 s13, s17, s13
	s_lshl_b64 s[16:17], s[18:19], 3
	s_load_b64 s[12:13], s[12:13], 0x0
	s_waitcnt lgkmcnt(0)
	s_add_u32 s12, s12, s16
	s_addc_u32 s13, s13, s17
.LBB324_5:
	s_and_not1_b32 vcc_lo, exec_lo, s4
	s_cbranch_vccnz .LBB324_7
; %bb.6:
	s_load_b128 s[16:19], s[0:1], 0x38
	s_lshl_b64 s[4:5], s[22:23], 3
	s_waitcnt lgkmcnt(0)
	s_add_u32 s4, s16, s4
	s_addc_u32 s5, s17, s5
	s_lshl_b64 s[16:17], s[18:19], 3
	s_load_b64 s[4:5], s[4:5], 0x0
	s_waitcnt lgkmcnt(0)
	s_add_u32 s20, s4, s16
	s_addc_u32 s21, s5, s17
.LBB324_7:
	s_lshl_b64 s[4:5], s[22:23], 3
	s_delay_alu instid0(SALU_CYCLE_1)
	s_add_u32 s8, s8, s4
	s_addc_u32 s9, s9, s5
	s_clause 0x1
	s_load_b64 s[4:5], s[0:1], 0x0
	s_load_b32 s6, s[0:1], 0x78
	s_load_b64 s[8:9], s[8:9], 0x0
	s_and_not1_b32 vcc_lo, exec_lo, s7
	s_mov_b32 s7, -1
	s_cbranch_vccnz .LBB324_22
; %bb.8:
	v_cmp_neq_f32_e64 s7, s2, 0
	v_cmp_neq_f32_e64 s16, s3, 0
	s_delay_alu instid0(VALU_DEP_1)
	s_or_b32 s7, s7, s16
	s_waitcnt lgkmcnt(0)
	s_cmp_gt_i32 s5, 0
	s_cselect_b32 s18, -1, 0
	s_and_b32 vcc_lo, exec_lo, s7
	s_mov_b32 s7, -1
	s_cbranch_vccnz .LBB324_15
; %bb.9:
	s_and_not1_b32 vcc_lo, exec_lo, s18
	s_cbranch_vccnz .LBB324_14
; %bb.10:
	v_mad_i64_i32 v[1:2], null, s6, v0, 0
	s_lshl_b64 s[16:17], s[10:11], 3
	s_ashr_i32 s7, s6, 31
	s_add_u32 s16, s8, s16
	s_addc_u32 s17, s9, s17
	v_mov_b32_e32 v3, 0
	s_delay_alu instid0(VALU_DEP_2) | instskip(NEXT) | instid1(VALU_DEP_1)
	v_lshlrev_b64 v[1:2], 3, v[1:2]
	v_add_co_u32 v1, vcc_lo, s16, v1
	s_delay_alu instid0(VALU_DEP_2) | instskip(SKIP_1) | instid1(VALU_DEP_2)
	v_add_co_ci_u32_e32 v2, vcc_lo, s17, v2, vcc_lo
	s_lshl_b64 s[16:17], s[6:7], 11
	v_add_co_u32 v1, vcc_lo, v1, 4
	s_delay_alu instid0(VALU_DEP_2)
	v_add_co_ci_u32_e32 v2, vcc_lo, 0, v2, vcc_lo
	s_mov_b32 s7, 0
	s_branch .LBB324_12
.LBB324_11:                             ;   in Loop: Header=BB324_12 Depth=1
	s_or_b32 exec_lo, exec_lo, s19
	v_add_co_u32 v1, vcc_lo, v1, s16
	v_add_co_ci_u32_e32 v2, vcc_lo, s17, v2, vcc_lo
	s_addk_i32 s7, 0x100
	s_delay_alu instid0(SALU_CYCLE_1)
	s_cmp_ge_i32 s7, s5
	s_cbranch_scc1 .LBB324_14
.LBB324_12:                             ; =>This Inner Loop Header: Depth=1
	v_add_nc_u32_e32 v4, s7, v0
	s_mov_b32 s19, exec_lo
	s_delay_alu instid0(VALU_DEP_1)
	v_cmpx_gt_i32_e64 s5, v4
	s_cbranch_execz .LBB324_11
; %bb.13:                               ;   in Loop: Header=BB324_12 Depth=1
	v_mov_b32_e32 v4, v3
	global_store_b64 v[1:2], v[3:4], off offset:-4
	s_branch .LBB324_11
.LBB324_14:
	s_mov_b32 s7, 0
.LBB324_15:
	s_delay_alu instid0(SALU_CYCLE_1)
	s_and_not1_b32 vcc_lo, exec_lo, s7
	s_cbranch_vccnz .LBB324_21
; %bb.16:
	s_and_not1_b32 vcc_lo, exec_lo, s18
	s_cbranch_vccnz .LBB324_21
; %bb.17:
	v_mad_i64_i32 v[1:2], null, s6, v0, 0
	s_lshl_b64 s[16:17], s[10:11], 3
	s_ashr_i32 s7, s6, 31
	s_add_u32 s16, s8, s16
	s_addc_u32 s17, s9, s17
	s_delay_alu instid0(VALU_DEP_1) | instskip(NEXT) | instid1(VALU_DEP_1)
	v_lshlrev_b64 v[1:2], 3, v[1:2]
	v_add_co_u32 v1, vcc_lo, s16, v1
	s_delay_alu instid0(VALU_DEP_2) | instskip(SKIP_1) | instid1(VALU_DEP_2)
	v_add_co_ci_u32_e32 v2, vcc_lo, s17, v2, vcc_lo
	s_lshl_b64 s[16:17], s[6:7], 11
	v_add_co_u32 v1, vcc_lo, v1, 4
	s_delay_alu instid0(VALU_DEP_2)
	v_add_co_ci_u32_e32 v2, vcc_lo, 0, v2, vcc_lo
	s_mov_b32 s7, 0
	s_branch .LBB324_19
	.p2align	6
.LBB324_18:                             ;   in Loop: Header=BB324_19 Depth=1
	s_or_b32 exec_lo, exec_lo, s18
	v_add_co_u32 v1, vcc_lo, v1, s16
	v_add_co_ci_u32_e32 v2, vcc_lo, s17, v2, vcc_lo
	s_addk_i32 s7, 0x100
	s_delay_alu instid0(SALU_CYCLE_1)
	s_cmp_ge_i32 s7, s5
	s_cbranch_scc1 .LBB324_21
.LBB324_19:                             ; =>This Inner Loop Header: Depth=1
	v_add_nc_u32_e32 v3, s7, v0
	s_mov_b32 s18, exec_lo
	s_delay_alu instid0(VALU_DEP_1)
	v_cmpx_gt_i32_e64 s5, v3
	s_cbranch_execz .LBB324_18
; %bb.20:                               ;   in Loop: Header=BB324_19 Depth=1
	global_load_b64 v[3:4], v[1:2], off offset:-4
	s_waitcnt vmcnt(0)
	v_mul_f32_e32 v5, s2, v4
	s_delay_alu instid0(VALU_DEP_1) | instskip(NEXT) | instid1(VALU_DEP_1)
	v_dual_mul_f32 v6, s3, v4 :: v_dual_fmac_f32 v5, s3, v3
	v_fma_f32 v4, s2, v3, -v6
	global_store_b64 v[1:2], v[4:5], off offset:-4
	s_branch .LBB324_18
.LBB324_21:
	s_mov_b32 s7, 0
.LBB324_22:
	s_delay_alu instid0(SALU_CYCLE_1)
	s_and_not1_b32 vcc_lo, exec_lo, s7
	s_cbranch_vccnz .LBB324_40
; %bb.23:
	s_mov_b32 s7, exec_lo
	s_waitcnt lgkmcnt(0)
	v_cmpx_gt_i32_e64 s4, v0
	s_cbranch_execz .LBB324_25
; %bb.24:
	s_load_b32 s16, s[0:1], 0x48
	s_waitcnt lgkmcnt(0)
	v_mad_i64_i32 v[1:2], null, s16, v0, 0
	s_delay_alu instid0(VALU_DEP_1) | instskip(NEXT) | instid1(VALU_DEP_1)
	v_lshlrev_b64 v[1:2], 3, v[1:2]
	v_add_co_u32 v1, vcc_lo, s20, v1
	s_delay_alu instid0(VALU_DEP_2) | instskip(SKIP_3) | instid1(VALU_DEP_1)
	v_add_co_ci_u32_e32 v2, vcc_lo, s21, v2, vcc_lo
	flat_load_b64 v[1:2], v[1:2]
	s_waitcnt vmcnt(0) lgkmcnt(0)
	v_mul_f32_e32 v3, s14, v2
	v_dual_mul_f32 v4, s15, v2 :: v_dual_fmac_f32 v3, s15, v1
	s_delay_alu instid0(VALU_DEP_1)
	v_fma_f32 v2, v1, s14, -v4
	v_lshlrev_b32_e32 v1, 3, v0
	ds_store_b64 v1, v[2:3]
.LBB324_25:
	s_or_b32 exec_lo, exec_lo, s7
	s_cmp_lt_i32 s5, 1
	s_waitcnt lgkmcnt(0)
	s_waitcnt_vscnt null, 0x0
	s_barrier
	buffer_gl0_inv
	s_cbranch_scc1 .LBB324_40
; %bb.26:
	s_load_b32 s20, s[0:1], 0x28
	s_lshl_b64 s[0:1], s[10:11], 3
	v_cmp_neq_f32_e64 s10, s2, 0
	v_cmp_neq_f32_e64 s11, s3, 0
	s_add_u32 s7, s8, s0
	s_addc_u32 s14, s9, s1
	s_ashr_i32 s15, s6, 31
	s_mov_b32 s1, 0
	s_or_b32 s16, s10, s11
	s_waitcnt lgkmcnt(0)
	v_mad_i64_i32 v[1:2], null, s20, v0, 0
	s_ashr_i32 s21, s20, 31
	s_cmp_gt_i32 s4, 0
	s_cselect_b32 s17, -1, 0
	s_and_b32 s18, s4, 7
	s_cmp_gt_u32 s4, 7
	s_delay_alu instid0(VALU_DEP_1) | instskip(SKIP_3) | instid1(VALU_DEP_1)
	v_lshlrev_b64 v[1:2], 3, v[1:2]
	s_cselect_b32 s19, -1, 0
	s_and_b32 s4, s4, 0x7ffffff8
	s_cmp_lg_u32 s18, 0
	v_add_co_u32 v1, vcc_lo, s12, v1
	s_delay_alu instid0(VALU_DEP_2)
	v_add_co_ci_u32_e32 v2, vcc_lo, s13, v2, vcc_lo
	s_cselect_b32 s12, -1, 0
	s_lshl_b64 s[8:9], s[20:21], 11
	s_mov_b32 s13, 0
	s_branch .LBB324_29
.LBB324_27:                             ;   in Loop: Header=BB324_29 Depth=1
	s_delay_alu instid0(VALU_DEP_2)
	v_add_co_u32 v3, vcc_lo, s7, v3
	v_add_co_ci_u32_e32 v4, vcc_lo, s14, v4, vcc_lo
	global_store_b64 v[3:4], v[5:6], off
.LBB324_28:                             ;   in Loop: Header=BB324_29 Depth=1
	s_or_b32 exec_lo, exec_lo, s20
	v_add_co_u32 v1, vcc_lo, v1, s8
	v_add_co_ci_u32_e32 v2, vcc_lo, s9, v2, vcc_lo
	s_addk_i32 s13, 0x100
	s_delay_alu instid0(SALU_CYCLE_1)
	s_cmp_ge_i32 s13, s5
	s_cbranch_scc1 .LBB324_40
.LBB324_29:                             ; =>This Loop Header: Depth=1
                                        ;     Child Loop BB324_35 Depth 2
                                        ;     Child Loop BB324_39 Depth 2
	v_add_nc_u32_e32 v3, s13, v0
	s_mov_b32 s20, exec_lo
	s_delay_alu instid0(VALU_DEP_1)
	v_cmpx_gt_i32_e64 s5, v3
	s_cbranch_execz .LBB324_28
; %bb.30:                               ;   in Loop: Header=BB324_29 Depth=1
	v_mad_u64_u32 v[6:7], null, v3, s6, 0
	s_and_not1_b32 vcc_lo, exec_lo, s16
	s_delay_alu instid0(VALU_DEP_1) | instskip(NEXT) | instid1(VALU_DEP_1)
	v_mov_b32_e32 v4, v7
	v_mad_u64_u32 v[7:8], null, v3, s15, v[4:5]
	v_mov_b32_e32 v5, 0
	s_delay_alu instid0(VALU_DEP_2)
	v_lshlrev_b64 v[3:4], 3, v[6:7]
	v_mov_b32_e32 v6, 0
	s_cbranch_vccnz .LBB324_32
; %bb.31:                               ;   in Loop: Header=BB324_29 Depth=1
	s_delay_alu instid0(VALU_DEP_2) | instskip(NEXT) | instid1(VALU_DEP_3)
	v_add_co_u32 v5, vcc_lo, s7, v3
	v_add_co_ci_u32_e32 v6, vcc_lo, s14, v4, vcc_lo
	global_load_b64 v[7:8], v[5:6], off
	s_waitcnt vmcnt(0)
	v_mul_f32_e32 v6, s2, v8
	s_delay_alu instid0(VALU_DEP_1) | instskip(NEXT) | instid1(VALU_DEP_1)
	v_dual_mul_f32 v5, s3, v8 :: v_dual_fmac_f32 v6, s3, v7
	v_fma_f32 v5, s2, v7, -v5
.LBB324_32:                             ;   in Loop: Header=BB324_29 Depth=1
	s_and_not1_b32 vcc_lo, exec_lo, s17
	s_cbranch_vccnz .LBB324_27
; %bb.33:                               ;   in Loop: Header=BB324_29 Depth=1
	s_and_not1_b32 vcc_lo, exec_lo, s19
	s_cbranch_vccnz .LBB324_37
; %bb.34:                               ;   in Loop: Header=BB324_29 Depth=1
	v_dual_mov_b32 v8, v2 :: v_dual_mov_b32 v7, v1
	s_mov_b32 s0, 0
	s_mov_b32 s10, 0
.LBB324_35:                             ;   Parent Loop BB324_29 Depth=1
                                        ; =>  This Inner Loop Header: Depth=2
	s_clause 0x3
	flat_load_b128 v[9:12], v[7:8]
	flat_load_b128 v[13:16], v[7:8] offset:16
	flat_load_b128 v[17:20], v[7:8] offset:32
	;; [unrolled: 1-line block ×3, first 2 shown]
	v_mov_b32_e32 v37, s0
	v_add_co_u32 v7, vcc_lo, v7, 64
	v_add_co_ci_u32_e32 v8, vcc_lo, 0, v8, vcc_lo
	ds_load_b128 v[25:28], v37
	ds_load_b128 v[29:32], v37 offset:16
	ds_load_b128 v[33:36], v37 offset:32
	;; [unrolled: 1-line block ×3, first 2 shown]
	s_add_i32 s10, s10, 8
	s_add_i32 s0, s0, 64
	s_cmp_eq_u32 s4, s10
	s_waitcnt vmcnt(3) lgkmcnt(3)
	v_dual_mul_f32 v41, v10, v26 :: v_dual_mul_f32 v42, v12, v28
	s_waitcnt vmcnt(1) lgkmcnt(1)
	v_dual_mul_f32 v44, v16, v32 :: v_dual_mul_f32 v45, v18, v34
	s_delay_alu instid0(VALU_DEP_2)
	v_dual_mul_f32 v46, v20, v36 :: v_dual_fmac_f32 v41, v9, v25
	v_dual_mul_f32 v12, v12, v27 :: v_dual_mul_f32 v43, v14, v30
	v_mul_f32_e32 v20, v20, v35
	s_waitcnt vmcnt(0) lgkmcnt(0)
	v_mul_f32_e32 v48, v24, v40
	v_dual_mul_f32 v24, v24, v39 :: v_dual_fmac_f32 v45, v17, v33
	v_dual_fmac_f32 v42, v11, v27 :: v_dual_add_f32 v5, v5, v41
	v_mul_f32_e32 v14, v14, v29
	v_fmac_f32_e32 v43, v13, v29
	v_mul_f32_e32 v10, v10, v25
	s_delay_alu instid0(VALU_DEP_4) | instskip(SKIP_3) | instid1(VALU_DEP_4)
	v_dual_fmac_f32 v48, v23, v39 :: v_dual_add_f32 v5, v5, v42
	v_mul_f32_e32 v18, v18, v33
	v_fmac_f32_e32 v44, v15, v31
	v_dual_mul_f32 v16, v16, v31 :: v_dual_mul_f32 v47, v22, v38
	v_dual_add_f32 v5, v5, v43 :: v_dual_mul_f32 v22, v22, v37
	v_fma_f32 v9, v9, v26, -v10
	v_fma_f32 v10, v11, v28, -v12
	s_delay_alu instid0(VALU_DEP_3) | instskip(SKIP_1) | instid1(VALU_DEP_2)
	v_dual_fmac_f32 v46, v19, v35 :: v_dual_add_f32 v5, v5, v44
	v_fmac_f32_e32 v47, v21, v37
	v_add_f32_e32 v5, v5, v45
	v_add_f32_e32 v6, v6, v9
	v_fma_f32 v9, v13, v30, -v14
	s_delay_alu instid0(VALU_DEP_3) | instskip(NEXT) | instid1(VALU_DEP_3)
	v_add_f32_e32 v5, v5, v46
	v_add_f32_e32 v6, v6, v10
	v_fma_f32 v10, v15, v32, -v16
	s_delay_alu instid0(VALU_DEP_2) | instskip(SKIP_1) | instid1(VALU_DEP_2)
	v_dual_add_f32 v5, v5, v47 :: v_dual_add_f32 v6, v6, v9
	v_fma_f32 v9, v17, v34, -v18
	v_dual_add_f32 v5, v5, v48 :: v_dual_add_f32 v6, v6, v10
	v_fma_f32 v10, v19, v36, -v20
	s_delay_alu instid0(VALU_DEP_2) | instskip(SKIP_1) | instid1(VALU_DEP_2)
	v_add_f32_e32 v6, v6, v9
	v_fma_f32 v9, v21, v38, -v22
	v_add_f32_e32 v6, v6, v10
	v_fma_f32 v10, v23, v40, -v24
	s_delay_alu instid0(VALU_DEP_2) | instskip(NEXT) | instid1(VALU_DEP_1)
	v_add_f32_e32 v6, v6, v9
	v_add_f32_e32 v6, v6, v10
	s_cbranch_scc0 .LBB324_35
; %bb.36:                               ;   in Loop: Header=BB324_29 Depth=1
	s_mov_b32 s0, s4
	s_and_not1_b32 vcc_lo, exec_lo, s12
	s_cbranch_vccz .LBB324_38
	s_branch .LBB324_27
.LBB324_37:                             ;   in Loop: Header=BB324_29 Depth=1
	s_mov_b32 s0, 0
	s_and_not1_b32 vcc_lo, exec_lo, s12
	s_cbranch_vccnz .LBB324_27
.LBB324_38:                             ;   in Loop: Header=BB324_29 Depth=1
	s_lshl_b32 s21, s0, 3
	s_lshl_b64 s[10:11], s[0:1], 3
	s_mov_b32 s0, s18
	.p2align	6
.LBB324_39:                             ;   Parent Loop BB324_29 Depth=1
                                        ; =>  This Inner Loop Header: Depth=2
	v_add_co_u32 v7, vcc_lo, v1, s10
	v_add_co_ci_u32_e32 v8, vcc_lo, s11, v2, vcc_lo
	v_mov_b32_e32 v9, s21
	s_add_i32 s21, s21, 8
	s_add_u32 s10, s10, 8
	flat_load_b64 v[7:8], v[7:8]
	s_addc_u32 s11, s11, 0
	ds_load_b64 v[9:10], v9
	s_add_i32 s0, s0, -1
	s_delay_alu instid0(SALU_CYCLE_1) | instskip(SKIP_2) | instid1(VALU_DEP_1)
	s_cmp_lg_u32 s0, 0
	s_waitcnt vmcnt(0) lgkmcnt(0)
	v_mul_f32_e32 v11, v8, v10
	v_fmac_f32_e32 v11, v7, v9
	s_delay_alu instid0(VALU_DEP_1) | instskip(NEXT) | instid1(VALU_DEP_1)
	v_dual_mul_f32 v8, v8, v9 :: v_dual_add_f32 v5, v5, v11
	v_fma_f32 v7, v7, v10, -v8
	s_delay_alu instid0(VALU_DEP_1)
	v_add_f32_e32 v6, v6, v7
	s_cbranch_scc1 .LBB324_39
	s_branch .LBB324_27
.LBB324_40:
	s_nop 0
	s_sendmsg sendmsg(MSG_DEALLOC_VGPRS)
	s_endpgm
	.section	.rodata,"a",@progbits
	.p2align	6, 0x0
	.amdhsa_kernel _ZL22rocblas_gemvtsm_kernelILb1ELi256EPK19rocblas_complex_numIfES3_KPS1_EviiT2_lPKT1_lilS9_lilS6_lPT3_lil
		.amdhsa_group_segment_fixed_size 512
		.amdhsa_private_segment_fixed_size 0
		.amdhsa_kernarg_size 136
		.amdhsa_user_sgpr_count 15
		.amdhsa_user_sgpr_dispatch_ptr 0
		.amdhsa_user_sgpr_queue_ptr 0
		.amdhsa_user_sgpr_kernarg_segment_ptr 1
		.amdhsa_user_sgpr_dispatch_id 0
		.amdhsa_user_sgpr_private_segment_size 0
		.amdhsa_wavefront_size32 1
		.amdhsa_uses_dynamic_stack 0
		.amdhsa_enable_private_segment 0
		.amdhsa_system_sgpr_workgroup_id_x 1
		.amdhsa_system_sgpr_workgroup_id_y 0
		.amdhsa_system_sgpr_workgroup_id_z 0
		.amdhsa_system_sgpr_workgroup_info 0
		.amdhsa_system_vgpr_workitem_id 0
		.amdhsa_next_free_vgpr 49
		.amdhsa_next_free_sgpr 24
		.amdhsa_reserve_vcc 1
		.amdhsa_float_round_mode_32 0
		.amdhsa_float_round_mode_16_64 0
		.amdhsa_float_denorm_mode_32 3
		.amdhsa_float_denorm_mode_16_64 3
		.amdhsa_dx10_clamp 1
		.amdhsa_ieee_mode 1
		.amdhsa_fp16_overflow 0
		.amdhsa_workgroup_processor_mode 1
		.amdhsa_memory_ordered 1
		.amdhsa_forward_progress 0
		.amdhsa_shared_vgpr_count 0
		.amdhsa_exception_fp_ieee_invalid_op 0
		.amdhsa_exception_fp_denorm_src 0
		.amdhsa_exception_fp_ieee_div_zero 0
		.amdhsa_exception_fp_ieee_overflow 0
		.amdhsa_exception_fp_ieee_underflow 0
		.amdhsa_exception_fp_ieee_inexact 0
		.amdhsa_exception_int_div_zero 0
	.end_amdhsa_kernel
	.section	.text._ZL22rocblas_gemvtsm_kernelILb1ELi256EPK19rocblas_complex_numIfES3_KPS1_EviiT2_lPKT1_lilS9_lilS6_lPT3_lil,"axG",@progbits,_ZL22rocblas_gemvtsm_kernelILb1ELi256EPK19rocblas_complex_numIfES3_KPS1_EviiT2_lPKT1_lilS9_lilS6_lPT3_lil,comdat
.Lfunc_end324:
	.size	_ZL22rocblas_gemvtsm_kernelILb1ELi256EPK19rocblas_complex_numIfES3_KPS1_EviiT2_lPKT1_lilS9_lilS6_lPT3_lil, .Lfunc_end324-_ZL22rocblas_gemvtsm_kernelILb1ELi256EPK19rocblas_complex_numIfES3_KPS1_EviiT2_lPKT1_lilS9_lilS6_lPT3_lil
                                        ; -- End function
	.section	.AMDGPU.csdata,"",@progbits
; Kernel info:
; codeLenInByte = 1848
; NumSgprs: 26
; NumVgprs: 49
; ScratchSize: 0
; MemoryBound: 0
; FloatMode: 240
; IeeeMode: 1
; LDSByteSize: 512 bytes/workgroup (compile time only)
; SGPRBlocks: 3
; VGPRBlocks: 6
; NumSGPRsForWavesPerEU: 26
; NumVGPRsForWavesPerEU: 49
; Occupancy: 16
; WaveLimiterHint : 1
; COMPUTE_PGM_RSRC2:SCRATCH_EN: 0
; COMPUTE_PGM_RSRC2:USER_SGPR: 15
; COMPUTE_PGM_RSRC2:TRAP_HANDLER: 0
; COMPUTE_PGM_RSRC2:TGID_X_EN: 1
; COMPUTE_PGM_RSRC2:TGID_Y_EN: 0
; COMPUTE_PGM_RSRC2:TGID_Z_EN: 0
; COMPUTE_PGM_RSRC2:TIDIG_COMP_CNT: 0
	.section	.text._ZL22rocblas_gemvtsm_kernelILb1ELi256EPK19rocblas_complex_numIfES1_KPS1_EviiT2_lPKT1_lilS9_lilS6_lPT3_lil,"axG",@progbits,_ZL22rocblas_gemvtsm_kernelILb1ELi256EPK19rocblas_complex_numIfES1_KPS1_EviiT2_lPKT1_lilS9_lilS6_lPT3_lil,comdat
	.globl	_ZL22rocblas_gemvtsm_kernelILb1ELi256EPK19rocblas_complex_numIfES1_KPS1_EviiT2_lPKT1_lilS9_lilS6_lPT3_lil ; -- Begin function _ZL22rocblas_gemvtsm_kernelILb1ELi256EPK19rocblas_complex_numIfES1_KPS1_EviiT2_lPKT1_lilS9_lilS6_lPT3_lil
	.p2align	8
	.type	_ZL22rocblas_gemvtsm_kernelILb1ELi256EPK19rocblas_complex_numIfES1_KPS1_EviiT2_lPKT1_lilS9_lilS6_lPT3_lil,@function
_ZL22rocblas_gemvtsm_kernelILb1ELi256EPK19rocblas_complex_numIfES1_KPS1_EviiT2_lPKT1_lilS9_lilS6_lPT3_lil: ; @_ZL22rocblas_gemvtsm_kernelILb1ELi256EPK19rocblas_complex_numIfES1_KPS1_EviiT2_lPKT1_lilS9_lilS6_lPT3_lil
; %bb.0:
	s_clause 0x1
	s_load_b128 s[4:7], s[0:1], 0x0
	s_load_b64 s[2:3], s[0:1], 0x58
	s_mov_b32 s12, s15
	s_waitcnt lgkmcnt(0)
	v_cmp_neq_f32_e64 s8, s6, 0
	v_cmp_neq_f32_e64 s9, s7, 0
	s_delay_alu instid0(VALU_DEP_1) | instskip(NEXT) | instid1(SALU_CYCLE_1)
	s_or_b32 s8, s8, s9
	s_and_b32 vcc_lo, exec_lo, s8
	s_mov_b32 s8, -1
	s_cbranch_vccnz .LBB325_2
; %bb.1:
	v_cmp_neq_f32_e64 s8, s2, 1.0
	v_cmp_neq_f32_e64 s9, s3, 0
	s_delay_alu instid0(VALU_DEP_1)
	s_or_b32 s8, s8, s9
.LBB325_2:
	s_delay_alu instid0(SALU_CYCLE_1)
	s_and_not1_b32 vcc_lo, exec_lo, s8
	s_cbranch_vccnz .LBB325_42
; %bb.3:
	s_or_b32 s8, s6, s7
	s_mov_b32 s13, 0
	s_and_b32 s9, s8, 0x7fffffff
	s_delay_alu instid0(SALU_CYCLE_1)
	s_cmp_lg_u32 s9, 0
	s_cselect_b32 s8, -1, 0
	s_cmp_eq_u32 s9, 0
	s_cselect_b32 s18, -1, 0
	s_and_b32 vcc_lo, exec_lo, s8
	s_cbranch_vccnz .LBB325_5
; %bb.4:
	s_mov_b64 s[14:15], 0
	s_and_not1_b32 vcc_lo, exec_lo, s13
	s_cbranch_vccz .LBB325_6
	s_branch .LBB325_7
.LBB325_5:
	s_mov_b32 s13, -1
                                        ; implicit-def: $sgpr14_sgpr15
.LBB325_6:
	s_load_b128 s[20:23], s[0:1], 0x18
	s_mov_b32 s13, 0
	s_delay_alu instid0(SALU_CYCLE_1)
	s_lshl_b64 s[10:11], s[12:13], 3
	s_waitcnt lgkmcnt(0)
	s_add_u32 s10, s20, s10
	s_addc_u32 s11, s21, s11
	s_lshl_b64 s[14:15], s[22:23], 3
	s_load_b64 s[10:11], s[10:11], 0x0
	s_waitcnt lgkmcnt(0)
	s_add_u32 s14, s10, s14
	s_addc_u32 s15, s11, s15
.LBB325_7:
	s_and_not1_b32 vcc_lo, exec_lo, s8
	s_mov_b64 s[16:17], 0
	s_cbranch_vccnz .LBB325_9
; %bb.8:
	s_load_b128 s[8:11], s[0:1], 0x38
	s_lshl_b64 s[16:17], s[12:13], 3
	s_waitcnt lgkmcnt(0)
	s_add_u32 s8, s8, s16
	s_addc_u32 s9, s9, s17
	s_lshl_b64 s[10:11], s[10:11], 3
	s_load_b64 s[8:9], s[8:9], 0x0
	s_waitcnt lgkmcnt(0)
	s_add_u32 s16, s8, s10
	s_addc_u32 s17, s9, s11
.LBB325_9:
	s_load_b128 s[8:11], s[0:1], 0x68
	s_lshl_b64 s[20:21], s[12:13], 3
	s_load_b32 s12, s[0:1], 0x78
	s_mov_b32 s13, -1
	s_waitcnt lgkmcnt(0)
	s_add_u32 s8, s8, s20
	s_addc_u32 s9, s9, s21
	s_and_not1_b32 vcc_lo, exec_lo, s18
	s_load_b64 s[8:9], s[8:9], 0x0
	s_cbranch_vccnz .LBB325_24
; %bb.10:
	v_cmp_neq_f32_e64 s13, s2, 0
	v_cmp_neq_f32_e64 s18, s3, 0
	s_delay_alu instid0(VALU_DEP_1)
	s_or_b32 s13, s13, s18
	s_cmp_gt_i32 s5, 0
	s_cselect_b32 s20, -1, 0
	s_and_b32 vcc_lo, exec_lo, s13
	s_mov_b32 s13, -1
	s_cbranch_vccnz .LBB325_17
; %bb.11:
	s_and_not1_b32 vcc_lo, exec_lo, s20
	s_cbranch_vccnz .LBB325_16
; %bb.12:
	v_mad_i64_i32 v[1:2], null, s12, v0, 0
	s_lshl_b64 s[18:19], s[10:11], 3
	s_ashr_i32 s13, s12, 31
	s_waitcnt lgkmcnt(0)
	s_add_u32 s18, s8, s18
	s_addc_u32 s19, s9, s19
	v_mov_b32_e32 v3, 0
	s_delay_alu instid0(VALU_DEP_2) | instskip(NEXT) | instid1(VALU_DEP_1)
	v_lshlrev_b64 v[1:2], 3, v[1:2]
	v_add_co_u32 v1, vcc_lo, s18, v1
	s_delay_alu instid0(VALU_DEP_2) | instskip(SKIP_1) | instid1(VALU_DEP_2)
	v_add_co_ci_u32_e32 v2, vcc_lo, s19, v2, vcc_lo
	s_lshl_b64 s[18:19], s[12:13], 11
	v_add_co_u32 v1, vcc_lo, v1, 4
	s_delay_alu instid0(VALU_DEP_2)
	v_add_co_ci_u32_e32 v2, vcc_lo, 0, v2, vcc_lo
	s_mov_b32 s13, 0
	s_branch .LBB325_14
.LBB325_13:                             ;   in Loop: Header=BB325_14 Depth=1
	s_or_b32 exec_lo, exec_lo, s21
	v_add_co_u32 v1, vcc_lo, v1, s18
	v_add_co_ci_u32_e32 v2, vcc_lo, s19, v2, vcc_lo
	s_addk_i32 s13, 0x100
	s_delay_alu instid0(SALU_CYCLE_1)
	s_cmp_ge_i32 s13, s5
	s_cbranch_scc1 .LBB325_16
.LBB325_14:                             ; =>This Inner Loop Header: Depth=1
	v_add_nc_u32_e32 v4, s13, v0
	s_mov_b32 s21, exec_lo
	s_delay_alu instid0(VALU_DEP_1)
	v_cmpx_gt_i32_e64 s5, v4
	s_cbranch_execz .LBB325_13
; %bb.15:                               ;   in Loop: Header=BB325_14 Depth=1
	v_mov_b32_e32 v4, v3
	global_store_b64 v[1:2], v[3:4], off offset:-4
	s_branch .LBB325_13
.LBB325_16:
	s_mov_b32 s13, 0
.LBB325_17:
	s_delay_alu instid0(SALU_CYCLE_1)
	s_and_not1_b32 vcc_lo, exec_lo, s13
	s_cbranch_vccnz .LBB325_23
; %bb.18:
	s_and_not1_b32 vcc_lo, exec_lo, s20
	s_cbranch_vccnz .LBB325_23
; %bb.19:
	v_mad_i64_i32 v[1:2], null, s12, v0, 0
	s_lshl_b64 s[18:19], s[10:11], 3
	s_ashr_i32 s13, s12, 31
	s_waitcnt lgkmcnt(0)
	s_add_u32 s18, s8, s18
	s_addc_u32 s19, s9, s19
	s_delay_alu instid0(VALU_DEP_1) | instskip(NEXT) | instid1(VALU_DEP_1)
	v_lshlrev_b64 v[1:2], 3, v[1:2]
	v_add_co_u32 v1, vcc_lo, s18, v1
	s_delay_alu instid0(VALU_DEP_2) | instskip(SKIP_1) | instid1(VALU_DEP_2)
	v_add_co_ci_u32_e32 v2, vcc_lo, s19, v2, vcc_lo
	s_lshl_b64 s[18:19], s[12:13], 11
	v_add_co_u32 v1, vcc_lo, v1, 4
	s_delay_alu instid0(VALU_DEP_2)
	v_add_co_ci_u32_e32 v2, vcc_lo, 0, v2, vcc_lo
	s_mov_b32 s13, 0
	s_branch .LBB325_21
	.p2align	6
.LBB325_20:                             ;   in Loop: Header=BB325_21 Depth=1
	s_or_b32 exec_lo, exec_lo, s20
	v_add_co_u32 v1, vcc_lo, v1, s18
	v_add_co_ci_u32_e32 v2, vcc_lo, s19, v2, vcc_lo
	s_addk_i32 s13, 0x100
	s_delay_alu instid0(SALU_CYCLE_1)
	s_cmp_ge_i32 s13, s5
	s_cbranch_scc1 .LBB325_23
.LBB325_21:                             ; =>This Inner Loop Header: Depth=1
	v_add_nc_u32_e32 v3, s13, v0
	s_mov_b32 s20, exec_lo
	s_delay_alu instid0(VALU_DEP_1)
	v_cmpx_gt_i32_e64 s5, v3
	s_cbranch_execz .LBB325_20
; %bb.22:                               ;   in Loop: Header=BB325_21 Depth=1
	global_load_b64 v[3:4], v[1:2], off offset:-4
	s_waitcnt vmcnt(0)
	v_mul_f32_e32 v5, s2, v4
	s_delay_alu instid0(VALU_DEP_1) | instskip(NEXT) | instid1(VALU_DEP_1)
	v_dual_mul_f32 v6, s3, v4 :: v_dual_fmac_f32 v5, s3, v3
	v_fma_f32 v4, s2, v3, -v6
	global_store_b64 v[1:2], v[4:5], off offset:-4
	s_branch .LBB325_20
.LBB325_23:
	s_mov_b32 s13, 0
.LBB325_24:
	s_delay_alu instid0(SALU_CYCLE_1)
	s_and_not1_b32 vcc_lo, exec_lo, s13
	s_cbranch_vccnz .LBB325_42
; %bb.25:
	s_mov_b32 s13, exec_lo
	v_cmpx_gt_i32_e64 s4, v0
	s_cbranch_execz .LBB325_27
; %bb.26:
	s_load_b32 s18, s[0:1], 0x48
	s_waitcnt lgkmcnt(0)
	v_mad_i64_i32 v[1:2], null, s18, v0, 0
	s_delay_alu instid0(VALU_DEP_1) | instskip(NEXT) | instid1(VALU_DEP_1)
	v_lshlrev_b64 v[1:2], 3, v[1:2]
	v_add_co_u32 v1, vcc_lo, s16, v1
	s_delay_alu instid0(VALU_DEP_2) | instskip(SKIP_3) | instid1(VALU_DEP_1)
	v_add_co_ci_u32_e32 v2, vcc_lo, s17, v2, vcc_lo
	flat_load_b64 v[1:2], v[1:2]
	s_waitcnt vmcnt(0) lgkmcnt(0)
	v_mul_f32_e32 v3, s6, v2
	v_dual_mul_f32 v4, s7, v2 :: v_dual_fmac_f32 v3, s7, v1
	s_delay_alu instid0(VALU_DEP_1)
	v_fma_f32 v2, v1, s6, -v4
	v_lshlrev_b32_e32 v1, 3, v0
	ds_store_b64 v1, v[2:3]
.LBB325_27:
	s_or_b32 exec_lo, exec_lo, s13
	s_cmp_lt_i32 s5, 1
	s_waitcnt lgkmcnt(0)
	s_waitcnt_vscnt null, 0x0
	s_barrier
	buffer_gl0_inv
	s_cbranch_scc1 .LBB325_42
; %bb.28:
	s_load_b32 s6, s[0:1], 0x28
	v_cmp_neq_f32_e64 s16, s2, 0
	v_cmp_neq_f32_e64 s17, s3, 0
	s_lshl_b64 s[0:1], s[10:11], 3
	s_delay_alu instid0(SALU_CYCLE_1)
	s_add_u32 s10, s8, s0
	s_addc_u32 s11, s9, s1
	s_ashr_i32 s13, s12, 31
	s_or_b32 s16, s16, s17
	s_mov_b32 s1, 0
	s_waitcnt lgkmcnt(0)
	v_mad_i64_i32 v[1:2], null, s6, v0, 0
	s_ashr_i32 s7, s6, 31
	s_cmp_gt_i32 s4, 0
	s_cselect_b32 s17, -1, 0
	s_and_b32 s18, s4, 7
	s_cmp_gt_u32 s4, 7
	s_delay_alu instid0(VALU_DEP_1) | instskip(SKIP_3) | instid1(VALU_DEP_1)
	v_lshlrev_b64 v[1:2], 3, v[1:2]
	s_cselect_b32 s19, -1, 0
	s_and_b32 s4, s4, 0x7ffffff8
	s_cmp_lg_u32 s18, 0
	v_add_co_u32 v1, vcc_lo, s14, v1
	s_delay_alu instid0(VALU_DEP_2)
	v_add_co_ci_u32_e32 v2, vcc_lo, s15, v2, vcc_lo
	s_cselect_b32 s14, -1, 0
	s_lshl_b64 s[6:7], s[6:7], 11
	s_mov_b32 s15, 0
	s_branch .LBB325_31
.LBB325_29:                             ;   in Loop: Header=BB325_31 Depth=1
	s_delay_alu instid0(VALU_DEP_2)
	v_add_co_u32 v3, vcc_lo, s10, v3
	v_add_co_ci_u32_e32 v4, vcc_lo, s11, v4, vcc_lo
	global_store_b64 v[3:4], v[5:6], off
.LBB325_30:                             ;   in Loop: Header=BB325_31 Depth=1
	s_or_b32 exec_lo, exec_lo, s20
	v_add_co_u32 v1, vcc_lo, v1, s6
	v_add_co_ci_u32_e32 v2, vcc_lo, s7, v2, vcc_lo
	s_addk_i32 s15, 0x100
	s_delay_alu instid0(SALU_CYCLE_1)
	s_cmp_ge_i32 s15, s5
	s_cbranch_scc1 .LBB325_42
.LBB325_31:                             ; =>This Loop Header: Depth=1
                                        ;     Child Loop BB325_37 Depth 2
                                        ;     Child Loop BB325_41 Depth 2
	v_add_nc_u32_e32 v3, s15, v0
	s_mov_b32 s20, exec_lo
	s_delay_alu instid0(VALU_DEP_1)
	v_cmpx_gt_i32_e64 s5, v3
	s_cbranch_execz .LBB325_30
; %bb.32:                               ;   in Loop: Header=BB325_31 Depth=1
	v_mad_u64_u32 v[6:7], null, v3, s12, 0
	s_and_not1_b32 vcc_lo, exec_lo, s16
	s_delay_alu instid0(VALU_DEP_1) | instskip(NEXT) | instid1(VALU_DEP_1)
	v_mov_b32_e32 v4, v7
	v_mad_u64_u32 v[7:8], null, v3, s13, v[4:5]
	v_mov_b32_e32 v5, 0
	s_delay_alu instid0(VALU_DEP_2)
	v_lshlrev_b64 v[3:4], 3, v[6:7]
	v_mov_b32_e32 v6, 0
	s_cbranch_vccnz .LBB325_34
; %bb.33:                               ;   in Loop: Header=BB325_31 Depth=1
	s_delay_alu instid0(VALU_DEP_2) | instskip(NEXT) | instid1(VALU_DEP_3)
	v_add_co_u32 v5, vcc_lo, s10, v3
	v_add_co_ci_u32_e32 v6, vcc_lo, s11, v4, vcc_lo
	global_load_b64 v[7:8], v[5:6], off
	s_waitcnt vmcnt(0)
	v_mul_f32_e32 v6, s2, v8
	s_delay_alu instid0(VALU_DEP_1) | instskip(NEXT) | instid1(VALU_DEP_1)
	v_dual_mul_f32 v5, s3, v8 :: v_dual_fmac_f32 v6, s3, v7
	v_fma_f32 v5, s2, v7, -v5
.LBB325_34:                             ;   in Loop: Header=BB325_31 Depth=1
	s_and_not1_b32 vcc_lo, exec_lo, s17
	s_cbranch_vccnz .LBB325_29
; %bb.35:                               ;   in Loop: Header=BB325_31 Depth=1
	s_and_not1_b32 vcc_lo, exec_lo, s19
	s_cbranch_vccnz .LBB325_39
; %bb.36:                               ;   in Loop: Header=BB325_31 Depth=1
	v_dual_mov_b32 v8, v2 :: v_dual_mov_b32 v7, v1
	s_mov_b32 s0, 0
	s_mov_b32 s8, 0
.LBB325_37:                             ;   Parent Loop BB325_31 Depth=1
                                        ; =>  This Inner Loop Header: Depth=2
	s_clause 0x3
	flat_load_b128 v[9:12], v[7:8]
	flat_load_b128 v[13:16], v[7:8] offset:16
	flat_load_b128 v[17:20], v[7:8] offset:32
	;; [unrolled: 1-line block ×3, first 2 shown]
	v_mov_b32_e32 v37, s0
	v_add_co_u32 v7, vcc_lo, v7, 64
	v_add_co_ci_u32_e32 v8, vcc_lo, 0, v8, vcc_lo
	ds_load_b128 v[25:28], v37
	ds_load_b128 v[29:32], v37 offset:16
	ds_load_b128 v[33:36], v37 offset:32
	;; [unrolled: 1-line block ×3, first 2 shown]
	s_add_i32 s8, s8, 8
	s_add_i32 s0, s0, 64
	s_cmp_eq_u32 s4, s8
	s_waitcnt vmcnt(3) lgkmcnt(3)
	v_dual_mul_f32 v41, v10, v26 :: v_dual_mul_f32 v42, v12, v28
	s_waitcnt vmcnt(1) lgkmcnt(1)
	v_dual_mul_f32 v44, v16, v32 :: v_dual_mul_f32 v45, v18, v34
	s_delay_alu instid0(VALU_DEP_2)
	v_dual_mul_f32 v46, v20, v36 :: v_dual_fmac_f32 v41, v9, v25
	v_dual_mul_f32 v12, v12, v27 :: v_dual_mul_f32 v43, v14, v30
	v_mul_f32_e32 v20, v20, v35
	s_waitcnt vmcnt(0) lgkmcnt(0)
	v_mul_f32_e32 v48, v24, v40
	v_dual_mul_f32 v24, v24, v39 :: v_dual_fmac_f32 v45, v17, v33
	v_dual_fmac_f32 v42, v11, v27 :: v_dual_add_f32 v5, v5, v41
	v_mul_f32_e32 v14, v14, v29
	v_fmac_f32_e32 v43, v13, v29
	v_mul_f32_e32 v10, v10, v25
	s_delay_alu instid0(VALU_DEP_4) | instskip(SKIP_3) | instid1(VALU_DEP_4)
	v_dual_fmac_f32 v48, v23, v39 :: v_dual_add_f32 v5, v5, v42
	v_mul_f32_e32 v18, v18, v33
	v_fmac_f32_e32 v44, v15, v31
	v_dual_mul_f32 v16, v16, v31 :: v_dual_mul_f32 v47, v22, v38
	v_dual_add_f32 v5, v5, v43 :: v_dual_mul_f32 v22, v22, v37
	v_fma_f32 v9, v9, v26, -v10
	v_fma_f32 v10, v11, v28, -v12
	s_delay_alu instid0(VALU_DEP_3) | instskip(SKIP_1) | instid1(VALU_DEP_2)
	v_dual_fmac_f32 v46, v19, v35 :: v_dual_add_f32 v5, v5, v44
	v_fmac_f32_e32 v47, v21, v37
	v_add_f32_e32 v5, v5, v45
	v_add_f32_e32 v6, v6, v9
	v_fma_f32 v9, v13, v30, -v14
	s_delay_alu instid0(VALU_DEP_3) | instskip(NEXT) | instid1(VALU_DEP_3)
	v_add_f32_e32 v5, v5, v46
	v_add_f32_e32 v6, v6, v10
	v_fma_f32 v10, v15, v32, -v16
	s_delay_alu instid0(VALU_DEP_2) | instskip(SKIP_1) | instid1(VALU_DEP_2)
	v_dual_add_f32 v5, v5, v47 :: v_dual_add_f32 v6, v6, v9
	v_fma_f32 v9, v17, v34, -v18
	v_dual_add_f32 v5, v5, v48 :: v_dual_add_f32 v6, v6, v10
	v_fma_f32 v10, v19, v36, -v20
	s_delay_alu instid0(VALU_DEP_2) | instskip(SKIP_1) | instid1(VALU_DEP_2)
	v_add_f32_e32 v6, v6, v9
	v_fma_f32 v9, v21, v38, -v22
	v_add_f32_e32 v6, v6, v10
	v_fma_f32 v10, v23, v40, -v24
	s_delay_alu instid0(VALU_DEP_2) | instskip(NEXT) | instid1(VALU_DEP_1)
	v_add_f32_e32 v6, v6, v9
	v_add_f32_e32 v6, v6, v10
	s_cbranch_scc0 .LBB325_37
; %bb.38:                               ;   in Loop: Header=BB325_31 Depth=1
	s_mov_b32 s0, s4
	s_and_not1_b32 vcc_lo, exec_lo, s14
	s_cbranch_vccz .LBB325_40
	s_branch .LBB325_29
.LBB325_39:                             ;   in Loop: Header=BB325_31 Depth=1
	s_mov_b32 s0, 0
	s_and_not1_b32 vcc_lo, exec_lo, s14
	s_cbranch_vccnz .LBB325_29
.LBB325_40:                             ;   in Loop: Header=BB325_31 Depth=1
	s_lshl_b32 s21, s0, 3
	s_lshl_b64 s[8:9], s[0:1], 3
	s_mov_b32 s0, s18
	.p2align	6
.LBB325_41:                             ;   Parent Loop BB325_31 Depth=1
                                        ; =>  This Inner Loop Header: Depth=2
	v_add_co_u32 v7, vcc_lo, v1, s8
	v_add_co_ci_u32_e32 v8, vcc_lo, s9, v2, vcc_lo
	v_mov_b32_e32 v9, s21
	s_add_i32 s21, s21, 8
	s_add_u32 s8, s8, 8
	flat_load_b64 v[7:8], v[7:8]
	s_addc_u32 s9, s9, 0
	ds_load_b64 v[9:10], v9
	s_add_i32 s0, s0, -1
	s_delay_alu instid0(SALU_CYCLE_1) | instskip(SKIP_2) | instid1(VALU_DEP_1)
	s_cmp_lg_u32 s0, 0
	s_waitcnt vmcnt(0) lgkmcnt(0)
	v_mul_f32_e32 v11, v8, v10
	v_fmac_f32_e32 v11, v7, v9
	s_delay_alu instid0(VALU_DEP_1) | instskip(NEXT) | instid1(VALU_DEP_1)
	v_dual_mul_f32 v8, v8, v9 :: v_dual_add_f32 v5, v5, v11
	v_fma_f32 v7, v7, v10, -v8
	s_delay_alu instid0(VALU_DEP_1)
	v_add_f32_e32 v6, v6, v7
	s_cbranch_scc1 .LBB325_41
	s_branch .LBB325_29
.LBB325_42:
	s_nop 0
	s_sendmsg sendmsg(MSG_DEALLOC_VGPRS)
	s_endpgm
	.section	.rodata,"a",@progbits
	.p2align	6, 0x0
	.amdhsa_kernel _ZL22rocblas_gemvtsm_kernelILb1ELi256EPK19rocblas_complex_numIfES1_KPS1_EviiT2_lPKT1_lilS9_lilS6_lPT3_lil
		.amdhsa_group_segment_fixed_size 512
		.amdhsa_private_segment_fixed_size 0
		.amdhsa_kernarg_size 136
		.amdhsa_user_sgpr_count 15
		.amdhsa_user_sgpr_dispatch_ptr 0
		.amdhsa_user_sgpr_queue_ptr 0
		.amdhsa_user_sgpr_kernarg_segment_ptr 1
		.amdhsa_user_sgpr_dispatch_id 0
		.amdhsa_user_sgpr_private_segment_size 0
		.amdhsa_wavefront_size32 1
		.amdhsa_uses_dynamic_stack 0
		.amdhsa_enable_private_segment 0
		.amdhsa_system_sgpr_workgroup_id_x 1
		.amdhsa_system_sgpr_workgroup_id_y 0
		.amdhsa_system_sgpr_workgroup_id_z 0
		.amdhsa_system_sgpr_workgroup_info 0
		.amdhsa_system_vgpr_workitem_id 0
		.amdhsa_next_free_vgpr 49
		.amdhsa_next_free_sgpr 24
		.amdhsa_reserve_vcc 1
		.amdhsa_float_round_mode_32 0
		.amdhsa_float_round_mode_16_64 0
		.amdhsa_float_denorm_mode_32 3
		.amdhsa_float_denorm_mode_16_64 3
		.amdhsa_dx10_clamp 1
		.amdhsa_ieee_mode 1
		.amdhsa_fp16_overflow 0
		.amdhsa_workgroup_processor_mode 1
		.amdhsa_memory_ordered 1
		.amdhsa_forward_progress 0
		.amdhsa_shared_vgpr_count 0
		.amdhsa_exception_fp_ieee_invalid_op 0
		.amdhsa_exception_fp_denorm_src 0
		.amdhsa_exception_fp_ieee_div_zero 0
		.amdhsa_exception_fp_ieee_overflow 0
		.amdhsa_exception_fp_ieee_underflow 0
		.amdhsa_exception_fp_ieee_inexact 0
		.amdhsa_exception_int_div_zero 0
	.end_amdhsa_kernel
	.section	.text._ZL22rocblas_gemvtsm_kernelILb1ELi256EPK19rocblas_complex_numIfES1_KPS1_EviiT2_lPKT1_lilS9_lilS6_lPT3_lil,"axG",@progbits,_ZL22rocblas_gemvtsm_kernelILb1ELi256EPK19rocblas_complex_numIfES1_KPS1_EviiT2_lPKT1_lilS9_lilS6_lPT3_lil,comdat
.Lfunc_end325:
	.size	_ZL22rocblas_gemvtsm_kernelILb1ELi256EPK19rocblas_complex_numIfES1_KPS1_EviiT2_lPKT1_lilS9_lilS6_lPT3_lil, .Lfunc_end325-_ZL22rocblas_gemvtsm_kernelILb1ELi256EPK19rocblas_complex_numIfES1_KPS1_EviiT2_lPKT1_lilS9_lilS6_lPT3_lil
                                        ; -- End function
	.section	.AMDGPU.csdata,"",@progbits
; Kernel info:
; codeLenInByte = 1796
; NumSgprs: 26
; NumVgprs: 49
; ScratchSize: 0
; MemoryBound: 0
; FloatMode: 240
; IeeeMode: 1
; LDSByteSize: 512 bytes/workgroup (compile time only)
; SGPRBlocks: 3
; VGPRBlocks: 6
; NumSGPRsForWavesPerEU: 26
; NumVGPRsForWavesPerEU: 49
; Occupancy: 16
; WaveLimiterHint : 1
; COMPUTE_PGM_RSRC2:SCRATCH_EN: 0
; COMPUTE_PGM_RSRC2:USER_SGPR: 15
; COMPUTE_PGM_RSRC2:TRAP_HANDLER: 0
; COMPUTE_PGM_RSRC2:TGID_X_EN: 1
; COMPUTE_PGM_RSRC2:TGID_Y_EN: 0
; COMPUTE_PGM_RSRC2:TGID_Z_EN: 0
; COMPUTE_PGM_RSRC2:TIDIG_COMP_CNT: 0
	.section	.text._ZL23rocblas_gemvt_sn_kernelILb1ELi256ELi4EiPK19rocblas_complex_numIfES3_S1_EviiT4_lPKT3_lilS7_lilPT5_i,"axG",@progbits,_ZL23rocblas_gemvt_sn_kernelILb1ELi256ELi4EiPK19rocblas_complex_numIfES3_S1_EviiT4_lPKT3_lilS7_lilPT5_i,comdat
	.globl	_ZL23rocblas_gemvt_sn_kernelILb1ELi256ELi4EiPK19rocblas_complex_numIfES3_S1_EviiT4_lPKT3_lilS7_lilPT5_i ; -- Begin function _ZL23rocblas_gemvt_sn_kernelILb1ELi256ELi4EiPK19rocblas_complex_numIfES3_S1_EviiT4_lPKT3_lilS7_lilPT5_i
	.p2align	8
	.type	_ZL23rocblas_gemvt_sn_kernelILb1ELi256ELi4EiPK19rocblas_complex_numIfES3_S1_EviiT4_lPKT3_lilS7_lilPT5_i,@function
_ZL23rocblas_gemvt_sn_kernelILb1ELi256ELi4EiPK19rocblas_complex_numIfES3_S1_EviiT4_lPKT3_lilS7_lilPT5_i: ; @_ZL23rocblas_gemvt_sn_kernelILb1ELi256ELi4EiPK19rocblas_complex_numIfES3_S1_EviiT4_lPKT3_lilS7_lilPT5_i
; %bb.0:
	s_load_b256 s[4:11], s[0:1], 0x8
	s_mov_b32 s16, s15
	s_mov_b32 s17, 0
	s_mov_b64 s[12:13], 0
	s_waitcnt lgkmcnt(0)
	s_mul_i32 s3, s15, s7
	s_mul_hi_u32 s7, s15, s6
	s_mul_i32 s2, s15, s6
	s_add_i32 s3, s7, s3
	s_delay_alu instid0(SALU_CYCLE_1) | instskip(NEXT) | instid1(SALU_CYCLE_1)
	s_lshl_b64 s[2:3], s[2:3], 3
	s_add_u32 s2, s4, s2
	s_addc_u32 s3, s5, s3
	s_mov_b64 s[4:5], 0
	s_load_b64 s[6:7], s[2:3], 0x0
	s_waitcnt lgkmcnt(0)
	s_or_b32 s2, s6, s7
	s_delay_alu instid0(SALU_CYCLE_1) | instskip(NEXT) | instid1(SALU_CYCLE_1)
	s_and_b32 s3, s2, 0x7fffffff
	s_cmp_lg_u32 s3, 0
	s_cselect_b32 s2, -1, 0
	s_cmp_eq_u32 s3, 0
	s_cselect_b32 s3, -1, 0
	s_delay_alu instid0(SALU_CYCLE_1)
	s_and_b32 vcc_lo, exec_lo, s3
	s_cbranch_vccnz .LBB326_2
; %bb.1:
	s_lshl_b64 s[4:5], s[16:17], 3
	s_delay_alu instid0(SALU_CYCLE_1)
	s_add_u32 s4, s8, s4
	s_addc_u32 s5, s9, s5
	s_lshl_b64 s[8:9], s[10:11], 3
	s_load_b64 s[4:5], s[4:5], 0x0
	s_waitcnt lgkmcnt(0)
	s_add_u32 s4, s4, s8
	s_addc_u32 s5, s5, s9
.LBB326_2:
	s_and_not1_b32 vcc_lo, exec_lo, s2
	s_cbranch_vccnz .LBB326_4
; %bb.3:
	s_load_b128 s[8:11], s[0:1], 0x38
	s_lshl_b64 s[12:13], s[16:17], 3
	s_waitcnt lgkmcnt(0)
	s_add_u32 s8, s8, s12
	s_addc_u32 s9, s9, s13
	s_lshl_b64 s[10:11], s[10:11], 3
	s_load_b64 s[8:9], s[8:9], 0x0
	s_waitcnt lgkmcnt(0)
	s_add_u32 s12, s8, s10
	s_addc_u32 s13, s9, s11
.LBB326_4:
	s_clause 0x2
	s_load_b64 s[8:9], s[0:1], 0x0
	s_load_b32 s10, s[0:1], 0x68
	s_load_b64 s[18:19], s[0:1], 0x58
	s_and_not1_b32 vcc_lo, exec_lo, s3
	v_cmp_eq_u32_e64 s2, 0, v0
	s_mov_b32 s11, 0
	s_waitcnt lgkmcnt(0)
	s_ashr_i32 s22, s9, 31
	s_mul_hi_u32 s3, s9, s16
	s_mul_i32 s15, s22, s16
	s_mul_i32 s16, s9, s16
	s_add_i32 s3, s3, s15
	s_mul_hi_u32 s15, s16, s10
	s_mul_i32 s3, s3, s10
	s_mul_i32 s16, s16, s10
	s_add_i32 s17, s15, s3
	s_mov_b32 s3, -1
	s_cbranch_vccnz .LBB326_9
; %bb.5:
	s_cmp_gt_i32 s9, 0
	s_cselect_b32 s3, -1, 0
	s_delay_alu instid0(SALU_CYCLE_1) | instskip(NEXT) | instid1(SALU_CYCLE_1)
	s_and_b32 s2, s2, s3
	s_and_saveexec_b32 s23, s2
	s_cbranch_execz .LBB326_8
; %bb.6:
	s_mov_b32 s15, 0
	v_mov_b32_e32 v1, 0
	s_lshl_b64 s[2:3], s[16:17], 3
	s_lshl_b64 s[20:21], s[14:15], 3
	s_delay_alu instid0(SALU_CYCLE_1)
	s_add_u32 s2, s2, s20
	s_addc_u32 s3, s3, s21
	s_add_u32 s2, s2, s18
	v_mov_b32_e32 v2, v1
	s_addc_u32 s3, s3, s19
	s_add_u32 s2, s2, 4
	s_addc_u32 s3, s3, 0
	s_lshl_b64 s[20:21], s[10:11], 3
	s_mov_b32 s11, s9
.LBB326_7:                              ; =>This Inner Loop Header: Depth=1
	s_delay_alu instid0(SALU_CYCLE_1)
	s_add_i32 s11, s11, -1
	global_store_b64 v1, v[1:2], s[2:3] offset:-4
	s_add_u32 s2, s2, s20
	s_addc_u32 s3, s3, s21
	s_cmp_eq_u32 s11, 0
	s_cbranch_scc0 .LBB326_7
.LBB326_8:
	s_or_b32 exec_lo, exec_lo, s23
	s_mov_b32 s3, 0
.LBB326_9:
	s_delay_alu instid0(SALU_CYCLE_1)
	s_and_not1_b32 vcc_lo, exec_lo, s3
	s_cbranch_vccnz .LBB326_80
; %bb.10:
	s_lshl_b64 s[2:3], s[16:17], 3
	s_clause 0x1
	s_load_b32 s11, s[0:1], 0x28
	s_load_b32 s26, s[0:1], 0x48
	s_add_u32 s30, s18, s2
	s_addc_u32 s29, s19, s3
	s_lshl_b32 s2, s14, 10
	s_ashr_i32 s0, s8, 31
	v_lshl_or_b32 v2, v0, 2, s2
	s_lshr_b32 s0, s0, 30
	s_lshr_b32 s1, s22, 30
	s_add_i32 s0, s8, s0
	s_add_i32 s1, s9, s1
	v_ashrrev_i32_e32 v3, 31, v2
	s_and_b32 s0, s0, -4
	s_and_b32 s15, s1, -4
	s_sub_i32 s27, s8, s0
	v_add_nc_u32_e32 v27, 4, v2
	v_lshlrev_b64 v[3:4], 3, v[2:3]
	v_add_nc_u32_e32 v28, s27, v2
	v_and_b32_e32 v25, 31, v0
	v_cmp_gt_u32_e64 s0, 32, v0
	v_mbcnt_lo_u32_b32 v26, -1, 0
	s_waitcnt lgkmcnt(0)
	v_mul_lo_u32 v1, v2, s26
	v_add_co_u32 v21, vcc_lo, s4, v3
	v_add_co_ci_u32_e32 v22, vcc_lo, s5, v4, vcc_lo
	v_cmp_gt_u32_e64 s1, 8, v0
	v_lshrrev_b32_e32 v24, 2, v0
	v_or_b32_e64 v23, 0, 4
	s_cmp_lt_i32 s15, 1
	s_cbranch_scc1 .LBB326_57
; %bb.11:
	v_cmp_gt_u32_e32 vcc_lo, 16, v26
	v_mul_lo_u32 v2, v2, s26
	v_cmp_ge_i32_e64 s2, s8, v27
	v_cmp_ge_i32_e64 s3, s8, v28
	v_cmp_eq_u32_e64 s4, 0, v25
	v_cndmask_b32_e64 v3, 0, 1, vcc_lo
	v_cmp_gt_u32_e32 vcc_lo, 24, v26
	v_lshlrev_b32_e32 v34, 3, v25
	v_and_b32_e32 v35, 56, v24
	v_cmp_eq_u32_e64 s5, 0, v0
	v_lshlrev_b32_e32 v3, 4, v3
	v_cndmask_b32_e64 v4, 0, 1, vcc_lo
	v_cmp_gt_u32_e32 vcc_lo, 28, v26
	v_or_b32_e64 v36, 0, 4
	s_cmp_gt_i32 s27, 0
	v_add_lshl_u32 v29, v3, v26, 2
	v_lshlrev_b32_e32 v3, 3, v4
	v_cndmask_b32_e64 v5, 0, 1, vcc_lo
	v_cmp_gt_u32_e32 vcc_lo, 30, v26
	s_mov_b32 s17, 0
	s_cselect_b32 s31, -1, 0
	v_add_lshl_u32 v30, v3, v26, 2
	v_lshlrev_b32_e32 v4, 2, v5
	v_cndmask_b32_e64 v6, 0, 1, vcc_lo
	v_cmp_ne_u32_e32 vcc_lo, 31, v26
	v_ashrrev_i32_e32 v3, 31, v2
	s_lshl_b32 s33, s11, 2
	v_add_lshl_u32 v31, v4, v26, 2
	v_lshlrev_b32_e32 v5, 1, v6
	v_add_co_ci_u32_e32 v6, vcc_lo, 0, v26, vcc_lo
	v_add_nc_u32_e32 v4, s26, v2
	v_lshlrev_b64 v[8:9], 3, v[2:3]
	s_delay_alu instid0(VALU_DEP_4) | instskip(NEXT) | instid1(VALU_DEP_4)
	v_add_lshl_u32 v32, v5, v26, 2
	v_lshlrev_b32_e32 v33, 2, v6
	s_lshl_b32 s34, s11, 1
	v_add_nc_u32_e32 v6, s26, v4
	v_ashrrev_i32_e32 v5, 31, v4
	v_add_co_u32 v3, vcc_lo, s12, v8
	s_mul_i32 s35, s11, 3
	s_delay_alu instid0(VALU_DEP_3) | instskip(SKIP_3) | instid1(VALU_DEP_4)
	v_add_nc_u32_e32 v12, s26, v6
	v_ashrrev_i32_e32 v7, 31, v6
	v_lshlrev_b64 v[10:11], 3, v[4:5]
	v_add_co_ci_u32_e32 v4, vcc_lo, s13, v9, vcc_lo
	v_ashrrev_i32_e32 v13, 31, v12
	s_delay_alu instid0(VALU_DEP_4) | instskip(SKIP_1) | instid1(VALU_DEP_4)
	v_lshlrev_b64 v[7:8], 3, v[6:7]
	s_mov_b32 s18, s17
	v_add_co_u32 v5, vcc_lo, s12, v10
	s_delay_alu instid0(VALU_DEP_3)
	v_lshlrev_b64 v[9:10], 3, v[12:13]
	v_add_co_ci_u32_e32 v6, vcc_lo, s13, v11, vcc_lo
	v_mov_b32_e32 v11, 0
	v_add_co_u32 v7, vcc_lo, s12, v7
	v_add_co_ci_u32_e32 v8, vcc_lo, s13, v8, vcc_lo
	v_add_co_u32 v9, vcc_lo, s12, v9
	v_add_co_ci_u32_e32 v10, vcc_lo, s13, v10, vcc_lo
	s_mov_b32 s36, s11
	s_mov_b32 s28, 0
	s_branch .LBB326_13
.LBB326_12:                             ;   in Loop: Header=BB326_13 Depth=1
	s_or_b32 exec_lo, exec_lo, s19
	s_add_i32 s28, s28, 4
	s_add_i32 s36, s36, s33
	;; [unrolled: 1-line block ×5, first 2 shown]
	s_cmp_ge_i32 s28, s15
	s_cbranch_scc1 .LBB326_58
.LBB326_13:                             ; =>This Loop Header: Depth=1
                                        ;     Child Loop BB326_44 Depth 2
                                        ;     Child Loop BB326_46 Depth 2
                                        ; implicit-def: $vgpr14
                                        ; implicit-def: $vgpr37
                                        ; implicit-def: $vgpr15
                                        ; implicit-def: $vgpr16
                                        ; implicit-def: $vgpr17
                                        ; implicit-def: $vgpr18
                                        ; implicit-def: $vgpr20
                                        ; implicit-def: $vgpr19
	s_and_saveexec_b32 s16, s2
	s_delay_alu instid0(SALU_CYCLE_1)
	s_xor_b32 s16, exec_lo, s16
	s_cbranch_execnz .LBB326_40
; %bb.14:                               ;   in Loop: Header=BB326_13 Depth=1
	s_and_not1_saveexec_b32 s16, s16
	s_cbranch_execnz .LBB326_41
.LBB326_15:                             ;   in Loop: Header=BB326_13 Depth=1
	s_or_b32 exec_lo, exec_lo, s16
	s_and_saveexec_b32 s16, s0
	s_cbranch_execz .LBB326_17
.LBB326_16:                             ;   in Loop: Header=BB326_13 Depth=1
	v_mov_b32_e32 v12, v11
	ds_store_b64 v34, v[11:12]
.LBB326_17:                             ;   in Loop: Header=BB326_13 Depth=1
	s_or_b32 exec_lo, exec_lo, s16
	ds_bpermute_b32 v12, v29, v14
	ds_bpermute_b32 v13, v29, v37
	s_waitcnt lgkmcnt(0)
	s_waitcnt_vscnt null, 0x0
	s_barrier
	buffer_gl0_inv
	v_dual_add_f32 v12, v14, v12 :: v_dual_add_f32 v13, v37, v13
	ds_bpermute_b32 v14, v30, v12
	ds_bpermute_b32 v37, v30, v13
	s_waitcnt lgkmcnt(0)
	v_dual_add_f32 v12, v12, v14 :: v_dual_add_f32 v13, v13, v37
	ds_bpermute_b32 v14, v31, v12
	ds_bpermute_b32 v37, v31, v13
	s_waitcnt lgkmcnt(0)
	;; [unrolled: 4-line block ×3, first 2 shown]
	v_dual_add_f32 v12, v12, v14 :: v_dual_add_f32 v13, v13, v37
	ds_bpermute_b32 v14, v33, v12
	ds_bpermute_b32 v37, v33, v13
	s_and_saveexec_b32 s16, s4
	s_cbranch_execz .LBB326_19
; %bb.18:                               ;   in Loop: Header=BB326_13 Depth=1
	s_waitcnt lgkmcnt(0)
	v_dual_add_f32 v13, v13, v37 :: v_dual_add_f32 v12, v12, v14
	ds_store_b64 v35, v[12:13]
.LBB326_19:                             ;   in Loop: Header=BB326_13 Depth=1
	s_or_b32 exec_lo, exec_lo, s16
	s_waitcnt lgkmcnt(1)
	v_dual_mov_b32 v14, 0 :: v_dual_mov_b32 v13, 0
	s_waitcnt lgkmcnt(0)
	s_barrier
	buffer_gl0_inv
	s_and_saveexec_b32 s16, s1
	s_cbranch_execnz .LBB326_48
; %bb.20:                               ;   in Loop: Header=BB326_13 Depth=1
	s_or_b32 exec_lo, exec_lo, s16
	s_and_saveexec_b32 s16, s0
	s_cbranch_execnz .LBB326_49
.LBB326_21:                             ;   in Loop: Header=BB326_13 Depth=1
	s_or_b32 exec_lo, exec_lo, s16
	s_and_saveexec_b32 s16, s0
	s_cbranch_execz .LBB326_23
.LBB326_22:                             ;   in Loop: Header=BB326_13 Depth=1
	v_mov_b32_e32 v12, v11
	ds_store_b64 v34, v[11:12]
.LBB326_23:                             ;   in Loop: Header=BB326_13 Depth=1
	s_or_b32 exec_lo, exec_lo, s16
	ds_bpermute_b32 v12, v29, v15
	ds_bpermute_b32 v37, v29, v16
	s_waitcnt lgkmcnt(0)
	s_barrier
	buffer_gl0_inv
	v_dual_add_f32 v12, v15, v12 :: v_dual_add_f32 v15, v16, v37
	ds_bpermute_b32 v16, v30, v12
	ds_bpermute_b32 v37, v30, v15
	s_waitcnt lgkmcnt(0)
	v_dual_add_f32 v12, v12, v16 :: v_dual_add_f32 v15, v15, v37
	ds_bpermute_b32 v16, v31, v12
	ds_bpermute_b32 v37, v31, v15
	s_waitcnt lgkmcnt(0)
	;; [unrolled: 4-line block ×3, first 2 shown]
	v_dual_add_f32 v12, v12, v16 :: v_dual_add_f32 v15, v15, v37
	ds_bpermute_b32 v16, v33, v12
	ds_bpermute_b32 v37, v33, v15
	s_and_saveexec_b32 s16, s4
	s_cbranch_execz .LBB326_25
; %bb.24:                               ;   in Loop: Header=BB326_13 Depth=1
	s_waitcnt lgkmcnt(0)
	v_dual_add_f32 v38, v15, v37 :: v_dual_add_f32 v37, v12, v16
	ds_store_b64 v35, v[37:38]
.LBB326_25:                             ;   in Loop: Header=BB326_13 Depth=1
	s_or_b32 exec_lo, exec_lo, s16
	s_waitcnt lgkmcnt(1)
	v_dual_mov_b32 v16, 0 :: v_dual_mov_b32 v15, 0
	s_waitcnt lgkmcnt(0)
	s_barrier
	buffer_gl0_inv
	s_and_saveexec_b32 s16, s1
	s_cbranch_execnz .LBB326_50
; %bb.26:                               ;   in Loop: Header=BB326_13 Depth=1
	s_or_b32 exec_lo, exec_lo, s16
	s_and_saveexec_b32 s16, s0
	s_cbranch_execnz .LBB326_51
.LBB326_27:                             ;   in Loop: Header=BB326_13 Depth=1
	s_or_b32 exec_lo, exec_lo, s16
	s_and_saveexec_b32 s16, s0
	s_cbranch_execz .LBB326_29
.LBB326_28:                             ;   in Loop: Header=BB326_13 Depth=1
	v_mov_b32_e32 v12, v11
	ds_store_b64 v34, v[11:12]
.LBB326_29:                             ;   in Loop: Header=BB326_13 Depth=1
	s_or_b32 exec_lo, exec_lo, s16
	ds_bpermute_b32 v12, v29, v17
	ds_bpermute_b32 v37, v29, v18
	s_waitcnt lgkmcnt(0)
	s_barrier
	buffer_gl0_inv
	v_dual_add_f32 v12, v17, v12 :: v_dual_add_f32 v17, v18, v37
	ds_bpermute_b32 v18, v30, v12
	ds_bpermute_b32 v37, v30, v17
	s_waitcnt lgkmcnt(0)
	v_dual_add_f32 v12, v12, v18 :: v_dual_add_f32 v17, v17, v37
	ds_bpermute_b32 v18, v31, v12
	ds_bpermute_b32 v37, v31, v17
	s_waitcnt lgkmcnt(0)
	;; [unrolled: 4-line block ×3, first 2 shown]
	v_dual_add_f32 v12, v12, v18 :: v_dual_add_f32 v17, v17, v37
	ds_bpermute_b32 v18, v33, v12
	ds_bpermute_b32 v37, v33, v17
	s_and_saveexec_b32 s16, s4
	s_cbranch_execz .LBB326_31
; %bb.30:                               ;   in Loop: Header=BB326_13 Depth=1
	s_waitcnt lgkmcnt(0)
	v_dual_add_f32 v38, v17, v37 :: v_dual_add_f32 v37, v12, v18
	ds_store_b64 v35, v[37:38]
.LBB326_31:                             ;   in Loop: Header=BB326_13 Depth=1
	s_or_b32 exec_lo, exec_lo, s16
	s_waitcnt lgkmcnt(1)
	v_dual_mov_b32 v18, 0 :: v_dual_mov_b32 v17, 0
	s_waitcnt lgkmcnt(0)
	s_barrier
	buffer_gl0_inv
	s_and_saveexec_b32 s16, s1
	s_cbranch_execnz .LBB326_52
; %bb.32:                               ;   in Loop: Header=BB326_13 Depth=1
	s_or_b32 exec_lo, exec_lo, s16
	s_and_saveexec_b32 s16, s0
	s_cbranch_execnz .LBB326_53
.LBB326_33:                             ;   in Loop: Header=BB326_13 Depth=1
	s_or_b32 exec_lo, exec_lo, s16
	s_and_saveexec_b32 s16, s0
	s_cbranch_execz .LBB326_35
.LBB326_34:                             ;   in Loop: Header=BB326_13 Depth=1
	v_mov_b32_e32 v12, v11
	ds_store_b64 v34, v[11:12]
.LBB326_35:                             ;   in Loop: Header=BB326_13 Depth=1
	s_or_b32 exec_lo, exec_lo, s16
	ds_bpermute_b32 v12, v29, v20
	ds_bpermute_b32 v37, v29, v19
	s_waitcnt lgkmcnt(0)
	s_barrier
	buffer_gl0_inv
	v_dual_add_f32 v12, v20, v12 :: v_dual_add_f32 v19, v19, v37
	ds_bpermute_b32 v20, v30, v12
	ds_bpermute_b32 v37, v30, v19
	s_waitcnt lgkmcnt(0)
	v_dual_add_f32 v12, v12, v20 :: v_dual_add_f32 v19, v19, v37
	ds_bpermute_b32 v20, v31, v12
	ds_bpermute_b32 v37, v31, v19
	s_waitcnt lgkmcnt(0)
	;; [unrolled: 4-line block ×3, first 2 shown]
	v_dual_add_f32 v12, v12, v20 :: v_dual_add_f32 v19, v19, v37
	ds_bpermute_b32 v20, v33, v12
	ds_bpermute_b32 v37, v33, v19
	s_and_saveexec_b32 s16, s4
	s_cbranch_execz .LBB326_37
; %bb.36:                               ;   in Loop: Header=BB326_13 Depth=1
	s_waitcnt lgkmcnt(0)
	v_dual_add_f32 v38, v19, v37 :: v_dual_add_f32 v37, v12, v20
	ds_store_b64 v35, v[37:38]
.LBB326_37:                             ;   in Loop: Header=BB326_13 Depth=1
	s_or_b32 exec_lo, exec_lo, s16
	s_waitcnt lgkmcnt(1)
	v_dual_mov_b32 v20, 0 :: v_dual_mov_b32 v19, 0
	s_waitcnt lgkmcnt(0)
	s_barrier
	buffer_gl0_inv
	s_and_saveexec_b32 s16, s1
	s_cbranch_execnz .LBB326_54
; %bb.38:                               ;   in Loop: Header=BB326_13 Depth=1
	s_or_b32 exec_lo, exec_lo, s16
	s_and_saveexec_b32 s16, s0
	s_cbranch_execnz .LBB326_55
.LBB326_39:                             ;   in Loop: Header=BB326_13 Depth=1
	s_or_b32 exec_lo, exec_lo, s16
	s_and_saveexec_b32 s19, s5
	s_cbranch_execz .LBB326_12
	s_branch .LBB326_56
.LBB326_40:                             ;   in Loop: Header=BB326_13 Depth=1
	s_mul_i32 s20, s28, s11
	s_delay_alu instid0(SALU_CYCLE_1)
	s_ashr_i32 s21, s20, 31
	s_add_i32 s22, s20, s11
	s_lshl_b64 s[20:21], s[20:21], 3
	s_ashr_i32 s23, s22, 31
	v_add_co_u32 v16, vcc_lo, v21, s20
	v_add_co_ci_u32_e32 v17, vcc_lo, s21, v22, vcc_lo
	s_lshl_b64 s[20:21], s[22:23], 3
	s_delay_alu instid0(SALU_CYCLE_1)
	v_add_co_u32 v50, vcc_lo, v21, s20
	s_add_i32 s20, s22, s11
	flat_load_b128 v[12:15], v[16:17]
	v_add_co_ci_u32_e32 v51, vcc_lo, s21, v22, vcc_lo
	s_ashr_i32 s21, s20, 31
	s_clause 0x3
	flat_load_b64 v[38:39], v[3:4]
	flat_load_b64 v[40:41], v[5:6]
	;; [unrolled: 1-line block ×4, first 2 shown]
	s_lshl_b64 s[22:23], s[20:21], 3
	s_add_i32 s20, s20, s11
	v_add_co_u32 v58, vcc_lo, v21, s22
	s_waitcnt lgkmcnt(5)
	s_clause 0x1
	flat_load_b128 v[16:19], v[16:17] offset:16
	flat_load_b128 v[46:49], v[50:51]
	s_ashr_i32 s21, s20, 31
	v_add_co_ci_u32_e32 v59, vcc_lo, s23, v22, vcc_lo
	s_lshl_b64 s[20:21], s[20:21], 3
	s_clause 0x1
	flat_load_b128 v[50:53], v[50:51] offset:16
	flat_load_b128 v[54:57], v[58:59]
	v_add_co_u32 v66, vcc_lo, v21, s20
	v_add_co_ci_u32_e32 v67, vcc_lo, s21, v22, vcc_lo
	s_clause 0x2
	flat_load_b128 v[58:61], v[58:59] offset:16
	flat_load_b128 v[62:65], v[66:67]
	flat_load_b128 v[66:69], v[66:67] offset:16
	s_waitcnt vmcnt(9) lgkmcnt(9)
	scratch_store_b128 off, v[38:41], off
	s_waitcnt vmcnt(7) lgkmcnt(7)
	scratch_store_b128 off, v[42:45], off offset:16
	v_dual_mul_f32 v20, v13, v39 :: v_dual_mul_f32 v37, v15, v41
	v_mul_f32_e32 v13, v13, v38
	v_mul_f32_e32 v15, v15, v40
	s_waitcnt vmcnt(6) lgkmcnt(6)
	v_mul_f32_e32 v70, v43, v17
	v_dual_fmac_f32 v20, v12, v38 :: v_dual_mul_f32 v17, v42, v17
	s_waitcnt vmcnt(5) lgkmcnt(5)
	v_mul_f32_e32 v72, v47, v39
	v_mul_f32_e32 v47, v47, v38
	v_dual_mul_f32 v71, v45, v19 :: v_dual_fmac_f32 v70, v42, v16
	s_waitcnt vmcnt(3) lgkmcnt(3)
	s_delay_alu instid0(VALU_DEP_3)
	v_dual_mul_f32 v77, v57, v41 :: v_dual_fmac_f32 v72, v46, v38
	v_add_f32_e32 v20, 0, v20
	v_fma_f32 v46, v46, v39, -v47
	v_mul_f32_e32 v19, v44, v19
	v_dual_mul_f32 v73, v49, v41 :: v_dual_mul_f32 v74, v43, v51
	v_dual_mul_f32 v49, v49, v40 :: v_dual_mul_f32 v76, v55, v39
	s_waitcnt vmcnt(2) lgkmcnt(2)
	v_dual_mul_f32 v75, v45, v53 :: v_dual_mul_f32 v78, v43, v59
	v_mul_f32_e32 v53, v44, v53
	v_fma_f32 v12, v12, v39, -v13
	v_dual_fmac_f32 v37, v14, v40 :: v_dual_add_f32 v46, 0, v46
	v_fma_f32 v13, v14, v41, -v15
	v_fma_f32 v14, v43, v16, -v17
	s_waitcnt vmcnt(1) lgkmcnt(1)
	v_mul_f32_e32 v16, v63, v39
	v_dual_mul_f32 v17, v63, v38 :: v_dual_add_f32 v20, v20, v37
	v_dual_mul_f32 v51, v42, v51 :: v_dual_add_f32 v12, 0, v12
	v_fma_f32 v15, v45, v18, -v19
	s_delay_alu instid0(VALU_DEP_4)
	v_dual_mul_f32 v19, v65, v40 :: v_dual_fmac_f32 v16, v62, v38
	v_fma_f32 v47, v48, v41, -v49
	v_fma_f32 v17, v62, v39, -v17
	v_dual_fmac_f32 v71, v44, v18 :: v_dual_mul_f32 v18, v65, v41
	v_mul_f32_e32 v55, v55, v38
	v_dual_mul_f32 v57, v57, v40 :: v_dual_fmac_f32 v74, v42, v50
	v_dual_mul_f32 v79, v45, v61 :: v_dual_fmac_f32 v76, v54, v38
	s_waitcnt vmcnt(0) lgkmcnt(0)
	v_dual_mul_f32 v65, v42, v67 :: v_dual_add_f32 v12, v12, v13
	v_fma_f32 v49, v45, v52, -v53
	v_fmac_f32_e32 v77, v56, v40
	v_fmac_f32_e32 v73, v48, v40
	v_fma_f32 v48, v43, v50, -v51
	v_fmac_f32_e32 v18, v64, v40
	v_fma_f32 v50, v54, v39, -v55
	v_mul_f32_e32 v63, v43, v67
	v_dual_mul_f32 v67, v45, v69 :: v_dual_add_f32 v20, v20, v70
	v_fma_f32 v19, v64, v41, -v19
	v_dual_add_f32 v13, 0, v16 :: v_dual_add_f32 v16, 0, v17
	v_add_f32_e32 v37, v46, v47
	v_mul_f32_e32 v59, v42, v59
	v_mul_f32_e32 v69, v44, v69
	v_fma_f32 v51, v56, v41, -v57
	v_fma_f32 v54, v43, v66, -v65
	v_fmac_f32_e32 v67, v44, v68
	v_add_f32_e32 v56, 0, v72
	v_dual_add_f32 v57, 0, v76 :: v_dual_add_f32 v12, v12, v14
	v_add_f32_e32 v50, 0, v50
	v_dual_fmac_f32 v63, v42, v66 :: v_dual_add_f32 v16, v16, v19
	v_dual_add_f32 v14, v20, v71 :: v_dual_add_f32 v13, v13, v18
	v_dual_add_f32 v18, v37, v48 :: v_dual_mul_f32 v61, v44, v61
	v_dual_fmac_f32 v78, v42, v58 :: v_dual_fmac_f32 v75, v44, v52
	v_fma_f32 v52, v43, v58, -v59
	v_add_f32_e32 v47, v50, v51
	v_add_f32_e32 v37, v12, v15
	v_dual_add_f32 v12, v13, v63 :: v_dual_add_f32 v13, v16, v54
	v_add_f32_e32 v16, v18, v49
	v_add_f32_e32 v46, v57, v77
	;; [unrolled: 1-line block ×3, first 2 shown]
	v_fma_f32 v53, v45, v60, -v61
	v_fma_f32 v55, v45, v68, -v69
	s_delay_alu instid0(VALU_DEP_4) | instskip(SKIP_2) | instid1(VALU_DEP_2)
	v_dual_add_f32 v20, v12, v67 :: v_dual_add_f32 v19, v46, v78
	v_add_f32_e32 v46, v47, v52
	v_fmac_f32_e32 v79, v44, v60
	v_dual_add_f32 v17, v17, v74 :: v_dual_add_f32 v18, v46, v53
	s_delay_alu instid0(VALU_DEP_1) | instskip(NEXT) | instid1(VALU_DEP_3)
	v_add_f32_e32 v15, v17, v75
	v_add_f32_e32 v17, v19, v79
	;; [unrolled: 1-line block ×3, first 2 shown]
	s_and_not1_saveexec_b32 s16, s16
	s_cbranch_execz .LBB326_15
.LBB326_41:                             ;   in Loop: Header=BB326_13 Depth=1
	v_dual_mov_b32 v14, 0 :: v_dual_mov_b32 v37, 0
	v_dual_mov_b32 v15, 0 :: v_dual_mov_b32 v16, 0
	v_dual_mov_b32 v17, 0 :: v_dual_mov_b32 v18, 0
	s_waitcnt lgkmcnt(0)
	v_dual_mov_b32 v20, 0 :: v_dual_mov_b32 v19, 0
	s_and_saveexec_b32 s37, s3
	s_cbranch_execz .LBB326_47
; %bb.42:                               ;   in Loop: Header=BB326_13 Depth=1
	v_dual_mov_b32 v14, 0 :: v_dual_mov_b32 v37, 0
	v_dual_mov_b32 v15, 0 :: v_dual_mov_b32 v16, 0
	;; [unrolled: 1-line block ×4, first 2 shown]
	s_and_not1_b32 vcc_lo, exec_lo, s31
	s_cbranch_vccnz .LBB326_47
; %bb.43:                               ;   in Loop: Header=BB326_13 Depth=1
	v_mov_b32_e32 v14, 0
	v_mov_b32_e32 v12, v2
	s_mov_b32 s19, s27
.LBB326_44:                             ;   Parent Loop BB326_13 Depth=1
                                        ; =>  This Inner Loop Header: Depth=2
	s_delay_alu instid0(VALU_DEP_1) | instskip(SKIP_1) | instid1(SALU_CYCLE_1)
	v_ashrrev_i32_e32 v13, 31, v12
	s_add_i32 s19, s19, -1
	s_cmp_eq_u32 s19, 0
	s_delay_alu instid0(VALU_DEP_1) | instskip(SKIP_1) | instid1(VALU_DEP_2)
	v_lshlrev_b64 v[15:16], 3, v[12:13]
	v_add_nc_u32_e32 v12, s26, v12
	v_add_co_u32 v15, vcc_lo, s12, v15
	s_delay_alu instid0(VALU_DEP_3)
	v_add_co_ci_u32_e32 v16, vcc_lo, s13, v16, vcc_lo
	flat_load_b64 v[15:16], v[15:16]
	s_waitcnt vmcnt(0) lgkmcnt(0)
	scratch_store_b64 v14, v[15:16], off
	v_add_nc_u32_e32 v14, 8, v14
	s_cbranch_scc0 .LBB326_44
; %bb.45:                               ;   in Loop: Header=BB326_13 Depth=1
	s_ashr_i32 s19, s18, 31
	v_dual_mov_b32 v19, 0 :: v_dual_mov_b32 v38, v36
	s_lshl_b64 s[20:21], s[18:19], 3
	v_dual_mov_b32 v20, 0 :: v_dual_mov_b32 v17, 0
	v_add_co_u32 v12, vcc_lo, v21, s20
	v_add_co_ci_u32_e32 v13, vcc_lo, s21, v22, vcc_lo
	v_dual_mov_b32 v18, 0 :: v_dual_mov_b32 v15, 0
	v_dual_mov_b32 v16, 0 :: v_dual_mov_b32 v37, 0
	v_mov_b32_e32 v14, 0
	s_mov_b32 s20, s35
	s_mov_b32 s22, s34
	;; [unrolled: 1-line block ×4, first 2 shown]
.LBB326_46:                             ;   Parent Loop BB326_13 Depth=1
                                        ; =>  This Inner Loop Header: Depth=2
	s_ashr_i32 s25, s24, 31
	s_ashr_i32 s23, s22, 31
	s_lshl_b64 s[38:39], s[24:25], 3
	s_lshl_b64 s[40:41], s[22:23], 3
	v_add_co_u32 v43, vcc_lo, v21, s38
	s_ashr_i32 s21, s20, 31
	v_add_co_ci_u32_e32 v44, vcc_lo, s39, v22, vcc_lo
	v_add_co_u32 v45, vcc_lo, v21, s40
	s_lshl_b64 s[42:43], s[20:21], 3
	v_add_co_ci_u32_e32 v46, vcc_lo, s41, v22, vcc_lo
	v_add_co_u32 v47, vcc_lo, v21, s42
	v_add_co_ci_u32_e32 v48, vcc_lo, s43, v22, vcc_lo
	scratch_load_b64 v[39:40], v38, off offset:-4
	flat_load_b64 v[41:42], v[12:13]
	s_clause 0x2
	flat_load_b64 v[43:44], v[43:44]
	flat_load_b64 v[45:46], v[45:46]
	;; [unrolled: 1-line block ×3, first 2 shown]
	v_add_co_u32 v12, vcc_lo, v12, 8
	v_add_co_ci_u32_e32 v13, vcc_lo, 0, v13, vcc_lo
	s_add_i32 s19, s19, -1
	s_add_i32 s24, s24, 1
	s_add_i32 s22, s22, 1
	;; [unrolled: 1-line block ×3, first 2 shown]
	s_cmp_lg_u32 s19, 0
	s_waitcnt vmcnt(3) lgkmcnt(3)
	v_mul_f32_e32 v49, v40, v42
	s_waitcnt vmcnt(0) lgkmcnt(0)
	v_dual_mul_f32 v42, v39, v42 :: v_dual_mul_f32 v51, v40, v48
	v_mul_f32_e32 v50, v40, v46
	s_delay_alu instid0(VALU_DEP_3) | instskip(NEXT) | instid1(VALU_DEP_3)
	v_dual_fmac_f32 v49, v39, v41 :: v_dual_add_nc_u32 v38, 8, v38
	v_fma_f32 v41, v40, v41, -v42
	v_mul_f32_e32 v42, v40, v44
	v_mul_f32_e32 v44, v39, v44
	v_mul_f32_e32 v46, v39, v46
	v_fmac_f32_e32 v51, v39, v47
	v_add_f32_e32 v37, v37, v41
	v_fmac_f32_e32 v50, v39, v45
	v_mul_f32_e32 v48, v39, v48
	v_fmac_f32_e32 v42, v39, v43
	v_fma_f32 v41, v40, v43, -v44
	v_fma_f32 v43, v40, v45, -v46
	v_add_f32_e32 v17, v17, v50
	v_fma_f32 v39, v40, v47, -v48
	v_dual_add_f32 v14, v14, v49 :: v_dual_add_f32 v15, v15, v42
	v_add_f32_e32 v16, v16, v41
	v_add_f32_e32 v18, v18, v43
	s_delay_alu instid0(VALU_DEP_4)
	v_add_f32_e32 v19, v19, v39
	v_add_f32_e32 v20, v20, v51
	s_cbranch_scc1 .LBB326_46
.LBB326_47:                             ;   in Loop: Header=BB326_13 Depth=1
	s_or_b32 exec_lo, exec_lo, s37
	s_delay_alu instid0(SALU_CYCLE_1)
	s_or_b32 exec_lo, exec_lo, s16
	s_and_saveexec_b32 s16, s0
	s_cbranch_execnz .LBB326_16
	s_branch .LBB326_17
.LBB326_48:                             ;   in Loop: Header=BB326_13 Depth=1
	ds_load_b64 v[13:14], v34
	s_or_b32 exec_lo, exec_lo, s16
	s_and_saveexec_b32 s16, s0
	s_cbranch_execz .LBB326_21
.LBB326_49:                             ;   in Loop: Header=BB326_13 Depth=1
	s_waitcnt lgkmcnt(0)
	ds_bpermute_b32 v12, v31, v13
	ds_bpermute_b32 v37, v31, v14
	s_waitcnt lgkmcnt(0)
	v_dual_add_f32 v12, v13, v12 :: v_dual_add_f32 v13, v14, v37
	ds_bpermute_b32 v14, v32, v12
	ds_bpermute_b32 v37, v32, v13
	s_waitcnt lgkmcnt(1)
	v_add_f32_e32 v12, v12, v14
	s_waitcnt lgkmcnt(0)
	v_add_f32_e32 v14, v13, v37
	ds_bpermute_b32 v13, v33, v12
	ds_bpermute_b32 v37, v33, v14
	s_waitcnt lgkmcnt(1)
	v_add_f32_e32 v13, v12, v13
	s_waitcnt lgkmcnt(0)
	v_add_f32_e32 v14, v14, v37
	s_or_b32 exec_lo, exec_lo, s16
	s_and_saveexec_b32 s16, s0
	s_cbranch_execnz .LBB326_22
	s_branch .LBB326_23
.LBB326_50:                             ;   in Loop: Header=BB326_13 Depth=1
	ds_load_b64 v[15:16], v34
	s_or_b32 exec_lo, exec_lo, s16
	s_and_saveexec_b32 s16, s0
	s_cbranch_execz .LBB326_27
.LBB326_51:                             ;   in Loop: Header=BB326_13 Depth=1
	s_waitcnt lgkmcnt(0)
	ds_bpermute_b32 v12, v31, v15
	ds_bpermute_b32 v37, v31, v16
	s_waitcnt lgkmcnt(0)
	v_dual_add_f32 v12, v15, v12 :: v_dual_add_f32 v15, v16, v37
	ds_bpermute_b32 v16, v32, v12
	ds_bpermute_b32 v37, v32, v15
	s_waitcnt lgkmcnt(1)
	v_add_f32_e32 v12, v12, v16
	s_waitcnt lgkmcnt(0)
	v_add_f32_e32 v16, v15, v37
	ds_bpermute_b32 v15, v33, v12
	s_waitcnt lgkmcnt(0)
	v_add_f32_e32 v15, v12, v15
	ds_bpermute_b32 v37, v33, v16
	s_waitcnt lgkmcnt(0)
	v_add_f32_e32 v16, v16, v37
	s_or_b32 exec_lo, exec_lo, s16
	s_and_saveexec_b32 s16, s0
	s_cbranch_execnz .LBB326_28
	s_branch .LBB326_29
.LBB326_52:                             ;   in Loop: Header=BB326_13 Depth=1
	ds_load_b64 v[17:18], v34
	s_or_b32 exec_lo, exec_lo, s16
	s_and_saveexec_b32 s16, s0
	s_cbranch_execz .LBB326_33
.LBB326_53:                             ;   in Loop: Header=BB326_13 Depth=1
	s_waitcnt lgkmcnt(0)
	ds_bpermute_b32 v12, v31, v17
	ds_bpermute_b32 v37, v31, v18
	s_waitcnt lgkmcnt(0)
	v_dual_add_f32 v12, v17, v12 :: v_dual_add_f32 v17, v18, v37
	ds_bpermute_b32 v18, v32, v12
	ds_bpermute_b32 v37, v32, v17
	s_waitcnt lgkmcnt(1)
	v_add_f32_e32 v12, v12, v18
	s_waitcnt lgkmcnt(0)
	v_add_f32_e32 v18, v17, v37
	ds_bpermute_b32 v17, v33, v12
	ds_bpermute_b32 v37, v33, v18
	s_waitcnt lgkmcnt(1)
	v_add_f32_e32 v17, v12, v17
	s_waitcnt lgkmcnt(0)
	v_add_f32_e32 v18, v18, v37
	s_or_b32 exec_lo, exec_lo, s16
	s_and_saveexec_b32 s16, s0
	s_cbranch_execnz .LBB326_34
	s_branch .LBB326_35
.LBB326_54:                             ;   in Loop: Header=BB326_13 Depth=1
	ds_load_b64 v[19:20], v34
	s_or_b32 exec_lo, exec_lo, s16
	s_and_saveexec_b32 s16, s0
	s_cbranch_execz .LBB326_39
.LBB326_55:                             ;   in Loop: Header=BB326_13 Depth=1
	s_waitcnt lgkmcnt(0)
	ds_bpermute_b32 v12, v31, v19
	ds_bpermute_b32 v37, v31, v20
	s_waitcnt lgkmcnt(0)
	v_dual_add_f32 v12, v19, v12 :: v_dual_add_f32 v19, v20, v37
	ds_bpermute_b32 v20, v32, v12
	ds_bpermute_b32 v37, v32, v19
	s_waitcnt lgkmcnt(1)
	v_add_f32_e32 v12, v12, v20
	s_waitcnt lgkmcnt(0)
	v_add_f32_e32 v20, v19, v37
	ds_bpermute_b32 v19, v33, v12
	s_waitcnt lgkmcnt(0)
	v_add_f32_e32 v19, v12, v19
	ds_bpermute_b32 v37, v33, v20
	s_waitcnt lgkmcnt(0)
	v_add_f32_e32 v20, v20, v37
	s_or_b32 exec_lo, exec_lo, s16
	s_and_saveexec_b32 s19, s5
	s_cbranch_execz .LBB326_12
.LBB326_56:                             ;   in Loop: Header=BB326_13 Depth=1
	v_mul_f32_e32 v12, s7, v14
	v_mul_f32_e32 v38, s6, v14
	s_mul_i32 s16, s28, s10
	v_mul_f32_e32 v14, s7, v18
	s_add_i32 s16, s16, s14
	v_fma_f32 v37, v13, s6, -v12
	s_lshl_b64 s[20:21], s[16:17], 3
	v_fmac_f32_e32 v38, s7, v13
	s_add_u32 s20, s30, s20
	s_addc_u32 s21, s29, s21
	s_add_i32 s16, s16, s10
	v_mul_f32_e32 v12, s7, v16
	global_store_b64 v11, v[37:38], s[20:21]
	v_mul_f32_e32 v13, s6, v16
	s_lshl_b64 s[20:21], s[16:17], 3
	v_mul_f32_e32 v16, s6, v18
	s_add_u32 s20, s30, s20
	s_addc_u32 s21, s29, s21
	v_fmac_f32_e32 v13, s7, v15
	s_add_i32 s16, s16, s10
	v_fma_f32 v12, v15, s6, -v12
	v_fma_f32 v15, v17, s6, -v14
	s_waitcnt lgkmcnt(0)
	v_mul_f32_e32 v14, s7, v20
	s_lshl_b64 s[22:23], s[16:17], 3
	v_mul_f32_e32 v18, s6, v20
	s_add_u32 s22, s30, s22
	s_addc_u32 s23, s29, s23
	s_add_i32 s16, s16, s10
	v_fmac_f32_e32 v16, s7, v17
	v_fma_f32 v17, v19, s6, -v14
	v_fmac_f32_e32 v18, s7, v19
	s_lshl_b64 s[24:25], s[16:17], 3
	global_store_b64 v11, v[12:13], s[20:21]
	s_add_u32 s20, s30, s24
	s_addc_u32 s21, s29, s25
	s_clause 0x1
	global_store_b64 v11, v[15:16], s[22:23]
	global_store_b64 v11, v[17:18], s[20:21]
	s_branch .LBB326_12
.LBB326_57:
	s_mov_b32 s28, 0
.LBB326_58:
	s_delay_alu instid0(SALU_CYCLE_1)
	s_cmp_ge_i32 s28, s9
	s_cbranch_scc1 .LBB326_80
; %bb.59:
	v_cmp_gt_u32_e64 s1, 16, v26
	v_cmp_ge_i32_e64 s4, s8, v28
	s_cmp_gt_i32 s27, 0
	s_mov_b32 s15, 0
	v_cmp_ge_i32_e32 vcc_lo, s8, v27
	v_cndmask_b32_e64 v2, 0, 1, s1
	v_cmp_gt_u32_e64 s1, 24, v26
	s_cselect_b32 s16, -1, 0
	v_cmp_gt_u32_e64 s0, 32, v0
	v_lshlrev_b32_e32 v13, 3, v25
	v_lshlrev_b32_e32 v2, 4, v2
	v_cndmask_b32_e64 v3, 0, 1, s1
	v_cmp_gt_u32_e64 s1, 28, v26
	s_waitcnt lgkmcnt(0)
	v_and_b32_e32 v19, 56, v24
	v_cmp_gt_u32_e64 s2, 8, v0
	v_add_lshl_u32 v14, v2, v26, 2
	v_lshlrev_b32_e32 v3, 3, v3
	v_cndmask_b32_e64 v4, 0, 1, s1
	v_cmp_gt_u32_e64 s1, 30, v26
	v_ashrrev_i32_e32 v2, 31, v1
	v_cmp_eq_u32_e64 s3, 0, v0
	v_add_lshl_u32 v15, v3, v26, 2
	v_add_nc_u32_e32 v3, s26, v1
	v_cndmask_b32_e64 v5, 0, 1, s1
	v_cmp_ne_u32_e64 s1, 31, v26
	v_lshlrev_b32_e32 v4, 2, v4
	v_lshlrev_b64 v[7:8], 3, v[1:2]
	s_lshl_b64 s[14:15], s[14:15], 3
	v_lshlrev_b32_e32 v5, 1, v5
	v_add_co_ci_u32_e64 v6, s1, 0, v26, s1
	v_add_lshl_u32 v16, v4, v26, 2
	v_ashrrev_i32_e32 v4, 31, v3
	s_delay_alu instid0(VALU_DEP_4) | instskip(SKIP_4) | instid1(VALU_DEP_4)
	v_add_lshl_u32 v17, v5, v26, 2
	v_add_nc_u32_e32 v5, s26, v3
	v_lshlrev_b32_e32 v18, 2, v6
	v_add_co_u32 v2, s5, s12, v7
	v_lshlrev_b64 v[9:10], 3, v[3:4]
	v_add_nc_u32_e32 v11, s26, v5
	v_ashrrev_i32_e32 v6, 31, v5
	v_add_co_ci_u32_e64 v3, s5, s13, v8, s5
	v_cmp_eq_u32_e64 s1, 0, v25
	s_delay_alu instid0(VALU_DEP_4) | instskip(NEXT) | instid1(VALU_DEP_4)
	v_ashrrev_i32_e32 v12, 31, v11
	v_lshlrev_b64 v[6:7], 3, v[5:6]
	v_add_co_u32 v4, s5, s12, v9
	s_delay_alu instid0(VALU_DEP_1) | instskip(SKIP_3) | instid1(VALU_DEP_1)
	v_add_co_ci_u32_e64 v5, s5, s13, v10, s5
	v_mov_b32_e32 v10, 0
	v_lshlrev_b64 v[8:9], 3, v[11:12]
	v_add_co_u32 v6, s5, s12, v6
	v_add_co_ci_u32_e64 v7, s5, s13, v7, s5
	s_add_u32 s8, s30, s14
	s_delay_alu instid0(VALU_DEP_3) | instskip(NEXT) | instid1(VALU_DEP_1)
	v_add_co_u32 v8, s5, s12, v8
	v_add_co_ci_u32_e64 v9, s5, s13, v9, s5
	s_addc_u32 s5, s29, s15
	s_and_b32 s16, s16, s4
	s_mul_i32 s14, s28, s11
	s_branch .LBB326_61
.LBB326_60:                             ;   in Loop: Header=BB326_61 Depth=1
	s_or_b32 exec_lo, exec_lo, s4
	s_add_i32 s28, s28, 1
	s_add_i32 s14, s14, s11
	s_cmp_lt_i32 s28, s9
	s_cbranch_scc0 .LBB326_80
.LBB326_61:                             ; =>This Loop Header: Depth=1
                                        ;     Child Loop BB326_73 Depth 2
                                        ;     Child Loop BB326_75 Depth 2
                                        ; implicit-def: $vgpr0
                                        ; implicit-def: $vgpr20
	s_and_saveexec_b32 s4, vcc_lo
	s_delay_alu instid0(SALU_CYCLE_1)
	s_xor_b32 s15, exec_lo, s4
	s_cbranch_execnz .LBB326_70
; %bb.62:                               ;   in Loop: Header=BB326_61 Depth=1
	s_and_not1_saveexec_b32 s17, s15
	s_cbranch_execnz .LBB326_71
.LBB326_63:                             ;   in Loop: Header=BB326_61 Depth=1
	s_or_b32 exec_lo, exec_lo, s17
	s_and_saveexec_b32 s4, s0
	s_cbranch_execz .LBB326_65
.LBB326_64:                             ;   in Loop: Header=BB326_61 Depth=1
	s_waitcnt lgkmcnt(0)
	v_mov_b32_e32 v11, v10
	ds_store_b64 v13, v[10:11]
.LBB326_65:                             ;   in Loop: Header=BB326_61 Depth=1
	s_or_b32 exec_lo, exec_lo, s4
	s_waitcnt lgkmcnt(0)
	ds_bpermute_b32 v11, v14, v0
	ds_bpermute_b32 v12, v14, v20
	s_waitcnt lgkmcnt(0)
	s_waitcnt_vscnt null, 0x0
	s_barrier
	buffer_gl0_inv
	v_add_f32_e32 v0, v0, v11
	v_add_f32_e32 v11, v20, v12
	ds_bpermute_b32 v20, v15, v11
	s_waitcnt lgkmcnt(0)
	v_add_f32_e32 v11, v11, v20
	ds_bpermute_b32 v12, v15, v0
	ds_bpermute_b32 v20, v16, v11
	s_waitcnt lgkmcnt(1)
	v_add_f32_e32 v0, v0, v12
	s_waitcnt lgkmcnt(0)
	v_add_f32_e32 v11, v11, v20
	ds_bpermute_b32 v12, v16, v0
	ds_bpermute_b32 v20, v17, v11
	s_waitcnt lgkmcnt(1)
	v_add_f32_e32 v0, v0, v12
	;; [unrolled: 6-line block ×3, first 2 shown]
	ds_bpermute_b32 v12, v18, v0
	s_and_saveexec_b32 s4, s1
	s_cbranch_execz .LBB326_67
; %bb.66:                               ;   in Loop: Header=BB326_61 Depth=1
	s_waitcnt lgkmcnt(1)
	v_add_f32_e32 v25, v11, v20
	s_waitcnt lgkmcnt(0)
	v_add_f32_e32 v24, v0, v12
	ds_store_b64 v19, v[24:25]
.LBB326_67:                             ;   in Loop: Header=BB326_61 Depth=1
	s_or_b32 exec_lo, exec_lo, s4
	s_waitcnt lgkmcnt(0)
	v_dual_mov_b32 v12, 0 :: v_dual_mov_b32 v11, 0
	s_barrier
	buffer_gl0_inv
	s_and_saveexec_b32 s4, s2
	s_cbranch_execnz .LBB326_77
; %bb.68:                               ;   in Loop: Header=BB326_61 Depth=1
	s_or_b32 exec_lo, exec_lo, s4
	s_and_saveexec_b32 s4, s0
	s_cbranch_execnz .LBB326_78
.LBB326_69:                             ;   in Loop: Header=BB326_61 Depth=1
	s_or_b32 exec_lo, exec_lo, s4
	s_and_saveexec_b32 s4, s3
	s_cbranch_execz .LBB326_60
	s_branch .LBB326_79
.LBB326_70:                             ;   in Loop: Header=BB326_61 Depth=1
	s_mul_i32 s18, s28, s11
	s_delay_alu instid0(SALU_CYCLE_1) | instskip(NEXT) | instid1(SALU_CYCLE_1)
	s_ashr_i32 s19, s18, 31
	s_lshl_b64 s[18:19], s[18:19], 3
	s_waitcnt lgkmcnt(0)
	v_add_co_u32 v11, s4, v21, s18
	s_delay_alu instid0(VALU_DEP_1)
	v_add_co_ci_u32_e64 v12, s4, s19, v22, s4
	flat_load_b128 v[24:27], v[11:12]
	s_clause 0x1
	flat_load_b64 v[28:29], v[2:3]
	flat_load_b64 v[30:31], v[4:5]
	flat_load_b128 v[32:35], v[11:12] offset:16
	s_clause 0x1
	flat_load_b64 v[36:37], v[6:7]
	flat_load_b64 v[38:39], v[8:9]
	s_waitcnt vmcnt(3) lgkmcnt(3)
	scratch_store_b128 off, v[28:31], off
	s_waitcnt vmcnt(0) lgkmcnt(0)
	scratch_store_b128 off, v[36:39], off offset:16
	v_dual_mul_f32 v11, v25, v28 :: v_dual_mul_f32 v12, v27, v31
	v_dual_mul_f32 v20, v27, v30 :: v_dual_mul_f32 v27, v33, v36
	s_delay_alu instid0(VALU_DEP_2) | instskip(SKIP_2) | instid1(VALU_DEP_4)
	v_fma_f32 v11, v24, v29, -v11
	v_mul_f32_e32 v0, v25, v29
	v_mul_f32_e32 v25, v33, v37
	v_fma_f32 v20, v26, v31, -v20
	s_delay_alu instid0(VALU_DEP_4) | instskip(NEXT) | instid1(VALU_DEP_3)
	v_dual_fmac_f32 v12, v26, v30 :: v_dual_add_f32 v11, 0, v11
	v_dual_mul_f32 v26, v35, v38 :: v_dual_fmac_f32 v25, v32, v36
	s_delay_alu instid0(VALU_DEP_2) | instskip(SKIP_3) | instid1(VALU_DEP_1)
	v_add_f32_e32 v11, v11, v20
	v_fmac_f32_e32 v0, v24, v28
	v_mul_f32_e32 v24, v35, v39
	v_fma_f32 v27, v32, v37, -v27
	v_dual_fmac_f32 v24, v34, v38 :: v_dual_add_f32 v11, v11, v27
	s_delay_alu instid0(VALU_DEP_4) | instskip(NEXT) | instid1(VALU_DEP_1)
	v_add_f32_e32 v0, 0, v0
	v_add_f32_e32 v0, v0, v12
	v_fma_f32 v12, v34, v39, -v26
	s_delay_alu instid0(VALU_DEP_2) | instskip(NEXT) | instid1(VALU_DEP_2)
	v_add_f32_e32 v0, v0, v25
	v_add_f32_e32 v20, v11, v12
	s_delay_alu instid0(VALU_DEP_2)
	v_add_f32_e32 v0, v0, v24
	s_and_not1_saveexec_b32 s17, s15
	s_cbranch_execz .LBB326_63
.LBB326_71:                             ;   in Loop: Header=BB326_61 Depth=1
	v_mov_b32_e32 v0, 0
	v_mov_b32_e32 v20, 0
	s_and_saveexec_b32 s18, s16
	s_cbranch_execz .LBB326_76
; %bb.72:                               ;   in Loop: Header=BB326_61 Depth=1
	s_waitcnt lgkmcnt(0)
	v_dual_mov_b32 v0, 0 :: v_dual_mov_b32 v11, v1
	s_mov_b32 s15, s27
.LBB326_73:                             ;   Parent Loop BB326_61 Depth=1
                                        ; =>  This Inner Loop Header: Depth=2
	s_delay_alu instid0(VALU_DEP_1) | instskip(SKIP_1) | instid1(SALU_CYCLE_1)
	v_ashrrev_i32_e32 v12, 31, v11
	s_add_i32 s15, s15, -1
	s_cmp_eq_u32 s15, 0
	s_delay_alu instid0(VALU_DEP_1) | instskip(SKIP_1) | instid1(VALU_DEP_2)
	v_lshlrev_b64 v[24:25], 3, v[11:12]
	v_add_nc_u32_e32 v11, s26, v11
	v_add_co_u32 v24, s4, s12, v24
	s_delay_alu instid0(VALU_DEP_1)
	v_add_co_ci_u32_e64 v25, s4, s13, v25, s4
	flat_load_b64 v[24:25], v[24:25]
	s_waitcnt vmcnt(0) lgkmcnt(0)
	scratch_store_b64 v0, v[24:25], off
	v_add_nc_u32_e32 v0, 8, v0
	s_cbranch_scc0 .LBB326_73
; %bb.74:                               ;   in Loop: Header=BB326_61 Depth=1
	s_ashr_i32 s15, s14, 31
	v_mov_b32_e32 v0, 0
	s_lshl_b64 s[20:21], s[14:15], 3
	v_mov_b32_e32 v24, v23
	v_add_co_u32 v11, s4, v21, s20
	s_delay_alu instid0(VALU_DEP_1)
	v_add_co_ci_u32_e64 v12, s4, s21, v22, s4
	v_mov_b32_e32 v20, 0
	s_mov_b32 s15, s27
	.p2align	6
.LBB326_75:                             ;   Parent Loop BB326_61 Depth=1
                                        ; =>  This Inner Loop Header: Depth=2
	flat_load_b64 v[25:26], v[11:12]
	scratch_load_b64 v[27:28], v24, off offset:-4
	v_add_co_u32 v11, s4, v11, 8
	s_delay_alu instid0(VALU_DEP_1) | instskip(SKIP_1) | instid1(SALU_CYCLE_1)
	v_add_co_ci_u32_e64 v12, s4, 0, v12, s4
	s_add_i32 s15, s15, -1
	s_cmp_lg_u32 s15, 0
	s_waitcnt vmcnt(0) lgkmcnt(0)
	v_mul_f32_e32 v29, v26, v28
	v_mul_f32_e32 v26, v26, v27
	s_delay_alu instid0(VALU_DEP_2) | instskip(NEXT) | instid1(VALU_DEP_2)
	v_dual_fmac_f32 v29, v25, v27 :: v_dual_add_nc_u32 v24, 8, v24
	v_fma_f32 v25, v25, v28, -v26
	s_delay_alu instid0(VALU_DEP_2) | instskip(NEXT) | instid1(VALU_DEP_2)
	v_add_f32_e32 v0, v0, v29
	v_add_f32_e32 v20, v20, v25
	s_cbranch_scc1 .LBB326_75
.LBB326_76:                             ;   in Loop: Header=BB326_61 Depth=1
	s_or_b32 exec_lo, exec_lo, s18
	s_delay_alu instid0(SALU_CYCLE_1)
	s_or_b32 exec_lo, exec_lo, s17
	s_and_saveexec_b32 s4, s0
	s_cbranch_execnz .LBB326_64
	s_branch .LBB326_65
.LBB326_77:                             ;   in Loop: Header=BB326_61 Depth=1
	ds_load_b64 v[11:12], v13
	s_or_b32 exec_lo, exec_lo, s4
	s_and_saveexec_b32 s4, s0
	s_cbranch_execz .LBB326_69
.LBB326_78:                             ;   in Loop: Header=BB326_61 Depth=1
	s_waitcnt lgkmcnt(0)
	ds_bpermute_b32 v0, v16, v11
	ds_bpermute_b32 v20, v16, v12
	s_waitcnt lgkmcnt(1)
	v_add_f32_e32 v0, v11, v0
	s_waitcnt lgkmcnt(0)
	v_add_f32_e32 v11, v12, v20
	ds_bpermute_b32 v12, v17, v0
	ds_bpermute_b32 v20, v17, v11
	s_waitcnt lgkmcnt(1)
	v_add_f32_e32 v0, v0, v12
	s_waitcnt lgkmcnt(0)
	v_add_f32_e32 v12, v11, v20
	ds_bpermute_b32 v11, v18, v0
	s_waitcnt lgkmcnt(0)
	v_add_f32_e32 v11, v0, v11
	ds_bpermute_b32 v20, v18, v12
	s_waitcnt lgkmcnt(0)
	v_add_f32_e32 v12, v12, v20
	s_or_b32 exec_lo, exec_lo, s4
	s_and_saveexec_b32 s4, s3
	s_cbranch_execz .LBB326_60
.LBB326_79:                             ;   in Loop: Header=BB326_61 Depth=1
	s_waitcnt lgkmcnt(0)
	v_mul_f32_e32 v25, s6, v12
	v_mul_f32_e32 v0, s7, v12
	s_mul_hi_u32 s19, s28, s10
	s_mul_i32 s18, s28, s10
	s_delay_alu instid0(VALU_DEP_2) | instskip(NEXT) | instid1(VALU_DEP_2)
	v_fmac_f32_e32 v25, s7, v11
	v_fma_f32 v24, v11, s6, -v0
	s_lshl_b64 s[18:19], s[18:19], 3
	s_delay_alu instid0(SALU_CYCLE_1)
	s_add_u32 s18, s8, s18
	s_addc_u32 s19, s5, s19
	global_store_b64 v10, v[24:25], s[18:19]
	s_branch .LBB326_60
.LBB326_80:
	s_nop 0
	s_sendmsg sendmsg(MSG_DEALLOC_VGPRS)
	s_endpgm
	.section	.rodata,"a",@progbits
	.p2align	6, 0x0
	.amdhsa_kernel _ZL23rocblas_gemvt_sn_kernelILb1ELi256ELi4EiPK19rocblas_complex_numIfES3_S1_EviiT4_lPKT3_lilS7_lilPT5_i
		.amdhsa_group_segment_fixed_size 256
		.amdhsa_private_segment_fixed_size 48
		.amdhsa_kernarg_size 360
		.amdhsa_user_sgpr_count 14
		.amdhsa_user_sgpr_dispatch_ptr 0
		.amdhsa_user_sgpr_queue_ptr 0
		.amdhsa_user_sgpr_kernarg_segment_ptr 1
		.amdhsa_user_sgpr_dispatch_id 0
		.amdhsa_user_sgpr_private_segment_size 0
		.amdhsa_wavefront_size32 1
		.amdhsa_uses_dynamic_stack 0
		.amdhsa_enable_private_segment 1
		.amdhsa_system_sgpr_workgroup_id_x 1
		.amdhsa_system_sgpr_workgroup_id_y 0
		.amdhsa_system_sgpr_workgroup_id_z 1
		.amdhsa_system_sgpr_workgroup_info 0
		.amdhsa_system_vgpr_workitem_id 0
		.amdhsa_next_free_vgpr 80
		.amdhsa_next_free_sgpr 44
		.amdhsa_reserve_vcc 1
		.amdhsa_float_round_mode_32 0
		.amdhsa_float_round_mode_16_64 0
		.amdhsa_float_denorm_mode_32 3
		.amdhsa_float_denorm_mode_16_64 3
		.amdhsa_dx10_clamp 1
		.amdhsa_ieee_mode 1
		.amdhsa_fp16_overflow 0
		.amdhsa_workgroup_processor_mode 1
		.amdhsa_memory_ordered 1
		.amdhsa_forward_progress 0
		.amdhsa_shared_vgpr_count 0
		.amdhsa_exception_fp_ieee_invalid_op 0
		.amdhsa_exception_fp_denorm_src 0
		.amdhsa_exception_fp_ieee_div_zero 0
		.amdhsa_exception_fp_ieee_overflow 0
		.amdhsa_exception_fp_ieee_underflow 0
		.amdhsa_exception_fp_ieee_inexact 0
		.amdhsa_exception_int_div_zero 0
	.end_amdhsa_kernel
	.section	.text._ZL23rocblas_gemvt_sn_kernelILb1ELi256ELi4EiPK19rocblas_complex_numIfES3_S1_EviiT4_lPKT3_lilS7_lilPT5_i,"axG",@progbits,_ZL23rocblas_gemvt_sn_kernelILb1ELi256ELi4EiPK19rocblas_complex_numIfES3_S1_EviiT4_lPKT3_lilS7_lilPT5_i,comdat
.Lfunc_end326:
	.size	_ZL23rocblas_gemvt_sn_kernelILb1ELi256ELi4EiPK19rocblas_complex_numIfES3_S1_EviiT4_lPKT3_lilS7_lilPT5_i, .Lfunc_end326-_ZL23rocblas_gemvt_sn_kernelILb1ELi256ELi4EiPK19rocblas_complex_numIfES3_S1_EviiT4_lPKT3_lilS7_lilPT5_i
                                        ; -- End function
	.section	.AMDGPU.csdata,"",@progbits
; Kernel info:
; codeLenInByte = 5460
; NumSgprs: 46
; NumVgprs: 80
; ScratchSize: 48
; MemoryBound: 0
; FloatMode: 240
; IeeeMode: 1
; LDSByteSize: 256 bytes/workgroup (compile time only)
; SGPRBlocks: 5
; VGPRBlocks: 9
; NumSGPRsForWavesPerEU: 46
; NumVGPRsForWavesPerEU: 80
; Occupancy: 16
; WaveLimiterHint : 0
; COMPUTE_PGM_RSRC2:SCRATCH_EN: 1
; COMPUTE_PGM_RSRC2:USER_SGPR: 14
; COMPUTE_PGM_RSRC2:TRAP_HANDLER: 0
; COMPUTE_PGM_RSRC2:TGID_X_EN: 1
; COMPUTE_PGM_RSRC2:TGID_Y_EN: 0
; COMPUTE_PGM_RSRC2:TGID_Z_EN: 1
; COMPUTE_PGM_RSRC2:TIDIG_COMP_CNT: 0
	.section	.text._ZL23rocblas_gemvt_sn_kernelILb1ELi256ELi4ElPK19rocblas_complex_numIfES3_S1_EviiT4_lPKT3_lilS7_lilPT5_i,"axG",@progbits,_ZL23rocblas_gemvt_sn_kernelILb1ELi256ELi4ElPK19rocblas_complex_numIfES3_S1_EviiT4_lPKT3_lilS7_lilPT5_i,comdat
	.globl	_ZL23rocblas_gemvt_sn_kernelILb1ELi256ELi4ElPK19rocblas_complex_numIfES3_S1_EviiT4_lPKT3_lilS7_lilPT5_i ; -- Begin function _ZL23rocblas_gemvt_sn_kernelILb1ELi256ELi4ElPK19rocblas_complex_numIfES3_S1_EviiT4_lPKT3_lilS7_lilPT5_i
	.p2align	8
	.type	_ZL23rocblas_gemvt_sn_kernelILb1ELi256ELi4ElPK19rocblas_complex_numIfES3_S1_EviiT4_lPKT3_lilS7_lilPT5_i,@function
_ZL23rocblas_gemvt_sn_kernelILb1ELi256ELi4ElPK19rocblas_complex_numIfES3_S1_EviiT4_lPKT3_lilS7_lilPT5_i: ; @_ZL23rocblas_gemvt_sn_kernelILb1ELi256ELi4ElPK19rocblas_complex_numIfES3_S1_EviiT4_lPKT3_lilS7_lilPT5_i
; %bb.0:
	s_load_b256 s[4:11], s[0:1], 0x8
	s_mov_b32 s12, s15
	s_mov_b32 s13, 0
	s_mov_b64 s[18:19], 0
	s_mov_b64 s[16:17], 0
	s_waitcnt lgkmcnt(0)
	s_mul_i32 s3, s15, s7
	s_mul_hi_u32 s7, s15, s6
	s_mul_i32 s2, s15, s6
	s_add_i32 s3, s7, s3
	s_delay_alu instid0(SALU_CYCLE_1) | instskip(NEXT) | instid1(SALU_CYCLE_1)
	s_lshl_b64 s[2:3], s[2:3], 3
	s_add_u32 s2, s4, s2
	s_addc_u32 s3, s5, s3
	s_load_b64 s[6:7], s[2:3], 0x0
	s_waitcnt lgkmcnt(0)
	s_or_b32 s2, s6, s7
	s_delay_alu instid0(SALU_CYCLE_1) | instskip(NEXT) | instid1(SALU_CYCLE_1)
	s_and_b32 s3, s2, 0x7fffffff
	s_cmp_lg_u32 s3, 0
	s_cselect_b32 s2, -1, 0
	s_cmp_eq_u32 s3, 0
	s_cselect_b32 s3, -1, 0
	s_delay_alu instid0(SALU_CYCLE_1)
	s_and_b32 vcc_lo, exec_lo, s3
	s_cbranch_vccnz .LBB327_2
; %bb.1:
	s_lshl_b64 s[4:5], s[12:13], 3
	s_delay_alu instid0(SALU_CYCLE_1)
	s_add_u32 s4, s8, s4
	s_addc_u32 s5, s9, s5
	s_lshl_b64 s[8:9], s[10:11], 3
	s_load_b64 s[4:5], s[4:5], 0x0
	s_waitcnt lgkmcnt(0)
	s_add_u32 s16, s4, s8
	s_addc_u32 s17, s5, s9
.LBB327_2:
	s_and_not1_b32 vcc_lo, exec_lo, s2
	s_cbranch_vccnz .LBB327_4
; %bb.3:
	s_load_b128 s[8:11], s[0:1], 0x38
	s_lshl_b64 s[4:5], s[12:13], 3
	s_waitcnt lgkmcnt(0)
	s_add_u32 s4, s8, s4
	s_addc_u32 s5, s9, s5
	s_lshl_b64 s[8:9], s[10:11], 3
	s_load_b64 s[4:5], s[4:5], 0x0
	s_waitcnt lgkmcnt(0)
	s_add_u32 s18, s4, s8
	s_addc_u32 s19, s5, s9
.LBB327_4:
	s_clause 0x2
	s_load_b64 s[8:9], s[0:1], 0x0
	s_load_b32 s10, s[0:1], 0x68
	s_load_b64 s[4:5], s[0:1], 0x58
	s_and_not1_b32 vcc_lo, exec_lo, s3
	v_cmp_eq_u32_e64 s2, 0, v0
	s_mov_b32 s11, 0
	s_waitcnt lgkmcnt(0)
	s_ashr_i32 s24, s9, 31
	s_mul_hi_u32 s3, s9, s12
	s_mul_i32 s13, s24, s12
	s_mul_i32 s12, s9, s12
	s_add_i32 s3, s3, s13
	s_mul_hi_u32 s13, s12, s10
	s_mul_i32 s3, s3, s10
	s_mul_i32 s22, s12, s10
	s_add_i32 s23, s13, s3
	s_mov_b32 s3, -1
	s_cbranch_vccnz .LBB327_9
; %bb.5:
	s_cmp_gt_i32 s9, 0
	s_cselect_b32 s3, -1, 0
	s_delay_alu instid0(SALU_CYCLE_1) | instskip(NEXT) | instid1(SALU_CYCLE_1)
	s_and_b32 s2, s2, s3
	s_and_saveexec_b32 s20, s2
	s_cbranch_execz .LBB327_8
; %bb.6:
	s_mov_b32 s15, 0
	v_mov_b32_e32 v1, 0
	s_lshl_b64 s[2:3], s[22:23], 3
	s_lshl_b64 s[12:13], s[14:15], 3
	s_delay_alu instid0(SALU_CYCLE_1)
	s_add_u32 s2, s2, s12
	s_addc_u32 s3, s3, s13
	s_add_u32 s2, s2, s4
	v_mov_b32_e32 v2, v1
	s_addc_u32 s3, s3, s5
	s_add_u32 s2, s2, 4
	s_addc_u32 s3, s3, 0
	s_lshl_b64 s[12:13], s[10:11], 3
	s_mov_b32 s11, s9
.LBB327_7:                              ; =>This Inner Loop Header: Depth=1
	s_delay_alu instid0(SALU_CYCLE_1)
	s_add_i32 s11, s11, -1
	global_store_b64 v1, v[1:2], s[2:3] offset:-4
	s_add_u32 s2, s2, s12
	s_addc_u32 s3, s3, s13
	s_cmp_eq_u32 s11, 0
	s_cbranch_scc0 .LBB327_7
.LBB327_8:
	s_or_b32 exec_lo, exec_lo, s20
	s_mov_b32 s3, 0
.LBB327_9:
	s_delay_alu instid0(SALU_CYCLE_1)
	s_and_not1_b32 vcc_lo, exec_lo, s3
	s_cbranch_vccnz .LBB327_80
; %bb.10:
	s_clause 0x1
	s_load_b32 s12, s[0:1], 0x28
	s_load_b32 s20, s[0:1], 0x48
	s_lshl_b64 s[2:3], s[22:23], 3
	v_and_b32_e32 v29, 31, v0
	v_cmp_gt_u32_e64 s0, 32, v0
	v_mbcnt_lo_u32_b32 v32, -1, 0
	v_cmp_gt_u32_e64 s1, 8, v0
	v_lshrrev_b32_e32 v31, 2, v0
	v_or_b32_e64 v26, 0, 4
	s_waitcnt lgkmcnt(0)
	s_ashr_i32 s13, s12, 31
	s_ashr_i32 s21, s20, 31
	s_add_u32 s28, s4, s2
	s_addc_u32 s29, s5, s3
	s_lshl_b32 s2, s14, 10
	s_ashr_i32 s3, s8, 31
	v_lshl_or_b32 v5, v0, 2, s2
	s_lshr_b32 s2, s24, 30
	s_lshr_b32 s3, s3, 30
	s_add_i32 s2, s9, s2
	s_add_i32 s3, s8, s3
	v_ashrrev_i32_e32 v6, 31, v5
	s_and_b32 s30, s2, -4
	s_and_b32 s2, s3, -4
	v_add_nc_u32_e32 v33, 4, v5
	s_sub_i32 s11, s8, s2
	v_lshlrev_b64 v[3:4], 3, v[5:6]
	v_or_b32_e32 v30, 1, v5
	v_or_b32_e32 v28, 2, v5
	;; [unrolled: 1-line block ×3, first 2 shown]
	v_add_nc_u32_e32 v34, s11, v5
	s_cmp_lt_i32 s30, 1
	v_add_co_u32 v1, vcc_lo, s16, v3
	v_add_co_ci_u32_e32 v2, vcc_lo, s17, v4, vcc_lo
	s_cbranch_scc1 .LBB327_57
; %bb.11:
	v_cmp_gt_u32_e32 vcc_lo, 16, v32
	v_mad_i64_i32 v[12:13], null, s20, v27, 0
	s_mov_b32 s15, 0
	s_cmp_gt_i32 s11, 0
	v_cndmask_b32_e64 v6, 0, 1, vcc_lo
	v_cmp_gt_u32_e32 vcc_lo, 24, v32
	v_cmp_ge_i32_e64 s2, s8, v33
	v_cmp_ge_i32_e64 s3, s8, v34
	v_lshlrev_b64 v[12:13], 3, v[12:13]
	v_dual_mov_b32 v17, v2 :: v_dual_lshlrev_b32 v6, 4, v6
	v_cndmask_b32_e64 v7, 0, 1, vcc_lo
	v_cmp_gt_u32_e32 vcc_lo, 28, v32
	s_cselect_b32 s31, -1, 0
	s_delay_alu instid0(VALU_DEP_3) | instskip(NEXT) | instid1(VALU_DEP_3)
	v_add_lshl_u32 v35, v6, v32, 2
	v_dual_mov_b32 v14, 0 :: v_dual_lshlrev_b32 v7, 3, v7
	v_cndmask_b32_e64 v8, 0, 1, vcc_lo
	v_cmp_gt_u32_e32 vcc_lo, 30, v32
	v_cmp_eq_u32_e64 s4, 0, v29
	v_lshlrev_b32_e32 v40, 3, v29
	v_add_lshl_u32 v36, v7, v32, 2
	v_lshlrev_b32_e32 v8, 2, v8
	v_cndmask_b32_e64 v9, 0, 1, vcc_lo
	v_cmp_ne_u32_e32 vcc_lo, 31, v32
	v_mad_i64_i32 v[6:7], null, s20, v5, 0
	s_delay_alu instid0(VALU_DEP_4) | instskip(NEXT) | instid1(VALU_DEP_4)
	v_add_lshl_u32 v37, v8, v32, 2
	v_dual_mov_b32 v16, v1 :: v_dual_lshlrev_b32 v9, 1, v9
	v_add_co_ci_u32_e32 v10, vcc_lo, 0, v32, vcc_lo
	v_and_b32_e32 v41, 56, v31
	s_delay_alu instid0(VALU_DEP_3) | instskip(SKIP_1) | instid1(VALU_DEP_4)
	v_add_lshl_u32 v38, v9, v32, 2
	v_mad_i64_i32 v[8:9], null, s20, v30, 0
	v_lshlrev_b32_e32 v39, 2, v10
	v_mad_i64_i32 v[10:11], null, s20, v28, 0
	v_lshlrev_b64 v[6:7], 3, v[6:7]
	s_lshl_b64 s[22:23], s[14:15], 3
	v_cmp_eq_u32_e64 s5, 0, v0
	v_lshlrev_b64 v[8:9], 3, v[8:9]
	v_or_b32_e64 v42, 0, 4
	s_add_u32 s33, s28, s22
	v_add_co_u32 v6, vcc_lo, s18, v6
	v_lshlrev_b64 v[10:11], 3, v[10:11]
	v_add_co_ci_u32_e32 v7, vcc_lo, s19, v7, vcc_lo
	v_add_co_u32 v8, vcc_lo, s18, v8
	v_add_co_ci_u32_e32 v9, vcc_lo, s19, v9, vcc_lo
	s_delay_alu instid0(VALU_DEP_4)
	v_add_co_u32 v10, vcc_lo, s18, v10
	v_add_co_ci_u32_e32 v11, vcc_lo, s19, v11, vcc_lo
	v_add_co_u32 v12, vcc_lo, s18, v12
	v_add_co_ci_u32_e32 v13, vcc_lo, s19, v13, vcc_lo
	s_addc_u32 s34, s29, s23
	s_lshl_b64 s[22:23], s[20:21], 3
	s_lshl_b64 s[24:25], s[12:13], 5
	;; [unrolled: 1-line block ×3, first 2 shown]
	s_branch .LBB327_13
.LBB327_12:                             ;   in Loop: Header=BB327_13 Depth=1
	s_or_b32 exec_lo, exec_lo, s35
	v_add_co_u32 v16, vcc_lo, v16, s24
	v_add_co_ci_u32_e32 v17, vcc_lo, s25, v17, vcc_lo
	s_add_i32 s15, s15, 4
	s_delay_alu instid0(SALU_CYCLE_1)
	s_cmp_ge_i32 s15, s30
	s_cbranch_scc1 .LBB327_58
.LBB327_13:                             ; =>This Loop Header: Depth=1
                                        ;     Child Loop BB327_44 Depth 2
                                        ;     Child Loop BB327_46 Depth 2
                                        ; implicit-def: $vgpr43
                                        ; implicit-def: $vgpr44
                                        ; implicit-def: $vgpr20
                                        ; implicit-def: $vgpr21
                                        ; implicit-def: $vgpr22
                                        ; implicit-def: $vgpr23
                                        ; implicit-def: $vgpr25
                                        ; implicit-def: $vgpr24
	s_and_saveexec_b32 s35, s2
	s_delay_alu instid0(SALU_CYCLE_1)
	s_xor_b32 s35, exec_lo, s35
	s_cbranch_execnz .LBB327_40
; %bb.14:                               ;   in Loop: Header=BB327_13 Depth=1
	s_and_not1_saveexec_b32 s35, s35
	s_cbranch_execnz .LBB327_41
.LBB327_15:                             ;   in Loop: Header=BB327_13 Depth=1
	s_or_b32 exec_lo, exec_lo, s35
	s_and_saveexec_b32 s35, s0
	s_cbranch_execz .LBB327_17
.LBB327_16:                             ;   in Loop: Header=BB327_13 Depth=1
	v_mov_b32_e32 v15, v14
	ds_store_b64 v40, v[14:15]
.LBB327_17:                             ;   in Loop: Header=BB327_13 Depth=1
	s_or_b32 exec_lo, exec_lo, s35
	ds_bpermute_b32 v15, v35, v43
	ds_bpermute_b32 v18, v35, v44
	s_waitcnt lgkmcnt(0)
	s_waitcnt_vscnt null, 0x0
	s_barrier
	buffer_gl0_inv
	v_dual_add_f32 v15, v43, v15 :: v_dual_add_f32 v18, v44, v18
	ds_bpermute_b32 v19, v36, v15
	ds_bpermute_b32 v43, v36, v18
	s_waitcnt lgkmcnt(1)
	v_add_f32_e32 v15, v15, v19
	s_waitcnt lgkmcnt(0)
	v_add_f32_e32 v18, v18, v43
	ds_bpermute_b32 v19, v37, v15
	ds_bpermute_b32 v43, v37, v18
	s_waitcnt lgkmcnt(1)
	v_add_f32_e32 v15, v15, v19
	s_waitcnt lgkmcnt(0)
	v_add_f32_e32 v18, v18, v43
	;; [unrolled: 6-line block ×3, first 2 shown]
	ds_bpermute_b32 v19, v39, v15
	ds_bpermute_b32 v43, v39, v18
	s_and_saveexec_b32 s35, s4
	s_cbranch_execz .LBB327_19
; %bb.18:                               ;   in Loop: Header=BB327_13 Depth=1
	s_waitcnt lgkmcnt(0)
	v_add_f32_e32 v44, v18, v43
	v_add_f32_e32 v43, v15, v19
	ds_store_b64 v41, v[43:44]
.LBB327_19:                             ;   in Loop: Header=BB327_13 Depth=1
	s_or_b32 exec_lo, exec_lo, s35
	s_waitcnt lgkmcnt(1)
	v_dual_mov_b32 v19, 0 :: v_dual_mov_b32 v18, 0
	s_waitcnt lgkmcnt(0)
	s_barrier
	buffer_gl0_inv
	s_and_saveexec_b32 s35, s1
	s_cbranch_execnz .LBB327_48
; %bb.20:                               ;   in Loop: Header=BB327_13 Depth=1
	s_or_b32 exec_lo, exec_lo, s35
	s_and_saveexec_b32 s35, s0
	s_cbranch_execnz .LBB327_49
.LBB327_21:                             ;   in Loop: Header=BB327_13 Depth=1
	s_or_b32 exec_lo, exec_lo, s35
	s_and_saveexec_b32 s35, s0
	s_cbranch_execz .LBB327_23
.LBB327_22:                             ;   in Loop: Header=BB327_13 Depth=1
	v_mov_b32_e32 v15, v14
	ds_store_b64 v40, v[14:15]
.LBB327_23:                             ;   in Loop: Header=BB327_13 Depth=1
	s_or_b32 exec_lo, exec_lo, s35
	ds_bpermute_b32 v15, v35, v20
	ds_bpermute_b32 v43, v35, v21
	s_waitcnt lgkmcnt(0)
	s_barrier
	buffer_gl0_inv
	v_add_f32_e32 v15, v20, v15
	v_add_f32_e32 v20, v21, v43
	ds_bpermute_b32 v21, v36, v15
	s_waitcnt lgkmcnt(0)
	v_add_f32_e32 v15, v15, v21
	ds_bpermute_b32 v43, v36, v20
	ds_bpermute_b32 v21, v37, v15
	s_waitcnt lgkmcnt(0)
	v_dual_add_f32 v20, v20, v43 :: v_dual_add_f32 v15, v15, v21
	ds_bpermute_b32 v43, v37, v20
	ds_bpermute_b32 v21, v38, v15
	s_waitcnt lgkmcnt(0)
	v_dual_add_f32 v20, v20, v43 :: v_dual_add_f32 v15, v15, v21
	ds_bpermute_b32 v43, v38, v20
	ds_bpermute_b32 v21, v39, v15
	s_waitcnt lgkmcnt(1)
	v_add_f32_e32 v20, v20, v43
	ds_bpermute_b32 v43, v39, v20
	s_and_saveexec_b32 s35, s4
	s_cbranch_execz .LBB327_25
; %bb.24:                               ;   in Loop: Header=BB327_13 Depth=1
	s_waitcnt lgkmcnt(0)
	v_dual_add_f32 v44, v20, v43 :: v_dual_add_f32 v43, v15, v21
	ds_store_b64 v41, v[43:44]
.LBB327_25:                             ;   in Loop: Header=BB327_13 Depth=1
	s_or_b32 exec_lo, exec_lo, s35
	s_waitcnt lgkmcnt(1)
	v_dual_mov_b32 v21, 0 :: v_dual_mov_b32 v20, 0
	s_waitcnt lgkmcnt(0)
	s_barrier
	buffer_gl0_inv
	s_and_saveexec_b32 s35, s1
	s_cbranch_execnz .LBB327_50
; %bb.26:                               ;   in Loop: Header=BB327_13 Depth=1
	s_or_b32 exec_lo, exec_lo, s35
	s_and_saveexec_b32 s35, s0
	s_cbranch_execnz .LBB327_51
.LBB327_27:                             ;   in Loop: Header=BB327_13 Depth=1
	s_or_b32 exec_lo, exec_lo, s35
	s_and_saveexec_b32 s35, s0
	s_cbranch_execz .LBB327_29
.LBB327_28:                             ;   in Loop: Header=BB327_13 Depth=1
	v_mov_b32_e32 v15, v14
	ds_store_b64 v40, v[14:15]
.LBB327_29:                             ;   in Loop: Header=BB327_13 Depth=1
	s_or_b32 exec_lo, exec_lo, s35
	ds_bpermute_b32 v15, v35, v22
	ds_bpermute_b32 v43, v35, v23
	s_waitcnt lgkmcnt(0)
	s_barrier
	buffer_gl0_inv
	v_add_f32_e32 v15, v22, v15
	v_add_f32_e32 v22, v23, v43
	ds_bpermute_b32 v23, v36, v15
	ds_bpermute_b32 v43, v36, v22
	s_waitcnt lgkmcnt(1)
	v_add_f32_e32 v15, v15, v23
	s_waitcnt lgkmcnt(0)
	v_add_f32_e32 v22, v22, v43
	ds_bpermute_b32 v23, v37, v15
	ds_bpermute_b32 v43, v37, v22
	s_waitcnt lgkmcnt(1)
	v_add_f32_e32 v15, v15, v23
	s_waitcnt lgkmcnt(0)
	;; [unrolled: 6-line block ×3, first 2 shown]
	v_add_f32_e32 v22, v22, v43
	ds_bpermute_b32 v23, v39, v15
	ds_bpermute_b32 v43, v39, v22
	s_and_saveexec_b32 s35, s4
	s_cbranch_execz .LBB327_31
; %bb.30:                               ;   in Loop: Header=BB327_13 Depth=1
	s_waitcnt lgkmcnt(0)
	v_add_f32_e32 v44, v22, v43
	v_add_f32_e32 v43, v15, v23
	ds_store_b64 v41, v[43:44]
.LBB327_31:                             ;   in Loop: Header=BB327_13 Depth=1
	s_or_b32 exec_lo, exec_lo, s35
	s_waitcnt lgkmcnt(1)
	v_dual_mov_b32 v23, 0 :: v_dual_mov_b32 v22, 0
	s_waitcnt lgkmcnt(0)
	s_barrier
	buffer_gl0_inv
	s_and_saveexec_b32 s35, s1
	s_cbranch_execnz .LBB327_52
; %bb.32:                               ;   in Loop: Header=BB327_13 Depth=1
	s_or_b32 exec_lo, exec_lo, s35
	s_and_saveexec_b32 s35, s0
	s_cbranch_execnz .LBB327_53
.LBB327_33:                             ;   in Loop: Header=BB327_13 Depth=1
	s_or_b32 exec_lo, exec_lo, s35
	s_and_saveexec_b32 s35, s0
	s_cbranch_execz .LBB327_35
.LBB327_34:                             ;   in Loop: Header=BB327_13 Depth=1
	v_mov_b32_e32 v15, v14
	ds_store_b64 v40, v[14:15]
.LBB327_35:                             ;   in Loop: Header=BB327_13 Depth=1
	s_or_b32 exec_lo, exec_lo, s35
	ds_bpermute_b32 v15, v35, v25
	ds_bpermute_b32 v43, v35, v24
	s_waitcnt lgkmcnt(0)
	s_barrier
	buffer_gl0_inv
	v_add_f32_e32 v15, v25, v15
	ds_bpermute_b32 v25, v36, v15
	s_waitcnt lgkmcnt(0)
	v_dual_add_f32 v24, v24, v43 :: v_dual_add_f32 v15, v15, v25
	ds_bpermute_b32 v43, v36, v24
	ds_bpermute_b32 v25, v37, v15
	s_waitcnt lgkmcnt(0)
	v_dual_add_f32 v24, v24, v43 :: v_dual_add_f32 v15, v15, v25
	ds_bpermute_b32 v43, v37, v24
	;; [unrolled: 4-line block ×3, first 2 shown]
	ds_bpermute_b32 v25, v39, v15
	s_waitcnt lgkmcnt(1)
	v_add_f32_e32 v24, v24, v43
	ds_bpermute_b32 v43, v39, v24
	s_and_saveexec_b32 s35, s4
	s_cbranch_execz .LBB327_37
; %bb.36:                               ;   in Loop: Header=BB327_13 Depth=1
	s_waitcnt lgkmcnt(0)
	v_dual_add_f32 v44, v24, v43 :: v_dual_add_f32 v43, v15, v25
	ds_store_b64 v41, v[43:44]
.LBB327_37:                             ;   in Loop: Header=BB327_13 Depth=1
	s_or_b32 exec_lo, exec_lo, s35
	s_waitcnt lgkmcnt(1)
	v_dual_mov_b32 v25, 0 :: v_dual_mov_b32 v24, 0
	s_waitcnt lgkmcnt(0)
	s_barrier
	buffer_gl0_inv
	s_and_saveexec_b32 s35, s1
	s_cbranch_execnz .LBB327_54
; %bb.38:                               ;   in Loop: Header=BB327_13 Depth=1
	s_or_b32 exec_lo, exec_lo, s35
	s_and_saveexec_b32 s35, s0
	s_cbranch_execnz .LBB327_55
.LBB327_39:                             ;   in Loop: Header=BB327_13 Depth=1
	s_or_b32 exec_lo, exec_lo, s35
	s_and_saveexec_b32 s35, s5
	s_cbranch_execz .LBB327_12
	s_branch .LBB327_56
.LBB327_40:                             ;   in Loop: Header=BB327_13 Depth=1
	s_mul_i32 s37, s15, s13
	s_mul_hi_u32 s38, s15, s12
	s_mul_i32 s36, s15, s12
	s_add_i32 s37, s38, s37
	s_clause 0x3
	flat_load_b64 v[45:46], v[6:7]
	flat_load_b64 v[47:48], v[8:9]
	;; [unrolled: 1-line block ×4, first 2 shown]
	s_lshl_b64 s[36:37], s[36:37], 3
	s_delay_alu instid0(SALU_CYCLE_1)
	v_add_co_u32 v22, vcc_lo, v1, s36
	s_or_b32 s36, s15, 1
	v_add_co_ci_u32_e32 v23, vcc_lo, s37, v2, vcc_lo
	s_mul_i32 s37, s36, s13
	s_mul_hi_u32 s38, s36, s12
	s_mul_i32 s36, s36, s12
	s_add_i32 s37, s38, s37
	s_or_b32 s38, s15, 2
	s_lshl_b64 s[36:37], s[36:37], 3
	s_mul_i32 s39, s38, s13
	s_mul_hi_u32 s40, s38, s12
	v_add_co_u32 v43, vcc_lo, v1, s36
	v_add_co_ci_u32_e32 v44, vcc_lo, s37, v2, vcc_lo
	s_add_i32 s37, s40, s39
	s_or_b32 s40, s15, 3
	s_mul_i32 s36, s38, s12
	s_mul_i32 s38, s40, s13
	s_mul_hi_u32 s39, s40, s12
	s_lshl_b64 s[36:37], s[36:37], 3
	s_add_i32 s39, s39, s38
	s_mul_i32 s38, s40, s12
	v_add_co_u32 v69, vcc_lo, v1, s36
	v_add_co_ci_u32_e32 v70, vcc_lo, s37, v2, vcc_lo
	s_lshl_b64 s[36:37], s[38:39], 3
	flat_load_b128 v[18:21], v[22:23]
	v_add_co_u32 v73, vcc_lo, v1, s36
	s_waitcnt lgkmcnt(5)
	flat_load_b128 v[22:25], v[22:23] offset:16
	v_add_co_ci_u32_e32 v74, vcc_lo, s37, v2, vcc_lo
	s_clause 0x5
	flat_load_b128 v[53:56], v[43:44]
	flat_load_b128 v[57:60], v[69:70]
	;; [unrolled: 1-line block ×3, first 2 shown]
	flat_load_b128 v[65:68], v[43:44] offset:16
	flat_load_b128 v[69:72], v[69:70] offset:16
	;; [unrolled: 1-line block ×3, first 2 shown]
	s_waitcnt vmcnt(10) lgkmcnt(10)
	scratch_store_b128 off, v[45:48], off
	s_waitcnt vmcnt(8) lgkmcnt(8)
	scratch_store_b128 off, v[49:52], off offset:16
	s_waitcnt vmcnt(7) lgkmcnt(7)
	v_mul_f32_e32 v15, v19, v46
	s_waitcnt vmcnt(5) lgkmcnt(5)
	v_dual_mul_f32 v19, v19, v45 :: v_dual_mul_f32 v78, v54, v46
	v_dual_mul_f32 v43, v21, v48 :: v_dual_mul_f32 v54, v54, v45
	v_mul_f32_e32 v21, v21, v47
	v_mul_f32_e32 v44, v50, v23
	s_waitcnt vmcnt(3) lgkmcnt(3)
	v_dual_mul_f32 v23, v49, v23 :: v_dual_mul_f32 v80, v62, v46
	v_dual_mul_f32 v79, v58, v46 :: v_dual_mul_f32 v82, v60, v48
	v_mul_f32_e32 v58, v58, v45
	s_waitcnt vmcnt(2) lgkmcnt(2)
	v_dual_mul_f32 v77, v52, v25 :: v_dual_mul_f32 v84, v50, v66
	v_mul_f32_e32 v25, v51, v25
	v_dual_mul_f32 v62, v62, v45 :: v_dual_mul_f32 v81, v56, v48
	s_waitcnt vmcnt(1) lgkmcnt(1)
	v_dual_mul_f32 v60, v60, v47 :: v_dual_mul_f32 v85, v50, v70
	v_dual_mul_f32 v83, v64, v48 :: v_dual_mul_f32 v66, v49, v66
	v_dual_mul_f32 v64, v64, v47 :: v_dual_fmac_f32 v15, v18, v45
	s_waitcnt vmcnt(0) lgkmcnt(0)
	v_dual_mul_f32 v86, v50, v74 :: v_dual_mul_f32 v89, v52, v76
	v_dual_mul_f32 v74, v49, v74 :: v_dual_fmac_f32 v43, v20, v47
	v_fma_f32 v18, v18, v46, -v19
	v_fma_f32 v19, v20, v48, -v21
	;; [unrolled: 1-line block ×4, first 2 shown]
	v_mul_f32_e32 v56, v56, v47
	v_dual_mul_f32 v70, v49, v70 :: v_dual_mul_f32 v87, v52, v68
	v_dual_mul_f32 v68, v51, v68 :: v_dual_fmac_f32 v79, v57, v45
	v_dual_mul_f32 v88, v52, v72 :: v_dual_fmac_f32 v81, v55, v47
	v_dual_fmac_f32 v44, v49, v22 :: v_dual_fmac_f32 v77, v51, v24
	v_fma_f32 v21, v52, v24, -v25
	v_dual_fmac_f32 v78, v53, v45 :: v_dual_fmac_f32 v83, v63, v47
	v_fma_f32 v22, v53, v46, -v54
	;; [unrolled: 2-line block ×3, first 2 shown]
	v_fma_f32 v53, v59, v48, -v60
	v_dual_fmac_f32 v86, v49, v73 :: v_dual_add_f32 v23, 0, v23
	v_dual_mul_f32 v76, v51, v76 :: v_dual_add_f32 v15, 0, v15
	v_fma_f32 v25, v55, v48, -v56
	v_dual_fmac_f32 v82, v59, v47 :: v_dual_add_f32 v61, 0, v78
	v_fma_f32 v54, v63, v48, -v64
	v_dual_fmac_f32 v88, v51, v71 :: v_dual_add_f32 v63, 0, v80
	v_dual_add_f32 v18, 0, v18 :: v_dual_add_f32 v15, v15, v43
	v_add_f32_e32 v22, 0, v22
	v_dual_add_f32 v62, 0, v79 :: v_dual_add_f32 v23, v23, v53
	v_add_f32_e32 v24, 0, v24
	v_dual_mul_f32 v72, v51, v72 :: v_dual_fmac_f32 v85, v49, v69
	v_dual_fmac_f32 v84, v49, v65 :: v_dual_fmac_f32 v89, v51, v75
	v_fma_f32 v55, v50, v65, -v66
	v_fma_f32 v56, v50, v69, -v70
	;; [unrolled: 1-line block ×3, first 2 shown]
	v_dual_add_f32 v18, v18, v19 :: v_dual_add_f32 v15, v15, v44
	v_add_f32_e32 v19, v61, v81
	v_dual_add_f32 v22, v22, v25 :: v_dual_add_f32 v43, v63, v83
	v_add_f32_e32 v25, v62, v82
	s_delay_alu instid0(VALU_DEP_3)
	v_dual_add_f32 v24, v24, v54 :: v_dual_add_f32 v19, v19, v84
	v_fma_f32 v58, v52, v67, -v68
	v_fma_f32 v59, v52, v71, -v72
	;; [unrolled: 1-line block ×3, first 2 shown]
	v_dual_add_f32 v18, v18, v20 :: v_dual_add_f32 v25, v25, v85
	v_dual_add_f32 v22, v22, v55 :: v_dual_add_f32 v23, v23, v56
	;; [unrolled: 1-line block ×3, first 2 shown]
	v_add_f32_e32 v43, v15, v77
	s_delay_alu instid0(VALU_DEP_3) | instskip(NEXT) | instid1(VALU_DEP_4)
	v_dual_add_f32 v44, v18, v21 :: v_dual_add_f32 v23, v23, v59
	v_dual_add_f32 v20, v19, v87 :: v_dual_add_f32 v21, v22, v58
	v_add_f32_e32 v22, v25, v88
	v_dual_add_f32 v25, v53, v89 :: v_dual_add_f32 v24, v24, v60
	s_and_not1_saveexec_b32 s35, s35
	s_cbranch_execz .LBB327_15
.LBB327_41:                             ;   in Loop: Header=BB327_13 Depth=1
	v_dual_mov_b32 v43, 0 :: v_dual_mov_b32 v44, 0
	v_dual_mov_b32 v20, 0 :: v_dual_mov_b32 v21, 0
	;; [unrolled: 1-line block ×3, first 2 shown]
	s_waitcnt lgkmcnt(0)
	v_dual_mov_b32 v25, 0 :: v_dual_mov_b32 v24, 0
	s_and_saveexec_b32 s36, s3
	s_cbranch_execz .LBB327_47
; %bb.42:                               ;   in Loop: Header=BB327_13 Depth=1
	v_dual_mov_b32 v43, 0 :: v_dual_mov_b32 v44, 0
	v_dual_mov_b32 v20, 0 :: v_dual_mov_b32 v21, 0
	;; [unrolled: 1-line block ×4, first 2 shown]
	s_and_not1_b32 vcc_lo, exec_lo, s31
	s_cbranch_vccnz .LBB327_47
; %bb.43:                               ;   in Loop: Header=BB327_13 Depth=1
	v_mov_b32_e32 v19, v7
	v_dual_mov_b32 v15, 0 :: v_dual_mov_b32 v18, v6
	s_mov_b32 s37, s11
.LBB327_44:                             ;   Parent Loop BB327_13 Depth=1
                                        ; =>  This Inner Loop Header: Depth=2
	flat_load_b64 v[20:21], v[18:19]
	v_add_co_u32 v18, vcc_lo, v18, s22
	v_add_co_ci_u32_e32 v19, vcc_lo, s23, v19, vcc_lo
	s_add_i32 s37, s37, -1
	s_delay_alu instid0(SALU_CYCLE_1)
	s_cmp_eq_u32 s37, 0
	s_waitcnt vmcnt(0) lgkmcnt(0)
	scratch_store_b64 v15, v[20:21], off
	v_add_nc_u32_e32 v15, 8, v15
	s_cbranch_scc0 .LBB327_44
; %bb.45:                               ;   in Loop: Header=BB327_13 Depth=1
	v_dual_mov_b32 v24, 0 :: v_dual_mov_b32 v19, v17
	v_dual_mov_b32 v18, v16 :: v_dual_mov_b32 v15, v42
	;; [unrolled: 1-line block ×5, first 2 shown]
	v_mov_b32_e32 v43, 0
	s_mov_b32 s37, s11
.LBB327_46:                             ;   Parent Loop BB327_13 Depth=1
                                        ; =>  This Inner Loop Header: Depth=2
	v_add_co_u32 v47, vcc_lo, v18, s26
	v_add_co_ci_u32_e32 v48, vcc_lo, s27, v19, vcc_lo
	scratch_load_b64 v[45:46], v15, off offset:-4
	flat_load_b64 v[49:50], v[18:19]
	v_add_co_u32 v51, vcc_lo, v47, s26
	v_add_co_ci_u32_e32 v52, vcc_lo, s27, v48, vcc_lo
	v_add_nc_u32_e32 v15, 8, v15
	s_delay_alu instid0(VALU_DEP_3) | instskip(NEXT) | instid1(VALU_DEP_3)
	v_add_co_u32 v53, vcc_lo, v51, s26
	v_add_co_ci_u32_e32 v54, vcc_lo, s27, v52, vcc_lo
	s_clause 0x2
	flat_load_b64 v[47:48], v[47:48]
	flat_load_b64 v[51:52], v[51:52]
	;; [unrolled: 1-line block ×3, first 2 shown]
	v_add_co_u32 v18, vcc_lo, v18, 8
	v_add_co_ci_u32_e32 v19, vcc_lo, 0, v19, vcc_lo
	s_add_i32 s37, s37, -1
	s_delay_alu instid0(SALU_CYCLE_1) | instskip(SKIP_3) | instid1(VALU_DEP_2)
	s_cmp_lg_u32 s37, 0
	s_waitcnt vmcnt(3) lgkmcnt(3)
	v_mul_f32_e32 v55, v46, v50
	v_mul_f32_e32 v50, v45, v50
	v_fmac_f32_e32 v55, v45, v49
	s_delay_alu instid0(VALU_DEP_2) | instskip(SKIP_2) | instid1(VALU_DEP_3)
	v_fma_f32 v49, v46, v49, -v50
	s_waitcnt vmcnt(2) lgkmcnt(2)
	v_mul_f32_e32 v50, v46, v48
	v_dual_mul_f32 v48, v45, v48 :: v_dual_add_f32 v43, v43, v55
	s_waitcnt vmcnt(1) lgkmcnt(1)
	v_dual_add_f32 v44, v44, v49 :: v_dual_mul_f32 v49, v45, v52
	s_delay_alu instid0(VALU_DEP_1)
	v_fma_f32 v49, v46, v51, -v49
	v_fmac_f32_e32 v50, v45, v47
	v_fma_f32 v47, v46, v47, -v48
	v_mul_f32_e32 v48, v46, v52
	s_waitcnt vmcnt(0) lgkmcnt(0)
	v_mul_f32_e32 v52, v46, v54
	v_dual_mul_f32 v54, v45, v54 :: v_dual_add_f32 v23, v23, v49
	v_add_f32_e32 v21, v21, v47
	v_fmac_f32_e32 v48, v45, v51
	s_delay_alu instid0(VALU_DEP_4) | instskip(NEXT) | instid1(VALU_DEP_4)
	v_fmac_f32_e32 v52, v45, v53
	v_fma_f32 v45, v46, v53, -v54
	v_add_f32_e32 v20, v20, v50
	s_delay_alu instid0(VALU_DEP_4) | instskip(NEXT) | instid1(VALU_DEP_3)
	v_add_f32_e32 v22, v22, v48
	v_dual_add_f32 v25, v25, v52 :: v_dual_add_f32 v24, v24, v45
	s_cbranch_scc1 .LBB327_46
.LBB327_47:                             ;   in Loop: Header=BB327_13 Depth=1
	s_or_b32 exec_lo, exec_lo, s36
	s_delay_alu instid0(SALU_CYCLE_1)
	s_or_b32 exec_lo, exec_lo, s35
	s_and_saveexec_b32 s35, s0
	s_cbranch_execnz .LBB327_16
	s_branch .LBB327_17
.LBB327_48:                             ;   in Loop: Header=BB327_13 Depth=1
	ds_load_b64 v[18:19], v40
	s_or_b32 exec_lo, exec_lo, s35
	s_and_saveexec_b32 s35, s0
	s_cbranch_execz .LBB327_21
.LBB327_49:                             ;   in Loop: Header=BB327_13 Depth=1
	s_waitcnt lgkmcnt(0)
	ds_bpermute_b32 v15, v37, v18
	ds_bpermute_b32 v43, v37, v19
	s_waitcnt lgkmcnt(1)
	v_add_f32_e32 v15, v18, v15
	s_waitcnt lgkmcnt(0)
	v_add_f32_e32 v18, v19, v43
	ds_bpermute_b32 v19, v38, v15
	ds_bpermute_b32 v43, v38, v18
	s_waitcnt lgkmcnt(1)
	v_add_f32_e32 v15, v15, v19
	s_waitcnt lgkmcnt(0)
	v_add_f32_e32 v19, v18, v43
	ds_bpermute_b32 v18, v39, v15
	s_waitcnt lgkmcnt(0)
	v_add_f32_e32 v18, v15, v18
	ds_bpermute_b32 v43, v39, v19
	s_waitcnt lgkmcnt(0)
	v_add_f32_e32 v19, v19, v43
	s_or_b32 exec_lo, exec_lo, s35
	s_and_saveexec_b32 s35, s0
	s_cbranch_execnz .LBB327_22
	s_branch .LBB327_23
.LBB327_50:                             ;   in Loop: Header=BB327_13 Depth=1
	ds_load_b64 v[20:21], v40
	s_or_b32 exec_lo, exec_lo, s35
	s_and_saveexec_b32 s35, s0
	s_cbranch_execz .LBB327_27
.LBB327_51:                             ;   in Loop: Header=BB327_13 Depth=1
	s_waitcnt lgkmcnt(0)
	ds_bpermute_b32 v15, v37, v20
	ds_bpermute_b32 v43, v37, v21
	s_waitcnt lgkmcnt(1)
	v_add_f32_e32 v15, v20, v15
	s_waitcnt lgkmcnt(0)
	v_add_f32_e32 v20, v21, v43
	ds_bpermute_b32 v21, v38, v15
	s_waitcnt lgkmcnt(0)
	v_add_f32_e32 v15, v15, v21
	ds_bpermute_b32 v43, v38, v20
	;; [unrolled: 3-line block ×4, first 2 shown]
	s_waitcnt lgkmcnt(0)
	v_add_f32_e32 v21, v21, v43
	s_or_b32 exec_lo, exec_lo, s35
	s_and_saveexec_b32 s35, s0
	s_cbranch_execnz .LBB327_28
	s_branch .LBB327_29
.LBB327_52:                             ;   in Loop: Header=BB327_13 Depth=1
	ds_load_b64 v[22:23], v40
	s_or_b32 exec_lo, exec_lo, s35
	s_and_saveexec_b32 s35, s0
	s_cbranch_execz .LBB327_33
.LBB327_53:                             ;   in Loop: Header=BB327_13 Depth=1
	s_waitcnt lgkmcnt(0)
	ds_bpermute_b32 v15, v37, v22
	ds_bpermute_b32 v43, v37, v23
	s_waitcnt lgkmcnt(1)
	v_add_f32_e32 v15, v22, v15
	s_waitcnt lgkmcnt(0)
	v_add_f32_e32 v22, v23, v43
	ds_bpermute_b32 v23, v38, v15
	ds_bpermute_b32 v43, v38, v22
	s_waitcnt lgkmcnt(1)
	v_add_f32_e32 v15, v15, v23
	s_waitcnt lgkmcnt(0)
	v_add_f32_e32 v23, v22, v43
	ds_bpermute_b32 v22, v39, v15
	s_waitcnt lgkmcnt(0)
	v_add_f32_e32 v22, v15, v22
	ds_bpermute_b32 v43, v39, v23
	s_waitcnt lgkmcnt(0)
	v_add_f32_e32 v23, v23, v43
	s_or_b32 exec_lo, exec_lo, s35
	s_and_saveexec_b32 s35, s0
	s_cbranch_execnz .LBB327_34
	s_branch .LBB327_35
.LBB327_54:                             ;   in Loop: Header=BB327_13 Depth=1
	ds_load_b64 v[24:25], v40
	s_or_b32 exec_lo, exec_lo, s35
	s_and_saveexec_b32 s35, s0
	s_cbranch_execz .LBB327_39
.LBB327_55:                             ;   in Loop: Header=BB327_13 Depth=1
	s_waitcnt lgkmcnt(0)
	ds_bpermute_b32 v15, v37, v24
	ds_bpermute_b32 v43, v37, v25
	s_waitcnt lgkmcnt(1)
	v_add_f32_e32 v15, v24, v15
	s_waitcnt lgkmcnt(0)
	v_add_f32_e32 v24, v25, v43
	ds_bpermute_b32 v25, v38, v15
	s_waitcnt lgkmcnt(0)
	v_add_f32_e32 v15, v15, v25
	ds_bpermute_b32 v43, v38, v24
	;; [unrolled: 3-line block ×4, first 2 shown]
	s_waitcnt lgkmcnt(0)
	v_add_f32_e32 v25, v25, v43
	s_or_b32 exec_lo, exec_lo, s35
	s_and_saveexec_b32 s35, s5
	s_cbranch_execz .LBB327_12
.LBB327_56:                             ;   in Loop: Header=BB327_13 Depth=1
	v_mul_f32_e32 v44, s6, v19
	v_mul_f32_e32 v15, s7, v19
	s_mul_hi_u32 s37, s15, s10
	s_mul_i32 s36, s15, s10
	s_delay_alu instid0(VALU_DEP_2)
	v_dual_mul_f32 v19, s6, v21 :: v_dual_fmac_f32 v44, s7, v18
	s_lshl_b64 s[36:37], s[36:37], 3
	v_fma_f32 v43, v18, s6, -v15
	s_add_u32 s36, s33, s36
	s_addc_u32 s37, s34, s37
	v_mul_f32_e32 v15, s7, v21
	v_mul_f32_e32 v21, s6, v23
	global_store_b64 v14, v[43:44], s[36:37]
	s_or_b32 s36, s15, 1
	v_fmac_f32_e32 v19, s7, v20
	s_mul_hi_u32 s37, s36, s10
	s_mul_i32 s36, s36, s10
	v_fma_f32 v18, v20, s6, -v15
	s_lshl_b64 s[36:37], s[36:37], 3
	v_mul_f32_e32 v15, s7, v23
	s_add_u32 s36, s33, s36
	s_addc_u32 s37, s34, s37
	s_or_b32 s38, s15, 2
	s_waitcnt lgkmcnt(0)
	v_mul_f32_e32 v23, s6, v25
	s_mul_hi_u32 s39, s38, s10
	s_mul_i32 s38, s38, s10
	v_fma_f32 v20, v22, s6, -v15
	s_lshl_b64 s[38:39], s[38:39], 3
	v_mul_f32_e32 v15, s7, v25
	s_add_u32 s38, s33, s38
	s_addc_u32 s39, s34, s39
	s_or_b32 s40, s15, 3
	v_fmac_f32_e32 v21, s7, v22
	s_mul_hi_u32 s41, s40, s10
	s_mul_i32 s40, s40, s10
	v_fma_f32 v22, v24, s6, -v15
	v_fmac_f32_e32 v23, s7, v24
	s_lshl_b64 s[40:41], s[40:41], 3
	global_store_b64 v14, v[18:19], s[36:37]
	s_add_u32 s36, s33, s40
	s_addc_u32 s37, s34, s41
	s_clause 0x1
	global_store_b64 v14, v[20:21], s[38:39]
	global_store_b64 v14, v[22:23], s[36:37]
	s_branch .LBB327_12
.LBB327_57:
	s_mov_b32 s15, 0
.LBB327_58:
	s_delay_alu instid0(SALU_CYCLE_1)
	s_cmp_ge_i32 s15, s9
	s_cbranch_scc1 .LBB327_80
; %bb.59:
	v_cmp_gt_u32_e64 s1, 16, v32
	v_mad_i64_i32 v[12:13], null, s20, v27, 0
	s_cmp_gt_i32 s11, 0
	s_mov_b32 s23, 0
	s_delay_alu instid0(VALU_DEP_2)
	v_cndmask_b32_e64 v6, 0, 1, s1
	v_cmp_gt_u32_e64 s1, 24, v32
	s_mov_b32 s22, s14
	s_cselect_b32 s24, -1, 0
	s_lshl_b64 s[22:23], s[22:23], 3
	v_lshlrev_b32_e32 v6, 4, v6
	v_cndmask_b32_e64 v7, 0, 1, s1
	v_cmp_gt_u32_e64 s1, 28, v32
	v_cmp_ge_i32_e32 vcc_lo, s8, v33
	v_cmp_ge_i32_e64 s4, s8, v34
	v_add_lshl_u32 v17, v6, v32, 2
	v_lshlrev_b32_e32 v7, 3, v7
	v_cndmask_b32_e64 v8, 0, 1, s1
	v_cmp_gt_u32_e64 s1, 30, v32
	s_add_u32 s8, s28, s22
	s_addc_u32 s14, s29, s23
	v_add_lshl_u32 v18, v7, v32, 2
	v_lshlrev_b32_e32 v8, 2, v8
	v_cndmask_b32_e64 v9, 0, 1, s1
	v_cmp_ne_u32_e64 s1, 31, v32
	v_mad_i64_i32 v[6:7], null, s20, v5, 0
	s_delay_alu instid0(VALU_DEP_4) | instskip(NEXT) | instid1(VALU_DEP_4)
	v_add_lshl_u32 v19, v8, v32, 2
	v_lshlrev_b32_e32 v9, 1, v9
	s_delay_alu instid0(VALU_DEP_4) | instskip(SKIP_2) | instid1(VALU_DEP_2)
	v_add_co_ci_u32_e64 v10, s1, 0, v32, s1
	s_mul_i32 s22, s13, s15
	s_mul_hi_u32 s23, s12, s15
	v_add_lshl_u32 v20, v9, v32, 2
	v_mad_i64_i32 v[8:9], null, s20, v30, 0
	v_lshlrev_b32_e32 v21, 2, v10
	v_mad_i64_i32 v[10:11], null, s20, v28, 0
	v_lshlrev_b64 v[5:6], 3, v[6:7]
	v_cmp_gt_u32_e64 s0, 32, v0
	v_lshlrev_b32_e32 v16, 3, v29
	v_lshlrev_b64 v[7:8], 3, v[8:9]
	v_cmp_eq_u32_e64 s1, 0, v29
	v_and_b32_e32 v22, 56, v31
	v_add_co_u32 v5, s5, s18, v5
	v_lshlrev_b64 v[9:10], 3, v[10:11]
	v_add_co_ci_u32_e64 v6, s5, s19, v6, s5
	v_add_co_u32 v7, s5, s18, v7
	v_lshlrev_b64 v[11:12], 3, v[12:13]
	v_mov_b32_e32 v13, 0
	v_add_co_ci_u32_e64 v8, s5, s19, v8, s5
	v_add_co_u32 v9, s5, s18, v9
	s_delay_alu instid0(VALU_DEP_1) | instskip(SKIP_1) | instid1(VALU_DEP_1)
	v_add_co_ci_u32_e64 v10, s5, s19, v10, s5
	v_add_co_u32 v11, s5, s18, v11
	v_add_co_ci_u32_e64 v12, s5, s19, v12, s5
	s_add_i32 s19, s23, s22
	s_mul_i32 s18, s12, s15
	s_and_b32 s5, s24, s4
	s_lshl_b64 s[22:23], s[18:19], 3
	s_lshl_b64 s[18:19], s[20:21], 3
	s_add_u32 s4, s16, s22
	s_addc_u32 s16, s17, s23
	v_add_co_u32 v3, s4, s4, v3
	v_cmp_gt_u32_e64 s2, 8, v0
	v_cmp_eq_u32_e64 s3, 0, v0
	v_add_co_ci_u32_e64 v4, s4, s16, v4, s4
	s_lshl_b64 s[16:17], s[12:13], 3
	s_branch .LBB327_61
.LBB327_60:                             ;   in Loop: Header=BB327_61 Depth=1
	s_or_b32 exec_lo, exec_lo, s4
	v_add_co_u32 v3, s4, v3, s16
	s_delay_alu instid0(VALU_DEP_1) | instskip(SKIP_1) | instid1(SALU_CYCLE_1)
	v_add_co_ci_u32_e64 v4, s4, s17, v4, s4
	s_add_i32 s15, s15, 1
	s_cmp_lt_i32 s15, s9
	s_cbranch_scc0 .LBB327_80
.LBB327_61:                             ; =>This Loop Header: Depth=1
                                        ;     Child Loop BB327_73 Depth 2
                                        ;     Child Loop BB327_75 Depth 2
                                        ; implicit-def: $vgpr0
                                        ; implicit-def: $vgpr23
	s_and_saveexec_b32 s4, vcc_lo
	s_delay_alu instid0(SALU_CYCLE_1)
	s_xor_b32 s20, exec_lo, s4
	s_cbranch_execnz .LBB327_70
; %bb.62:                               ;   in Loop: Header=BB327_61 Depth=1
	s_and_not1_saveexec_b32 s20, s20
	s_cbranch_execnz .LBB327_71
.LBB327_63:                             ;   in Loop: Header=BB327_61 Depth=1
	s_or_b32 exec_lo, exec_lo, s20
	s_and_saveexec_b32 s4, s0
	s_cbranch_execz .LBB327_65
.LBB327_64:                             ;   in Loop: Header=BB327_61 Depth=1
	s_waitcnt lgkmcnt(0)
	v_mov_b32_e32 v14, v13
	ds_store_b64 v16, v[13:14]
.LBB327_65:                             ;   in Loop: Header=BB327_61 Depth=1
	s_or_b32 exec_lo, exec_lo, s4
	s_waitcnt lgkmcnt(0)
	ds_bpermute_b32 v14, v17, v0
	ds_bpermute_b32 v15, v17, v23
	s_waitcnt lgkmcnt(0)
	s_waitcnt_vscnt null, 0x0
	s_barrier
	buffer_gl0_inv
	v_add_f32_e32 v0, v0, v14
	v_add_f32_e32 v14, v23, v15
	ds_bpermute_b32 v15, v18, v0
	ds_bpermute_b32 v23, v18, v14
	s_waitcnt lgkmcnt(1)
	v_add_f32_e32 v0, v0, v15
	s_waitcnt lgkmcnt(0)
	v_add_f32_e32 v14, v14, v23
	ds_bpermute_b32 v15, v19, v0
	ds_bpermute_b32 v23, v19, v14
	s_waitcnt lgkmcnt(1)
	v_add_f32_e32 v0, v0, v15
	s_waitcnt lgkmcnt(0)
	;; [unrolled: 6-line block ×3, first 2 shown]
	v_add_f32_e32 v14, v14, v23
	ds_bpermute_b32 v15, v21, v0
	ds_bpermute_b32 v23, v21, v14
	s_and_saveexec_b32 s4, s1
	s_cbranch_execz .LBB327_67
; %bb.66:                               ;   in Loop: Header=BB327_61 Depth=1
	s_waitcnt lgkmcnt(0)
	v_add_f32_e32 v24, v14, v23
	v_add_f32_e32 v23, v0, v15
	ds_store_b64 v22, v[23:24]
.LBB327_67:                             ;   in Loop: Header=BB327_61 Depth=1
	s_or_b32 exec_lo, exec_lo, s4
	s_waitcnt lgkmcnt(1)
	v_dual_mov_b32 v15, 0 :: v_dual_mov_b32 v14, 0
	s_waitcnt lgkmcnt(0)
	s_barrier
	buffer_gl0_inv
	s_and_saveexec_b32 s4, s2
	s_cbranch_execnz .LBB327_77
; %bb.68:                               ;   in Loop: Header=BB327_61 Depth=1
	s_or_b32 exec_lo, exec_lo, s4
	s_and_saveexec_b32 s4, s0
	s_cbranch_execnz .LBB327_78
.LBB327_69:                             ;   in Loop: Header=BB327_61 Depth=1
	s_or_b32 exec_lo, exec_lo, s4
	s_and_saveexec_b32 s4, s3
	s_cbranch_execz .LBB327_60
	s_branch .LBB327_79
.LBB327_70:                             ;   in Loop: Header=BB327_61 Depth=1
	s_mul_i32 s4, s15, s13
	s_mul_hi_u32 s21, s15, s12
	s_mul_i32 s22, s15, s12
	s_add_i32 s23, s21, s4
	s_delay_alu instid0(SALU_CYCLE_1) | instskip(SKIP_2) | instid1(VALU_DEP_1)
	s_lshl_b64 s[22:23], s[22:23], 3
	s_waitcnt lgkmcnt(0)
	v_add_co_u32 v14, s4, v1, s22
	v_add_co_ci_u32_e64 v15, s4, s23, v2, s4
	flat_load_b128 v[27:30], v[14:15]
	s_clause 0x1
	flat_load_b64 v[31:32], v[5:6]
	flat_load_b64 v[33:34], v[7:8]
	flat_load_b128 v[35:38], v[14:15] offset:16
	s_clause 0x1
	flat_load_b64 v[39:40], v[9:10]
	flat_load_b64 v[41:42], v[11:12]
	s_waitcnt vmcnt(3) lgkmcnt(3)
	scratch_store_b128 off, v[31:34], off
	s_waitcnt vmcnt(0) lgkmcnt(0)
	scratch_store_b128 off, v[39:42], off offset:16
	v_dual_mul_f32 v0, v28, v32 :: v_dual_mul_f32 v15, v30, v34
	v_dual_mul_f32 v14, v28, v31 :: v_dual_mul_f32 v23, v30, v33
	v_mul_f32_e32 v24, v36, v40
	s_delay_alu instid0(VALU_DEP_3) | instskip(NEXT) | instid1(VALU_DEP_3)
	v_dual_fmac_f32 v0, v27, v31 :: v_dual_fmac_f32 v15, v29, v33
	v_fma_f32 v14, v27, v32, -v14
	v_mul_f32_e32 v25, v36, v39
	s_delay_alu instid0(VALU_DEP_3) | instskip(SKIP_1) | instid1(VALU_DEP_4)
	v_dual_mul_f32 v27, v38, v42 :: v_dual_add_f32 v0, 0, v0
	v_fma_f32 v23, v29, v34, -v23
	v_add_f32_e32 v14, 0, v14
	v_mul_f32_e32 v28, v38, v41
	s_delay_alu instid0(VALU_DEP_4) | instskip(SKIP_4) | instid1(VALU_DEP_2)
	v_dual_fmac_f32 v27, v37, v41 :: v_dual_fmac_f32 v24, v35, v39
	v_fma_f32 v25, v35, v40, -v25
	v_add_f32_e32 v0, v0, v15
	v_add_f32_e32 v14, v14, v23
	v_fma_f32 v15, v37, v42, -v28
	v_add_f32_e32 v14, v14, v25
	s_delay_alu instid0(VALU_DEP_1) | instskip(NEXT) | instid1(VALU_DEP_1)
	v_dual_add_f32 v0, v0, v24 :: v_dual_add_f32 v23, v14, v15
	v_add_f32_e32 v0, v0, v27
	s_and_not1_saveexec_b32 s20, s20
	s_cbranch_execz .LBB327_63
.LBB327_71:                             ;   in Loop: Header=BB327_61 Depth=1
	v_dual_mov_b32 v0, 0 :: v_dual_mov_b32 v23, 0
	s_and_saveexec_b32 s21, s5
	s_cbranch_execz .LBB327_76
; %bb.72:                               ;   in Loop: Header=BB327_61 Depth=1
	s_waitcnt lgkmcnt(0)
	v_dual_mov_b32 v0, 0 :: v_dual_mov_b32 v15, v6
	v_mov_b32_e32 v14, v5
	s_mov_b32 s22, s11
.LBB327_73:                             ;   Parent Loop BB327_61 Depth=1
                                        ; =>  This Inner Loop Header: Depth=2
	s_waitcnt lgkmcnt(0)
	flat_load_b64 v[23:24], v[14:15]
	v_add_co_u32 v14, s4, v14, s18
	s_delay_alu instid0(VALU_DEP_1) | instskip(SKIP_1) | instid1(SALU_CYCLE_1)
	v_add_co_ci_u32_e64 v15, s4, s19, v15, s4
	s_add_i32 s22, s22, -1
	s_cmp_eq_u32 s22, 0
	s_waitcnt vmcnt(0) lgkmcnt(0)
	scratch_store_b64 v0, v[23:24], off
	v_add_nc_u32_e32 v0, 8, v0
	s_cbranch_scc0 .LBB327_73
; %bb.74:                               ;   in Loop: Header=BB327_61 Depth=1
	v_dual_mov_b32 v0, 0 :: v_dual_mov_b32 v15, v4
	v_dual_mov_b32 v14, v3 :: v_dual_mov_b32 v23, 0
	v_mov_b32_e32 v24, v26
	s_mov_b32 s22, s11
	.p2align	6
.LBB327_75:                             ;   Parent Loop BB327_61 Depth=1
                                        ; =>  This Inner Loop Header: Depth=2
	flat_load_b64 v[27:28], v[14:15]
	scratch_load_b64 v[29:30], v24, off offset:-4
	v_add_co_u32 v14, s4, v14, 8
	s_delay_alu instid0(VALU_DEP_1)
	v_add_co_ci_u32_e64 v15, s4, 0, v15, s4
	s_add_i32 s22, s22, -1
	v_add_nc_u32_e32 v24, 8, v24
	s_cmp_lg_u32 s22, 0
	s_waitcnt vmcnt(0) lgkmcnt(0)
	v_mul_f32_e32 v25, v28, v30
	v_mul_f32_e32 v28, v28, v29
	s_delay_alu instid0(VALU_DEP_2) | instskip(NEXT) | instid1(VALU_DEP_2)
	v_fmac_f32_e32 v25, v27, v29
	v_fma_f32 v27, v27, v30, -v28
	s_delay_alu instid0(VALU_DEP_1)
	v_dual_add_f32 v0, v0, v25 :: v_dual_add_f32 v23, v23, v27
	s_cbranch_scc1 .LBB327_75
.LBB327_76:                             ;   in Loop: Header=BB327_61 Depth=1
	s_or_b32 exec_lo, exec_lo, s21
	s_delay_alu instid0(SALU_CYCLE_1)
	s_or_b32 exec_lo, exec_lo, s20
	s_and_saveexec_b32 s4, s0
	s_cbranch_execnz .LBB327_64
	s_branch .LBB327_65
.LBB327_77:                             ;   in Loop: Header=BB327_61 Depth=1
	ds_load_b64 v[14:15], v16
	s_or_b32 exec_lo, exec_lo, s4
	s_and_saveexec_b32 s4, s0
	s_cbranch_execz .LBB327_69
.LBB327_78:                             ;   in Loop: Header=BB327_61 Depth=1
	s_waitcnt lgkmcnt(0)
	ds_bpermute_b32 v0, v19, v14
	ds_bpermute_b32 v23, v19, v15
	s_waitcnt lgkmcnt(1)
	v_add_f32_e32 v0, v14, v0
	s_waitcnt lgkmcnt(0)
	v_add_f32_e32 v14, v15, v23
	ds_bpermute_b32 v15, v20, v0
	ds_bpermute_b32 v23, v20, v14
	s_waitcnt lgkmcnt(1)
	v_add_f32_e32 v0, v0, v15
	s_waitcnt lgkmcnt(0)
	v_add_f32_e32 v15, v14, v23
	ds_bpermute_b32 v14, v21, v0
	s_waitcnt lgkmcnt(0)
	v_add_f32_e32 v14, v0, v14
	ds_bpermute_b32 v23, v21, v15
	s_waitcnt lgkmcnt(0)
	v_add_f32_e32 v15, v15, v23
	s_or_b32 exec_lo, exec_lo, s4
	s_and_saveexec_b32 s4, s3
	s_cbranch_execz .LBB327_60
.LBB327_79:                             ;   in Loop: Header=BB327_61 Depth=1
	s_waitcnt lgkmcnt(0)
	v_mul_f32_e32 v0, s7, v15
	v_mul_f32_e32 v24, s6, v15
	s_mul_hi_u32 s21, s15, s10
	s_mul_i32 s20, s15, s10
	s_delay_alu instid0(SALU_CYCLE_1)
	s_lshl_b64 s[20:21], s[20:21], 3
	v_fma_f32 v23, v14, s6, -v0
	v_fmac_f32_e32 v24, s7, v14
	s_add_u32 s20, s8, s20
	s_addc_u32 s21, s14, s21
	global_store_b64 v13, v[23:24], s[20:21]
	s_branch .LBB327_60
.LBB327_80:
	s_nop 0
	s_sendmsg sendmsg(MSG_DEALLOC_VGPRS)
	s_endpgm
	.section	.rodata,"a",@progbits
	.p2align	6, 0x0
	.amdhsa_kernel _ZL23rocblas_gemvt_sn_kernelILb1ELi256ELi4ElPK19rocblas_complex_numIfES3_S1_EviiT4_lPKT3_lilS7_lilPT5_i
		.amdhsa_group_segment_fixed_size 256
		.amdhsa_private_segment_fixed_size 48
		.amdhsa_kernarg_size 360
		.amdhsa_user_sgpr_count 14
		.amdhsa_user_sgpr_dispatch_ptr 0
		.amdhsa_user_sgpr_queue_ptr 0
		.amdhsa_user_sgpr_kernarg_segment_ptr 1
		.amdhsa_user_sgpr_dispatch_id 0
		.amdhsa_user_sgpr_private_segment_size 0
		.amdhsa_wavefront_size32 1
		.amdhsa_uses_dynamic_stack 0
		.amdhsa_enable_private_segment 1
		.amdhsa_system_sgpr_workgroup_id_x 1
		.amdhsa_system_sgpr_workgroup_id_y 0
		.amdhsa_system_sgpr_workgroup_id_z 1
		.amdhsa_system_sgpr_workgroup_info 0
		.amdhsa_system_vgpr_workitem_id 0
		.amdhsa_next_free_vgpr 90
		.amdhsa_next_free_sgpr 42
		.amdhsa_reserve_vcc 1
		.amdhsa_float_round_mode_32 0
		.amdhsa_float_round_mode_16_64 0
		.amdhsa_float_denorm_mode_32 3
		.amdhsa_float_denorm_mode_16_64 3
		.amdhsa_dx10_clamp 1
		.amdhsa_ieee_mode 1
		.amdhsa_fp16_overflow 0
		.amdhsa_workgroup_processor_mode 1
		.amdhsa_memory_ordered 1
		.amdhsa_forward_progress 0
		.amdhsa_shared_vgpr_count 0
		.amdhsa_exception_fp_ieee_invalid_op 0
		.amdhsa_exception_fp_denorm_src 0
		.amdhsa_exception_fp_ieee_div_zero 0
		.amdhsa_exception_fp_ieee_overflow 0
		.amdhsa_exception_fp_ieee_underflow 0
		.amdhsa_exception_fp_ieee_inexact 0
		.amdhsa_exception_int_div_zero 0
	.end_amdhsa_kernel
	.section	.text._ZL23rocblas_gemvt_sn_kernelILb1ELi256ELi4ElPK19rocblas_complex_numIfES3_S1_EviiT4_lPKT3_lilS7_lilPT5_i,"axG",@progbits,_ZL23rocblas_gemvt_sn_kernelILb1ELi256ELi4ElPK19rocblas_complex_numIfES3_S1_EviiT4_lPKT3_lilS7_lilPT5_i,comdat
.Lfunc_end327:
	.size	_ZL23rocblas_gemvt_sn_kernelILb1ELi256ELi4ElPK19rocblas_complex_numIfES3_S1_EviiT4_lPKT3_lilS7_lilPT5_i, .Lfunc_end327-_ZL23rocblas_gemvt_sn_kernelILb1ELi256ELi4ElPK19rocblas_complex_numIfES3_S1_EviiT4_lPKT3_lilS7_lilPT5_i
                                        ; -- End function
	.section	.AMDGPU.csdata,"",@progbits
; Kernel info:
; codeLenInByte = 5544
; NumSgprs: 44
; NumVgprs: 90
; ScratchSize: 48
; MemoryBound: 0
; FloatMode: 240
; IeeeMode: 1
; LDSByteSize: 256 bytes/workgroup (compile time only)
; SGPRBlocks: 5
; VGPRBlocks: 11
; NumSGPRsForWavesPerEU: 44
; NumVGPRsForWavesPerEU: 90
; Occupancy: 16
; WaveLimiterHint : 0
; COMPUTE_PGM_RSRC2:SCRATCH_EN: 1
; COMPUTE_PGM_RSRC2:USER_SGPR: 14
; COMPUTE_PGM_RSRC2:TRAP_HANDLER: 0
; COMPUTE_PGM_RSRC2:TGID_X_EN: 1
; COMPUTE_PGM_RSRC2:TGID_Y_EN: 0
; COMPUTE_PGM_RSRC2:TGID_Z_EN: 1
; COMPUTE_PGM_RSRC2:TIDIG_COMP_CNT: 0
	.section	.text._ZL23rocblas_gemvt_sn_kernelILb1ELi256ELi4EiPK19rocblas_complex_numIfES1_S1_EviiT4_lPKT3_lilS7_lilPT5_i,"axG",@progbits,_ZL23rocblas_gemvt_sn_kernelILb1ELi256ELi4EiPK19rocblas_complex_numIfES1_S1_EviiT4_lPKT3_lilS7_lilPT5_i,comdat
	.globl	_ZL23rocblas_gemvt_sn_kernelILb1ELi256ELi4EiPK19rocblas_complex_numIfES1_S1_EviiT4_lPKT3_lilS7_lilPT5_i ; -- Begin function _ZL23rocblas_gemvt_sn_kernelILb1ELi256ELi4EiPK19rocblas_complex_numIfES1_S1_EviiT4_lPKT3_lilS7_lilPT5_i
	.p2align	8
	.type	_ZL23rocblas_gemvt_sn_kernelILb1ELi256ELi4EiPK19rocblas_complex_numIfES1_S1_EviiT4_lPKT3_lilS7_lilPT5_i,@function
_ZL23rocblas_gemvt_sn_kernelILb1ELi256ELi4EiPK19rocblas_complex_numIfES1_S1_EviiT4_lPKT3_lilS7_lilPT5_i: ; @_ZL23rocblas_gemvt_sn_kernelILb1ELi256ELi4EiPK19rocblas_complex_numIfES1_S1_EviiT4_lPKT3_lilS7_lilPT5_i
; %bb.0:
	s_load_b128 s[8:11], s[0:1], 0x0
	s_mov_b32 s2, s15
	s_waitcnt lgkmcnt(0)
	s_or_b32 s3, s10, s11
	s_delay_alu instid0(SALU_CYCLE_1) | instskip(NEXT) | instid1(SALU_CYCLE_1)
	s_bitset0_b32 s3, 31
	s_cmp_lg_u32 s3, 0
	s_cselect_b32 s6, -1, 0
	s_cmp_eq_u32 s3, 0
	s_mov_b32 s3, 0
	s_cselect_b32 s15, -1, 0
	s_and_b32 vcc_lo, exec_lo, s6
	s_cbranch_vccnz .LBB328_2
; %bb.1:
	s_mov_b64 s[4:5], 0
	s_and_not1_b32 vcc_lo, exec_lo, s3
	s_cbranch_vccz .LBB328_3
	s_branch .LBB328_4
.LBB328_2:
	s_mov_b32 s3, -1
                                        ; implicit-def: $sgpr4_sgpr5
.LBB328_3:
	s_load_b128 s[16:19], s[0:1], 0x18
	s_mov_b32 s3, 0
	s_delay_alu instid0(SALU_CYCLE_1)
	s_lshl_b64 s[4:5], s[2:3], 3
	s_waitcnt lgkmcnt(0)
	s_add_u32 s4, s16, s4
	s_addc_u32 s5, s17, s5
	s_lshl_b64 s[12:13], s[18:19], 3
	s_load_b64 s[4:5], s[4:5], 0x0
	s_waitcnt lgkmcnt(0)
	s_add_u32 s4, s4, s12
	s_addc_u32 s5, s5, s13
.LBB328_4:
	s_and_not1_b32 vcc_lo, exec_lo, s6
	s_mov_b64 s[6:7], 0
	s_cbranch_vccnz .LBB328_6
; %bb.5:
	s_load_b128 s[16:19], s[0:1], 0x38
	s_lshl_b64 s[6:7], s[2:3], 3
	s_waitcnt lgkmcnt(0)
	s_add_u32 s6, s16, s6
	s_addc_u32 s7, s17, s7
	s_lshl_b64 s[12:13], s[18:19], 3
	s_load_b64 s[6:7], s[6:7], 0x0
	s_waitcnt lgkmcnt(0)
	s_add_u32 s6, s6, s12
	s_addc_u32 s7, s7, s13
.LBB328_6:
	s_clause 0x1
	s_load_b32 s12, s[0:1], 0x68
	s_load_b64 s[16:17], s[0:1], 0x58
	s_ashr_i32 s22, s9, 31
	s_mul_hi_u32 s18, s2, s9
	s_mul_i32 s19, s2, s22
	s_mul_i32 s3, s3, s9
	s_add_i32 s18, s18, s19
	s_mul_i32 s20, s2, s9
	s_add_i32 s3, s18, s3
	v_cmp_eq_u32_e64 s2, 0, v0
	s_and_not1_b32 vcc_lo, exec_lo, s15
	s_mov_b32 s13, 0
	s_waitcnt lgkmcnt(0)
	s_mul_i32 s3, s3, s12
	s_mul_hi_u32 s15, s20, s12
	s_mul_i32 s18, s20, s12
	s_add_i32 s19, s15, s3
	s_mov_b32 s3, -1
	s_cbranch_vccnz .LBB328_11
; %bb.7:
	s_cmp_gt_i32 s9, 0
	s_cselect_b32 s3, -1, 0
	s_delay_alu instid0(SALU_CYCLE_1) | instskip(NEXT) | instid1(SALU_CYCLE_1)
	s_and_b32 s2, s2, s3
	s_and_saveexec_b32 s23, s2
	s_cbranch_execz .LBB328_10
; %bb.8:
	s_mov_b32 s15, 0
	v_mov_b32_e32 v1, 0
	s_lshl_b64 s[2:3], s[18:19], 3
	s_lshl_b64 s[20:21], s[14:15], 3
	s_delay_alu instid0(SALU_CYCLE_1)
	s_add_u32 s2, s2, s20
	s_addc_u32 s3, s3, s21
	s_add_u32 s2, s2, s16
	v_mov_b32_e32 v2, v1
	s_addc_u32 s3, s3, s17
	s_add_u32 s2, s2, 4
	s_addc_u32 s3, s3, 0
	s_lshl_b64 s[20:21], s[12:13], 3
	s_mov_b32 s13, s9
.LBB328_9:                              ; =>This Inner Loop Header: Depth=1
	s_delay_alu instid0(SALU_CYCLE_1)
	s_add_i32 s13, s13, -1
	global_store_b64 v1, v[1:2], s[2:3] offset:-4
	s_add_u32 s2, s2, s20
	s_addc_u32 s3, s3, s21
	s_cmp_eq_u32 s13, 0
	s_cbranch_scc0 .LBB328_9
.LBB328_10:
	s_or_b32 exec_lo, exec_lo, s23
	s_mov_b32 s3, 0
.LBB328_11:
	s_delay_alu instid0(SALU_CYCLE_1)
	s_and_not1_b32 vcc_lo, exec_lo, s3
	s_cbranch_vccnz .LBB328_82
; %bb.12:
	s_lshl_b64 s[2:3], s[18:19], 3
	s_clause 0x1
	s_load_b32 s13, s[0:1], 0x28
	s_load_b32 s26, s[0:1], 0x48
	s_add_u32 s30, s16, s2
	s_addc_u32 s29, s17, s3
	s_lshl_b32 s2, s14, 10
	s_ashr_i32 s0, s8, 31
	v_lshl_or_b32 v2, v0, 2, s2
	s_lshr_b32 s0, s0, 30
	s_lshr_b32 s1, s22, 30
	s_add_i32 s0, s8, s0
	s_add_i32 s1, s9, s1
	v_ashrrev_i32_e32 v3, 31, v2
	s_and_b32 s0, s0, -4
	s_and_b32 s15, s1, -4
	s_sub_i32 s27, s8, s0
	v_add_nc_u32_e32 v27, 4, v2
	v_lshlrev_b64 v[3:4], 3, v[2:3]
	v_add_nc_u32_e32 v28, s27, v2
	v_and_b32_e32 v25, 31, v0
	v_cmp_gt_u32_e64 s0, 32, v0
	v_mbcnt_lo_u32_b32 v26, -1, 0
	s_waitcnt lgkmcnt(0)
	v_mul_lo_u32 v1, v2, s26
	v_add_co_u32 v21, vcc_lo, s4, v3
	v_add_co_ci_u32_e32 v22, vcc_lo, s5, v4, vcc_lo
	v_cmp_gt_u32_e64 s1, 8, v0
	v_lshrrev_b32_e32 v24, 2, v0
	v_or_b32_e64 v23, 0, 4
	s_cmp_lt_i32 s15, 1
	s_cbranch_scc1 .LBB328_59
; %bb.13:
	v_cmp_gt_u32_e32 vcc_lo, 16, v26
	v_mul_lo_u32 v2, v2, s26
	v_cmp_ge_i32_e64 s2, s8, v27
	v_cmp_ge_i32_e64 s3, s8, v28
	v_cmp_eq_u32_e64 s4, 0, v25
	v_cndmask_b32_e64 v3, 0, 1, vcc_lo
	v_cmp_gt_u32_e32 vcc_lo, 24, v26
	v_lshlrev_b32_e32 v34, 3, v25
	v_and_b32_e32 v35, 56, v24
	v_cmp_eq_u32_e64 s5, 0, v0
	v_lshlrev_b32_e32 v3, 4, v3
	v_cndmask_b32_e64 v4, 0, 1, vcc_lo
	v_cmp_gt_u32_e32 vcc_lo, 28, v26
	v_or_b32_e64 v36, 0, 4
	s_cmp_gt_i32 s27, 0
	v_add_lshl_u32 v29, v3, v26, 2
	v_lshlrev_b32_e32 v3, 3, v4
	v_cndmask_b32_e64 v5, 0, 1, vcc_lo
	v_cmp_gt_u32_e32 vcc_lo, 30, v26
	s_mov_b32 s17, 0
	s_cselect_b32 s31, -1, 0
	v_add_lshl_u32 v30, v3, v26, 2
	v_lshlrev_b32_e32 v4, 2, v5
	v_cndmask_b32_e64 v6, 0, 1, vcc_lo
	v_cmp_ne_u32_e32 vcc_lo, 31, v26
	v_ashrrev_i32_e32 v3, 31, v2
	s_lshl_b32 s33, s13, 2
	v_add_lshl_u32 v31, v4, v26, 2
	v_lshlrev_b32_e32 v5, 1, v6
	v_add_co_ci_u32_e32 v6, vcc_lo, 0, v26, vcc_lo
	v_add_nc_u32_e32 v4, s26, v2
	v_lshlrev_b64 v[8:9], 3, v[2:3]
	s_delay_alu instid0(VALU_DEP_4) | instskip(NEXT) | instid1(VALU_DEP_4)
	v_add_lshl_u32 v32, v5, v26, 2
	v_lshlrev_b32_e32 v33, 2, v6
	s_lshl_b32 s34, s13, 1
	v_add_nc_u32_e32 v6, s26, v4
	v_ashrrev_i32_e32 v5, 31, v4
	v_add_co_u32 v3, vcc_lo, s6, v8
	s_mul_i32 s35, s13, 3
	s_delay_alu instid0(VALU_DEP_3) | instskip(SKIP_3) | instid1(VALU_DEP_4)
	v_add_nc_u32_e32 v12, s26, v6
	v_ashrrev_i32_e32 v7, 31, v6
	v_lshlrev_b64 v[10:11], 3, v[4:5]
	v_add_co_ci_u32_e32 v4, vcc_lo, s7, v9, vcc_lo
	v_ashrrev_i32_e32 v13, 31, v12
	s_delay_alu instid0(VALU_DEP_4) | instskip(SKIP_1) | instid1(VALU_DEP_4)
	v_lshlrev_b64 v[7:8], 3, v[6:7]
	s_mov_b32 s18, s17
	v_add_co_u32 v5, vcc_lo, s6, v10
	s_delay_alu instid0(VALU_DEP_3)
	v_lshlrev_b64 v[9:10], 3, v[12:13]
	v_add_co_ci_u32_e32 v6, vcc_lo, s7, v11, vcc_lo
	v_mov_b32_e32 v11, 0
	v_add_co_u32 v7, vcc_lo, s6, v7
	v_add_co_ci_u32_e32 v8, vcc_lo, s7, v8, vcc_lo
	v_add_co_u32 v9, vcc_lo, s6, v9
	v_add_co_ci_u32_e32 v10, vcc_lo, s7, v10, vcc_lo
	s_mov_b32 s36, s13
	s_mov_b32 s28, 0
	s_branch .LBB328_15
.LBB328_14:                             ;   in Loop: Header=BB328_15 Depth=1
	s_or_b32 exec_lo, exec_lo, s19
	s_add_i32 s28, s28, 4
	s_add_i32 s36, s36, s33
	;; [unrolled: 1-line block ×5, first 2 shown]
	s_cmp_ge_i32 s28, s15
	s_cbranch_scc1 .LBB328_60
.LBB328_15:                             ; =>This Loop Header: Depth=1
                                        ;     Child Loop BB328_46 Depth 2
                                        ;     Child Loop BB328_48 Depth 2
                                        ; implicit-def: $vgpr14
                                        ; implicit-def: $vgpr37
                                        ; implicit-def: $vgpr15
                                        ; implicit-def: $vgpr16
                                        ; implicit-def: $vgpr17
                                        ; implicit-def: $vgpr18
                                        ; implicit-def: $vgpr20
                                        ; implicit-def: $vgpr19
	s_and_saveexec_b32 s16, s2
	s_delay_alu instid0(SALU_CYCLE_1)
	s_xor_b32 s16, exec_lo, s16
	s_cbranch_execnz .LBB328_42
; %bb.16:                               ;   in Loop: Header=BB328_15 Depth=1
	s_and_not1_saveexec_b32 s16, s16
	s_cbranch_execnz .LBB328_43
.LBB328_17:                             ;   in Loop: Header=BB328_15 Depth=1
	s_or_b32 exec_lo, exec_lo, s16
	s_and_saveexec_b32 s16, s0
	s_cbranch_execz .LBB328_19
.LBB328_18:                             ;   in Loop: Header=BB328_15 Depth=1
	v_mov_b32_e32 v12, v11
	ds_store_b64 v34, v[11:12]
.LBB328_19:                             ;   in Loop: Header=BB328_15 Depth=1
	s_or_b32 exec_lo, exec_lo, s16
	ds_bpermute_b32 v12, v29, v14
	ds_bpermute_b32 v13, v29, v37
	s_waitcnt lgkmcnt(0)
	s_waitcnt_vscnt null, 0x0
	s_barrier
	buffer_gl0_inv
	v_dual_add_f32 v12, v14, v12 :: v_dual_add_f32 v13, v37, v13
	ds_bpermute_b32 v14, v30, v12
	ds_bpermute_b32 v37, v30, v13
	s_waitcnt lgkmcnt(0)
	v_dual_add_f32 v12, v12, v14 :: v_dual_add_f32 v13, v13, v37
	ds_bpermute_b32 v14, v31, v12
	ds_bpermute_b32 v37, v31, v13
	s_waitcnt lgkmcnt(0)
	;; [unrolled: 4-line block ×3, first 2 shown]
	v_dual_add_f32 v12, v12, v14 :: v_dual_add_f32 v13, v13, v37
	ds_bpermute_b32 v14, v33, v12
	ds_bpermute_b32 v37, v33, v13
	s_and_saveexec_b32 s16, s4
	s_cbranch_execz .LBB328_21
; %bb.20:                               ;   in Loop: Header=BB328_15 Depth=1
	s_waitcnt lgkmcnt(0)
	v_dual_add_f32 v13, v13, v37 :: v_dual_add_f32 v12, v12, v14
	ds_store_b64 v35, v[12:13]
.LBB328_21:                             ;   in Loop: Header=BB328_15 Depth=1
	s_or_b32 exec_lo, exec_lo, s16
	s_waitcnt lgkmcnt(1)
	v_dual_mov_b32 v14, 0 :: v_dual_mov_b32 v13, 0
	s_waitcnt lgkmcnt(0)
	s_barrier
	buffer_gl0_inv
	s_and_saveexec_b32 s16, s1
	s_cbranch_execnz .LBB328_50
; %bb.22:                               ;   in Loop: Header=BB328_15 Depth=1
	s_or_b32 exec_lo, exec_lo, s16
	s_and_saveexec_b32 s16, s0
	s_cbranch_execnz .LBB328_51
.LBB328_23:                             ;   in Loop: Header=BB328_15 Depth=1
	s_or_b32 exec_lo, exec_lo, s16
	s_and_saveexec_b32 s16, s0
	s_cbranch_execz .LBB328_25
.LBB328_24:                             ;   in Loop: Header=BB328_15 Depth=1
	v_mov_b32_e32 v12, v11
	ds_store_b64 v34, v[11:12]
.LBB328_25:                             ;   in Loop: Header=BB328_15 Depth=1
	s_or_b32 exec_lo, exec_lo, s16
	ds_bpermute_b32 v12, v29, v15
	ds_bpermute_b32 v37, v29, v16
	s_waitcnt lgkmcnt(0)
	s_barrier
	buffer_gl0_inv
	v_dual_add_f32 v12, v15, v12 :: v_dual_add_f32 v15, v16, v37
	ds_bpermute_b32 v16, v30, v12
	ds_bpermute_b32 v37, v30, v15
	s_waitcnt lgkmcnt(0)
	v_dual_add_f32 v12, v12, v16 :: v_dual_add_f32 v15, v15, v37
	ds_bpermute_b32 v16, v31, v12
	ds_bpermute_b32 v37, v31, v15
	s_waitcnt lgkmcnt(0)
	;; [unrolled: 4-line block ×3, first 2 shown]
	v_dual_add_f32 v12, v12, v16 :: v_dual_add_f32 v15, v15, v37
	ds_bpermute_b32 v16, v33, v12
	ds_bpermute_b32 v37, v33, v15
	s_and_saveexec_b32 s16, s4
	s_cbranch_execz .LBB328_27
; %bb.26:                               ;   in Loop: Header=BB328_15 Depth=1
	s_waitcnt lgkmcnt(0)
	v_dual_add_f32 v38, v15, v37 :: v_dual_add_f32 v37, v12, v16
	ds_store_b64 v35, v[37:38]
.LBB328_27:                             ;   in Loop: Header=BB328_15 Depth=1
	s_or_b32 exec_lo, exec_lo, s16
	s_waitcnt lgkmcnt(1)
	v_dual_mov_b32 v16, 0 :: v_dual_mov_b32 v15, 0
	s_waitcnt lgkmcnt(0)
	s_barrier
	buffer_gl0_inv
	s_and_saveexec_b32 s16, s1
	s_cbranch_execnz .LBB328_52
; %bb.28:                               ;   in Loop: Header=BB328_15 Depth=1
	s_or_b32 exec_lo, exec_lo, s16
	s_and_saveexec_b32 s16, s0
	s_cbranch_execnz .LBB328_53
.LBB328_29:                             ;   in Loop: Header=BB328_15 Depth=1
	s_or_b32 exec_lo, exec_lo, s16
	s_and_saveexec_b32 s16, s0
	s_cbranch_execz .LBB328_31
.LBB328_30:                             ;   in Loop: Header=BB328_15 Depth=1
	v_mov_b32_e32 v12, v11
	ds_store_b64 v34, v[11:12]
.LBB328_31:                             ;   in Loop: Header=BB328_15 Depth=1
	s_or_b32 exec_lo, exec_lo, s16
	ds_bpermute_b32 v12, v29, v17
	ds_bpermute_b32 v37, v29, v18
	s_waitcnt lgkmcnt(0)
	s_barrier
	buffer_gl0_inv
	v_dual_add_f32 v12, v17, v12 :: v_dual_add_f32 v17, v18, v37
	ds_bpermute_b32 v18, v30, v12
	ds_bpermute_b32 v37, v30, v17
	s_waitcnt lgkmcnt(0)
	v_dual_add_f32 v12, v12, v18 :: v_dual_add_f32 v17, v17, v37
	ds_bpermute_b32 v18, v31, v12
	ds_bpermute_b32 v37, v31, v17
	s_waitcnt lgkmcnt(0)
	v_dual_add_f32 v12, v12, v18 :: v_dual_add_f32 v17, v17, v37
	ds_bpermute_b32 v18, v32, v12
	ds_bpermute_b32 v37, v32, v17
	s_waitcnt lgkmcnt(0)
	v_dual_add_f32 v12, v12, v18 :: v_dual_add_f32 v17, v17, v37
	ds_bpermute_b32 v18, v33, v12
	ds_bpermute_b32 v37, v33, v17
	s_and_saveexec_b32 s16, s4
	s_cbranch_execz .LBB328_33
; %bb.32:                               ;   in Loop: Header=BB328_15 Depth=1
	s_waitcnt lgkmcnt(0)
	v_dual_add_f32 v38, v17, v37 :: v_dual_add_f32 v37, v12, v18
	ds_store_b64 v35, v[37:38]
.LBB328_33:                             ;   in Loop: Header=BB328_15 Depth=1
	s_or_b32 exec_lo, exec_lo, s16
	s_waitcnt lgkmcnt(1)
	v_dual_mov_b32 v18, 0 :: v_dual_mov_b32 v17, 0
	s_waitcnt lgkmcnt(0)
	s_barrier
	buffer_gl0_inv
	s_and_saveexec_b32 s16, s1
	s_cbranch_execnz .LBB328_54
; %bb.34:                               ;   in Loop: Header=BB328_15 Depth=1
	s_or_b32 exec_lo, exec_lo, s16
	s_and_saveexec_b32 s16, s0
	s_cbranch_execnz .LBB328_55
.LBB328_35:                             ;   in Loop: Header=BB328_15 Depth=1
	s_or_b32 exec_lo, exec_lo, s16
	s_and_saveexec_b32 s16, s0
	s_cbranch_execz .LBB328_37
.LBB328_36:                             ;   in Loop: Header=BB328_15 Depth=1
	v_mov_b32_e32 v12, v11
	ds_store_b64 v34, v[11:12]
.LBB328_37:                             ;   in Loop: Header=BB328_15 Depth=1
	s_or_b32 exec_lo, exec_lo, s16
	ds_bpermute_b32 v12, v29, v20
	ds_bpermute_b32 v37, v29, v19
	s_waitcnt lgkmcnt(0)
	s_barrier
	buffer_gl0_inv
	v_dual_add_f32 v12, v20, v12 :: v_dual_add_f32 v19, v19, v37
	ds_bpermute_b32 v20, v30, v12
	ds_bpermute_b32 v37, v30, v19
	s_waitcnt lgkmcnt(0)
	v_dual_add_f32 v12, v12, v20 :: v_dual_add_f32 v19, v19, v37
	ds_bpermute_b32 v20, v31, v12
	ds_bpermute_b32 v37, v31, v19
	s_waitcnt lgkmcnt(0)
	v_dual_add_f32 v12, v12, v20 :: v_dual_add_f32 v19, v19, v37
	ds_bpermute_b32 v20, v32, v12
	ds_bpermute_b32 v37, v32, v19
	s_waitcnt lgkmcnt(0)
	v_dual_add_f32 v12, v12, v20 :: v_dual_add_f32 v19, v19, v37
	ds_bpermute_b32 v20, v33, v12
	ds_bpermute_b32 v37, v33, v19
	s_and_saveexec_b32 s16, s4
	s_cbranch_execz .LBB328_39
; %bb.38:                               ;   in Loop: Header=BB328_15 Depth=1
	s_waitcnt lgkmcnt(0)
	v_dual_add_f32 v38, v19, v37 :: v_dual_add_f32 v37, v12, v20
	ds_store_b64 v35, v[37:38]
.LBB328_39:                             ;   in Loop: Header=BB328_15 Depth=1
	s_or_b32 exec_lo, exec_lo, s16
	s_waitcnt lgkmcnt(1)
	v_dual_mov_b32 v20, 0 :: v_dual_mov_b32 v19, 0
	s_waitcnt lgkmcnt(0)
	s_barrier
	buffer_gl0_inv
	s_and_saveexec_b32 s16, s1
	s_cbranch_execnz .LBB328_56
; %bb.40:                               ;   in Loop: Header=BB328_15 Depth=1
	s_or_b32 exec_lo, exec_lo, s16
	s_and_saveexec_b32 s16, s0
	s_cbranch_execnz .LBB328_57
.LBB328_41:                             ;   in Loop: Header=BB328_15 Depth=1
	s_or_b32 exec_lo, exec_lo, s16
	s_and_saveexec_b32 s19, s5
	s_cbranch_execz .LBB328_14
	s_branch .LBB328_58
.LBB328_42:                             ;   in Loop: Header=BB328_15 Depth=1
	s_clause 0x2
	flat_load_b64 v[12:13], v[3:4]
	flat_load_b64 v[14:15], v[5:6]
	;; [unrolled: 1-line block ×3, first 2 shown]
	s_waitcnt lgkmcnt(3)
	flat_load_b64 v[18:19], v[9:10]
	s_mul_i32 s20, s28, s13
	s_waitcnt vmcnt(2) lgkmcnt(2)
	scratch_store_b128 off, v[12:15], off
	s_waitcnt vmcnt(0) lgkmcnt(0)
	scratch_store_b128 off, v[16:19], off offset:16
	s_ashr_i32 s21, s20, 31
	s_add_i32 s22, s20, s13
	s_lshl_b64 s[20:21], s[20:21], 3
	s_ashr_i32 s23, s22, 31
	v_add_co_u32 v53, vcc_lo, v21, s20
	s_add_i32 s24, s22, s13
	v_add_co_ci_u32_e32 v54, vcc_lo, s21, v22, vcc_lo
	s_lshl_b64 s[20:21], s[22:23], 3
	s_ashr_i32 s25, s24, 31
	v_add_co_u32 v57, vcc_lo, v21, s20
	s_add_i32 s22, s24, s13
	v_add_co_ci_u32_e32 v58, vcc_lo, s21, v22, vcc_lo
	s_lshl_b64 s[20:21], s[24:25], 3
	s_ashr_i32 s23, s22, 31
	v_add_co_u32 v61, vcc_lo, v21, s20
	v_add_co_ci_u32_e32 v62, vcc_lo, s21, v22, vcc_lo
	s_lshl_b64 s[20:21], s[22:23], 3
	flat_load_b128 v[37:40], v[53:54]
	v_add_co_u32 v65, vcc_lo, v21, s20
	v_add_co_ci_u32_e32 v66, vcc_lo, s21, v22, vcc_lo
	s_clause 0x6
	flat_load_b128 v[41:44], v[57:58]
	flat_load_b128 v[45:48], v[61:62]
	;; [unrolled: 1-line block ×3, first 2 shown]
	flat_load_b128 v[53:56], v[53:54] offset:16
	flat_load_b128 v[57:60], v[57:58] offset:16
	flat_load_b128 v[61:64], v[61:62] offset:16
	flat_load_b128 v[65:68], v[65:66] offset:16
	s_waitcnt vmcnt(6) lgkmcnt(6)
	v_dual_mul_f32 v69, v42, v13 :: v_dual_mul_f32 v72, v40, v15
	v_dual_mul_f32 v20, v38, v13 :: v_dual_mul_f32 v73, v44, v15
	s_waitcnt vmcnt(4) lgkmcnt(4)
	v_dual_mul_f32 v38, v38, v12 :: v_dual_mul_f32 v75, v52, v15
	s_waitcnt vmcnt(2) lgkmcnt(2)
	;; [unrolled: 2-line block ×3, first 2 shown]
	v_dual_mul_f32 v70, v46, v13 :: v_dual_mul_f32 v79, v17, v66
	v_dual_mul_f32 v46, v46, v12 :: v_dual_fmac_f32 v73, v43, v14
	v_dual_mul_f32 v71, v50, v13 :: v_dual_mul_f32 v40, v40, v14
	v_dual_mul_f32 v50, v50, v12 :: v_dual_fmac_f32 v75, v51, v14
	v_dual_mul_f32 v44, v44, v14 :: v_dual_mul_f32 v81, v19, v60
	v_dual_mul_f32 v74, v48, v15 :: v_dual_mul_f32 v83, v19, v68
	v_dual_mul_f32 v48, v48, v14 :: v_dual_fmac_f32 v69, v41, v12
	v_dual_mul_f32 v52, v52, v14 :: v_dual_fmac_f32 v71, v49, v12
	;; [unrolled: 1-line block ×4, first 2 shown]
	v_fmac_f32_e32 v20, v37, v12
	v_fma_f32 v37, v37, v13, -v38
	v_fma_f32 v38, v41, v13, -v42
	v_fmac_f32_e32 v70, v45, v12
	v_fma_f32 v41, v45, v13, -v46
	v_fma_f32 v12, v49, v13, -v50
	v_dual_mul_f32 v78, v17, v62 :: v_dual_fmac_f32 v79, v16, v65
	s_delay_alu instid0(VALU_DEP_3)
	v_dual_mul_f32 v66, v16, v66 :: v_dual_add_f32 v41, 0, v41
	v_fma_f32 v13, v39, v15, -v40
	v_fmac_f32_e32 v74, v47, v14
	v_fma_f32 v40, v47, v15, -v48
	v_fmac_f32_e32 v72, v39, v14
	v_fma_f32 v14, v51, v15, -v52
	v_add_f32_e32 v12, 0, v12
	v_dual_mul_f32 v58, v16, v58 :: v_dual_fmac_f32 v83, v18, v67
	v_mul_f32_e32 v62, v16, v62
	v_dual_mul_f32 v80, v19, v56 :: v_dual_add_f32 v47, 0, v71
	v_fma_f32 v39, v43, v15, -v44
	v_fmac_f32_e32 v76, v16, v53
	v_fmac_f32_e32 v78, v16, v61
	v_fma_f32 v16, v17, v65, -v66
	v_add_f32_e32 v38, 0, v38
	v_mul_f32_e32 v82, v19, v64
	v_add_f32_e32 v12, v12, v14
	v_mul_f32_e32 v56, v18, v56
	v_mul_f32_e32 v64, v18, v64
	;; [unrolled: 1-line block ×3, first 2 shown]
	v_fma_f32 v15, v17, v53, -v54
	v_mul_f32_e32 v60, v18, v60
	v_fmac_f32_e32 v80, v18, v55
	v_fmac_f32_e32 v82, v18, v63
	v_add_f32_e32 v12, v12, v16
	v_add_f32_e32 v18, 0, v20
	;; [unrolled: 1-line block ×4, first 2 shown]
	v_fma_f32 v42, v17, v57, -v58
	v_fma_f32 v43, v17, v61, -v62
	s_delay_alu instid0(VALU_DEP_4) | instskip(SKIP_3) | instid1(VALU_DEP_4)
	v_dual_add_f32 v46, 0, v70 :: v_dual_add_f32 v13, v20, v13
	v_fma_f32 v17, v19, v55, -v56
	v_dual_add_f32 v20, v37, v73 :: v_dual_add_f32 v37, v38, v39
	v_add_f32_e32 v39, v41, v40
	v_dual_add_f32 v18, v18, v72 :: v_dual_add_f32 v13, v13, v15
	v_add_f32_e32 v40, v47, v75
	v_fma_f32 v44, v19, v59, -v60
	s_delay_alu instid0(VALU_DEP_3) | instskip(SKIP_3) | instid1(VALU_DEP_4)
	v_dual_add_f32 v15, v20, v77 :: v_dual_add_f32 v14, v18, v76
	v_add_f32_e32 v18, v37, v42
	v_dual_add_f32 v37, v13, v17 :: v_dual_add_f32 v38, v46, v74
	v_fma_f32 v45, v19, v63, -v64
	v_dual_add_f32 v14, v14, v80 :: v_dual_add_f32 v15, v15, v81
	s_delay_alu instid0(VALU_DEP_4) | instskip(NEXT) | instid1(VALU_DEP_4)
	v_add_f32_e32 v16, v18, v44
	v_add_f32_e32 v20, v38, v78
	;; [unrolled: 1-line block ×4, first 2 shown]
	v_fma_f32 v19, v19, v67, -v68
	s_delay_alu instid0(VALU_DEP_3) | instskip(NEXT) | instid1(VALU_DEP_3)
	v_dual_add_f32 v17, v20, v82 :: v_dual_add_f32 v18, v38, v45
	v_add_f32_e32 v20, v39, v83
	s_delay_alu instid0(VALU_DEP_3)
	v_add_f32_e32 v19, v12, v19
	s_and_not1_saveexec_b32 s16, s16
	s_cbranch_execz .LBB328_17
.LBB328_43:                             ;   in Loop: Header=BB328_15 Depth=1
	v_dual_mov_b32 v14, 0 :: v_dual_mov_b32 v37, 0
	v_dual_mov_b32 v15, 0 :: v_dual_mov_b32 v16, 0
	;; [unrolled: 1-line block ×3, first 2 shown]
	s_waitcnt lgkmcnt(0)
	v_dual_mov_b32 v20, 0 :: v_dual_mov_b32 v19, 0
	s_and_saveexec_b32 s37, s3
	s_cbranch_execz .LBB328_49
; %bb.44:                               ;   in Loop: Header=BB328_15 Depth=1
	v_dual_mov_b32 v14, 0 :: v_dual_mov_b32 v37, 0
	v_dual_mov_b32 v15, 0 :: v_dual_mov_b32 v16, 0
	;; [unrolled: 1-line block ×4, first 2 shown]
	s_and_not1_b32 vcc_lo, exec_lo, s31
	s_cbranch_vccnz .LBB328_49
; %bb.45:                               ;   in Loop: Header=BB328_15 Depth=1
	v_mov_b32_e32 v14, 0
	v_mov_b32_e32 v12, v2
	s_mov_b32 s19, s27
.LBB328_46:                             ;   Parent Loop BB328_15 Depth=1
                                        ; =>  This Inner Loop Header: Depth=2
	s_delay_alu instid0(VALU_DEP_1) | instskip(SKIP_1) | instid1(SALU_CYCLE_1)
	v_ashrrev_i32_e32 v13, 31, v12
	s_add_i32 s19, s19, -1
	s_cmp_eq_u32 s19, 0
	s_delay_alu instid0(VALU_DEP_1) | instskip(SKIP_1) | instid1(VALU_DEP_2)
	v_lshlrev_b64 v[15:16], 3, v[12:13]
	v_add_nc_u32_e32 v12, s26, v12
	v_add_co_u32 v15, vcc_lo, s6, v15
	s_delay_alu instid0(VALU_DEP_3)
	v_add_co_ci_u32_e32 v16, vcc_lo, s7, v16, vcc_lo
	flat_load_b64 v[15:16], v[15:16]
	s_waitcnt vmcnt(0) lgkmcnt(0)
	scratch_store_b64 v14, v[15:16], off
	v_add_nc_u32_e32 v14, 8, v14
	s_cbranch_scc0 .LBB328_46
; %bb.47:                               ;   in Loop: Header=BB328_15 Depth=1
	s_ashr_i32 s19, s18, 31
	v_dual_mov_b32 v19, 0 :: v_dual_mov_b32 v38, v36
	s_lshl_b64 s[20:21], s[18:19], 3
	v_dual_mov_b32 v20, 0 :: v_dual_mov_b32 v17, 0
	v_add_co_u32 v12, vcc_lo, v21, s20
	v_add_co_ci_u32_e32 v13, vcc_lo, s21, v22, vcc_lo
	v_dual_mov_b32 v18, 0 :: v_dual_mov_b32 v15, 0
	v_dual_mov_b32 v16, 0 :: v_dual_mov_b32 v37, 0
	v_mov_b32_e32 v14, 0
	s_mov_b32 s20, s35
	s_mov_b32 s22, s34
	;; [unrolled: 1-line block ×4, first 2 shown]
.LBB328_48:                             ;   Parent Loop BB328_15 Depth=1
                                        ; =>  This Inner Loop Header: Depth=2
	s_ashr_i32 s25, s24, 31
	s_ashr_i32 s23, s22, 31
	s_lshl_b64 s[38:39], s[24:25], 3
	s_lshl_b64 s[40:41], s[22:23], 3
	v_add_co_u32 v43, vcc_lo, v21, s38
	s_ashr_i32 s21, s20, 31
	v_add_co_ci_u32_e32 v44, vcc_lo, s39, v22, vcc_lo
	v_add_co_u32 v45, vcc_lo, v21, s40
	s_lshl_b64 s[42:43], s[20:21], 3
	v_add_co_ci_u32_e32 v46, vcc_lo, s41, v22, vcc_lo
	v_add_co_u32 v47, vcc_lo, v21, s42
	v_add_co_ci_u32_e32 v48, vcc_lo, s43, v22, vcc_lo
	scratch_load_b64 v[39:40], v38, off offset:-4
	flat_load_b64 v[41:42], v[12:13]
	s_clause 0x2
	flat_load_b64 v[43:44], v[43:44]
	flat_load_b64 v[45:46], v[45:46]
	;; [unrolled: 1-line block ×3, first 2 shown]
	v_add_co_u32 v12, vcc_lo, v12, 8
	v_add_co_ci_u32_e32 v13, vcc_lo, 0, v13, vcc_lo
	s_add_i32 s19, s19, -1
	s_add_i32 s24, s24, 1
	s_add_i32 s22, s22, 1
	;; [unrolled: 1-line block ×3, first 2 shown]
	s_cmp_lg_u32 s19, 0
	s_waitcnt vmcnt(3) lgkmcnt(3)
	v_mul_f32_e32 v49, v40, v42
	s_waitcnt vmcnt(0) lgkmcnt(0)
	v_dual_mul_f32 v42, v39, v42 :: v_dual_mul_f32 v51, v40, v48
	v_mul_f32_e32 v50, v40, v46
	s_delay_alu instid0(VALU_DEP_3) | instskip(NEXT) | instid1(VALU_DEP_3)
	v_dual_fmac_f32 v49, v39, v41 :: v_dual_add_nc_u32 v38, 8, v38
	v_fma_f32 v41, v40, v41, -v42
	v_mul_f32_e32 v42, v40, v44
	v_mul_f32_e32 v44, v39, v44
	;; [unrolled: 1-line block ×3, first 2 shown]
	v_fmac_f32_e32 v51, v39, v47
	v_add_f32_e32 v37, v37, v41
	v_fmac_f32_e32 v50, v39, v45
	v_mul_f32_e32 v48, v39, v48
	v_fmac_f32_e32 v42, v39, v43
	v_fma_f32 v41, v40, v43, -v44
	v_fma_f32 v43, v40, v45, -v46
	v_add_f32_e32 v17, v17, v50
	v_fma_f32 v39, v40, v47, -v48
	v_dual_add_f32 v14, v14, v49 :: v_dual_add_f32 v15, v15, v42
	v_add_f32_e32 v16, v16, v41
	v_add_f32_e32 v18, v18, v43
	s_delay_alu instid0(VALU_DEP_4)
	v_add_f32_e32 v19, v19, v39
	v_add_f32_e32 v20, v20, v51
	s_cbranch_scc1 .LBB328_48
.LBB328_49:                             ;   in Loop: Header=BB328_15 Depth=1
	s_or_b32 exec_lo, exec_lo, s37
	s_delay_alu instid0(SALU_CYCLE_1)
	s_or_b32 exec_lo, exec_lo, s16
	s_and_saveexec_b32 s16, s0
	s_cbranch_execnz .LBB328_18
	s_branch .LBB328_19
.LBB328_50:                             ;   in Loop: Header=BB328_15 Depth=1
	ds_load_b64 v[13:14], v34
	s_or_b32 exec_lo, exec_lo, s16
	s_and_saveexec_b32 s16, s0
	s_cbranch_execz .LBB328_23
.LBB328_51:                             ;   in Loop: Header=BB328_15 Depth=1
	s_waitcnt lgkmcnt(0)
	ds_bpermute_b32 v12, v31, v13
	ds_bpermute_b32 v37, v31, v14
	s_waitcnt lgkmcnt(0)
	v_dual_add_f32 v12, v13, v12 :: v_dual_add_f32 v13, v14, v37
	ds_bpermute_b32 v14, v32, v12
	ds_bpermute_b32 v37, v32, v13
	s_waitcnt lgkmcnt(1)
	v_add_f32_e32 v12, v12, v14
	s_waitcnt lgkmcnt(0)
	v_add_f32_e32 v14, v13, v37
	ds_bpermute_b32 v13, v33, v12
	ds_bpermute_b32 v37, v33, v14
	s_waitcnt lgkmcnt(1)
	v_add_f32_e32 v13, v12, v13
	s_waitcnt lgkmcnt(0)
	v_add_f32_e32 v14, v14, v37
	s_or_b32 exec_lo, exec_lo, s16
	s_and_saveexec_b32 s16, s0
	s_cbranch_execnz .LBB328_24
	s_branch .LBB328_25
.LBB328_52:                             ;   in Loop: Header=BB328_15 Depth=1
	ds_load_b64 v[15:16], v34
	s_or_b32 exec_lo, exec_lo, s16
	s_and_saveexec_b32 s16, s0
	s_cbranch_execz .LBB328_29
.LBB328_53:                             ;   in Loop: Header=BB328_15 Depth=1
	s_waitcnt lgkmcnt(0)
	ds_bpermute_b32 v12, v31, v15
	ds_bpermute_b32 v37, v31, v16
	s_waitcnt lgkmcnt(0)
	v_dual_add_f32 v12, v15, v12 :: v_dual_add_f32 v15, v16, v37
	ds_bpermute_b32 v16, v32, v12
	ds_bpermute_b32 v37, v32, v15
	s_waitcnt lgkmcnt(1)
	v_add_f32_e32 v12, v12, v16
	s_waitcnt lgkmcnt(0)
	v_add_f32_e32 v16, v15, v37
	ds_bpermute_b32 v15, v33, v12
	s_waitcnt lgkmcnt(0)
	v_add_f32_e32 v15, v12, v15
	ds_bpermute_b32 v37, v33, v16
	s_waitcnt lgkmcnt(0)
	v_add_f32_e32 v16, v16, v37
	s_or_b32 exec_lo, exec_lo, s16
	s_and_saveexec_b32 s16, s0
	s_cbranch_execnz .LBB328_30
	s_branch .LBB328_31
.LBB328_54:                             ;   in Loop: Header=BB328_15 Depth=1
	ds_load_b64 v[17:18], v34
	s_or_b32 exec_lo, exec_lo, s16
	s_and_saveexec_b32 s16, s0
	s_cbranch_execz .LBB328_35
.LBB328_55:                             ;   in Loop: Header=BB328_15 Depth=1
	s_waitcnt lgkmcnt(0)
	ds_bpermute_b32 v12, v31, v17
	ds_bpermute_b32 v37, v31, v18
	s_waitcnt lgkmcnt(0)
	v_dual_add_f32 v12, v17, v12 :: v_dual_add_f32 v17, v18, v37
	ds_bpermute_b32 v18, v32, v12
	ds_bpermute_b32 v37, v32, v17
	s_waitcnt lgkmcnt(1)
	v_add_f32_e32 v12, v12, v18
	s_waitcnt lgkmcnt(0)
	v_add_f32_e32 v18, v17, v37
	ds_bpermute_b32 v17, v33, v12
	ds_bpermute_b32 v37, v33, v18
	s_waitcnt lgkmcnt(1)
	v_add_f32_e32 v17, v12, v17
	s_waitcnt lgkmcnt(0)
	v_add_f32_e32 v18, v18, v37
	s_or_b32 exec_lo, exec_lo, s16
	s_and_saveexec_b32 s16, s0
	s_cbranch_execnz .LBB328_36
	s_branch .LBB328_37
.LBB328_56:                             ;   in Loop: Header=BB328_15 Depth=1
	ds_load_b64 v[19:20], v34
	s_or_b32 exec_lo, exec_lo, s16
	s_and_saveexec_b32 s16, s0
	s_cbranch_execz .LBB328_41
.LBB328_57:                             ;   in Loop: Header=BB328_15 Depth=1
	s_waitcnt lgkmcnt(0)
	ds_bpermute_b32 v12, v31, v19
	ds_bpermute_b32 v37, v31, v20
	s_waitcnt lgkmcnt(0)
	v_dual_add_f32 v12, v19, v12 :: v_dual_add_f32 v19, v20, v37
	ds_bpermute_b32 v20, v32, v12
	ds_bpermute_b32 v37, v32, v19
	s_waitcnt lgkmcnt(1)
	v_add_f32_e32 v12, v12, v20
	s_waitcnt lgkmcnt(0)
	v_add_f32_e32 v20, v19, v37
	ds_bpermute_b32 v19, v33, v12
	s_waitcnt lgkmcnt(0)
	v_add_f32_e32 v19, v12, v19
	ds_bpermute_b32 v37, v33, v20
	s_waitcnt lgkmcnt(0)
	v_add_f32_e32 v20, v20, v37
	s_or_b32 exec_lo, exec_lo, s16
	s_and_saveexec_b32 s19, s5
	s_cbranch_execz .LBB328_14
.LBB328_58:                             ;   in Loop: Header=BB328_15 Depth=1
	v_mul_f32_e32 v12, s11, v14
	v_mul_f32_e32 v38, s10, v14
	s_mul_i32 s16, s28, s12
	v_mul_f32_e32 v14, s11, v18
	s_add_i32 s16, s16, s14
	v_fma_f32 v37, v13, s10, -v12
	s_lshl_b64 s[20:21], s[16:17], 3
	v_fmac_f32_e32 v38, s11, v13
	s_add_u32 s20, s30, s20
	s_addc_u32 s21, s29, s21
	s_add_i32 s16, s16, s12
	v_mul_f32_e32 v12, s11, v16
	global_store_b64 v11, v[37:38], s[20:21]
	v_mul_f32_e32 v13, s10, v16
	s_lshl_b64 s[20:21], s[16:17], 3
	v_mul_f32_e32 v16, s10, v18
	s_add_u32 s20, s30, s20
	s_addc_u32 s21, s29, s21
	v_fmac_f32_e32 v13, s11, v15
	s_add_i32 s16, s16, s12
	v_fma_f32 v12, v15, s10, -v12
	v_fma_f32 v15, v17, s10, -v14
	s_waitcnt lgkmcnt(0)
	v_mul_f32_e32 v14, s11, v20
	s_lshl_b64 s[22:23], s[16:17], 3
	v_mul_f32_e32 v18, s10, v20
	s_add_u32 s22, s30, s22
	s_addc_u32 s23, s29, s23
	s_add_i32 s16, s16, s12
	v_fmac_f32_e32 v16, s11, v17
	v_fma_f32 v17, v19, s10, -v14
	v_fmac_f32_e32 v18, s11, v19
	s_lshl_b64 s[24:25], s[16:17], 3
	global_store_b64 v11, v[12:13], s[20:21]
	s_add_u32 s20, s30, s24
	s_addc_u32 s21, s29, s25
	s_clause 0x1
	global_store_b64 v11, v[15:16], s[22:23]
	global_store_b64 v11, v[17:18], s[20:21]
	s_branch .LBB328_14
.LBB328_59:
	s_mov_b32 s28, 0
.LBB328_60:
	s_delay_alu instid0(SALU_CYCLE_1)
	s_cmp_ge_i32 s28, s9
	s_cbranch_scc1 .LBB328_82
; %bb.61:
	v_cmp_gt_u32_e64 s1, 16, v26
	v_cmp_ge_i32_e64 s4, s8, v28
	s_cmp_gt_i32 s27, 0
	s_mov_b32 s15, 0
	v_cmp_ge_i32_e32 vcc_lo, s8, v27
	v_cndmask_b32_e64 v2, 0, 1, s1
	v_cmp_gt_u32_e64 s1, 24, v26
	s_cselect_b32 s16, -1, 0
	v_cmp_gt_u32_e64 s0, 32, v0
	v_lshlrev_b32_e32 v13, 3, v25
	v_lshlrev_b32_e32 v2, 4, v2
	v_cndmask_b32_e64 v3, 0, 1, s1
	v_cmp_gt_u32_e64 s1, 28, v26
	s_waitcnt lgkmcnt(0)
	v_and_b32_e32 v19, 56, v24
	v_cmp_gt_u32_e64 s2, 8, v0
	v_add_lshl_u32 v14, v2, v26, 2
	v_lshlrev_b32_e32 v3, 3, v3
	v_cndmask_b32_e64 v4, 0, 1, s1
	v_cmp_gt_u32_e64 s1, 30, v26
	v_ashrrev_i32_e32 v2, 31, v1
	v_cmp_eq_u32_e64 s3, 0, v0
	v_add_lshl_u32 v15, v3, v26, 2
	v_add_nc_u32_e32 v3, s26, v1
	v_cndmask_b32_e64 v5, 0, 1, s1
	v_cmp_ne_u32_e64 s1, 31, v26
	v_lshlrev_b32_e32 v4, 2, v4
	v_lshlrev_b64 v[7:8], 3, v[1:2]
	s_lshl_b64 s[14:15], s[14:15], 3
	v_lshlrev_b32_e32 v5, 1, v5
	v_add_co_ci_u32_e64 v6, s1, 0, v26, s1
	v_add_lshl_u32 v16, v4, v26, 2
	v_ashrrev_i32_e32 v4, 31, v3
	s_delay_alu instid0(VALU_DEP_4) | instskip(SKIP_4) | instid1(VALU_DEP_4)
	v_add_lshl_u32 v17, v5, v26, 2
	v_add_nc_u32_e32 v5, s26, v3
	v_lshlrev_b32_e32 v18, 2, v6
	v_add_co_u32 v2, s5, s6, v7
	v_lshlrev_b64 v[9:10], 3, v[3:4]
	v_add_nc_u32_e32 v11, s26, v5
	v_ashrrev_i32_e32 v6, 31, v5
	v_add_co_ci_u32_e64 v3, s5, s7, v8, s5
	v_cmp_eq_u32_e64 s1, 0, v25
	s_delay_alu instid0(VALU_DEP_4) | instskip(NEXT) | instid1(VALU_DEP_4)
	v_ashrrev_i32_e32 v12, 31, v11
	v_lshlrev_b64 v[6:7], 3, v[5:6]
	v_add_co_u32 v4, s5, s6, v9
	s_delay_alu instid0(VALU_DEP_1) | instskip(SKIP_3) | instid1(VALU_DEP_1)
	v_add_co_ci_u32_e64 v5, s5, s7, v10, s5
	v_mov_b32_e32 v10, 0
	v_lshlrev_b64 v[8:9], 3, v[11:12]
	v_add_co_u32 v6, s5, s6, v6
	v_add_co_ci_u32_e64 v7, s5, s7, v7, s5
	s_add_u32 s8, s30, s14
	s_delay_alu instid0(VALU_DEP_3) | instskip(NEXT) | instid1(VALU_DEP_1)
	v_add_co_u32 v8, s5, s6, v8
	v_add_co_ci_u32_e64 v9, s5, s7, v9, s5
	s_addc_u32 s5, s29, s15
	s_and_b32 s16, s16, s4
	s_mul_i32 s14, s28, s13
	s_branch .LBB328_63
.LBB328_62:                             ;   in Loop: Header=BB328_63 Depth=1
	s_or_b32 exec_lo, exec_lo, s4
	s_add_i32 s28, s28, 1
	s_add_i32 s14, s14, s13
	s_cmp_lt_i32 s28, s9
	s_cbranch_scc0 .LBB328_82
.LBB328_63:                             ; =>This Loop Header: Depth=1
                                        ;     Child Loop BB328_75 Depth 2
                                        ;     Child Loop BB328_77 Depth 2
                                        ; implicit-def: $vgpr0
                                        ; implicit-def: $vgpr20
	s_and_saveexec_b32 s4, vcc_lo
	s_delay_alu instid0(SALU_CYCLE_1)
	s_xor_b32 s15, exec_lo, s4
	s_cbranch_execnz .LBB328_72
; %bb.64:                               ;   in Loop: Header=BB328_63 Depth=1
	s_and_not1_saveexec_b32 s17, s15
	s_cbranch_execnz .LBB328_73
.LBB328_65:                             ;   in Loop: Header=BB328_63 Depth=1
	s_or_b32 exec_lo, exec_lo, s17
	s_and_saveexec_b32 s4, s0
	s_cbranch_execz .LBB328_67
.LBB328_66:                             ;   in Loop: Header=BB328_63 Depth=1
	s_waitcnt lgkmcnt(0)
	v_mov_b32_e32 v11, v10
	ds_store_b64 v13, v[10:11]
.LBB328_67:                             ;   in Loop: Header=BB328_63 Depth=1
	s_or_b32 exec_lo, exec_lo, s4
	s_waitcnt lgkmcnt(0)
	ds_bpermute_b32 v11, v14, v0
	ds_bpermute_b32 v12, v14, v20
	s_waitcnt lgkmcnt(0)
	s_waitcnt_vscnt null, 0x0
	s_barrier
	buffer_gl0_inv
	v_add_f32_e32 v0, v0, v11
	v_add_f32_e32 v11, v20, v12
	ds_bpermute_b32 v20, v15, v11
	s_waitcnt lgkmcnt(0)
	v_add_f32_e32 v11, v11, v20
	ds_bpermute_b32 v12, v15, v0
	ds_bpermute_b32 v20, v16, v11
	s_waitcnt lgkmcnt(1)
	v_add_f32_e32 v0, v0, v12
	s_waitcnt lgkmcnt(0)
	v_add_f32_e32 v11, v11, v20
	ds_bpermute_b32 v12, v16, v0
	ds_bpermute_b32 v20, v17, v11
	s_waitcnt lgkmcnt(1)
	v_add_f32_e32 v0, v0, v12
	s_waitcnt lgkmcnt(0)
	v_add_f32_e32 v11, v11, v20
	ds_bpermute_b32 v12, v17, v0
	ds_bpermute_b32 v20, v18, v11
	s_waitcnt lgkmcnt(1)
	v_add_f32_e32 v0, v0, v12
	ds_bpermute_b32 v12, v18, v0
	s_and_saveexec_b32 s4, s1
	s_cbranch_execz .LBB328_69
; %bb.68:                               ;   in Loop: Header=BB328_63 Depth=1
	s_waitcnt lgkmcnt(1)
	v_add_f32_e32 v25, v11, v20
	s_waitcnt lgkmcnt(0)
	v_add_f32_e32 v24, v0, v12
	ds_store_b64 v19, v[24:25]
.LBB328_69:                             ;   in Loop: Header=BB328_63 Depth=1
	s_or_b32 exec_lo, exec_lo, s4
	s_waitcnt lgkmcnt(0)
	v_dual_mov_b32 v12, 0 :: v_dual_mov_b32 v11, 0
	s_barrier
	buffer_gl0_inv
	s_and_saveexec_b32 s4, s2
	s_cbranch_execnz .LBB328_79
; %bb.70:                               ;   in Loop: Header=BB328_63 Depth=1
	s_or_b32 exec_lo, exec_lo, s4
	s_and_saveexec_b32 s4, s0
	s_cbranch_execnz .LBB328_80
.LBB328_71:                             ;   in Loop: Header=BB328_63 Depth=1
	s_or_b32 exec_lo, exec_lo, s4
	s_and_saveexec_b32 s4, s3
	s_cbranch_execz .LBB328_62
	s_branch .LBB328_81
.LBB328_72:                             ;   in Loop: Header=BB328_63 Depth=1
	s_clause 0x3
	flat_load_b64 v[24:25], v[2:3]
	flat_load_b64 v[26:27], v[4:5]
	;; [unrolled: 1-line block ×4, first 2 shown]
	s_mul_i32 s18, s28, s13
	s_waitcnt vmcnt(2) lgkmcnt(2)
	scratch_store_b128 off, v[24:27], off
	s_waitcnt vmcnt(0) lgkmcnt(0)
	scratch_store_b128 off, v[28:31], off offset:16
	s_ashr_i32 s19, s18, 31
	s_delay_alu instid0(SALU_CYCLE_1) | instskip(NEXT) | instid1(SALU_CYCLE_1)
	s_lshl_b64 s[18:19], s[18:19], 3
	v_add_co_u32 v11, s4, v21, s18
	s_delay_alu instid0(VALU_DEP_1)
	v_add_co_ci_u32_e64 v12, s4, s19, v22, s4
	s_clause 0x1
	flat_load_b128 v[32:35], v[11:12]
	flat_load_b128 v[36:39], v[11:12] offset:16
	s_waitcnt vmcnt(1) lgkmcnt(1)
	v_dual_mul_f32 v11, v33, v24 :: v_dual_mul_f32 v12, v35, v27
	s_waitcnt vmcnt(0) lgkmcnt(0)
	v_dual_mul_f32 v20, v35, v26 :: v_dual_mul_f32 v35, v37, v28
	s_delay_alu instid0(VALU_DEP_2) | instskip(SKIP_2) | instid1(VALU_DEP_4)
	v_fma_f32 v11, v32, v25, -v11
	v_mul_f32_e32 v0, v33, v25
	v_mul_f32_e32 v33, v37, v29
	v_fma_f32 v20, v34, v27, -v20
	s_delay_alu instid0(VALU_DEP_4) | instskip(NEXT) | instid1(VALU_DEP_4)
	v_dual_fmac_f32 v12, v34, v26 :: v_dual_add_f32 v11, 0, v11
	v_dual_fmac_f32 v0, v32, v24 :: v_dual_mul_f32 v25, v39, v30
	v_mul_f32_e32 v24, v39, v31
	v_fma_f32 v26, v36, v29, -v35
	s_delay_alu instid0(VALU_DEP_4) | instskip(NEXT) | instid1(VALU_DEP_3)
	v_add_f32_e32 v11, v11, v20
	v_dual_fmac_f32 v33, v36, v28 :: v_dual_fmac_f32 v24, v38, v30
	s_delay_alu instid0(VALU_DEP_2) | instskip(NEXT) | instid1(VALU_DEP_1)
	v_dual_add_f32 v0, 0, v0 :: v_dual_add_f32 v11, v11, v26
	v_add_f32_e32 v0, v0, v12
	v_fma_f32 v12, v38, v31, -v25
	s_delay_alu instid0(VALU_DEP_2) | instskip(NEXT) | instid1(VALU_DEP_2)
	v_add_f32_e32 v0, v0, v33
	v_add_f32_e32 v20, v11, v12
	s_delay_alu instid0(VALU_DEP_2)
	v_add_f32_e32 v0, v0, v24
	s_and_not1_saveexec_b32 s17, s15
	s_cbranch_execz .LBB328_65
.LBB328_73:                             ;   in Loop: Header=BB328_63 Depth=1
	v_mov_b32_e32 v0, 0
	v_mov_b32_e32 v20, 0
	s_and_saveexec_b32 s18, s16
	s_cbranch_execz .LBB328_78
; %bb.74:                               ;   in Loop: Header=BB328_63 Depth=1
	s_waitcnt lgkmcnt(0)
	v_dual_mov_b32 v0, 0 :: v_dual_mov_b32 v11, v1
	s_mov_b32 s15, s27
.LBB328_75:                             ;   Parent Loop BB328_63 Depth=1
                                        ; =>  This Inner Loop Header: Depth=2
	s_delay_alu instid0(VALU_DEP_1) | instskip(SKIP_1) | instid1(SALU_CYCLE_1)
	v_ashrrev_i32_e32 v12, 31, v11
	s_add_i32 s15, s15, -1
	s_cmp_eq_u32 s15, 0
	s_delay_alu instid0(VALU_DEP_1) | instskip(SKIP_1) | instid1(VALU_DEP_2)
	v_lshlrev_b64 v[24:25], 3, v[11:12]
	v_add_nc_u32_e32 v11, s26, v11
	v_add_co_u32 v24, s4, s6, v24
	s_delay_alu instid0(VALU_DEP_1)
	v_add_co_ci_u32_e64 v25, s4, s7, v25, s4
	flat_load_b64 v[24:25], v[24:25]
	s_waitcnt vmcnt(0) lgkmcnt(0)
	scratch_store_b64 v0, v[24:25], off
	v_add_nc_u32_e32 v0, 8, v0
	s_cbranch_scc0 .LBB328_75
; %bb.76:                               ;   in Loop: Header=BB328_63 Depth=1
	s_ashr_i32 s15, s14, 31
	v_mov_b32_e32 v0, 0
	s_lshl_b64 s[20:21], s[14:15], 3
	v_mov_b32_e32 v24, v23
	v_add_co_u32 v11, s4, v21, s20
	s_delay_alu instid0(VALU_DEP_1)
	v_add_co_ci_u32_e64 v12, s4, s21, v22, s4
	v_mov_b32_e32 v20, 0
	s_mov_b32 s15, s27
	.p2align	6
.LBB328_77:                             ;   Parent Loop BB328_63 Depth=1
                                        ; =>  This Inner Loop Header: Depth=2
	flat_load_b64 v[25:26], v[11:12]
	scratch_load_b64 v[27:28], v24, off offset:-4
	v_add_co_u32 v11, s4, v11, 8
	s_delay_alu instid0(VALU_DEP_1) | instskip(SKIP_1) | instid1(SALU_CYCLE_1)
	v_add_co_ci_u32_e64 v12, s4, 0, v12, s4
	s_add_i32 s15, s15, -1
	s_cmp_lg_u32 s15, 0
	s_waitcnt vmcnt(0) lgkmcnt(0)
	v_mul_f32_e32 v29, v26, v28
	v_mul_f32_e32 v26, v26, v27
	s_delay_alu instid0(VALU_DEP_2) | instskip(NEXT) | instid1(VALU_DEP_2)
	v_dual_fmac_f32 v29, v25, v27 :: v_dual_add_nc_u32 v24, 8, v24
	v_fma_f32 v25, v25, v28, -v26
	s_delay_alu instid0(VALU_DEP_2) | instskip(NEXT) | instid1(VALU_DEP_2)
	v_add_f32_e32 v0, v0, v29
	v_add_f32_e32 v20, v20, v25
	s_cbranch_scc1 .LBB328_77
.LBB328_78:                             ;   in Loop: Header=BB328_63 Depth=1
	s_or_b32 exec_lo, exec_lo, s18
	s_delay_alu instid0(SALU_CYCLE_1)
	s_or_b32 exec_lo, exec_lo, s17
	s_and_saveexec_b32 s4, s0
	s_cbranch_execnz .LBB328_66
	s_branch .LBB328_67
.LBB328_79:                             ;   in Loop: Header=BB328_63 Depth=1
	ds_load_b64 v[11:12], v13
	s_or_b32 exec_lo, exec_lo, s4
	s_and_saveexec_b32 s4, s0
	s_cbranch_execz .LBB328_71
.LBB328_80:                             ;   in Loop: Header=BB328_63 Depth=1
	s_waitcnt lgkmcnt(0)
	ds_bpermute_b32 v0, v16, v11
	ds_bpermute_b32 v20, v16, v12
	s_waitcnt lgkmcnt(1)
	v_add_f32_e32 v0, v11, v0
	s_waitcnt lgkmcnt(0)
	v_add_f32_e32 v11, v12, v20
	ds_bpermute_b32 v12, v17, v0
	ds_bpermute_b32 v20, v17, v11
	s_waitcnt lgkmcnt(1)
	v_add_f32_e32 v0, v0, v12
	s_waitcnt lgkmcnt(0)
	v_add_f32_e32 v12, v11, v20
	ds_bpermute_b32 v11, v18, v0
	s_waitcnt lgkmcnt(0)
	v_add_f32_e32 v11, v0, v11
	ds_bpermute_b32 v20, v18, v12
	s_waitcnt lgkmcnt(0)
	v_add_f32_e32 v12, v12, v20
	s_or_b32 exec_lo, exec_lo, s4
	s_and_saveexec_b32 s4, s3
	s_cbranch_execz .LBB328_62
.LBB328_81:                             ;   in Loop: Header=BB328_63 Depth=1
	s_waitcnt lgkmcnt(0)
	v_mul_f32_e32 v25, s10, v12
	v_mul_f32_e32 v0, s11, v12
	s_mul_hi_u32 s19, s28, s12
	s_mul_i32 s18, s28, s12
	s_delay_alu instid0(VALU_DEP_2) | instskip(NEXT) | instid1(VALU_DEP_2)
	v_fmac_f32_e32 v25, s11, v11
	v_fma_f32 v24, v11, s10, -v0
	s_lshl_b64 s[18:19], s[18:19], 3
	s_delay_alu instid0(SALU_CYCLE_1)
	s_add_u32 s18, s8, s18
	s_addc_u32 s19, s5, s19
	global_store_b64 v10, v[24:25], s[18:19]
	s_branch .LBB328_62
.LBB328_82:
	s_nop 0
	s_sendmsg sendmsg(MSG_DEALLOC_VGPRS)
	s_endpgm
	.section	.rodata,"a",@progbits
	.p2align	6, 0x0
	.amdhsa_kernel _ZL23rocblas_gemvt_sn_kernelILb1ELi256ELi4EiPK19rocblas_complex_numIfES1_S1_EviiT4_lPKT3_lilS7_lilPT5_i
		.amdhsa_group_segment_fixed_size 256
		.amdhsa_private_segment_fixed_size 48
		.amdhsa_kernarg_size 360
		.amdhsa_user_sgpr_count 14
		.amdhsa_user_sgpr_dispatch_ptr 0
		.amdhsa_user_sgpr_queue_ptr 0
		.amdhsa_user_sgpr_kernarg_segment_ptr 1
		.amdhsa_user_sgpr_dispatch_id 0
		.amdhsa_user_sgpr_private_segment_size 0
		.amdhsa_wavefront_size32 1
		.amdhsa_uses_dynamic_stack 0
		.amdhsa_enable_private_segment 1
		.amdhsa_system_sgpr_workgroup_id_x 1
		.amdhsa_system_sgpr_workgroup_id_y 0
		.amdhsa_system_sgpr_workgroup_id_z 1
		.amdhsa_system_sgpr_workgroup_info 0
		.amdhsa_system_vgpr_workitem_id 0
		.amdhsa_next_free_vgpr 84
		.amdhsa_next_free_sgpr 44
		.amdhsa_reserve_vcc 1
		.amdhsa_float_round_mode_32 0
		.amdhsa_float_round_mode_16_64 0
		.amdhsa_float_denorm_mode_32 3
		.amdhsa_float_denorm_mode_16_64 3
		.amdhsa_dx10_clamp 1
		.amdhsa_ieee_mode 1
		.amdhsa_fp16_overflow 0
		.amdhsa_workgroup_processor_mode 1
		.amdhsa_memory_ordered 1
		.amdhsa_forward_progress 0
		.amdhsa_shared_vgpr_count 0
		.amdhsa_exception_fp_ieee_invalid_op 0
		.amdhsa_exception_fp_denorm_src 0
		.amdhsa_exception_fp_ieee_div_zero 0
		.amdhsa_exception_fp_ieee_overflow 0
		.amdhsa_exception_fp_ieee_underflow 0
		.amdhsa_exception_fp_ieee_inexact 0
		.amdhsa_exception_int_div_zero 0
	.end_amdhsa_kernel
	.section	.text._ZL23rocblas_gemvt_sn_kernelILb1ELi256ELi4EiPK19rocblas_complex_numIfES1_S1_EviiT4_lPKT3_lilS7_lilPT5_i,"axG",@progbits,_ZL23rocblas_gemvt_sn_kernelILb1ELi256ELi4EiPK19rocblas_complex_numIfES1_S1_EviiT4_lPKT3_lilS7_lilPT5_i,comdat
.Lfunc_end328:
	.size	_ZL23rocblas_gemvt_sn_kernelILb1ELi256ELi4EiPK19rocblas_complex_numIfES1_S1_EviiT4_lPKT3_lilS7_lilPT5_i, .Lfunc_end328-_ZL23rocblas_gemvt_sn_kernelILb1ELi256ELi4EiPK19rocblas_complex_numIfES1_S1_EviiT4_lPKT3_lilS7_lilPT5_i
                                        ; -- End function
	.section	.AMDGPU.csdata,"",@progbits
; Kernel info:
; codeLenInByte = 5428
; NumSgprs: 46
; NumVgprs: 84
; ScratchSize: 48
; MemoryBound: 0
; FloatMode: 240
; IeeeMode: 1
; LDSByteSize: 256 bytes/workgroup (compile time only)
; SGPRBlocks: 5
; VGPRBlocks: 10
; NumSGPRsForWavesPerEU: 46
; NumVGPRsForWavesPerEU: 84
; Occupancy: 16
; WaveLimiterHint : 0
; COMPUTE_PGM_RSRC2:SCRATCH_EN: 1
; COMPUTE_PGM_RSRC2:USER_SGPR: 14
; COMPUTE_PGM_RSRC2:TRAP_HANDLER: 0
; COMPUTE_PGM_RSRC2:TGID_X_EN: 1
; COMPUTE_PGM_RSRC2:TGID_Y_EN: 0
; COMPUTE_PGM_RSRC2:TGID_Z_EN: 1
; COMPUTE_PGM_RSRC2:TIDIG_COMP_CNT: 0
	.section	.text._ZL23rocblas_gemvt_sn_kernelILb1ELi256ELi4ElPK19rocblas_complex_numIfES1_S1_EviiT4_lPKT3_lilS7_lilPT5_i,"axG",@progbits,_ZL23rocblas_gemvt_sn_kernelILb1ELi256ELi4ElPK19rocblas_complex_numIfES1_S1_EviiT4_lPKT3_lilS7_lilPT5_i,comdat
	.globl	_ZL23rocblas_gemvt_sn_kernelILb1ELi256ELi4ElPK19rocblas_complex_numIfES1_S1_EviiT4_lPKT3_lilS7_lilPT5_i ; -- Begin function _ZL23rocblas_gemvt_sn_kernelILb1ELi256ELi4ElPK19rocblas_complex_numIfES1_S1_EviiT4_lPKT3_lilS7_lilPT5_i
	.p2align	8
	.type	_ZL23rocblas_gemvt_sn_kernelILb1ELi256ELi4ElPK19rocblas_complex_numIfES1_S1_EviiT4_lPKT3_lilS7_lilPT5_i,@function
_ZL23rocblas_gemvt_sn_kernelILb1ELi256ELi4ElPK19rocblas_complex_numIfES1_S1_EviiT4_lPKT3_lilS7_lilPT5_i: ; @_ZL23rocblas_gemvt_sn_kernelILb1ELi256ELi4ElPK19rocblas_complex_numIfES1_S1_EviiT4_lPKT3_lilS7_lilPT5_i
; %bb.0:
	s_load_b128 s[8:11], s[0:1], 0x0
	s_mov_b32 s2, s15
	s_waitcnt lgkmcnt(0)
	s_or_b32 s3, s10, s11
	s_delay_alu instid0(SALU_CYCLE_1) | instskip(NEXT) | instid1(SALU_CYCLE_1)
	s_bitset0_b32 s3, 31
	s_cmp_lg_u32 s3, 0
	s_cselect_b32 s4, -1, 0
	s_cmp_eq_u32 s3, 0
	s_mov_b32 s3, 0
	s_cselect_b32 s12, -1, 0
	s_and_b32 vcc_lo, exec_lo, s4
	s_cbranch_vccnz .LBB329_2
; %bb.1:
	s_mov_b64 s[16:17], 0
	s_and_not1_b32 vcc_lo, exec_lo, s3
	s_cbranch_vccz .LBB329_3
	s_branch .LBB329_4
.LBB329_2:
	s_mov_b32 s3, -1
                                        ; implicit-def: $sgpr16_sgpr17
.LBB329_3:
	s_load_b128 s[16:19], s[0:1], 0x18
	s_mov_b32 s3, 0
	s_delay_alu instid0(SALU_CYCLE_1)
	s_lshl_b64 s[6:7], s[2:3], 3
	s_waitcnt lgkmcnt(0)
	s_add_u32 s6, s16, s6
	s_addc_u32 s7, s17, s7
	s_lshl_b64 s[16:17], s[18:19], 3
	s_load_b64 s[6:7], s[6:7], 0x0
	s_waitcnt lgkmcnt(0)
	s_add_u32 s16, s6, s16
	s_addc_u32 s17, s7, s17
.LBB329_4:
	s_and_not1_b32 vcc_lo, exec_lo, s4
	s_mov_b64 s[18:19], 0
	s_cbranch_vccnz .LBB329_6
; %bb.5:
	s_load_b128 s[4:7], s[0:1], 0x38
	s_lshl_b64 s[18:19], s[2:3], 3
	s_waitcnt lgkmcnt(0)
	s_add_u32 s4, s4, s18
	s_addc_u32 s5, s5, s19
	s_lshl_b64 s[6:7], s[6:7], 3
	s_load_b64 s[4:5], s[4:5], 0x0
	s_waitcnt lgkmcnt(0)
	s_add_u32 s18, s4, s6
	s_addc_u32 s19, s5, s7
.LBB329_6:
	s_clause 0x1
	s_load_b32 s6, s[0:1], 0x68
	s_load_b64 s[4:5], s[0:1], 0x58
	s_ashr_i32 s24, s9, 31
	s_mul_hi_u32 s13, s2, s9
	s_mul_i32 s15, s2, s24
	s_mul_i32 s3, s3, s9
	s_add_i32 s13, s13, s15
	s_mul_i32 s20, s2, s9
	s_add_i32 s3, s13, s3
	v_cmp_eq_u32_e64 s2, 0, v0
	s_and_not1_b32 vcc_lo, exec_lo, s12
	s_mov_b32 s7, 0
	s_waitcnt lgkmcnt(0)
	s_mul_i32 s3, s3, s6
	s_mul_hi_u32 s12, s20, s6
	s_mul_i32 s22, s20, s6
	s_add_i32 s23, s12, s3
	s_mov_b32 s3, -1
	s_cbranch_vccnz .LBB329_11
; %bb.7:
	s_cmp_gt_i32 s9, 0
	s_cselect_b32 s3, -1, 0
	s_delay_alu instid0(SALU_CYCLE_1) | instskip(NEXT) | instid1(SALU_CYCLE_1)
	s_and_b32 s2, s2, s3
	s_and_saveexec_b32 s20, s2
	s_cbranch_execz .LBB329_10
; %bb.8:
	s_mov_b32 s15, 0
	v_mov_b32_e32 v1, 0
	s_lshl_b64 s[2:3], s[22:23], 3
	s_lshl_b64 s[12:13], s[14:15], 3
	s_delay_alu instid0(SALU_CYCLE_1)
	s_add_u32 s2, s2, s12
	s_addc_u32 s3, s3, s13
	s_add_u32 s2, s2, s4
	v_mov_b32_e32 v2, v1
	s_addc_u32 s3, s3, s5
	s_add_u32 s2, s2, 4
	s_addc_u32 s3, s3, 0
	s_lshl_b64 s[12:13], s[6:7], 3
	s_mov_b32 s7, s9
.LBB329_9:                              ; =>This Inner Loop Header: Depth=1
	s_delay_alu instid0(SALU_CYCLE_1)
	s_add_i32 s7, s7, -1
	global_store_b64 v1, v[1:2], s[2:3] offset:-4
	s_add_u32 s2, s2, s12
	s_addc_u32 s3, s3, s13
	s_cmp_eq_u32 s7, 0
	s_cbranch_scc0 .LBB329_9
.LBB329_10:
	s_or_b32 exec_lo, exec_lo, s20
	s_mov_b32 s3, 0
.LBB329_11:
	s_delay_alu instid0(SALU_CYCLE_1)
	s_and_not1_b32 vcc_lo, exec_lo, s3
	s_cbranch_vccnz .LBB329_82
; %bb.12:
	s_clause 0x1
	s_load_b32 s12, s[0:1], 0x28
	s_load_b32 s20, s[0:1], 0x48
	s_lshl_b64 s[2:3], s[22:23], 3
	v_and_b32_e32 v29, 31, v0
	v_cmp_gt_u32_e64 s0, 32, v0
	v_mbcnt_lo_u32_b32 v32, -1, 0
	v_cmp_gt_u32_e64 s1, 8, v0
	v_lshrrev_b32_e32 v31, 2, v0
	v_or_b32_e64 v26, 0, 4
	s_waitcnt lgkmcnt(0)
	s_ashr_i32 s13, s12, 31
	s_ashr_i32 s21, s20, 31
	s_add_u32 s28, s4, s2
	s_addc_u32 s29, s5, s3
	s_lshl_b32 s2, s14, 10
	s_ashr_i32 s3, s8, 31
	v_lshl_or_b32 v5, v0, 2, s2
	s_lshr_b32 s2, s24, 30
	s_lshr_b32 s3, s3, 30
	s_add_i32 s2, s9, s2
	s_add_i32 s3, s8, s3
	v_ashrrev_i32_e32 v6, 31, v5
	s_and_b32 s30, s2, -4
	s_and_b32 s2, s3, -4
	v_add_nc_u32_e32 v33, 4, v5
	s_sub_i32 s7, s8, s2
	v_lshlrev_b64 v[3:4], 3, v[5:6]
	v_or_b32_e32 v30, 1, v5
	v_or_b32_e32 v28, 2, v5
	;; [unrolled: 1-line block ×3, first 2 shown]
	v_add_nc_u32_e32 v34, s7, v5
	s_cmp_lt_i32 s30, 1
	v_add_co_u32 v1, vcc_lo, s16, v3
	v_add_co_ci_u32_e32 v2, vcc_lo, s17, v4, vcc_lo
	s_cbranch_scc1 .LBB329_59
; %bb.13:
	v_cmp_gt_u32_e32 vcc_lo, 16, v32
	v_mad_i64_i32 v[12:13], null, s20, v27, 0
	s_mov_b32 s15, 0
	s_cmp_gt_i32 s7, 0
	v_cndmask_b32_e64 v6, 0, 1, vcc_lo
	v_cmp_gt_u32_e32 vcc_lo, 24, v32
	v_cmp_ge_i32_e64 s2, s8, v33
	v_cmp_ge_i32_e64 s3, s8, v34
	v_lshlrev_b64 v[12:13], 3, v[12:13]
	v_dual_mov_b32 v17, v2 :: v_dual_lshlrev_b32 v6, 4, v6
	v_cndmask_b32_e64 v7, 0, 1, vcc_lo
	v_cmp_gt_u32_e32 vcc_lo, 28, v32
	s_cselect_b32 s31, -1, 0
	s_delay_alu instid0(VALU_DEP_3) | instskip(NEXT) | instid1(VALU_DEP_3)
	v_add_lshl_u32 v35, v6, v32, 2
	v_dual_mov_b32 v14, 0 :: v_dual_lshlrev_b32 v7, 3, v7
	v_cndmask_b32_e64 v8, 0, 1, vcc_lo
	v_cmp_gt_u32_e32 vcc_lo, 30, v32
	v_cmp_eq_u32_e64 s4, 0, v29
	v_lshlrev_b32_e32 v40, 3, v29
	v_add_lshl_u32 v36, v7, v32, 2
	v_lshlrev_b32_e32 v8, 2, v8
	v_cndmask_b32_e64 v9, 0, 1, vcc_lo
	v_cmp_ne_u32_e32 vcc_lo, 31, v32
	v_mad_i64_i32 v[6:7], null, s20, v5, 0
	s_delay_alu instid0(VALU_DEP_4) | instskip(NEXT) | instid1(VALU_DEP_4)
	v_add_lshl_u32 v37, v8, v32, 2
	v_dual_mov_b32 v16, v1 :: v_dual_lshlrev_b32 v9, 1, v9
	v_add_co_ci_u32_e32 v10, vcc_lo, 0, v32, vcc_lo
	v_and_b32_e32 v41, 56, v31
	s_delay_alu instid0(VALU_DEP_3) | instskip(SKIP_1) | instid1(VALU_DEP_4)
	v_add_lshl_u32 v38, v9, v32, 2
	v_mad_i64_i32 v[8:9], null, s20, v30, 0
	v_lshlrev_b32_e32 v39, 2, v10
	v_mad_i64_i32 v[10:11], null, s20, v28, 0
	v_lshlrev_b64 v[6:7], 3, v[6:7]
	s_lshl_b64 s[22:23], s[14:15], 3
	v_cmp_eq_u32_e64 s5, 0, v0
	v_lshlrev_b64 v[8:9], 3, v[8:9]
	v_or_b32_e64 v42, 0, 4
	s_add_u32 s33, s28, s22
	v_add_co_u32 v6, vcc_lo, s18, v6
	v_lshlrev_b64 v[10:11], 3, v[10:11]
	v_add_co_ci_u32_e32 v7, vcc_lo, s19, v7, vcc_lo
	v_add_co_u32 v8, vcc_lo, s18, v8
	v_add_co_ci_u32_e32 v9, vcc_lo, s19, v9, vcc_lo
	s_delay_alu instid0(VALU_DEP_4)
	v_add_co_u32 v10, vcc_lo, s18, v10
	v_add_co_ci_u32_e32 v11, vcc_lo, s19, v11, vcc_lo
	v_add_co_u32 v12, vcc_lo, s18, v12
	v_add_co_ci_u32_e32 v13, vcc_lo, s19, v13, vcc_lo
	s_addc_u32 s34, s29, s23
	s_lshl_b64 s[22:23], s[20:21], 3
	s_lshl_b64 s[24:25], s[12:13], 5
	;; [unrolled: 1-line block ×3, first 2 shown]
	s_branch .LBB329_15
.LBB329_14:                             ;   in Loop: Header=BB329_15 Depth=1
	s_or_b32 exec_lo, exec_lo, s35
	v_add_co_u32 v16, vcc_lo, v16, s24
	v_add_co_ci_u32_e32 v17, vcc_lo, s25, v17, vcc_lo
	s_add_i32 s15, s15, 4
	s_delay_alu instid0(SALU_CYCLE_1)
	s_cmp_ge_i32 s15, s30
	s_cbranch_scc1 .LBB329_60
.LBB329_15:                             ; =>This Loop Header: Depth=1
                                        ;     Child Loop BB329_46 Depth 2
                                        ;     Child Loop BB329_48 Depth 2
                                        ; implicit-def: $vgpr43
                                        ; implicit-def: $vgpr44
                                        ; implicit-def: $vgpr20
                                        ; implicit-def: $vgpr21
                                        ; implicit-def: $vgpr22
                                        ; implicit-def: $vgpr23
                                        ; implicit-def: $vgpr25
                                        ; implicit-def: $vgpr24
	s_and_saveexec_b32 s35, s2
	s_delay_alu instid0(SALU_CYCLE_1)
	s_xor_b32 s35, exec_lo, s35
	s_cbranch_execnz .LBB329_42
; %bb.16:                               ;   in Loop: Header=BB329_15 Depth=1
	s_and_not1_saveexec_b32 s35, s35
	s_cbranch_execnz .LBB329_43
.LBB329_17:                             ;   in Loop: Header=BB329_15 Depth=1
	s_or_b32 exec_lo, exec_lo, s35
	s_and_saveexec_b32 s35, s0
	s_cbranch_execz .LBB329_19
.LBB329_18:                             ;   in Loop: Header=BB329_15 Depth=1
	v_mov_b32_e32 v15, v14
	ds_store_b64 v40, v[14:15]
.LBB329_19:                             ;   in Loop: Header=BB329_15 Depth=1
	s_or_b32 exec_lo, exec_lo, s35
	ds_bpermute_b32 v15, v35, v43
	ds_bpermute_b32 v18, v35, v44
	s_waitcnt lgkmcnt(0)
	s_waitcnt_vscnt null, 0x0
	s_barrier
	buffer_gl0_inv
	v_dual_add_f32 v15, v43, v15 :: v_dual_add_f32 v18, v44, v18
	ds_bpermute_b32 v19, v36, v15
	ds_bpermute_b32 v43, v36, v18
	s_waitcnt lgkmcnt(1)
	v_add_f32_e32 v15, v15, v19
	s_waitcnt lgkmcnt(0)
	v_add_f32_e32 v18, v18, v43
	ds_bpermute_b32 v19, v37, v15
	ds_bpermute_b32 v43, v37, v18
	s_waitcnt lgkmcnt(1)
	v_add_f32_e32 v15, v15, v19
	s_waitcnt lgkmcnt(0)
	v_add_f32_e32 v18, v18, v43
	;; [unrolled: 6-line block ×3, first 2 shown]
	ds_bpermute_b32 v19, v39, v15
	ds_bpermute_b32 v43, v39, v18
	s_and_saveexec_b32 s35, s4
	s_cbranch_execz .LBB329_21
; %bb.20:                               ;   in Loop: Header=BB329_15 Depth=1
	s_waitcnt lgkmcnt(0)
	v_add_f32_e32 v44, v18, v43
	v_add_f32_e32 v43, v15, v19
	ds_store_b64 v41, v[43:44]
.LBB329_21:                             ;   in Loop: Header=BB329_15 Depth=1
	s_or_b32 exec_lo, exec_lo, s35
	s_waitcnt lgkmcnt(1)
	v_dual_mov_b32 v19, 0 :: v_dual_mov_b32 v18, 0
	s_waitcnt lgkmcnt(0)
	s_barrier
	buffer_gl0_inv
	s_and_saveexec_b32 s35, s1
	s_cbranch_execnz .LBB329_50
; %bb.22:                               ;   in Loop: Header=BB329_15 Depth=1
	s_or_b32 exec_lo, exec_lo, s35
	s_and_saveexec_b32 s35, s0
	s_cbranch_execnz .LBB329_51
.LBB329_23:                             ;   in Loop: Header=BB329_15 Depth=1
	s_or_b32 exec_lo, exec_lo, s35
	s_and_saveexec_b32 s35, s0
	s_cbranch_execz .LBB329_25
.LBB329_24:                             ;   in Loop: Header=BB329_15 Depth=1
	v_mov_b32_e32 v15, v14
	ds_store_b64 v40, v[14:15]
.LBB329_25:                             ;   in Loop: Header=BB329_15 Depth=1
	s_or_b32 exec_lo, exec_lo, s35
	ds_bpermute_b32 v15, v35, v20
	ds_bpermute_b32 v43, v35, v21
	s_waitcnt lgkmcnt(0)
	s_barrier
	buffer_gl0_inv
	v_add_f32_e32 v15, v20, v15
	v_add_f32_e32 v20, v21, v43
	ds_bpermute_b32 v21, v36, v15
	s_waitcnt lgkmcnt(0)
	v_add_f32_e32 v15, v15, v21
	ds_bpermute_b32 v43, v36, v20
	ds_bpermute_b32 v21, v37, v15
	s_waitcnt lgkmcnt(0)
	v_dual_add_f32 v20, v20, v43 :: v_dual_add_f32 v15, v15, v21
	ds_bpermute_b32 v43, v37, v20
	ds_bpermute_b32 v21, v38, v15
	s_waitcnt lgkmcnt(0)
	v_dual_add_f32 v20, v20, v43 :: v_dual_add_f32 v15, v15, v21
	ds_bpermute_b32 v43, v38, v20
	ds_bpermute_b32 v21, v39, v15
	s_waitcnt lgkmcnt(1)
	v_add_f32_e32 v20, v20, v43
	ds_bpermute_b32 v43, v39, v20
	s_and_saveexec_b32 s35, s4
	s_cbranch_execz .LBB329_27
; %bb.26:                               ;   in Loop: Header=BB329_15 Depth=1
	s_waitcnt lgkmcnt(0)
	v_dual_add_f32 v44, v20, v43 :: v_dual_add_f32 v43, v15, v21
	ds_store_b64 v41, v[43:44]
.LBB329_27:                             ;   in Loop: Header=BB329_15 Depth=1
	s_or_b32 exec_lo, exec_lo, s35
	s_waitcnt lgkmcnt(1)
	v_dual_mov_b32 v21, 0 :: v_dual_mov_b32 v20, 0
	s_waitcnt lgkmcnt(0)
	s_barrier
	buffer_gl0_inv
	s_and_saveexec_b32 s35, s1
	s_cbranch_execnz .LBB329_52
; %bb.28:                               ;   in Loop: Header=BB329_15 Depth=1
	s_or_b32 exec_lo, exec_lo, s35
	s_and_saveexec_b32 s35, s0
	s_cbranch_execnz .LBB329_53
.LBB329_29:                             ;   in Loop: Header=BB329_15 Depth=1
	s_or_b32 exec_lo, exec_lo, s35
	s_and_saveexec_b32 s35, s0
	s_cbranch_execz .LBB329_31
.LBB329_30:                             ;   in Loop: Header=BB329_15 Depth=1
	v_mov_b32_e32 v15, v14
	ds_store_b64 v40, v[14:15]
.LBB329_31:                             ;   in Loop: Header=BB329_15 Depth=1
	s_or_b32 exec_lo, exec_lo, s35
	ds_bpermute_b32 v15, v35, v22
	ds_bpermute_b32 v43, v35, v23
	s_waitcnt lgkmcnt(0)
	s_barrier
	buffer_gl0_inv
	v_add_f32_e32 v15, v22, v15
	v_add_f32_e32 v22, v23, v43
	ds_bpermute_b32 v23, v36, v15
	ds_bpermute_b32 v43, v36, v22
	s_waitcnt lgkmcnt(1)
	v_add_f32_e32 v15, v15, v23
	s_waitcnt lgkmcnt(0)
	v_add_f32_e32 v22, v22, v43
	ds_bpermute_b32 v23, v37, v15
	ds_bpermute_b32 v43, v37, v22
	s_waitcnt lgkmcnt(1)
	v_add_f32_e32 v15, v15, v23
	s_waitcnt lgkmcnt(0)
	;; [unrolled: 6-line block ×3, first 2 shown]
	v_add_f32_e32 v22, v22, v43
	ds_bpermute_b32 v23, v39, v15
	ds_bpermute_b32 v43, v39, v22
	s_and_saveexec_b32 s35, s4
	s_cbranch_execz .LBB329_33
; %bb.32:                               ;   in Loop: Header=BB329_15 Depth=1
	s_waitcnt lgkmcnt(0)
	v_add_f32_e32 v44, v22, v43
	v_add_f32_e32 v43, v15, v23
	ds_store_b64 v41, v[43:44]
.LBB329_33:                             ;   in Loop: Header=BB329_15 Depth=1
	s_or_b32 exec_lo, exec_lo, s35
	s_waitcnt lgkmcnt(1)
	v_dual_mov_b32 v23, 0 :: v_dual_mov_b32 v22, 0
	s_waitcnt lgkmcnt(0)
	s_barrier
	buffer_gl0_inv
	s_and_saveexec_b32 s35, s1
	s_cbranch_execnz .LBB329_54
; %bb.34:                               ;   in Loop: Header=BB329_15 Depth=1
	s_or_b32 exec_lo, exec_lo, s35
	s_and_saveexec_b32 s35, s0
	s_cbranch_execnz .LBB329_55
.LBB329_35:                             ;   in Loop: Header=BB329_15 Depth=1
	s_or_b32 exec_lo, exec_lo, s35
	s_and_saveexec_b32 s35, s0
	s_cbranch_execz .LBB329_37
.LBB329_36:                             ;   in Loop: Header=BB329_15 Depth=1
	v_mov_b32_e32 v15, v14
	ds_store_b64 v40, v[14:15]
.LBB329_37:                             ;   in Loop: Header=BB329_15 Depth=1
	s_or_b32 exec_lo, exec_lo, s35
	ds_bpermute_b32 v15, v35, v25
	ds_bpermute_b32 v43, v35, v24
	s_waitcnt lgkmcnt(0)
	s_barrier
	buffer_gl0_inv
	v_add_f32_e32 v15, v25, v15
	ds_bpermute_b32 v25, v36, v15
	s_waitcnt lgkmcnt(0)
	v_dual_add_f32 v24, v24, v43 :: v_dual_add_f32 v15, v15, v25
	ds_bpermute_b32 v43, v36, v24
	ds_bpermute_b32 v25, v37, v15
	s_waitcnt lgkmcnt(0)
	v_dual_add_f32 v24, v24, v43 :: v_dual_add_f32 v15, v15, v25
	ds_bpermute_b32 v43, v37, v24
	;; [unrolled: 4-line block ×3, first 2 shown]
	ds_bpermute_b32 v25, v39, v15
	s_waitcnt lgkmcnt(1)
	v_add_f32_e32 v24, v24, v43
	ds_bpermute_b32 v43, v39, v24
	s_and_saveexec_b32 s35, s4
	s_cbranch_execz .LBB329_39
; %bb.38:                               ;   in Loop: Header=BB329_15 Depth=1
	s_waitcnt lgkmcnt(0)
	v_dual_add_f32 v44, v24, v43 :: v_dual_add_f32 v43, v15, v25
	ds_store_b64 v41, v[43:44]
.LBB329_39:                             ;   in Loop: Header=BB329_15 Depth=1
	s_or_b32 exec_lo, exec_lo, s35
	s_waitcnt lgkmcnt(1)
	v_dual_mov_b32 v25, 0 :: v_dual_mov_b32 v24, 0
	s_waitcnt lgkmcnt(0)
	s_barrier
	buffer_gl0_inv
	s_and_saveexec_b32 s35, s1
	s_cbranch_execnz .LBB329_56
; %bb.40:                               ;   in Loop: Header=BB329_15 Depth=1
	s_or_b32 exec_lo, exec_lo, s35
	s_and_saveexec_b32 s35, s0
	s_cbranch_execnz .LBB329_57
.LBB329_41:                             ;   in Loop: Header=BB329_15 Depth=1
	s_or_b32 exec_lo, exec_lo, s35
	s_and_saveexec_b32 s35, s5
	s_cbranch_execz .LBB329_14
	s_branch .LBB329_58
.LBB329_42:                             ;   in Loop: Header=BB329_15 Depth=1
	s_clause 0x2
	flat_load_b64 v[18:19], v[6:7]
	flat_load_b64 v[20:21], v[8:9]
	;; [unrolled: 1-line block ×3, first 2 shown]
	s_waitcnt lgkmcnt(3)
	flat_load_b64 v[24:25], v[12:13]
	s_mul_i32 s37, s15, s13
	s_mul_hi_u32 s38, s15, s12
	s_mul_i32 s36, s15, s12
	s_or_b32 s39, s15, 1
	s_add_i32 s37, s38, s37
	s_mul_i32 s43, s39, s13
	s_mul_hi_u32 s44, s39, s12
	s_lshl_b64 s[36:37], s[36:37], 3
	s_or_b32 s40, s15, 2
	s_mul_i32 s38, s39, s12
	s_add_i32 s39, s44, s43
	v_add_co_u32 v59, vcc_lo, v1, s36
	s_or_b32 s41, s15, 3
	s_mul_i32 s45, s40, s13
	s_mul_hi_u32 s46, s40, s12
	v_add_co_ci_u32_e32 v60, vcc_lo, s37, v2, vcc_lo
	s_lshl_b64 s[36:37], s[38:39], 3
	s_mul_i32 s40, s40, s12
	s_mul_i32 s47, s41, s13
	s_mul_hi_u32 s48, s41, s12
	s_mul_i32 s42, s41, s12
	s_add_i32 s41, s46, s45
	v_add_co_u32 v63, vcc_lo, v1, s36
	s_lshl_b64 s[38:39], s[40:41], 3
	s_add_i32 s43, s48, s47
	v_add_co_ci_u32_e32 v64, vcc_lo, s37, v2, vcc_lo
	v_add_co_u32 v67, vcc_lo, v1, s38
	s_lshl_b64 s[40:41], s[42:43], 3
	v_add_co_ci_u32_e32 v68, vcc_lo, s39, v2, vcc_lo
	v_add_co_u32 v71, vcc_lo, v1, s40
	v_add_co_ci_u32_e32 v72, vcc_lo, s41, v2, vcc_lo
	s_waitcnt vmcnt(2) lgkmcnt(2)
	scratch_store_b128 off, v[18:21], off
	s_waitcnt vmcnt(0) lgkmcnt(0)
	scratch_store_b128 off, v[22:25], off offset:16
	s_clause 0x7
	flat_load_b128 v[43:46], v[59:60]
	flat_load_b128 v[47:50], v[63:64]
	;; [unrolled: 1-line block ×4, first 2 shown]
	flat_load_b128 v[59:62], v[59:60] offset:16
	flat_load_b128 v[63:66], v[63:64] offset:16
	;; [unrolled: 1-line block ×4, first 2 shown]
	s_waitcnt vmcnt(6) lgkmcnt(6)
	v_mul_f32_e32 v75, v48, v19
	s_waitcnt vmcnt(4) lgkmcnt(4)
	v_dual_mul_f32 v48, v48, v18 :: v_dual_mul_f32 v81, v58, v21
	s_waitcnt vmcnt(2) lgkmcnt(2)
	v_dual_mul_f32 v76, v52, v19 :: v_dual_mul_f32 v83, v23, v64
	v_dual_mul_f32 v15, v44, v19 :: v_dual_mul_f32 v78, v46, v21
	;; [unrolled: 1-line block ×3, first 2 shown]
	s_waitcnt vmcnt(0) lgkmcnt(0)
	v_dual_mul_f32 v52, v52, v18 :: v_dual_mul_f32 v85, v23, v72
	v_dual_mul_f32 v77, v56, v19 :: v_dual_mul_f32 v50, v50, v20
	s_delay_alu instid0(VALU_DEP_3)
	v_dual_mul_f32 v56, v56, v18 :: v_dual_fmac_f32 v79, v49, v20
	v_mul_f32_e32 v46, v46, v20
	v_dual_mul_f32 v80, v54, v21 :: v_dual_mul_f32 v87, v25, v66
	v_dual_mul_f32 v54, v54, v20 :: v_dual_mul_f32 v89, v25, v74
	v_dual_mul_f32 v58, v58, v20 :: v_dual_fmac_f32 v15, v43, v18
	v_dual_mul_f32 v82, v23, v60 :: v_dual_fmac_f32 v83, v22, v63
	;; [unrolled: 1-line block ×7, first 2 shown]
	v_dual_mul_f32 v86, v25, v62 :: v_dual_add_f32 v15, 0, v15
	v_dual_mul_f32 v62, v24, v62 :: v_dual_fmac_f32 v81, v57, v20
	v_mul_f32_e32 v88, v25, v70
	v_mul_f32_e32 v74, v24, v74
	v_fma_f32 v43, v43, v19, -v44
	v_mul_f32_e32 v66, v24, v66
	v_fma_f32 v44, v47, v19, -v48
	v_fma_f32 v47, v51, v19, -v52
	v_mul_f32_e32 v70, v24, v70
	v_fmac_f32_e32 v76, v51, v18
	v_fma_f32 v18, v55, v19, -v56
	v_fmac_f32_e32 v78, v45, v20
	v_fma_f32 v19, v45, v21, -v46
	v_fma_f32 v45, v49, v21, -v50
	v_fmac_f32_e32 v80, v53, v20
	v_fma_f32 v46, v53, v21, -v54
	v_fma_f32 v20, v57, v21, -v58
	;; [unrolled: 1-line block ×6, first 2 shown]
	v_fmac_f32_e32 v88, v24, v69
	v_add_f32_e32 v44, 0, v44
	v_fmac_f32_e32 v82, v22, v59
	v_dual_fmac_f32 v86, v24, v61 :: v_dual_add_f32 v47, 0, v47
	v_fmac_f32_e32 v84, v22, v67
	v_fma_f32 v22, v23, v71, -v72
	v_fma_f32 v23, v25, v61, -v62
	;; [unrolled: 1-line block ×3, first 2 shown]
	v_add_f32_e32 v53, 0, v77
	v_fma_f32 v24, v25, v73, -v74
	v_add_f32_e32 v25, 0, v43
	v_add_f32_e32 v43, 0, v75
	s_delay_alu instid0(VALU_DEP_2) | instskip(NEXT) | instid1(VALU_DEP_2)
	v_add_f32_e32 v19, v25, v19
	v_add_f32_e32 v25, v43, v79
	v_add_f32_e32 v15, v15, v78
	s_delay_alu instid0(VALU_DEP_3) | instskip(SKIP_2) | instid1(VALU_DEP_4)
	v_add_f32_e32 v19, v19, v21
	v_add_f32_e32 v43, v44, v45
	v_dual_add_f32 v45, v47, v46 :: v_dual_add_f32 v52, 0, v76
	v_dual_add_f32 v15, v15, v82 :: v_dual_add_f32 v46, v53, v81
	s_delay_alu instid0(VALU_DEP_3) | instskip(NEXT) | instid1(VALU_DEP_3)
	v_add_f32_e32 v21, v43, v48
	v_dual_add_f32 v45, v45, v49 :: v_dual_add_f32 v44, v52, v80
	s_delay_alu instid0(VALU_DEP_3) | instskip(SKIP_1) | instid1(VALU_DEP_4)
	v_add_f32_e32 v43, v15, v86
	v_add_f32_e32 v18, 0, v18
	v_dual_add_f32 v46, v46, v85 :: v_dual_add_f32 v21, v21, v50
	s_delay_alu instid0(VALU_DEP_2) | instskip(SKIP_2) | instid1(VALU_DEP_3)
	v_add_f32_e32 v18, v18, v20
	v_dual_add_f32 v20, v25, v83 :: v_dual_add_f32 v25, v44, v84
	v_add_f32_e32 v44, v19, v23
	v_dual_add_f32 v23, v45, v51 :: v_dual_add_f32 v18, v18, v22
	s_delay_alu instid0(VALU_DEP_3) | instskip(NEXT) | instid1(VALU_DEP_4)
	v_dual_add_f32 v22, v25, v88 :: v_dual_add_f32 v25, v46, v89
	v_add_f32_e32 v20, v20, v87
	s_delay_alu instid0(VALU_DEP_3)
	v_add_f32_e32 v24, v18, v24
	s_and_not1_saveexec_b32 s35, s35
	s_cbranch_execz .LBB329_17
.LBB329_43:                             ;   in Loop: Header=BB329_15 Depth=1
	v_dual_mov_b32 v43, 0 :: v_dual_mov_b32 v44, 0
	v_dual_mov_b32 v20, 0 :: v_dual_mov_b32 v21, 0
	;; [unrolled: 1-line block ×3, first 2 shown]
	s_waitcnt lgkmcnt(0)
	v_dual_mov_b32 v25, 0 :: v_dual_mov_b32 v24, 0
	s_and_saveexec_b32 s36, s3
	s_cbranch_execz .LBB329_49
; %bb.44:                               ;   in Loop: Header=BB329_15 Depth=1
	v_dual_mov_b32 v43, 0 :: v_dual_mov_b32 v44, 0
	v_dual_mov_b32 v20, 0 :: v_dual_mov_b32 v21, 0
	;; [unrolled: 1-line block ×4, first 2 shown]
	s_and_not1_b32 vcc_lo, exec_lo, s31
	s_cbranch_vccnz .LBB329_49
; %bb.45:                               ;   in Loop: Header=BB329_15 Depth=1
	v_mov_b32_e32 v19, v7
	v_dual_mov_b32 v15, 0 :: v_dual_mov_b32 v18, v6
	s_mov_b32 s37, s7
.LBB329_46:                             ;   Parent Loop BB329_15 Depth=1
                                        ; =>  This Inner Loop Header: Depth=2
	flat_load_b64 v[20:21], v[18:19]
	v_add_co_u32 v18, vcc_lo, v18, s22
	v_add_co_ci_u32_e32 v19, vcc_lo, s23, v19, vcc_lo
	s_add_i32 s37, s37, -1
	s_delay_alu instid0(SALU_CYCLE_1)
	s_cmp_eq_u32 s37, 0
	s_waitcnt vmcnt(0) lgkmcnt(0)
	scratch_store_b64 v15, v[20:21], off
	v_add_nc_u32_e32 v15, 8, v15
	s_cbranch_scc0 .LBB329_46
; %bb.47:                               ;   in Loop: Header=BB329_15 Depth=1
	v_dual_mov_b32 v24, 0 :: v_dual_mov_b32 v19, v17
	v_dual_mov_b32 v18, v16 :: v_dual_mov_b32 v15, v42
	v_dual_mov_b32 v25, 0 :: v_dual_mov_b32 v22, 0
	v_dual_mov_b32 v23, 0 :: v_dual_mov_b32 v20, 0
	v_dual_mov_b32 v21, 0 :: v_dual_mov_b32 v44, 0
	v_mov_b32_e32 v43, 0
	s_mov_b32 s37, s7
.LBB329_48:                             ;   Parent Loop BB329_15 Depth=1
                                        ; =>  This Inner Loop Header: Depth=2
	v_add_co_u32 v47, vcc_lo, v18, s26
	v_add_co_ci_u32_e32 v48, vcc_lo, s27, v19, vcc_lo
	scratch_load_b64 v[45:46], v15, off offset:-4
	flat_load_b64 v[49:50], v[18:19]
	v_add_co_u32 v51, vcc_lo, v47, s26
	v_add_co_ci_u32_e32 v52, vcc_lo, s27, v48, vcc_lo
	v_add_nc_u32_e32 v15, 8, v15
	s_delay_alu instid0(VALU_DEP_3) | instskip(NEXT) | instid1(VALU_DEP_3)
	v_add_co_u32 v53, vcc_lo, v51, s26
	v_add_co_ci_u32_e32 v54, vcc_lo, s27, v52, vcc_lo
	s_clause 0x2
	flat_load_b64 v[47:48], v[47:48]
	flat_load_b64 v[51:52], v[51:52]
	;; [unrolled: 1-line block ×3, first 2 shown]
	v_add_co_u32 v18, vcc_lo, v18, 8
	v_add_co_ci_u32_e32 v19, vcc_lo, 0, v19, vcc_lo
	s_add_i32 s37, s37, -1
	s_delay_alu instid0(SALU_CYCLE_1) | instskip(SKIP_3) | instid1(VALU_DEP_2)
	s_cmp_lg_u32 s37, 0
	s_waitcnt vmcnt(3) lgkmcnt(3)
	v_mul_f32_e32 v55, v46, v50
	v_mul_f32_e32 v50, v45, v50
	v_fmac_f32_e32 v55, v45, v49
	s_delay_alu instid0(VALU_DEP_2) | instskip(SKIP_2) | instid1(VALU_DEP_3)
	v_fma_f32 v49, v46, v49, -v50
	s_waitcnt vmcnt(2) lgkmcnt(2)
	v_mul_f32_e32 v50, v46, v48
	v_dual_mul_f32 v48, v45, v48 :: v_dual_add_f32 v43, v43, v55
	s_waitcnt vmcnt(1) lgkmcnt(1)
	v_dual_add_f32 v44, v44, v49 :: v_dual_mul_f32 v49, v45, v52
	s_delay_alu instid0(VALU_DEP_1)
	v_fma_f32 v49, v46, v51, -v49
	v_fmac_f32_e32 v50, v45, v47
	v_fma_f32 v47, v46, v47, -v48
	v_mul_f32_e32 v48, v46, v52
	s_waitcnt vmcnt(0) lgkmcnt(0)
	v_mul_f32_e32 v52, v46, v54
	v_dual_mul_f32 v54, v45, v54 :: v_dual_add_f32 v23, v23, v49
	v_add_f32_e32 v21, v21, v47
	v_fmac_f32_e32 v48, v45, v51
	s_delay_alu instid0(VALU_DEP_4) | instskip(NEXT) | instid1(VALU_DEP_4)
	v_fmac_f32_e32 v52, v45, v53
	v_fma_f32 v45, v46, v53, -v54
	v_add_f32_e32 v20, v20, v50
	s_delay_alu instid0(VALU_DEP_4) | instskip(NEXT) | instid1(VALU_DEP_3)
	v_add_f32_e32 v22, v22, v48
	v_dual_add_f32 v25, v25, v52 :: v_dual_add_f32 v24, v24, v45
	s_cbranch_scc1 .LBB329_48
.LBB329_49:                             ;   in Loop: Header=BB329_15 Depth=1
	s_or_b32 exec_lo, exec_lo, s36
	s_delay_alu instid0(SALU_CYCLE_1)
	s_or_b32 exec_lo, exec_lo, s35
	s_and_saveexec_b32 s35, s0
	s_cbranch_execnz .LBB329_18
	s_branch .LBB329_19
.LBB329_50:                             ;   in Loop: Header=BB329_15 Depth=1
	ds_load_b64 v[18:19], v40
	s_or_b32 exec_lo, exec_lo, s35
	s_and_saveexec_b32 s35, s0
	s_cbranch_execz .LBB329_23
.LBB329_51:                             ;   in Loop: Header=BB329_15 Depth=1
	s_waitcnt lgkmcnt(0)
	ds_bpermute_b32 v15, v37, v18
	ds_bpermute_b32 v43, v37, v19
	s_waitcnt lgkmcnt(1)
	v_add_f32_e32 v15, v18, v15
	s_waitcnt lgkmcnt(0)
	v_add_f32_e32 v18, v19, v43
	ds_bpermute_b32 v19, v38, v15
	ds_bpermute_b32 v43, v38, v18
	s_waitcnt lgkmcnt(1)
	v_add_f32_e32 v15, v15, v19
	s_waitcnt lgkmcnt(0)
	v_add_f32_e32 v19, v18, v43
	ds_bpermute_b32 v18, v39, v15
	s_waitcnt lgkmcnt(0)
	v_add_f32_e32 v18, v15, v18
	ds_bpermute_b32 v43, v39, v19
	s_waitcnt lgkmcnt(0)
	v_add_f32_e32 v19, v19, v43
	s_or_b32 exec_lo, exec_lo, s35
	s_and_saveexec_b32 s35, s0
	s_cbranch_execnz .LBB329_24
	s_branch .LBB329_25
.LBB329_52:                             ;   in Loop: Header=BB329_15 Depth=1
	ds_load_b64 v[20:21], v40
	s_or_b32 exec_lo, exec_lo, s35
	s_and_saveexec_b32 s35, s0
	s_cbranch_execz .LBB329_29
.LBB329_53:                             ;   in Loop: Header=BB329_15 Depth=1
	s_waitcnt lgkmcnt(0)
	ds_bpermute_b32 v15, v37, v20
	ds_bpermute_b32 v43, v37, v21
	s_waitcnt lgkmcnt(1)
	v_add_f32_e32 v15, v20, v15
	s_waitcnt lgkmcnt(0)
	v_add_f32_e32 v20, v21, v43
	ds_bpermute_b32 v21, v38, v15
	s_waitcnt lgkmcnt(0)
	v_add_f32_e32 v15, v15, v21
	ds_bpermute_b32 v43, v38, v20
	;; [unrolled: 3-line block ×4, first 2 shown]
	s_waitcnt lgkmcnt(0)
	v_add_f32_e32 v21, v21, v43
	s_or_b32 exec_lo, exec_lo, s35
	s_and_saveexec_b32 s35, s0
	s_cbranch_execnz .LBB329_30
	s_branch .LBB329_31
.LBB329_54:                             ;   in Loop: Header=BB329_15 Depth=1
	ds_load_b64 v[22:23], v40
	s_or_b32 exec_lo, exec_lo, s35
	s_and_saveexec_b32 s35, s0
	s_cbranch_execz .LBB329_35
.LBB329_55:                             ;   in Loop: Header=BB329_15 Depth=1
	s_waitcnt lgkmcnt(0)
	ds_bpermute_b32 v15, v37, v22
	ds_bpermute_b32 v43, v37, v23
	s_waitcnt lgkmcnt(1)
	v_add_f32_e32 v15, v22, v15
	s_waitcnt lgkmcnt(0)
	v_add_f32_e32 v22, v23, v43
	ds_bpermute_b32 v23, v38, v15
	ds_bpermute_b32 v43, v38, v22
	s_waitcnt lgkmcnt(1)
	v_add_f32_e32 v15, v15, v23
	s_waitcnt lgkmcnt(0)
	v_add_f32_e32 v23, v22, v43
	ds_bpermute_b32 v22, v39, v15
	s_waitcnt lgkmcnt(0)
	v_add_f32_e32 v22, v15, v22
	ds_bpermute_b32 v43, v39, v23
	s_waitcnt lgkmcnt(0)
	v_add_f32_e32 v23, v23, v43
	s_or_b32 exec_lo, exec_lo, s35
	s_and_saveexec_b32 s35, s0
	s_cbranch_execnz .LBB329_36
	s_branch .LBB329_37
.LBB329_56:                             ;   in Loop: Header=BB329_15 Depth=1
	ds_load_b64 v[24:25], v40
	s_or_b32 exec_lo, exec_lo, s35
	s_and_saveexec_b32 s35, s0
	s_cbranch_execz .LBB329_41
.LBB329_57:                             ;   in Loop: Header=BB329_15 Depth=1
	s_waitcnt lgkmcnt(0)
	ds_bpermute_b32 v15, v37, v24
	ds_bpermute_b32 v43, v37, v25
	s_waitcnt lgkmcnt(1)
	v_add_f32_e32 v15, v24, v15
	s_waitcnt lgkmcnt(0)
	v_add_f32_e32 v24, v25, v43
	ds_bpermute_b32 v25, v38, v15
	s_waitcnt lgkmcnt(0)
	v_add_f32_e32 v15, v15, v25
	ds_bpermute_b32 v43, v38, v24
	;; [unrolled: 3-line block ×4, first 2 shown]
	s_waitcnt lgkmcnt(0)
	v_add_f32_e32 v25, v25, v43
	s_or_b32 exec_lo, exec_lo, s35
	s_and_saveexec_b32 s35, s5
	s_cbranch_execz .LBB329_14
.LBB329_58:                             ;   in Loop: Header=BB329_15 Depth=1
	v_mul_f32_e32 v44, s10, v19
	v_mul_f32_e32 v15, s11, v19
	s_mul_hi_u32 s37, s15, s6
	s_mul_i32 s36, s15, s6
	s_delay_alu instid0(VALU_DEP_2)
	v_dual_mul_f32 v19, s10, v21 :: v_dual_fmac_f32 v44, s11, v18
	s_lshl_b64 s[36:37], s[36:37], 3
	v_fma_f32 v43, v18, s10, -v15
	s_add_u32 s36, s33, s36
	s_addc_u32 s37, s34, s37
	v_mul_f32_e32 v15, s11, v21
	v_mul_f32_e32 v21, s10, v23
	global_store_b64 v14, v[43:44], s[36:37]
	s_or_b32 s36, s15, 1
	v_fmac_f32_e32 v19, s11, v20
	s_mul_hi_u32 s37, s36, s6
	s_mul_i32 s36, s36, s6
	v_fma_f32 v18, v20, s10, -v15
	s_lshl_b64 s[36:37], s[36:37], 3
	v_mul_f32_e32 v15, s11, v23
	s_add_u32 s36, s33, s36
	s_addc_u32 s37, s34, s37
	s_or_b32 s38, s15, 2
	s_waitcnt lgkmcnt(0)
	v_mul_f32_e32 v23, s10, v25
	s_mul_hi_u32 s39, s38, s6
	s_mul_i32 s38, s38, s6
	v_fma_f32 v20, v22, s10, -v15
	s_lshl_b64 s[38:39], s[38:39], 3
	v_mul_f32_e32 v15, s11, v25
	s_add_u32 s38, s33, s38
	s_addc_u32 s39, s34, s39
	s_or_b32 s40, s15, 3
	v_fmac_f32_e32 v21, s11, v22
	s_mul_hi_u32 s41, s40, s6
	s_mul_i32 s40, s40, s6
	v_fma_f32 v22, v24, s10, -v15
	v_fmac_f32_e32 v23, s11, v24
	s_lshl_b64 s[40:41], s[40:41], 3
	global_store_b64 v14, v[18:19], s[36:37]
	s_add_u32 s36, s33, s40
	s_addc_u32 s37, s34, s41
	s_clause 0x1
	global_store_b64 v14, v[20:21], s[38:39]
	global_store_b64 v14, v[22:23], s[36:37]
	s_branch .LBB329_14
.LBB329_59:
	s_mov_b32 s15, 0
.LBB329_60:
	s_delay_alu instid0(SALU_CYCLE_1)
	s_cmp_ge_i32 s15, s9
	s_cbranch_scc1 .LBB329_82
; %bb.61:
	v_cmp_gt_u32_e64 s1, 16, v32
	v_mad_i64_i32 v[12:13], null, s20, v27, 0
	s_cmp_gt_i32 s7, 0
	s_mov_b32 s23, 0
	s_delay_alu instid0(VALU_DEP_2)
	v_cndmask_b32_e64 v6, 0, 1, s1
	v_cmp_gt_u32_e64 s1, 24, v32
	s_mov_b32 s22, s14
	s_cselect_b32 s24, -1, 0
	s_lshl_b64 s[22:23], s[22:23], 3
	v_lshlrev_b32_e32 v6, 4, v6
	v_cndmask_b32_e64 v7, 0, 1, s1
	v_cmp_gt_u32_e64 s1, 28, v32
	v_cmp_ge_i32_e32 vcc_lo, s8, v33
	v_cmp_ge_i32_e64 s4, s8, v34
	v_add_lshl_u32 v17, v6, v32, 2
	v_lshlrev_b32_e32 v7, 3, v7
	v_cndmask_b32_e64 v8, 0, 1, s1
	v_cmp_gt_u32_e64 s1, 30, v32
	s_add_u32 s8, s28, s22
	s_addc_u32 s14, s29, s23
	v_add_lshl_u32 v18, v7, v32, 2
	v_lshlrev_b32_e32 v8, 2, v8
	v_cndmask_b32_e64 v9, 0, 1, s1
	v_cmp_ne_u32_e64 s1, 31, v32
	v_mad_i64_i32 v[6:7], null, s20, v5, 0
	s_delay_alu instid0(VALU_DEP_4) | instskip(NEXT) | instid1(VALU_DEP_4)
	v_add_lshl_u32 v19, v8, v32, 2
	v_lshlrev_b32_e32 v9, 1, v9
	s_delay_alu instid0(VALU_DEP_4) | instskip(SKIP_2) | instid1(VALU_DEP_2)
	v_add_co_ci_u32_e64 v10, s1, 0, v32, s1
	s_mul_i32 s22, s13, s15
	s_mul_hi_u32 s23, s12, s15
	v_add_lshl_u32 v20, v9, v32, 2
	v_mad_i64_i32 v[8:9], null, s20, v30, 0
	v_lshlrev_b32_e32 v21, 2, v10
	v_mad_i64_i32 v[10:11], null, s20, v28, 0
	v_lshlrev_b64 v[5:6], 3, v[6:7]
	v_cmp_gt_u32_e64 s0, 32, v0
	v_lshlrev_b32_e32 v16, 3, v29
	v_lshlrev_b64 v[7:8], 3, v[8:9]
	v_cmp_eq_u32_e64 s1, 0, v29
	v_and_b32_e32 v22, 56, v31
	v_add_co_u32 v5, s5, s18, v5
	v_lshlrev_b64 v[9:10], 3, v[10:11]
	v_add_co_ci_u32_e64 v6, s5, s19, v6, s5
	v_add_co_u32 v7, s5, s18, v7
	v_lshlrev_b64 v[11:12], 3, v[12:13]
	v_mov_b32_e32 v13, 0
	v_add_co_ci_u32_e64 v8, s5, s19, v8, s5
	v_add_co_u32 v9, s5, s18, v9
	s_delay_alu instid0(VALU_DEP_1) | instskip(SKIP_1) | instid1(VALU_DEP_1)
	v_add_co_ci_u32_e64 v10, s5, s19, v10, s5
	v_add_co_u32 v11, s5, s18, v11
	v_add_co_ci_u32_e64 v12, s5, s19, v12, s5
	s_add_i32 s19, s23, s22
	s_mul_i32 s18, s12, s15
	s_and_b32 s5, s24, s4
	s_lshl_b64 s[22:23], s[18:19], 3
	s_lshl_b64 s[18:19], s[20:21], 3
	s_add_u32 s4, s16, s22
	s_addc_u32 s16, s17, s23
	v_add_co_u32 v3, s4, s4, v3
	v_cmp_gt_u32_e64 s2, 8, v0
	v_cmp_eq_u32_e64 s3, 0, v0
	v_add_co_ci_u32_e64 v4, s4, s16, v4, s4
	s_lshl_b64 s[16:17], s[12:13], 3
	s_branch .LBB329_63
.LBB329_62:                             ;   in Loop: Header=BB329_63 Depth=1
	s_or_b32 exec_lo, exec_lo, s4
	v_add_co_u32 v3, s4, v3, s16
	s_delay_alu instid0(VALU_DEP_1) | instskip(SKIP_1) | instid1(SALU_CYCLE_1)
	v_add_co_ci_u32_e64 v4, s4, s17, v4, s4
	s_add_i32 s15, s15, 1
	s_cmp_lt_i32 s15, s9
	s_cbranch_scc0 .LBB329_82
.LBB329_63:                             ; =>This Loop Header: Depth=1
                                        ;     Child Loop BB329_75 Depth 2
                                        ;     Child Loop BB329_77 Depth 2
                                        ; implicit-def: $vgpr0
                                        ; implicit-def: $vgpr23
	s_and_saveexec_b32 s4, vcc_lo
	s_delay_alu instid0(SALU_CYCLE_1)
	s_xor_b32 s20, exec_lo, s4
	s_cbranch_execnz .LBB329_72
; %bb.64:                               ;   in Loop: Header=BB329_63 Depth=1
	s_and_not1_saveexec_b32 s20, s20
	s_cbranch_execnz .LBB329_73
.LBB329_65:                             ;   in Loop: Header=BB329_63 Depth=1
	s_or_b32 exec_lo, exec_lo, s20
	s_and_saveexec_b32 s4, s0
	s_cbranch_execz .LBB329_67
.LBB329_66:                             ;   in Loop: Header=BB329_63 Depth=1
	s_waitcnt lgkmcnt(0)
	v_mov_b32_e32 v14, v13
	ds_store_b64 v16, v[13:14]
.LBB329_67:                             ;   in Loop: Header=BB329_63 Depth=1
	s_or_b32 exec_lo, exec_lo, s4
	s_waitcnt lgkmcnt(0)
	ds_bpermute_b32 v14, v17, v0
	ds_bpermute_b32 v15, v17, v23
	s_waitcnt lgkmcnt(0)
	s_waitcnt_vscnt null, 0x0
	s_barrier
	buffer_gl0_inv
	v_add_f32_e32 v0, v0, v14
	v_add_f32_e32 v14, v23, v15
	ds_bpermute_b32 v15, v18, v0
	ds_bpermute_b32 v23, v18, v14
	s_waitcnt lgkmcnt(1)
	v_add_f32_e32 v0, v0, v15
	s_waitcnt lgkmcnt(0)
	v_add_f32_e32 v14, v14, v23
	ds_bpermute_b32 v15, v19, v0
	ds_bpermute_b32 v23, v19, v14
	s_waitcnt lgkmcnt(1)
	v_add_f32_e32 v0, v0, v15
	s_waitcnt lgkmcnt(0)
	;; [unrolled: 6-line block ×3, first 2 shown]
	v_add_f32_e32 v14, v14, v23
	ds_bpermute_b32 v15, v21, v0
	ds_bpermute_b32 v23, v21, v14
	s_and_saveexec_b32 s4, s1
	s_cbranch_execz .LBB329_69
; %bb.68:                               ;   in Loop: Header=BB329_63 Depth=1
	s_waitcnt lgkmcnt(0)
	v_add_f32_e32 v24, v14, v23
	v_add_f32_e32 v23, v0, v15
	ds_store_b64 v22, v[23:24]
.LBB329_69:                             ;   in Loop: Header=BB329_63 Depth=1
	s_or_b32 exec_lo, exec_lo, s4
	s_waitcnt lgkmcnt(1)
	v_dual_mov_b32 v15, 0 :: v_dual_mov_b32 v14, 0
	s_waitcnt lgkmcnt(0)
	s_barrier
	buffer_gl0_inv
	s_and_saveexec_b32 s4, s2
	s_cbranch_execnz .LBB329_79
; %bb.70:                               ;   in Loop: Header=BB329_63 Depth=1
	s_or_b32 exec_lo, exec_lo, s4
	s_and_saveexec_b32 s4, s0
	s_cbranch_execnz .LBB329_80
.LBB329_71:                             ;   in Loop: Header=BB329_63 Depth=1
	s_or_b32 exec_lo, exec_lo, s4
	s_and_saveexec_b32 s4, s3
	s_cbranch_execz .LBB329_62
	s_branch .LBB329_81
.LBB329_72:                             ;   in Loop: Header=BB329_63 Depth=1
	s_clause 0x3
	flat_load_b64 v[27:28], v[5:6]
	flat_load_b64 v[29:30], v[7:8]
	;; [unrolled: 1-line block ×4, first 2 shown]
	s_mul_i32 s4, s15, s13
	s_mul_hi_u32 s21, s15, s12
	s_mul_i32 s22, s15, s12
	s_add_i32 s23, s21, s4
	s_waitcnt vmcnt(2) lgkmcnt(2)
	scratch_store_b128 off, v[27:30], off
	s_waitcnt vmcnt(0) lgkmcnt(0)
	scratch_store_b128 off, v[31:34], off offset:16
	s_lshl_b64 s[22:23], s[22:23], 3
	s_delay_alu instid0(SALU_CYCLE_1) | instskip(NEXT) | instid1(VALU_DEP_1)
	v_add_co_u32 v14, s4, v1, s22
	v_add_co_ci_u32_e64 v15, s4, s23, v2, s4
	s_clause 0x1
	flat_load_b128 v[35:38], v[14:15]
	flat_load_b128 v[39:42], v[14:15] offset:16
	s_waitcnt vmcnt(1) lgkmcnt(1)
	v_dual_mul_f32 v0, v36, v28 :: v_dual_mul_f32 v15, v38, v30
	v_dual_mul_f32 v14, v36, v27 :: v_dual_mul_f32 v23, v38, v29
	s_waitcnt vmcnt(0) lgkmcnt(0)
	v_mul_f32_e32 v24, v40, v32
	s_delay_alu instid0(VALU_DEP_3) | instskip(NEXT) | instid1(VALU_DEP_3)
	v_dual_fmac_f32 v0, v35, v27 :: v_dual_fmac_f32 v15, v37, v29
	v_fma_f32 v14, v35, v28, -v14
	v_mul_f32_e32 v25, v40, v31
	s_delay_alu instid0(VALU_DEP_3) | instskip(SKIP_1) | instid1(VALU_DEP_4)
	v_dual_mul_f32 v27, v42, v34 :: v_dual_add_f32 v0, 0, v0
	v_fma_f32 v23, v37, v30, -v23
	v_add_f32_e32 v14, 0, v14
	v_mul_f32_e32 v28, v42, v33
	s_delay_alu instid0(VALU_DEP_4) | instskip(SKIP_4) | instid1(VALU_DEP_2)
	v_dual_fmac_f32 v27, v41, v33 :: v_dual_fmac_f32 v24, v39, v31
	v_fma_f32 v25, v39, v32, -v25
	v_add_f32_e32 v0, v0, v15
	v_add_f32_e32 v14, v14, v23
	v_fma_f32 v15, v41, v34, -v28
	v_add_f32_e32 v14, v14, v25
	s_delay_alu instid0(VALU_DEP_1) | instskip(NEXT) | instid1(VALU_DEP_1)
	v_dual_add_f32 v0, v0, v24 :: v_dual_add_f32 v23, v14, v15
	v_add_f32_e32 v0, v0, v27
	s_and_not1_saveexec_b32 s20, s20
	s_cbranch_execz .LBB329_65
.LBB329_73:                             ;   in Loop: Header=BB329_63 Depth=1
	v_dual_mov_b32 v0, 0 :: v_dual_mov_b32 v23, 0
	s_and_saveexec_b32 s21, s5
	s_cbranch_execz .LBB329_78
; %bb.74:                               ;   in Loop: Header=BB329_63 Depth=1
	s_waitcnt lgkmcnt(0)
	v_dual_mov_b32 v0, 0 :: v_dual_mov_b32 v15, v6
	v_mov_b32_e32 v14, v5
	s_mov_b32 s22, s7
.LBB329_75:                             ;   Parent Loop BB329_63 Depth=1
                                        ; =>  This Inner Loop Header: Depth=2
	s_waitcnt lgkmcnt(0)
	flat_load_b64 v[23:24], v[14:15]
	v_add_co_u32 v14, s4, v14, s18
	s_delay_alu instid0(VALU_DEP_1) | instskip(SKIP_1) | instid1(SALU_CYCLE_1)
	v_add_co_ci_u32_e64 v15, s4, s19, v15, s4
	s_add_i32 s22, s22, -1
	s_cmp_eq_u32 s22, 0
	s_waitcnt vmcnt(0) lgkmcnt(0)
	scratch_store_b64 v0, v[23:24], off
	v_add_nc_u32_e32 v0, 8, v0
	s_cbranch_scc0 .LBB329_75
; %bb.76:                               ;   in Loop: Header=BB329_63 Depth=1
	v_dual_mov_b32 v0, 0 :: v_dual_mov_b32 v15, v4
	v_dual_mov_b32 v14, v3 :: v_dual_mov_b32 v23, 0
	v_mov_b32_e32 v24, v26
	s_mov_b32 s22, s7
	.p2align	6
.LBB329_77:                             ;   Parent Loop BB329_63 Depth=1
                                        ; =>  This Inner Loop Header: Depth=2
	flat_load_b64 v[27:28], v[14:15]
	scratch_load_b64 v[29:30], v24, off offset:-4
	v_add_co_u32 v14, s4, v14, 8
	s_delay_alu instid0(VALU_DEP_1)
	v_add_co_ci_u32_e64 v15, s4, 0, v15, s4
	s_add_i32 s22, s22, -1
	v_add_nc_u32_e32 v24, 8, v24
	s_cmp_lg_u32 s22, 0
	s_waitcnt vmcnt(0) lgkmcnt(0)
	v_mul_f32_e32 v25, v28, v30
	v_mul_f32_e32 v28, v28, v29
	s_delay_alu instid0(VALU_DEP_2) | instskip(NEXT) | instid1(VALU_DEP_2)
	v_fmac_f32_e32 v25, v27, v29
	v_fma_f32 v27, v27, v30, -v28
	s_delay_alu instid0(VALU_DEP_1)
	v_dual_add_f32 v0, v0, v25 :: v_dual_add_f32 v23, v23, v27
	s_cbranch_scc1 .LBB329_77
.LBB329_78:                             ;   in Loop: Header=BB329_63 Depth=1
	s_or_b32 exec_lo, exec_lo, s21
	s_delay_alu instid0(SALU_CYCLE_1)
	s_or_b32 exec_lo, exec_lo, s20
	s_and_saveexec_b32 s4, s0
	s_cbranch_execnz .LBB329_66
	s_branch .LBB329_67
.LBB329_79:                             ;   in Loop: Header=BB329_63 Depth=1
	ds_load_b64 v[14:15], v16
	s_or_b32 exec_lo, exec_lo, s4
	s_and_saveexec_b32 s4, s0
	s_cbranch_execz .LBB329_71
.LBB329_80:                             ;   in Loop: Header=BB329_63 Depth=1
	s_waitcnt lgkmcnt(0)
	ds_bpermute_b32 v0, v19, v14
	ds_bpermute_b32 v23, v19, v15
	s_waitcnt lgkmcnt(1)
	v_add_f32_e32 v0, v14, v0
	s_waitcnt lgkmcnt(0)
	v_add_f32_e32 v14, v15, v23
	ds_bpermute_b32 v15, v20, v0
	ds_bpermute_b32 v23, v20, v14
	s_waitcnt lgkmcnt(1)
	v_add_f32_e32 v0, v0, v15
	s_waitcnt lgkmcnt(0)
	v_add_f32_e32 v15, v14, v23
	ds_bpermute_b32 v14, v21, v0
	s_waitcnt lgkmcnt(0)
	v_add_f32_e32 v14, v0, v14
	ds_bpermute_b32 v23, v21, v15
	s_waitcnt lgkmcnt(0)
	v_add_f32_e32 v15, v15, v23
	s_or_b32 exec_lo, exec_lo, s4
	s_and_saveexec_b32 s4, s3
	s_cbranch_execz .LBB329_62
.LBB329_81:                             ;   in Loop: Header=BB329_63 Depth=1
	s_waitcnt lgkmcnt(0)
	v_mul_f32_e32 v0, s11, v15
	v_mul_f32_e32 v24, s10, v15
	s_mul_hi_u32 s21, s15, s6
	s_mul_i32 s20, s15, s6
	s_delay_alu instid0(SALU_CYCLE_1)
	s_lshl_b64 s[20:21], s[20:21], 3
	v_fma_f32 v23, v14, s10, -v0
	v_fmac_f32_e32 v24, s11, v14
	s_add_u32 s20, s8, s20
	s_addc_u32 s21, s14, s21
	global_store_b64 v13, v[23:24], s[20:21]
	s_branch .LBB329_62
.LBB329_82:
	s_nop 0
	s_sendmsg sendmsg(MSG_DEALLOC_VGPRS)
	s_endpgm
	.section	.rodata,"a",@progbits
	.p2align	6, 0x0
	.amdhsa_kernel _ZL23rocblas_gemvt_sn_kernelILb1ELi256ELi4ElPK19rocblas_complex_numIfES1_S1_EviiT4_lPKT3_lilS7_lilPT5_i
		.amdhsa_group_segment_fixed_size 256
		.amdhsa_private_segment_fixed_size 48
		.amdhsa_kernarg_size 360
		.amdhsa_user_sgpr_count 14
		.amdhsa_user_sgpr_dispatch_ptr 0
		.amdhsa_user_sgpr_queue_ptr 0
		.amdhsa_user_sgpr_kernarg_segment_ptr 1
		.amdhsa_user_sgpr_dispatch_id 0
		.amdhsa_user_sgpr_private_segment_size 0
		.amdhsa_wavefront_size32 1
		.amdhsa_uses_dynamic_stack 0
		.amdhsa_enable_private_segment 1
		.amdhsa_system_sgpr_workgroup_id_x 1
		.amdhsa_system_sgpr_workgroup_id_y 0
		.amdhsa_system_sgpr_workgroup_id_z 1
		.amdhsa_system_sgpr_workgroup_info 0
		.amdhsa_system_vgpr_workitem_id 0
		.amdhsa_next_free_vgpr 90
		.amdhsa_next_free_sgpr 49
		.amdhsa_reserve_vcc 1
		.amdhsa_float_round_mode_32 0
		.amdhsa_float_round_mode_16_64 0
		.amdhsa_float_denorm_mode_32 3
		.amdhsa_float_denorm_mode_16_64 3
		.amdhsa_dx10_clamp 1
		.amdhsa_ieee_mode 1
		.amdhsa_fp16_overflow 0
		.amdhsa_workgroup_processor_mode 1
		.amdhsa_memory_ordered 1
		.amdhsa_forward_progress 0
		.amdhsa_shared_vgpr_count 0
		.amdhsa_exception_fp_ieee_invalid_op 0
		.amdhsa_exception_fp_denorm_src 0
		.amdhsa_exception_fp_ieee_div_zero 0
		.amdhsa_exception_fp_ieee_overflow 0
		.amdhsa_exception_fp_ieee_underflow 0
		.amdhsa_exception_fp_ieee_inexact 0
		.amdhsa_exception_int_div_zero 0
	.end_amdhsa_kernel
	.section	.text._ZL23rocblas_gemvt_sn_kernelILb1ELi256ELi4ElPK19rocblas_complex_numIfES1_S1_EviiT4_lPKT3_lilS7_lilPT5_i,"axG",@progbits,_ZL23rocblas_gemvt_sn_kernelILb1ELi256ELi4ElPK19rocblas_complex_numIfES1_S1_EviiT4_lPKT3_lilS7_lilPT5_i,comdat
.Lfunc_end329:
	.size	_ZL23rocblas_gemvt_sn_kernelILb1ELi256ELi4ElPK19rocblas_complex_numIfES1_S1_EviiT4_lPKT3_lilS7_lilPT5_i, .Lfunc_end329-_ZL23rocblas_gemvt_sn_kernelILb1ELi256ELi4ElPK19rocblas_complex_numIfES1_S1_EviiT4_lPKT3_lilS7_lilPT5_i
                                        ; -- End function
	.section	.AMDGPU.csdata,"",@progbits
; Kernel info:
; codeLenInByte = 5540
; NumSgprs: 51
; NumVgprs: 90
; ScratchSize: 48
; MemoryBound: 0
; FloatMode: 240
; IeeeMode: 1
; LDSByteSize: 256 bytes/workgroup (compile time only)
; SGPRBlocks: 6
; VGPRBlocks: 11
; NumSGPRsForWavesPerEU: 51
; NumVGPRsForWavesPerEU: 90
; Occupancy: 16
; WaveLimiterHint : 0
; COMPUTE_PGM_RSRC2:SCRATCH_EN: 1
; COMPUTE_PGM_RSRC2:USER_SGPR: 14
; COMPUTE_PGM_RSRC2:TRAP_HANDLER: 0
; COMPUTE_PGM_RSRC2:TGID_X_EN: 1
; COMPUTE_PGM_RSRC2:TGID_Y_EN: 0
; COMPUTE_PGM_RSRC2:TGID_Z_EN: 1
; COMPUTE_PGM_RSRC2:TIDIG_COMP_CNT: 0
	.section	.text._ZL20rocblas_gemvt_kernelILb1ELi256EPK19rocblas_complex_numIfES3_KPS1_EviiT2_lPKT1_lilS9_lilS6_lPT3_lili,"axG",@progbits,_ZL20rocblas_gemvt_kernelILb1ELi256EPK19rocblas_complex_numIfES3_KPS1_EviiT2_lPKT1_lilS9_lilS6_lPT3_lili,comdat
	.globl	_ZL20rocblas_gemvt_kernelILb1ELi256EPK19rocblas_complex_numIfES3_KPS1_EviiT2_lPKT1_lilS9_lilS6_lPT3_lili ; -- Begin function _ZL20rocblas_gemvt_kernelILb1ELi256EPK19rocblas_complex_numIfES3_KPS1_EviiT2_lPKT1_lilS9_lilS6_lPT3_lili
	.p2align	8
	.type	_ZL20rocblas_gemvt_kernelILb1ELi256EPK19rocblas_complex_numIfES3_KPS1_EviiT2_lPKT1_lilS9_lilS6_lPT3_lili,@function
_ZL20rocblas_gemvt_kernelILb1ELi256EPK19rocblas_complex_numIfES3_KPS1_EviiT2_lPKT1_lilS9_lilS6_lPT3_lili: ; @_ZL20rocblas_gemvt_kernelILb1ELi256EPK19rocblas_complex_numIfES3_KPS1_EviiT2_lPKT1_lilS9_lilS6_lPT3_lili
; %bb.0:
	s_clause 0x1
	s_load_b256 s[16:23], s[0:1], 0x8
	s_load_b256 s[4:11], s[0:1], 0x58
	s_mov_b32 s2, s15
	s_waitcnt lgkmcnt(0)
	s_mul_i32 s3, s15, s19
	s_mul_hi_u32 s13, s15, s18
	s_mul_i32 s12, s15, s18
	s_add_i32 s13, s13, s3
	s_mul_i32 s3, s15, s7
	s_lshl_b64 s[12:13], s[12:13], 3
	s_mul_hi_u32 s7, s15, s6
	s_add_u32 s12, s16, s12
	s_addc_u32 s13, s17, s13
	s_mul_i32 s6, s15, s6
	s_load_b64 s[12:13], s[12:13], 0x0
	s_add_i32 s7, s7, s3
	s_delay_alu instid0(SALU_CYCLE_1) | instskip(NEXT) | instid1(SALU_CYCLE_1)
	s_lshl_b64 s[6:7], s[6:7], 3
	s_add_u32 s4, s4, s6
	s_addc_u32 s5, s5, s7
	s_load_b64 s[4:5], s[4:5], 0x0
	s_waitcnt lgkmcnt(0)
	v_cmp_neq_f32_e64 s3, s12, 0
	v_cmp_neq_f32_e64 s6, s13, 0
	s_delay_alu instid0(VALU_DEP_1)
	s_or_b32 s6, s3, s6
	s_mov_b32 s3, 0
	s_and_b32 vcc_lo, exec_lo, s6
	s_mov_b32 s6, -1
	s_cbranch_vccnz .LBB330_2
; %bb.1:
	v_cmp_neq_f32_e64 s6, s4, 1.0
	v_cmp_neq_f32_e64 s7, s5, 0
	s_delay_alu instid0(VALU_DEP_1)
	s_or_b32 s6, s6, s7
.LBB330_2:
	s_delay_alu instid0(SALU_CYCLE_1)
	s_and_not1_b32 vcc_lo, exec_lo, s6
	s_cbranch_vccnz .LBB330_39
; %bb.3:
	s_or_b32 s6, s12, s13
	s_mov_b64 s[16:17], 0
	s_bitset0_b32 s6, 31
	s_delay_alu instid0(SALU_CYCLE_1) | instskip(SKIP_4) | instid1(SALU_CYCLE_1)
	s_cmp_lg_u32 s6, 0
	s_cselect_b32 s15, -1, 0
	s_cmp_eq_u32 s6, 0
	s_mov_b64 s[6:7], 0
	s_cselect_b32 s18, -1, 0
	s_and_b32 vcc_lo, exec_lo, s18
	s_cbranch_vccnz .LBB330_5
; %bb.4:
	s_lshl_b64 s[16:17], s[2:3], 3
	s_delay_alu instid0(SALU_CYCLE_1)
	s_add_u32 s16, s20, s16
	s_addc_u32 s17, s21, s17
	s_lshl_b64 s[20:21], s[22:23], 3
	s_load_b64 s[16:17], s[16:17], 0x0
	s_waitcnt lgkmcnt(0)
	s_add_u32 s16, s16, s20
	s_addc_u32 s17, s17, s21
.LBB330_5:
	s_and_not1_b32 vcc_lo, exec_lo, s15
	s_cbranch_vccnz .LBB330_7
; %bb.6:
	s_load_b128 s[20:23], s[0:1], 0x38
	s_lshl_b64 s[6:7], s[2:3], 3
	s_waitcnt lgkmcnt(0)
	s_add_u32 s6, s20, s6
	s_addc_u32 s7, s21, s7
	s_lshl_b64 s[20:21], s[22:23], 3
	s_load_b64 s[6:7], s[6:7], 0x0
	s_waitcnt lgkmcnt(0)
	s_add_u32 s6, s6, s20
	s_addc_u32 s7, s7, s21
.LBB330_7:
	s_lshl_b64 s[2:3], s[2:3], 3
	s_delay_alu instid0(SALU_CYCLE_1)
	s_add_u32 s2, s8, s2
	s_addc_u32 s3, s9, s3
	s_lshl_b64 s[10:11], s[10:11], 3
	s_load_b64 s[8:9], s[2:3], 0x0
	s_load_b32 s15, s[0:1], 0x78
	v_cmp_eq_u32_e64 s2, 0, v0
	s_waitcnt lgkmcnt(0)
	s_add_u32 s10, s8, s10
	s_addc_u32 s11, s9, s11
	s_and_not1_b32 vcc_lo, exec_lo, s18
	s_mov_b32 s8, -1
	s_cbranch_vccnz .LBB330_13
; %bb.8:
	s_mov_b32 s8, 0
	s_and_saveexec_b32 s9, s2
	s_cbranch_execz .LBB330_12
; %bb.9:
	v_cmp_neq_f32_e64 s2, s4, 0
	v_cmp_neq_f32_e64 s3, s5, 0
	v_dual_mov_b32 v3, 0 :: v_dual_mov_b32 v2, 0
	v_mov_b32_e32 v1, 0
	s_delay_alu instid0(VALU_DEP_3)
	s_or_b32 s2, s2, s3
	s_mul_hi_i32 s3, s15, s14
	s_and_not1_b32 vcc_lo, exec_lo, s2
	s_mul_i32 s2, s15, s14
	s_cbranch_vccnz .LBB330_11
; %bb.10:
	s_lshl_b64 s[18:19], s[2:3], 3
	s_delay_alu instid0(SALU_CYCLE_1)
	s_add_u32 s18, s10, s18
	s_addc_u32 s19, s11, s19
	s_load_b64 s[18:19], s[18:19], 0x0
	s_waitcnt lgkmcnt(0)
	v_mul_f32_e64 v1, s5, s19
	v_mul_f32_e64 v2, s4, s19
	s_delay_alu instid0(VALU_DEP_2) | instskip(NEXT) | instid1(VALU_DEP_2)
	v_fma_f32 v1, s4, s18, -v1
	v_fmac_f32_e64 v2, s5, s18
.LBB330_11:
	s_lshl_b64 s[2:3], s[2:3], 3
	s_delay_alu instid0(SALU_CYCLE_1)
	s_add_u32 s2, s10, s2
	s_addc_u32 s3, s11, s3
	global_store_b64 v3, v[1:2], s[2:3]
.LBB330_12:
	s_or_b32 exec_lo, exec_lo, s9
.LBB330_13:
	s_delay_alu instid0(SALU_CYCLE_1)
	s_and_not1_b32 vcc_lo, exec_lo, s8
	s_cbranch_vccnz .LBB330_39
; %bb.14:
	s_clause 0x2
	s_load_b32 s2, s[0:1], 0x28
	s_load_b32 s3, s[0:1], 0x0
	;; [unrolled: 1-line block ×3, first 2 shown]
	v_mov_b32_e32 v2, 0
	s_waitcnt lgkmcnt(0)
	s_mul_hi_i32 s9, s2, s14
	v_cmp_gt_i32_e32 vcc_lo, s3, v0
	s_mul_i32 s8, s2, s14
	s_delay_alu instid0(SALU_CYCLE_1) | instskip(SKIP_4) | instid1(SALU_CYCLE_1)
	s_lshl_b64 s[8:9], s[8:9], 3
	v_cndmask_b32_e32 v1, 0, v0, vcc_lo
	s_add_u32 s1, s8, s16
	s_addc_u32 s2, s9, s17
	s_ashr_i32 s8, s3, 31
	s_lshr_b32 s8, s8, 24
	v_lshlrev_b32_e32 v1, 3, v1
	s_add_i32 s8, s3, s8
	s_delay_alu instid0(VALU_DEP_1) | instskip(NEXT) | instid1(VALU_DEP_1)
	v_add_co_u32 v3, s1, s1, v1
	v_add_co_ci_u32_e64 v4, null, s2, 0, s1
	v_mov_b32_e32 v1, v2
	s_and_b32 s2, s8, 0xffffff00
	s_cmpk_lt_i32 s3, 0x100
	s_cbranch_scc1 .LBB330_17
; %bb.15:
	v_mad_i64_i32 v[1:2], null, s0, v0, 0
	s_ashr_i32 s1, s0, 31
	s_delay_alu instid0(SALU_CYCLE_1) | instskip(SKIP_1) | instid1(VALU_DEP_1)
	s_lshl_b64 s[8:9], s[0:1], 11
	s_mov_b32 s1, 0
	v_lshlrev_b64 v[7:8], 3, v[1:2]
	v_mov_b32_e32 v2, 0
	v_dual_mov_b32 v6, v4 :: v_dual_mov_b32 v5, v3
	s_delay_alu instid0(VALU_DEP_2) | instskip(NEXT) | instid1(VALU_DEP_4)
	v_mov_b32_e32 v1, v2
	v_add_co_u32 v7, vcc_lo, s6, v7
	v_add_co_ci_u32_e32 v8, vcc_lo, s7, v8, vcc_lo
	.p2align	6
.LBB330_16:                             ; =>This Inner Loop Header: Depth=1
	flat_load_b64 v[9:10], v[5:6]
	flat_load_b64 v[11:12], v[7:8]
	v_add_co_u32 v7, vcc_lo, v7, s8
	v_add_co_ci_u32_e32 v8, vcc_lo, s9, v8, vcc_lo
	v_add_co_u32 v5, vcc_lo, 0x800, v5
	v_add_co_ci_u32_e32 v6, vcc_lo, 0, v6, vcc_lo
	s_addk_i32 s1, 0x100
	s_delay_alu instid0(SALU_CYCLE_1) | instskip(SKIP_2) | instid1(VALU_DEP_1)
	s_cmp_ge_i32 s1, s2
	s_waitcnt vmcnt(0) lgkmcnt(0)
	v_mul_f32_e32 v13, v10, v12
	v_fmac_f32_e32 v13, v9, v11
	s_delay_alu instid0(VALU_DEP_1) | instskip(NEXT) | instid1(VALU_DEP_1)
	v_dual_mul_f32 v10, v10, v11 :: v_dual_add_f32 v1, v1, v13
	v_fma_f32 v9, v9, v12, -v10
	s_delay_alu instid0(VALU_DEP_1)
	v_add_f32_e32 v2, v2, v9
	s_cbranch_scc0 .LBB330_16
.LBB330_17:
	v_add_nc_u32_e32 v5, s2, v0
	s_mov_b32 s1, exec_lo
	s_delay_alu instid0(VALU_DEP_1)
	v_cmpx_gt_i32_e64 s3, v5
	s_cbranch_execz .LBB330_19
; %bb.18:
	v_mad_i64_i32 v[6:7], null, s0, v5, 0
	s_ashr_i32 s3, s2, 31
	s_delay_alu instid0(SALU_CYCLE_1) | instskip(NEXT) | instid1(SALU_CYCLE_1)
	s_lshl_b64 s[2:3], s[2:3], 3
	v_add_co_u32 v3, vcc_lo, v3, s2
	s_delay_alu instid0(VALU_DEP_2) | instskip(SKIP_1) | instid1(VALU_DEP_2)
	v_lshlrev_b64 v[5:6], 3, v[6:7]
	v_add_co_ci_u32_e32 v4, vcc_lo, s3, v4, vcc_lo
	v_add_co_u32 v5, vcc_lo, s6, v5
	s_delay_alu instid0(VALU_DEP_3) | instskip(SKIP_4) | instid1(VALU_DEP_1)
	v_add_co_ci_u32_e32 v6, vcc_lo, s7, v6, vcc_lo
	flat_load_b64 v[3:4], v[3:4]
	flat_load_b64 v[5:6], v[5:6]
	s_waitcnt vmcnt(0) lgkmcnt(0)
	v_mul_f32_e32 v7, v4, v6
	v_fmac_f32_e32 v7, v3, v5
	s_delay_alu instid0(VALU_DEP_1) | instskip(NEXT) | instid1(VALU_DEP_1)
	v_dual_mul_f32 v4, v4, v5 :: v_dual_add_f32 v1, v1, v7
	v_fma_f32 v3, v3, v6, -v4
	s_delay_alu instid0(VALU_DEP_1)
	v_add_f32_e32 v2, v2, v3
.LBB330_19:
	s_or_b32 exec_lo, exec_lo, s1
	v_lshlrev_b32_e32 v3, 3, v0
	s_mov_b32 s0, exec_lo
	ds_store_b64 v3, v[1:2]
	s_waitcnt lgkmcnt(0)
	s_waitcnt_vscnt null, 0x0
	s_barrier
	buffer_gl0_inv
	v_cmpx_gt_u32_e32 0x80, v0
	s_cbranch_execz .LBB330_21
; %bb.20:
	ds_load_2addr_stride64_b64 v[4:7], v3 offset1:2
	s_waitcnt lgkmcnt(0)
	v_dual_add_f32 v1, v6, v4 :: v_dual_add_f32 v2, v7, v5
	ds_store_b64 v3, v[1:2]
.LBB330_21:
	s_or_b32 exec_lo, exec_lo, s0
	s_delay_alu instid0(SALU_CYCLE_1)
	s_mov_b32 s0, exec_lo
	s_waitcnt lgkmcnt(0)
	s_barrier
	buffer_gl0_inv
	v_cmpx_gt_u32_e32 64, v0
	s_cbranch_execz .LBB330_23
; %bb.22:
	ds_load_2addr_stride64_b64 v[4:7], v3 offset1:1
	s_waitcnt lgkmcnt(0)
	v_dual_add_f32 v1, v6, v4 :: v_dual_add_f32 v2, v7, v5
	ds_store_b64 v3, v[1:2]
.LBB330_23:
	s_or_b32 exec_lo, exec_lo, s0
	s_delay_alu instid0(SALU_CYCLE_1)
	s_mov_b32 s0, exec_lo
	s_waitcnt lgkmcnt(0)
	s_barrier
	buffer_gl0_inv
	v_cmpx_gt_u32_e32 32, v0
	s_cbranch_execz .LBB330_25
; %bb.24:
	ds_load_2addr_b64 v[4:7], v3 offset1:32
	s_waitcnt lgkmcnt(0)
	v_dual_add_f32 v1, v6, v4 :: v_dual_add_f32 v2, v7, v5
	ds_store_b64 v3, v[1:2]
.LBB330_25:
	s_or_b32 exec_lo, exec_lo, s0
	s_delay_alu instid0(SALU_CYCLE_1)
	s_mov_b32 s0, exec_lo
	s_waitcnt lgkmcnt(0)
	s_barrier
	buffer_gl0_inv
	v_cmpx_gt_u32_e32 16, v0
	s_cbranch_execz .LBB330_27
; %bb.26:
	ds_load_2addr_b64 v[4:7], v3 offset1:16
	s_waitcnt lgkmcnt(0)
	v_dual_add_f32 v1, v6, v4 :: v_dual_add_f32 v2, v7, v5
	ds_store_b64 v3, v[1:2]
.LBB330_27:
	;; [unrolled: 14-line block ×5, first 2 shown]
	s_or_b32 exec_lo, exec_lo, s0
	v_cmp_eq_u32_e32 vcc_lo, 0, v0
	s_waitcnt lgkmcnt(0)
	s_barrier
	buffer_gl0_inv
	s_and_saveexec_b32 s0, vcc_lo
	s_cbranch_execz .LBB330_35
; %bb.34:
	v_mov_b32_e32 v4, 0
	ds_load_b128 v[0:3], v4
	s_waitcnt lgkmcnt(0)
	v_dual_add_f32 v1, v3, v1 :: v_dual_add_f32 v0, v2, v0
	ds_store_b64 v4, v[0:1]
.LBB330_35:
	s_or_b32 exec_lo, exec_lo, s0
	s_waitcnt lgkmcnt(0)
	s_barrier
	buffer_gl0_inv
	s_and_saveexec_b32 s0, vcc_lo
	s_cbranch_execz .LBB330_39
; %bb.36:
	v_mov_b32_e32 v2, 0
	v_cmp_neq_f32_e64 s0, s4, 0
	v_cmp_neq_f32_e64 s1, s5, 0
	ds_load_b64 v[3:4], v2
	s_or_b32 s0, s0, s1
	s_mul_hi_i32 s1, s15, s14
	s_and_not1_b32 vcc_lo, exec_lo, s0
	s_mul_i32 s0, s15, s14
	s_waitcnt lgkmcnt(0)
	v_mul_f32_e32 v1, s12, v4
	s_delay_alu instid0(VALU_DEP_1) | instskip(NEXT) | instid1(VALU_DEP_1)
	v_dual_mul_f32 v0, s13, v4 :: v_dual_fmac_f32 v1, s13, v3
	v_fma_f32 v0, v3, s12, -v0
	s_cbranch_vccnz .LBB330_38
; %bb.37:
	s_lshl_b64 s[2:3], s[0:1], 3
	s_delay_alu instid0(SALU_CYCLE_1)
	s_add_u32 s2, s10, s2
	s_addc_u32 s3, s11, s3
	global_load_b64 v[3:4], v2, s[2:3]
	s_waitcnt vmcnt(0)
	v_mul_f32_e32 v5, s5, v4
	v_mul_f32_e32 v4, s4, v4
	s_delay_alu instid0(VALU_DEP_1) | instskip(NEXT) | instid1(VALU_DEP_3)
	v_fmac_f32_e32 v4, s5, v3
	v_fma_f32 v5, s4, v3, -v5
	s_delay_alu instid0(VALU_DEP_1)
	v_dual_add_f32 v1, v1, v4 :: v_dual_add_f32 v0, v0, v5
.LBB330_38:
	s_lshl_b64 s[0:1], s[0:1], 3
	s_delay_alu instid0(SALU_CYCLE_1)
	s_add_u32 s0, s10, s0
	s_addc_u32 s1, s11, s1
	global_store_b64 v2, v[0:1], s[0:1]
.LBB330_39:
	s_nop 0
	s_sendmsg sendmsg(MSG_DEALLOC_VGPRS)
	s_endpgm
	.section	.rodata,"a",@progbits
	.p2align	6, 0x0
	.amdhsa_kernel _ZL20rocblas_gemvt_kernelILb1ELi256EPK19rocblas_complex_numIfES3_KPS1_EviiT2_lPKT1_lilS9_lilS6_lPT3_lili
		.amdhsa_group_segment_fixed_size 2048
		.amdhsa_private_segment_fixed_size 0
		.amdhsa_kernarg_size 140
		.amdhsa_user_sgpr_count 14
		.amdhsa_user_sgpr_dispatch_ptr 0
		.amdhsa_user_sgpr_queue_ptr 0
		.amdhsa_user_sgpr_kernarg_segment_ptr 1
		.amdhsa_user_sgpr_dispatch_id 0
		.amdhsa_user_sgpr_private_segment_size 0
		.amdhsa_wavefront_size32 1
		.amdhsa_uses_dynamic_stack 0
		.amdhsa_enable_private_segment 0
		.amdhsa_system_sgpr_workgroup_id_x 1
		.amdhsa_system_sgpr_workgroup_id_y 0
		.amdhsa_system_sgpr_workgroup_id_z 1
		.amdhsa_system_sgpr_workgroup_info 0
		.amdhsa_system_vgpr_workitem_id 0
		.amdhsa_next_free_vgpr 14
		.amdhsa_next_free_sgpr 24
		.amdhsa_reserve_vcc 1
		.amdhsa_float_round_mode_32 0
		.amdhsa_float_round_mode_16_64 0
		.amdhsa_float_denorm_mode_32 3
		.amdhsa_float_denorm_mode_16_64 3
		.amdhsa_dx10_clamp 1
		.amdhsa_ieee_mode 1
		.amdhsa_fp16_overflow 0
		.amdhsa_workgroup_processor_mode 1
		.amdhsa_memory_ordered 1
		.amdhsa_forward_progress 0
		.amdhsa_shared_vgpr_count 0
		.amdhsa_exception_fp_ieee_invalid_op 0
		.amdhsa_exception_fp_denorm_src 0
		.amdhsa_exception_fp_ieee_div_zero 0
		.amdhsa_exception_fp_ieee_overflow 0
		.amdhsa_exception_fp_ieee_underflow 0
		.amdhsa_exception_fp_ieee_inexact 0
		.amdhsa_exception_int_div_zero 0
	.end_amdhsa_kernel
	.section	.text._ZL20rocblas_gemvt_kernelILb1ELi256EPK19rocblas_complex_numIfES3_KPS1_EviiT2_lPKT1_lilS9_lilS6_lPT3_lili,"axG",@progbits,_ZL20rocblas_gemvt_kernelILb1ELi256EPK19rocblas_complex_numIfES3_KPS1_EviiT2_lPKT1_lilS9_lilS6_lPT3_lili,comdat
.Lfunc_end330:
	.size	_ZL20rocblas_gemvt_kernelILb1ELi256EPK19rocblas_complex_numIfES3_KPS1_EviiT2_lPKT1_lilS9_lilS6_lPT3_lili, .Lfunc_end330-_ZL20rocblas_gemvt_kernelILb1ELi256EPK19rocblas_complex_numIfES3_KPS1_EviiT2_lPKT1_lilS9_lilS6_lPT3_lili
                                        ; -- End function
	.section	.AMDGPU.csdata,"",@progbits
; Kernel info:
; codeLenInByte = 1720
; NumSgprs: 26
; NumVgprs: 14
; ScratchSize: 0
; MemoryBound: 0
; FloatMode: 240
; IeeeMode: 1
; LDSByteSize: 2048 bytes/workgroup (compile time only)
; SGPRBlocks: 3
; VGPRBlocks: 1
; NumSGPRsForWavesPerEU: 26
; NumVGPRsForWavesPerEU: 14
; Occupancy: 16
; WaveLimiterHint : 1
; COMPUTE_PGM_RSRC2:SCRATCH_EN: 0
; COMPUTE_PGM_RSRC2:USER_SGPR: 14
; COMPUTE_PGM_RSRC2:TRAP_HANDLER: 0
; COMPUTE_PGM_RSRC2:TGID_X_EN: 1
; COMPUTE_PGM_RSRC2:TGID_Y_EN: 0
; COMPUTE_PGM_RSRC2:TGID_Z_EN: 1
; COMPUTE_PGM_RSRC2:TIDIG_COMP_CNT: 0
	.section	.text._ZL20rocblas_gemvt_kernelILb1ELi256EPK19rocblas_complex_numIfES1_KPS1_EviiT2_lPKT1_lilS9_lilS6_lPT3_lili,"axG",@progbits,_ZL20rocblas_gemvt_kernelILb1ELi256EPK19rocblas_complex_numIfES1_KPS1_EviiT2_lPKT1_lilS9_lilS6_lPT3_lili,comdat
	.globl	_ZL20rocblas_gemvt_kernelILb1ELi256EPK19rocblas_complex_numIfES1_KPS1_EviiT2_lPKT1_lilS9_lilS6_lPT3_lili ; -- Begin function _ZL20rocblas_gemvt_kernelILb1ELi256EPK19rocblas_complex_numIfES1_KPS1_EviiT2_lPKT1_lilS9_lilS6_lPT3_lili
	.p2align	8
	.type	_ZL20rocblas_gemvt_kernelILb1ELi256EPK19rocblas_complex_numIfES1_KPS1_EviiT2_lPKT1_lilS9_lilS6_lPT3_lili,@function
_ZL20rocblas_gemvt_kernelILb1ELi256EPK19rocblas_complex_numIfES1_KPS1_EviiT2_lPKT1_lilS9_lilS6_lPT3_lili: ; @_ZL20rocblas_gemvt_kernelILb1ELi256EPK19rocblas_complex_numIfES1_KPS1_EviiT2_lPKT1_lilS9_lilS6_lPT3_lili
; %bb.0:
	s_clause 0x1
	s_load_b64 s[6:7], s[0:1], 0x8
	s_load_b64 s[4:5], s[0:1], 0x58
	s_mov_b32 s2, s15
	s_waitcnt lgkmcnt(0)
	v_cmp_neq_f32_e64 s3, s6, 0
	v_cmp_neq_f32_e64 s8, s7, 0
	s_delay_alu instid0(VALU_DEP_1) | instskip(NEXT) | instid1(SALU_CYCLE_1)
	s_or_b32 s3, s3, s8
	s_and_b32 vcc_lo, exec_lo, s3
	s_mov_b32 s3, -1
	s_cbranch_vccnz .LBB331_2
; %bb.1:
	v_cmp_neq_f32_e64 s3, s4, 1.0
	v_cmp_neq_f32_e64 s8, s5, 0
	s_delay_alu instid0(VALU_DEP_1)
	s_or_b32 s3, s3, s8
.LBB331_2:
	s_delay_alu instid0(SALU_CYCLE_1)
	s_and_not1_b32 vcc_lo, exec_lo, s3
	s_cbranch_vccnz .LBB331_41
; %bb.3:
	s_or_b32 s3, s6, s7
	s_delay_alu instid0(SALU_CYCLE_1) | instskip(NEXT) | instid1(SALU_CYCLE_1)
	s_bitset0_b32 s3, 31
	s_cmp_lg_u32 s3, 0
	s_cselect_b32 s8, -1, 0
	s_cmp_eq_u32 s3, 0
	s_mov_b32 s3, 0
	s_cselect_b32 s16, -1, 0
	s_and_b32 vcc_lo, exec_lo, s8
	s_cbranch_vccnz .LBB331_5
; %bb.4:
	s_mov_b64 s[10:11], 0
	s_and_not1_b32 vcc_lo, exec_lo, s3
	s_cbranch_vccz .LBB331_6
	s_branch .LBB331_7
.LBB331_5:
	s_mov_b32 s3, -1
                                        ; implicit-def: $sgpr10_sgpr11
.LBB331_6:
	s_load_b128 s[20:23], s[0:1], 0x18
	s_mov_b32 s3, 0
	s_delay_alu instid0(SALU_CYCLE_1)
	s_lshl_b64 s[10:11], s[2:3], 3
	s_waitcnt lgkmcnt(0)
	s_add_u32 s10, s20, s10
	s_addc_u32 s11, s21, s11
	s_lshl_b64 s[12:13], s[22:23], 3
	s_load_b64 s[10:11], s[10:11], 0x0
	s_waitcnt lgkmcnt(0)
	s_add_u32 s10, s10, s12
	s_addc_u32 s11, s11, s13
.LBB331_7:
	s_and_not1_b32 vcc_lo, exec_lo, s8
	s_mov_b64 s[8:9], 0
	s_cbranch_vccnz .LBB331_9
; %bb.8:
	s_load_b128 s[20:23], s[0:1], 0x38
	s_lshl_b64 s[8:9], s[2:3], 3
	s_waitcnt lgkmcnt(0)
	s_add_u32 s8, s20, s8
	s_addc_u32 s9, s21, s9
	s_lshl_b64 s[12:13], s[22:23], 3
	s_load_b64 s[8:9], s[8:9], 0x0
	s_waitcnt lgkmcnt(0)
	s_add_u32 s8, s8, s12
	s_addc_u32 s9, s9, s13
.LBB331_9:
	s_clause 0x1
	s_load_b128 s[20:23], s[0:1], 0x68
	s_load_b32 s15, s[0:1], 0x78
	s_lshl_b64 s[2:3], s[2:3], 3
	s_waitcnt lgkmcnt(0)
	s_add_u32 s2, s20, s2
	s_addc_u32 s3, s21, s3
	s_lshl_b64 s[18:19], s[22:23], 3
	s_load_b64 s[12:13], s[2:3], 0x0
	v_cmp_eq_u32_e64 s2, 0, v0
	s_waitcnt lgkmcnt(0)
	s_add_u32 s12, s12, s18
	s_addc_u32 s13, s13, s19
	s_and_not1_b32 vcc_lo, exec_lo, s16
	s_mov_b32 s16, -1
	s_cbranch_vccnz .LBB331_15
; %bb.10:
	s_mov_b32 s16, 0
	s_and_saveexec_b32 s17, s2
	s_cbranch_execz .LBB331_14
; %bb.11:
	v_cmp_neq_f32_e64 s2, s4, 0
	v_cmp_neq_f32_e64 s3, s5, 0
	v_dual_mov_b32 v3, 0 :: v_dual_mov_b32 v2, 0
	v_mov_b32_e32 v1, 0
	s_delay_alu instid0(VALU_DEP_3)
	s_or_b32 s2, s2, s3
	s_mul_hi_i32 s3, s15, s14
	s_and_not1_b32 vcc_lo, exec_lo, s2
	s_mul_i32 s2, s15, s14
	s_cbranch_vccnz .LBB331_13
; %bb.12:
	s_lshl_b64 s[18:19], s[2:3], 3
	s_delay_alu instid0(SALU_CYCLE_1)
	s_add_u32 s18, s12, s18
	s_addc_u32 s19, s13, s19
	s_load_b64 s[18:19], s[18:19], 0x0
	s_waitcnt lgkmcnt(0)
	v_mul_f32_e64 v1, s5, s19
	v_mul_f32_e64 v2, s4, s19
	s_delay_alu instid0(VALU_DEP_2) | instskip(NEXT) | instid1(VALU_DEP_2)
	v_fma_f32 v1, s4, s18, -v1
	v_fmac_f32_e64 v2, s5, s18
.LBB331_13:
	s_lshl_b64 s[2:3], s[2:3], 3
	s_delay_alu instid0(SALU_CYCLE_1)
	s_add_u32 s2, s12, s2
	s_addc_u32 s3, s13, s3
	global_store_b64 v3, v[1:2], s[2:3]
.LBB331_14:
	s_or_b32 exec_lo, exec_lo, s17
.LBB331_15:
	s_delay_alu instid0(SALU_CYCLE_1)
	s_and_not1_b32 vcc_lo, exec_lo, s16
	s_cbranch_vccnz .LBB331_41
; %bb.16:
	s_clause 0x2
	s_load_b32 s2, s[0:1], 0x28
	s_load_b32 s3, s[0:1], 0x0
	;; [unrolled: 1-line block ×3, first 2 shown]
	v_mov_b32_e32 v2, 0
	s_waitcnt lgkmcnt(0)
	s_mul_hi_i32 s17, s2, s14
	v_cmp_gt_i32_e32 vcc_lo, s3, v0
	s_mul_i32 s16, s2, s14
	s_delay_alu instid0(SALU_CYCLE_1) | instskip(SKIP_4) | instid1(SALU_CYCLE_1)
	s_lshl_b64 s[16:17], s[16:17], 3
	v_cndmask_b32_e32 v1, 0, v0, vcc_lo
	s_add_u32 s1, s16, s10
	s_addc_u32 s2, s17, s11
	s_ashr_i32 s10, s3, 31
	s_lshr_b32 s10, s10, 24
	v_lshlrev_b32_e32 v1, 3, v1
	s_add_i32 s10, s3, s10
	s_delay_alu instid0(VALU_DEP_1) | instskip(NEXT) | instid1(VALU_DEP_1)
	v_add_co_u32 v3, s1, s1, v1
	v_add_co_ci_u32_e64 v4, null, s2, 0, s1
	v_mov_b32_e32 v1, v2
	s_and_b32 s2, s10, 0xffffff00
	s_cmpk_lt_i32 s3, 0x100
	s_cbranch_scc1 .LBB331_19
; %bb.17:
	v_mad_i64_i32 v[1:2], null, s0, v0, 0
	s_ashr_i32 s1, s0, 31
	s_delay_alu instid0(SALU_CYCLE_1) | instskip(SKIP_1) | instid1(VALU_DEP_1)
	s_lshl_b64 s[10:11], s[0:1], 11
	s_mov_b32 s1, 0
	v_lshlrev_b64 v[7:8], 3, v[1:2]
	v_mov_b32_e32 v2, 0
	v_dual_mov_b32 v6, v4 :: v_dual_mov_b32 v5, v3
	s_delay_alu instid0(VALU_DEP_2) | instskip(NEXT) | instid1(VALU_DEP_4)
	v_mov_b32_e32 v1, v2
	v_add_co_u32 v7, vcc_lo, s8, v7
	v_add_co_ci_u32_e32 v8, vcc_lo, s9, v8, vcc_lo
	.p2align	6
.LBB331_18:                             ; =>This Inner Loop Header: Depth=1
	flat_load_b64 v[9:10], v[5:6]
	flat_load_b64 v[11:12], v[7:8]
	v_add_co_u32 v7, vcc_lo, v7, s10
	v_add_co_ci_u32_e32 v8, vcc_lo, s11, v8, vcc_lo
	v_add_co_u32 v5, vcc_lo, 0x800, v5
	v_add_co_ci_u32_e32 v6, vcc_lo, 0, v6, vcc_lo
	s_addk_i32 s1, 0x100
	s_delay_alu instid0(SALU_CYCLE_1) | instskip(SKIP_2) | instid1(VALU_DEP_1)
	s_cmp_ge_i32 s1, s2
	s_waitcnt vmcnt(0) lgkmcnt(0)
	v_mul_f32_e32 v13, v10, v12
	v_fmac_f32_e32 v13, v9, v11
	s_delay_alu instid0(VALU_DEP_1) | instskip(NEXT) | instid1(VALU_DEP_1)
	v_dual_mul_f32 v10, v10, v11 :: v_dual_add_f32 v1, v1, v13
	v_fma_f32 v9, v9, v12, -v10
	s_delay_alu instid0(VALU_DEP_1)
	v_add_f32_e32 v2, v2, v9
	s_cbranch_scc0 .LBB331_18
.LBB331_19:
	v_add_nc_u32_e32 v5, s2, v0
	s_mov_b32 s1, exec_lo
	s_delay_alu instid0(VALU_DEP_1)
	v_cmpx_gt_i32_e64 s3, v5
	s_cbranch_execz .LBB331_21
; %bb.20:
	v_mad_i64_i32 v[6:7], null, s0, v5, 0
	s_ashr_i32 s3, s2, 31
	s_delay_alu instid0(SALU_CYCLE_1) | instskip(NEXT) | instid1(SALU_CYCLE_1)
	s_lshl_b64 s[2:3], s[2:3], 3
	v_add_co_u32 v3, vcc_lo, v3, s2
	s_delay_alu instid0(VALU_DEP_2) | instskip(SKIP_1) | instid1(VALU_DEP_2)
	v_lshlrev_b64 v[5:6], 3, v[6:7]
	v_add_co_ci_u32_e32 v4, vcc_lo, s3, v4, vcc_lo
	v_add_co_u32 v5, vcc_lo, s8, v5
	s_delay_alu instid0(VALU_DEP_3) | instskip(SKIP_4) | instid1(VALU_DEP_1)
	v_add_co_ci_u32_e32 v6, vcc_lo, s9, v6, vcc_lo
	flat_load_b64 v[3:4], v[3:4]
	flat_load_b64 v[5:6], v[5:6]
	s_waitcnt vmcnt(0) lgkmcnt(0)
	v_mul_f32_e32 v7, v4, v6
	v_fmac_f32_e32 v7, v3, v5
	s_delay_alu instid0(VALU_DEP_1) | instskip(NEXT) | instid1(VALU_DEP_1)
	v_dual_mul_f32 v4, v4, v5 :: v_dual_add_f32 v1, v1, v7
	v_fma_f32 v3, v3, v6, -v4
	s_delay_alu instid0(VALU_DEP_1)
	v_add_f32_e32 v2, v2, v3
.LBB331_21:
	s_or_b32 exec_lo, exec_lo, s1
	v_lshlrev_b32_e32 v3, 3, v0
	s_mov_b32 s0, exec_lo
	ds_store_b64 v3, v[1:2]
	s_waitcnt lgkmcnt(0)
	s_waitcnt_vscnt null, 0x0
	s_barrier
	buffer_gl0_inv
	v_cmpx_gt_u32_e32 0x80, v0
	s_cbranch_execz .LBB331_23
; %bb.22:
	ds_load_2addr_stride64_b64 v[4:7], v3 offset1:2
	s_waitcnt lgkmcnt(0)
	v_dual_add_f32 v1, v6, v4 :: v_dual_add_f32 v2, v7, v5
	ds_store_b64 v3, v[1:2]
.LBB331_23:
	s_or_b32 exec_lo, exec_lo, s0
	s_delay_alu instid0(SALU_CYCLE_1)
	s_mov_b32 s0, exec_lo
	s_waitcnt lgkmcnt(0)
	s_barrier
	buffer_gl0_inv
	v_cmpx_gt_u32_e32 64, v0
	s_cbranch_execz .LBB331_25
; %bb.24:
	ds_load_2addr_stride64_b64 v[4:7], v3 offset1:1
	s_waitcnt lgkmcnt(0)
	v_dual_add_f32 v1, v6, v4 :: v_dual_add_f32 v2, v7, v5
	ds_store_b64 v3, v[1:2]
.LBB331_25:
	s_or_b32 exec_lo, exec_lo, s0
	s_delay_alu instid0(SALU_CYCLE_1)
	s_mov_b32 s0, exec_lo
	s_waitcnt lgkmcnt(0)
	s_barrier
	buffer_gl0_inv
	v_cmpx_gt_u32_e32 32, v0
	s_cbranch_execz .LBB331_27
; %bb.26:
	ds_load_2addr_b64 v[4:7], v3 offset1:32
	s_waitcnt lgkmcnt(0)
	v_dual_add_f32 v1, v6, v4 :: v_dual_add_f32 v2, v7, v5
	ds_store_b64 v3, v[1:2]
.LBB331_27:
	s_or_b32 exec_lo, exec_lo, s0
	s_delay_alu instid0(SALU_CYCLE_1)
	s_mov_b32 s0, exec_lo
	s_waitcnt lgkmcnt(0)
	s_barrier
	buffer_gl0_inv
	v_cmpx_gt_u32_e32 16, v0
	s_cbranch_execz .LBB331_29
; %bb.28:
	ds_load_2addr_b64 v[4:7], v3 offset1:16
	s_waitcnt lgkmcnt(0)
	v_dual_add_f32 v1, v6, v4 :: v_dual_add_f32 v2, v7, v5
	ds_store_b64 v3, v[1:2]
.LBB331_29:
	;; [unrolled: 14-line block ×5, first 2 shown]
	s_or_b32 exec_lo, exec_lo, s0
	v_cmp_eq_u32_e32 vcc_lo, 0, v0
	s_waitcnt lgkmcnt(0)
	s_barrier
	buffer_gl0_inv
	s_and_saveexec_b32 s0, vcc_lo
	s_cbranch_execz .LBB331_37
; %bb.36:
	v_mov_b32_e32 v4, 0
	ds_load_b128 v[0:3], v4
	s_waitcnt lgkmcnt(0)
	v_dual_add_f32 v1, v3, v1 :: v_dual_add_f32 v0, v2, v0
	ds_store_b64 v4, v[0:1]
.LBB331_37:
	s_or_b32 exec_lo, exec_lo, s0
	s_waitcnt lgkmcnt(0)
	s_barrier
	buffer_gl0_inv
	s_and_saveexec_b32 s0, vcc_lo
	s_cbranch_execz .LBB331_41
; %bb.38:
	v_mov_b32_e32 v2, 0
	v_cmp_neq_f32_e64 s0, s4, 0
	v_cmp_neq_f32_e64 s1, s5, 0
	ds_load_b64 v[3:4], v2
	s_or_b32 s0, s0, s1
	s_mul_hi_i32 s1, s15, s14
	s_and_not1_b32 vcc_lo, exec_lo, s0
	s_mul_i32 s0, s15, s14
	s_waitcnt lgkmcnt(0)
	v_mul_f32_e32 v1, s6, v4
	s_delay_alu instid0(VALU_DEP_1) | instskip(NEXT) | instid1(VALU_DEP_1)
	v_dual_mul_f32 v0, s7, v4 :: v_dual_fmac_f32 v1, s7, v3
	v_fma_f32 v0, v3, s6, -v0
	s_cbranch_vccnz .LBB331_40
; %bb.39:
	s_lshl_b64 s[2:3], s[0:1], 3
	s_delay_alu instid0(SALU_CYCLE_1)
	s_add_u32 s2, s12, s2
	s_addc_u32 s3, s13, s3
	global_load_b64 v[3:4], v2, s[2:3]
	s_waitcnt vmcnt(0)
	v_mul_f32_e32 v5, s5, v4
	v_mul_f32_e32 v4, s4, v4
	s_delay_alu instid0(VALU_DEP_1) | instskip(NEXT) | instid1(VALU_DEP_3)
	v_fmac_f32_e32 v4, s5, v3
	v_fma_f32 v5, s4, v3, -v5
	s_delay_alu instid0(VALU_DEP_1)
	v_dual_add_f32 v1, v1, v4 :: v_dual_add_f32 v0, v0, v5
.LBB331_40:
	s_lshl_b64 s[0:1], s[0:1], 3
	s_delay_alu instid0(SALU_CYCLE_1)
	s_add_u32 s0, s12, s0
	s_addc_u32 s1, s13, s1
	global_store_b64 v2, v[0:1], s[0:1]
.LBB331_41:
	s_nop 0
	s_sendmsg sendmsg(MSG_DEALLOC_VGPRS)
	s_endpgm
	.section	.rodata,"a",@progbits
	.p2align	6, 0x0
	.amdhsa_kernel _ZL20rocblas_gemvt_kernelILb1ELi256EPK19rocblas_complex_numIfES1_KPS1_EviiT2_lPKT1_lilS9_lilS6_lPT3_lili
		.amdhsa_group_segment_fixed_size 2048
		.amdhsa_private_segment_fixed_size 0
		.amdhsa_kernarg_size 140
		.amdhsa_user_sgpr_count 14
		.amdhsa_user_sgpr_dispatch_ptr 0
		.amdhsa_user_sgpr_queue_ptr 0
		.amdhsa_user_sgpr_kernarg_segment_ptr 1
		.amdhsa_user_sgpr_dispatch_id 0
		.amdhsa_user_sgpr_private_segment_size 0
		.amdhsa_wavefront_size32 1
		.amdhsa_uses_dynamic_stack 0
		.amdhsa_enable_private_segment 0
		.amdhsa_system_sgpr_workgroup_id_x 1
		.amdhsa_system_sgpr_workgroup_id_y 0
		.amdhsa_system_sgpr_workgroup_id_z 1
		.amdhsa_system_sgpr_workgroup_info 0
		.amdhsa_system_vgpr_workitem_id 0
		.amdhsa_next_free_vgpr 14
		.amdhsa_next_free_sgpr 24
		.amdhsa_reserve_vcc 1
		.amdhsa_float_round_mode_32 0
		.amdhsa_float_round_mode_16_64 0
		.amdhsa_float_denorm_mode_32 3
		.amdhsa_float_denorm_mode_16_64 3
		.amdhsa_dx10_clamp 1
		.amdhsa_ieee_mode 1
		.amdhsa_fp16_overflow 0
		.amdhsa_workgroup_processor_mode 1
		.amdhsa_memory_ordered 1
		.amdhsa_forward_progress 0
		.amdhsa_shared_vgpr_count 0
		.amdhsa_exception_fp_ieee_invalid_op 0
		.amdhsa_exception_fp_denorm_src 0
		.amdhsa_exception_fp_ieee_div_zero 0
		.amdhsa_exception_fp_ieee_overflow 0
		.amdhsa_exception_fp_ieee_underflow 0
		.amdhsa_exception_fp_ieee_inexact 0
		.amdhsa_exception_int_div_zero 0
	.end_amdhsa_kernel
	.section	.text._ZL20rocblas_gemvt_kernelILb1ELi256EPK19rocblas_complex_numIfES1_KPS1_EviiT2_lPKT1_lilS9_lilS6_lPT3_lili,"axG",@progbits,_ZL20rocblas_gemvt_kernelILb1ELi256EPK19rocblas_complex_numIfES1_KPS1_EviiT2_lPKT1_lilS9_lilS6_lPT3_lili,comdat
.Lfunc_end331:
	.size	_ZL20rocblas_gemvt_kernelILb1ELi256EPK19rocblas_complex_numIfES1_KPS1_EviiT2_lPKT1_lilS9_lilS6_lPT3_lili, .Lfunc_end331-_ZL20rocblas_gemvt_kernelILb1ELi256EPK19rocblas_complex_numIfES1_KPS1_EviiT2_lPKT1_lilS9_lilS6_lPT3_lili
                                        ; -- End function
	.section	.AMDGPU.csdata,"",@progbits
; Kernel info:
; codeLenInByte = 1684
; NumSgprs: 26
; NumVgprs: 14
; ScratchSize: 0
; MemoryBound: 0
; FloatMode: 240
; IeeeMode: 1
; LDSByteSize: 2048 bytes/workgroup (compile time only)
; SGPRBlocks: 3
; VGPRBlocks: 1
; NumSGPRsForWavesPerEU: 26
; NumVGPRsForWavesPerEU: 14
; Occupancy: 16
; WaveLimiterHint : 1
; COMPUTE_PGM_RSRC2:SCRATCH_EN: 0
; COMPUTE_PGM_RSRC2:USER_SGPR: 14
; COMPUTE_PGM_RSRC2:TRAP_HANDLER: 0
; COMPUTE_PGM_RSRC2:TGID_X_EN: 1
; COMPUTE_PGM_RSRC2:TGID_Y_EN: 0
; COMPUTE_PGM_RSRC2:TGID_Z_EN: 1
; COMPUTE_PGM_RSRC2:TIDIG_COMP_CNT: 0
	.section	.text._ZL32rocblas_gemvt_warp_reduce_kernelILb1ELi1024EiPK19rocblas_complex_numIfES3_KPS1_EviiT3_lPKT2_lT1_lS9_lSA_lS6_lPT4_lSA_li,"axG",@progbits,_ZL32rocblas_gemvt_warp_reduce_kernelILb1ELi1024EiPK19rocblas_complex_numIfES3_KPS1_EviiT3_lPKT2_lT1_lS9_lSA_lS6_lPT4_lSA_li,comdat
	.globl	_ZL32rocblas_gemvt_warp_reduce_kernelILb1ELi1024EiPK19rocblas_complex_numIfES3_KPS1_EviiT3_lPKT2_lT1_lS9_lSA_lS6_lPT4_lSA_li ; -- Begin function _ZL32rocblas_gemvt_warp_reduce_kernelILb1ELi1024EiPK19rocblas_complex_numIfES3_KPS1_EviiT3_lPKT2_lT1_lS9_lSA_lS6_lPT4_lSA_li
	.p2align	8
	.type	_ZL32rocblas_gemvt_warp_reduce_kernelILb1ELi1024EiPK19rocblas_complex_numIfES3_KPS1_EviiT3_lPKT2_lT1_lS9_lSA_lS6_lPT4_lSA_li,@function
_ZL32rocblas_gemvt_warp_reduce_kernelILb1ELi1024EiPK19rocblas_complex_numIfES3_KPS1_EviiT3_lPKT2_lT1_lS9_lSA_lS6_lPT4_lSA_li: ; @_ZL32rocblas_gemvt_warp_reduce_kernelILb1ELi1024EiPK19rocblas_complex_numIfES3_KPS1_EviiT3_lPKT2_lT1_lS9_lSA_lS6_lPT4_lSA_li
; %bb.0:
	s_clause 0x1
	s_load_b256 s[16:23], s[0:1], 0x8
	s_load_b256 s[4:11], s[0:1], 0x58
	s_mov_b32 s2, s15
	s_waitcnt lgkmcnt(0)
	s_mul_i32 s3, s15, s19
	s_mul_hi_u32 s13, s15, s18
	s_mul_i32 s12, s15, s18
	s_add_i32 s13, s13, s3
	s_mul_i32 s3, s15, s7
	s_lshl_b64 s[12:13], s[12:13], 3
	s_mul_hi_u32 s7, s15, s6
	s_add_u32 s12, s16, s12
	s_addc_u32 s13, s17, s13
	s_mul_i32 s6, s15, s6
	s_load_b64 s[12:13], s[12:13], 0x0
	s_add_i32 s7, s7, s3
	s_delay_alu instid0(SALU_CYCLE_1) | instskip(NEXT) | instid1(SALU_CYCLE_1)
	s_lshl_b64 s[6:7], s[6:7], 3
	s_add_u32 s4, s4, s6
	s_addc_u32 s5, s5, s7
	s_load_b64 s[4:5], s[4:5], 0x0
	s_waitcnt lgkmcnt(0)
	v_cmp_neq_f32_e64 s3, s12, 0
	v_cmp_neq_f32_e64 s6, s13, 0
	s_delay_alu instid0(VALU_DEP_1)
	s_or_b32 s6, s3, s6
	s_mov_b32 s3, 0
	s_and_b32 vcc_lo, exec_lo, s6
	s_mov_b32 s6, -1
	s_cbranch_vccnz .LBB332_2
; %bb.1:
	v_cmp_neq_f32_e64 s6, s4, 1.0
	v_cmp_neq_f32_e64 s7, s5, 0
	s_delay_alu instid0(VALU_DEP_1)
	s_or_b32 s6, s6, s7
.LBB332_2:
	s_delay_alu instid0(SALU_CYCLE_1)
	s_and_not1_b32 vcc_lo, exec_lo, s6
	s_cbranch_vccnz .LBB332_32
; %bb.3:
	s_or_b32 s6, s12, s13
	s_mov_b64 s[16:17], 0
	s_bitset0_b32 s6, 31
	s_delay_alu instid0(SALU_CYCLE_1) | instskip(SKIP_4) | instid1(SALU_CYCLE_1)
	s_cmp_lg_u32 s6, 0
	s_cselect_b32 s15, -1, 0
	s_cmp_eq_u32 s6, 0
	s_mov_b64 s[6:7], 0
	s_cselect_b32 s18, -1, 0
	s_and_b32 vcc_lo, exec_lo, s18
	s_cbranch_vccnz .LBB332_5
; %bb.4:
	s_lshl_b64 s[16:17], s[2:3], 3
	s_delay_alu instid0(SALU_CYCLE_1)
	s_add_u32 s16, s20, s16
	s_addc_u32 s17, s21, s17
	s_lshl_b64 s[20:21], s[22:23], 3
	s_load_b64 s[16:17], s[16:17], 0x0
	s_waitcnt lgkmcnt(0)
	s_add_u32 s16, s16, s20
	s_addc_u32 s17, s17, s21
.LBB332_5:
	s_and_not1_b32 vcc_lo, exec_lo, s15
	s_cbranch_vccnz .LBB332_7
; %bb.6:
	s_load_b128 s[20:23], s[0:1], 0x38
	s_lshl_b64 s[6:7], s[2:3], 3
	s_waitcnt lgkmcnt(0)
	s_add_u32 s6, s20, s6
	s_addc_u32 s7, s21, s7
	s_lshl_b64 s[20:21], s[22:23], 3
	s_load_b64 s[6:7], s[6:7], 0x0
	s_waitcnt lgkmcnt(0)
	s_add_u32 s6, s6, s20
	s_addc_u32 s7, s7, s21
.LBB332_7:
	s_lshl_b64 s[2:3], s[2:3], 3
	s_delay_alu instid0(SALU_CYCLE_1)
	s_add_u32 s2, s8, s2
	s_addc_u32 s3, s9, s3
	s_lshl_b64 s[10:11], s[10:11], 3
	s_load_b64 s[8:9], s[2:3], 0x0
	s_load_b32 s15, s[0:1], 0x78
	v_cmp_eq_u32_e64 s2, 0, v0
	s_waitcnt lgkmcnt(0)
	s_add_u32 s8, s8, s10
	s_addc_u32 s9, s9, s11
	s_and_not1_b32 vcc_lo, exec_lo, s18
	s_mov_b32 s10, -1
	s_cbranch_vccnz .LBB332_13
; %bb.8:
	s_mov_b32 s10, 0
	s_and_saveexec_b32 s11, s2
	s_cbranch_execz .LBB332_12
; %bb.9:
	v_cmp_neq_f32_e64 s2, s4, 0
	v_cmp_neq_f32_e64 s3, s5, 0
	v_dual_mov_b32 v3, 0 :: v_dual_mov_b32 v2, 0
	v_mov_b32_e32 v1, 0
	s_delay_alu instid0(VALU_DEP_3)
	s_or_b32 s3, s2, s3
	s_mul_i32 s2, s14, s15
	s_and_not1_b32 vcc_lo, exec_lo, s3
	s_ashr_i32 s3, s2, 31
	s_cbranch_vccnz .LBB332_11
; %bb.10:
	s_lshl_b64 s[18:19], s[2:3], 3
	s_delay_alu instid0(SALU_CYCLE_1)
	s_add_u32 s18, s8, s18
	s_addc_u32 s19, s9, s19
	s_load_b64 s[18:19], s[18:19], 0x0
	s_waitcnt lgkmcnt(0)
	v_mul_f32_e64 v1, s5, s19
	v_mul_f32_e64 v2, s4, s19
	s_delay_alu instid0(VALU_DEP_2) | instskip(NEXT) | instid1(VALU_DEP_2)
	v_fma_f32 v1, s4, s18, -v1
	v_fmac_f32_e64 v2, s5, s18
.LBB332_11:
	s_lshl_b64 s[2:3], s[2:3], 3
	s_delay_alu instid0(SALU_CYCLE_1)
	s_add_u32 s2, s8, s2
	s_addc_u32 s3, s9, s3
	global_store_b64 v3, v[1:2], s[2:3]
.LBB332_12:
	s_or_b32 exec_lo, exec_lo, s11
.LBB332_13:
	s_delay_alu instid0(SALU_CYCLE_1)
	s_and_not1_b32 vcc_lo, exec_lo, s10
	s_cbranch_vccnz .LBB332_32
; %bb.14:
	s_clause 0x2
	s_load_b32 s3, s[0:1], 0x28
	s_load_b32 s2, s[0:1], 0x0
	;; [unrolled: 1-line block ×3, first 2 shown]
	v_dual_mov_b32 v7, 0 :: v_dual_mov_b32 v8, 0
	s_waitcnt lgkmcnt(0)
	s_mul_i32 s10, s14, s3
	v_cmp_gt_i32_e32 vcc_lo, s2, v0
	s_ashr_i32 s11, s10, 31
	s_delay_alu instid0(SALU_CYCLE_1) | instskip(SKIP_4) | instid1(SALU_CYCLE_1)
	s_lshl_b64 s[10:11], s[10:11], 3
	v_cndmask_b32_e32 v1, 0, v0, vcc_lo
	s_add_u32 s3, s10, s16
	s_addc_u32 s10, s11, s17
	s_ashr_i32 s0, s2, 31
	s_lshr_b32 s0, s0, 22
	v_lshlrev_b32_e32 v1, 3, v1
	s_add_i32 s0, s2, s0
	s_delay_alu instid0(SALU_CYCLE_1) | instskip(NEXT) | instid1(VALU_DEP_1)
	s_and_b32 s0, s0, 0xfffffc00
	v_add_co_u32 v1, s3, s3, v1
	s_delay_alu instid0(VALU_DEP_1)
	v_add_co_ci_u32_e64 v2, null, s10, 0, s3
	s_mov_b32 s3, exec_lo
	v_cmpx_gt_i32_e64 s0, v0
	s_cbranch_execz .LBB332_18
; %bb.15:
	v_mul_lo_u32 v3, v0, s1
	v_dual_mov_b32 v7, 0 :: v_dual_mov_b32 v6, v2
	v_dual_mov_b32 v5, v1 :: v_dual_mov_b32 v8, 0
	v_mov_b32_e32 v9, v0
	s_lshl_b32 s11, s1, 10
	s_mov_b32 s10, 0
	.p2align	6
.LBB332_16:                             ; =>This Inner Loop Header: Depth=1
	s_delay_alu instid0(VALU_DEP_4) | instskip(NEXT) | instid1(VALU_DEP_1)
	v_ashrrev_i32_e32 v4, 31, v3
	v_lshlrev_b64 v[10:11], 3, v[3:4]
	v_add_nc_u32_e32 v3, s11, v3
	s_delay_alu instid0(VALU_DEP_2) | instskip(NEXT) | instid1(VALU_DEP_3)
	v_add_co_u32 v10, vcc_lo, s6, v10
	v_add_co_ci_u32_e32 v11, vcc_lo, s7, v11, vcc_lo
	flat_load_b64 v[12:13], v[5:6]
	flat_load_b64 v[10:11], v[10:11]
	v_add_nc_u32_e32 v9, 0x400, v9
	v_add_co_u32 v5, vcc_lo, 0x2000, v5
	v_add_co_ci_u32_e32 v6, vcc_lo, 0, v6, vcc_lo
	s_waitcnt vmcnt(0) lgkmcnt(0)
	v_mul_f32_e32 v4, v13, v11
	v_cmp_le_i32_e32 vcc_lo, s0, v9
	s_delay_alu instid0(VALU_DEP_2) | instskip(SKIP_2) | instid1(VALU_DEP_2)
	v_fmac_f32_e32 v4, v12, v10
	v_mul_f32_e32 v13, v13, v10
	s_or_b32 s10, vcc_lo, s10
	v_add_f32_e32 v8, v8, v4
	s_delay_alu instid0(VALU_DEP_2) | instskip(NEXT) | instid1(VALU_DEP_1)
	v_fma_f32 v10, v12, v11, -v13
	v_add_f32_e32 v7, v7, v10
	s_and_not1_b32 exec_lo, exec_lo, s10
	s_cbranch_execnz .LBB332_16
; %bb.17:
	s_or_b32 exec_lo, exec_lo, s10
.LBB332_18:
	s_delay_alu instid0(SALU_CYCLE_1) | instskip(SKIP_1) | instid1(VALU_DEP_1)
	s_or_b32 exec_lo, exec_lo, s3
	v_or_b32_e32 v3, s0, v0
	v_cmp_gt_i32_e32 vcc_lo, s2, v3
	s_and_saveexec_b32 s2, vcc_lo
	s_cbranch_execz .LBB332_20
; %bb.19:
	v_mul_lo_u32 v3, v3, s1
	s_ashr_i32 s1, s0, 31
	s_delay_alu instid0(SALU_CYCLE_1) | instskip(NEXT) | instid1(SALU_CYCLE_1)
	s_lshl_b64 s[0:1], s[0:1], 3
	v_add_co_u32 v1, vcc_lo, v1, s0
	v_add_co_ci_u32_e32 v2, vcc_lo, s1, v2, vcc_lo
	s_delay_alu instid0(VALU_DEP_3) | instskip(NEXT) | instid1(VALU_DEP_1)
	v_ashrrev_i32_e32 v4, 31, v3
	v_lshlrev_b64 v[3:4], 3, v[3:4]
	s_delay_alu instid0(VALU_DEP_1) | instskip(NEXT) | instid1(VALU_DEP_2)
	v_add_co_u32 v3, vcc_lo, s6, v3
	v_add_co_ci_u32_e32 v4, vcc_lo, s7, v4, vcc_lo
	flat_load_b64 v[1:2], v[1:2]
	flat_load_b64 v[3:4], v[3:4]
	s_waitcnt vmcnt(0) lgkmcnt(0)
	v_mul_f32_e32 v5, v2, v4
	v_mul_f32_e32 v2, v2, v3
	s_delay_alu instid0(VALU_DEP_2) | instskip(NEXT) | instid1(VALU_DEP_2)
	v_fmac_f32_e32 v5, v1, v3
	v_fma_f32 v1, v1, v4, -v2
	s_delay_alu instid0(VALU_DEP_2) | instskip(NEXT) | instid1(VALU_DEP_2)
	v_add_f32_e32 v8, v8, v5
	v_add_f32_e32 v7, v7, v1
.LBB332_20:
	s_or_b32 exec_lo, exec_lo, s2
	v_and_b32_e32 v1, 31, v0
	v_cmp_gt_u32_e32 vcc_lo, 32, v0
	s_delay_alu instid0(VALU_DEP_2)
	v_lshlrev_b32_e32 v3, 3, v1
	s_and_saveexec_b32 s0, vcc_lo
	s_cbranch_execz .LBB332_22
; %bb.21:
	v_mov_b32_e32 v4, 0
	s_delay_alu instid0(VALU_DEP_1)
	v_mov_b32_e32 v5, v4
	ds_store_b64 v3, v[4:5]
.LBB332_22:
	s_or_b32 exec_lo, exec_lo, s0
	v_mbcnt_lo_u32_b32 v2, -1, 0
	s_mov_b32 s1, exec_lo
	s_waitcnt lgkmcnt(0)
	s_waitcnt_vscnt null, 0x0
	s_barrier
	buffer_gl0_inv
	v_cmp_gt_u32_e64 s0, 16, v2
	s_delay_alu instid0(VALU_DEP_1) | instskip(SKIP_1) | instid1(VALU_DEP_2)
	v_cndmask_b32_e64 v4, 0, 1, s0
	v_cmp_gt_u32_e64 s0, 24, v2
	v_lshlrev_b32_e32 v4, 4, v4
	s_delay_alu instid0(VALU_DEP_2) | instskip(SKIP_1) | instid1(VALU_DEP_3)
	v_cndmask_b32_e64 v5, 0, 1, s0
	v_cmp_gt_u32_e64 s0, 28, v2
	v_add_lshl_u32 v4, v4, v2, 2
	ds_bpermute_b32 v6, v4, v8
	ds_bpermute_b32 v9, v4, v7
	s_waitcnt lgkmcnt(1)
	v_dual_add_f32 v8, v8, v6 :: v_dual_lshlrev_b32 v5, 3, v5
	s_delay_alu instid0(VALU_DEP_1)
	v_add_lshl_u32 v5, v5, v2, 2
	s_waitcnt lgkmcnt(0)
	v_add_f32_e32 v7, v7, v9
	v_cndmask_b32_e64 v6, 0, 1, s0
	v_cmp_gt_u32_e64 s0, 30, v2
	ds_bpermute_b32 v9, v5, v8
	ds_bpermute_b32 v10, v5, v7
	s_waitcnt lgkmcnt(0)
	v_dual_add_f32 v8, v8, v9 :: v_dual_add_f32 v9, v7, v10
	v_lshlrev_b32_e32 v6, 2, v6
	v_cndmask_b32_e64 v7, 0, 1, s0
	v_cmp_ne_u32_e64 s0, 31, v2
	s_delay_alu instid0(VALU_DEP_3) | instskip(SKIP_4) | instid1(VALU_DEP_1)
	v_add_lshl_u32 v6, v6, v2, 2
	ds_bpermute_b32 v10, v6, v8
	ds_bpermute_b32 v11, v6, v9
	s_waitcnt lgkmcnt(1)
	v_dual_add_f32 v10, v8, v10 :: v_dual_lshlrev_b32 v7, 1, v7
	v_add_lshl_u32 v7, v7, v2, 2
	s_waitcnt lgkmcnt(0)
	v_add_f32_e32 v9, v9, v11
	v_add_co_ci_u32_e64 v2, s0, 0, v2, s0
	ds_bpermute_b32 v11, v7, v10
	ds_bpermute_b32 v12, v7, v9
	v_lshlrev_b32_e32 v8, 2, v2
	s_waitcnt lgkmcnt(1)
	v_add_f32_e32 v2, v10, v11
	s_waitcnt lgkmcnt(0)
	v_add_f32_e32 v10, v9, v12
	ds_bpermute_b32 v9, v8, v2
	ds_bpermute_b32 v11, v8, v10
	v_cmpx_eq_u32_e32 0, v1
	s_cbranch_execz .LBB332_24
; %bb.23:
	v_lshrrev_b32_e32 v1, 2, v0
	s_waitcnt lgkmcnt(0)
	v_add_f32_e32 v10, v10, v11
	v_add_f32_e32 v9, v2, v9
	s_delay_alu instid0(VALU_DEP_3)
	v_and_b32_e32 v1, 0xf8, v1
	ds_store_b64 v1, v[9:10]
.LBB332_24:
	s_or_b32 exec_lo, exec_lo, s1
	v_dual_mov_b32 v2, 0 :: v_dual_mov_b32 v1, 0
	s_waitcnt lgkmcnt(0)
	s_barrier
	buffer_gl0_inv
	s_and_saveexec_b32 s0, vcc_lo
	s_cbranch_execz .LBB332_26
; %bb.25:
	ds_load_b64 v[1:2], v3
.LBB332_26:
	s_or_b32 exec_lo, exec_lo, s0
	s_and_saveexec_b32 s0, vcc_lo
	s_cbranch_execz .LBB332_28
; %bb.27:
	s_waitcnt lgkmcnt(0)
	ds_bpermute_b32 v3, v4, v1
	ds_bpermute_b32 v4, v4, v2
	s_waitcnt lgkmcnt(0)
	v_dual_add_f32 v1, v1, v3 :: v_dual_add_f32 v2, v2, v4
	ds_bpermute_b32 v3, v5, v1
	ds_bpermute_b32 v4, v5, v2
	s_waitcnt lgkmcnt(0)
	v_dual_add_f32 v1, v1, v3 :: v_dual_add_f32 v2, v2, v4
	;; [unrolled: 4-line block ×5, first 2 shown]
.LBB332_28:
	s_or_b32 exec_lo, exec_lo, s0
	s_delay_alu instid0(SALU_CYCLE_1)
	s_mov_b32 s0, exec_lo
	v_cmpx_eq_u32_e32 0, v0
	s_cbranch_execz .LBB332_32
; %bb.29:
	s_waitcnt lgkmcnt(0)
	v_mul_f32_e32 v3, s12, v2
	v_mul_f32_e32 v0, s13, v2
	v_cmp_neq_f32_e64 s0, s4, 0
	v_cmp_neq_f32_e64 s1, s5, 0
	s_delay_alu instid0(VALU_DEP_4) | instskip(NEXT) | instid1(VALU_DEP_4)
	v_fmac_f32_e32 v3, s13, v1
	v_fma_f32 v2, v1, s12, -v0
	s_delay_alu instid0(VALU_DEP_3)
	s_or_b32 s1, s0, s1
	s_mul_i32 s0, s14, s15
	s_and_not1_b32 vcc_lo, exec_lo, s1
	s_ashr_i32 s1, s0, 31
	s_cbranch_vccnz .LBB332_31
; %bb.30:
	s_lshl_b64 s[2:3], s[0:1], 3
	v_mov_b32_e32 v0, 0
	s_add_u32 s2, s8, s2
	s_addc_u32 s3, s9, s3
	global_load_b64 v[0:1], v0, s[2:3]
	s_waitcnt vmcnt(0)
	v_mul_f32_e32 v4, s5, v1
	v_mul_f32_e32 v1, s4, v1
	s_delay_alu instid0(VALU_DEP_1) | instskip(NEXT) | instid1(VALU_DEP_3)
	v_fmac_f32_e32 v1, s5, v0
	v_fma_f32 v4, s4, v0, -v4
	s_delay_alu instid0(VALU_DEP_1)
	v_dual_add_f32 v3, v3, v1 :: v_dual_add_f32 v2, v2, v4
.LBB332_31:
	s_lshl_b64 s[0:1], s[0:1], 3
	v_mov_b32_e32 v0, 0
	s_add_u32 s0, s8, s0
	s_addc_u32 s1, s9, s1
	global_store_b64 v0, v[2:3], s[0:1]
.LBB332_32:
	s_nop 0
	s_sendmsg sendmsg(MSG_DEALLOC_VGPRS)
	s_endpgm
	.section	.rodata,"a",@progbits
	.p2align	6, 0x0
	.amdhsa_kernel _ZL32rocblas_gemvt_warp_reduce_kernelILb1ELi1024EiPK19rocblas_complex_numIfES3_KPS1_EviiT3_lPKT2_lT1_lS9_lSA_lS6_lPT4_lSA_li
		.amdhsa_group_segment_fixed_size 256
		.amdhsa_private_segment_fixed_size 0
		.amdhsa_kernarg_size 140
		.amdhsa_user_sgpr_count 14
		.amdhsa_user_sgpr_dispatch_ptr 0
		.amdhsa_user_sgpr_queue_ptr 0
		.amdhsa_user_sgpr_kernarg_segment_ptr 1
		.amdhsa_user_sgpr_dispatch_id 0
		.amdhsa_user_sgpr_private_segment_size 0
		.amdhsa_wavefront_size32 1
		.amdhsa_uses_dynamic_stack 0
		.amdhsa_enable_private_segment 0
		.amdhsa_system_sgpr_workgroup_id_x 1
		.amdhsa_system_sgpr_workgroup_id_y 0
		.amdhsa_system_sgpr_workgroup_id_z 1
		.amdhsa_system_sgpr_workgroup_info 0
		.amdhsa_system_vgpr_workitem_id 0
		.amdhsa_next_free_vgpr 14
		.amdhsa_next_free_sgpr 24
		.amdhsa_reserve_vcc 1
		.amdhsa_float_round_mode_32 0
		.amdhsa_float_round_mode_16_64 0
		.amdhsa_float_denorm_mode_32 3
		.amdhsa_float_denorm_mode_16_64 3
		.amdhsa_dx10_clamp 1
		.amdhsa_ieee_mode 1
		.amdhsa_fp16_overflow 0
		.amdhsa_workgroup_processor_mode 1
		.amdhsa_memory_ordered 1
		.amdhsa_forward_progress 0
		.amdhsa_shared_vgpr_count 0
		.amdhsa_exception_fp_ieee_invalid_op 0
		.amdhsa_exception_fp_denorm_src 0
		.amdhsa_exception_fp_ieee_div_zero 0
		.amdhsa_exception_fp_ieee_overflow 0
		.amdhsa_exception_fp_ieee_underflow 0
		.amdhsa_exception_fp_ieee_inexact 0
		.amdhsa_exception_int_div_zero 0
	.end_amdhsa_kernel
	.section	.text._ZL32rocblas_gemvt_warp_reduce_kernelILb1ELi1024EiPK19rocblas_complex_numIfES3_KPS1_EviiT3_lPKT2_lT1_lS9_lSA_lS6_lPT4_lSA_li,"axG",@progbits,_ZL32rocblas_gemvt_warp_reduce_kernelILb1ELi1024EiPK19rocblas_complex_numIfES3_KPS1_EviiT3_lPKT2_lT1_lS9_lSA_lS6_lPT4_lSA_li,comdat
.Lfunc_end332:
	.size	_ZL32rocblas_gemvt_warp_reduce_kernelILb1ELi1024EiPK19rocblas_complex_numIfES3_KPS1_EviiT3_lPKT2_lT1_lS9_lSA_lS6_lPT4_lSA_li, .Lfunc_end332-_ZL32rocblas_gemvt_warp_reduce_kernelILb1ELi1024EiPK19rocblas_complex_numIfES3_KPS1_EviiT3_lPKT2_lT1_lS9_lSA_lS6_lPT4_lSA_li
                                        ; -- End function
	.section	.AMDGPU.csdata,"",@progbits
; Kernel info:
; codeLenInByte = 1816
; NumSgprs: 26
; NumVgprs: 14
; ScratchSize: 0
; MemoryBound: 0
; FloatMode: 240
; IeeeMode: 1
; LDSByteSize: 256 bytes/workgroup (compile time only)
; SGPRBlocks: 3
; VGPRBlocks: 1
; NumSGPRsForWavesPerEU: 26
; NumVGPRsForWavesPerEU: 14
; Occupancy: 16
; WaveLimiterHint : 1
; COMPUTE_PGM_RSRC2:SCRATCH_EN: 0
; COMPUTE_PGM_RSRC2:USER_SGPR: 14
; COMPUTE_PGM_RSRC2:TRAP_HANDLER: 0
; COMPUTE_PGM_RSRC2:TGID_X_EN: 1
; COMPUTE_PGM_RSRC2:TGID_Y_EN: 0
; COMPUTE_PGM_RSRC2:TGID_Z_EN: 1
; COMPUTE_PGM_RSRC2:TIDIG_COMP_CNT: 0
	.section	.text._ZL32rocblas_gemvt_warp_reduce_kernelILb1ELi1024ElPK19rocblas_complex_numIfES3_KPS1_EviiT3_lPKT2_lT1_lS9_lSA_lS6_lPT4_lSA_li,"axG",@progbits,_ZL32rocblas_gemvt_warp_reduce_kernelILb1ELi1024ElPK19rocblas_complex_numIfES3_KPS1_EviiT3_lPKT2_lT1_lS9_lSA_lS6_lPT4_lSA_li,comdat
	.globl	_ZL32rocblas_gemvt_warp_reduce_kernelILb1ELi1024ElPK19rocblas_complex_numIfES3_KPS1_EviiT3_lPKT2_lT1_lS9_lSA_lS6_lPT4_lSA_li ; -- Begin function _ZL32rocblas_gemvt_warp_reduce_kernelILb1ELi1024ElPK19rocblas_complex_numIfES3_KPS1_EviiT3_lPKT2_lT1_lS9_lSA_lS6_lPT4_lSA_li
	.p2align	8
	.type	_ZL32rocblas_gemvt_warp_reduce_kernelILb1ELi1024ElPK19rocblas_complex_numIfES3_KPS1_EviiT3_lPKT2_lT1_lS9_lSA_lS6_lPT4_lSA_li,@function
_ZL32rocblas_gemvt_warp_reduce_kernelILb1ELi1024ElPK19rocblas_complex_numIfES3_KPS1_EviiT3_lPKT2_lT1_lS9_lSA_lS6_lPT4_lSA_li: ; @_ZL32rocblas_gemvt_warp_reduce_kernelILb1ELi1024ElPK19rocblas_complex_numIfES3_KPS1_EviiT3_lPKT2_lT1_lS9_lSA_lS6_lPT4_lSA_li
; %bb.0:
	s_clause 0x1
	s_load_b256 s[16:23], s[0:1], 0x8
	s_load_b256 s[4:11], s[0:1], 0x58
	s_mov_b32 s2, s15
	s_waitcnt lgkmcnt(0)
	s_mul_i32 s3, s15, s19
	s_mul_hi_u32 s13, s15, s18
	s_mul_i32 s12, s15, s18
	s_add_i32 s13, s13, s3
	s_mul_i32 s3, s15, s7
	s_lshl_b64 s[12:13], s[12:13], 3
	s_mul_hi_u32 s7, s15, s6
	s_add_u32 s12, s16, s12
	s_addc_u32 s13, s17, s13
	s_mul_i32 s6, s15, s6
	s_load_b64 s[16:17], s[12:13], 0x0
	s_add_i32 s7, s7, s3
	s_delay_alu instid0(SALU_CYCLE_1) | instskip(NEXT) | instid1(SALU_CYCLE_1)
	s_lshl_b64 s[6:7], s[6:7], 3
	s_add_u32 s4, s4, s6
	s_addc_u32 s5, s5, s7
	s_load_b64 s[12:13], s[4:5], 0x0
	s_waitcnt lgkmcnt(0)
	v_cmp_neq_f32_e64 s3, s16, 0
	v_cmp_neq_f32_e64 s4, s17, 0
	s_delay_alu instid0(VALU_DEP_1)
	s_or_b32 s4, s3, s4
	s_mov_b32 s3, 0
	s_and_b32 vcc_lo, exec_lo, s4
	s_mov_b32 s4, -1
	s_cbranch_vccnz .LBB333_2
; %bb.1:
	v_cmp_neq_f32_e64 s4, s12, 1.0
	v_cmp_neq_f32_e64 s5, s13, 0
	s_delay_alu instid0(VALU_DEP_1)
	s_or_b32 s4, s4, s5
.LBB333_2:
	s_delay_alu instid0(SALU_CYCLE_1)
	s_and_not1_b32 vcc_lo, exec_lo, s4
	s_cbranch_vccnz .LBB333_32
; %bb.3:
	s_clause 0x1
	s_load_b64 s[26:27], s[0:1], 0x28
	s_load_b64 s[18:19], s[0:1], 0x78
	s_or_b32 s4, s16, s17
	s_mov_b64 s[24:25], 0
	s_bitset0_b32 s4, 31
	s_mov_b64 s[28:29], 0
	s_cmp_lg_u32 s4, 0
	s_cselect_b32 s30, -1, 0
	s_cmp_eq_u32 s4, 0
	s_cselect_b32 s15, -1, 0
	s_delay_alu instid0(SALU_CYCLE_1)
	s_and_b32 vcc_lo, exec_lo, s15
	s_cbranch_vccnz .LBB333_5
; %bb.4:
	s_lshl_b64 s[4:5], s[2:3], 3
	s_delay_alu instid0(SALU_CYCLE_1)
	s_add_u32 s4, s20, s4
	s_addc_u32 s5, s21, s5
	s_lshl_b64 s[6:7], s[22:23], 3
	s_load_b64 s[4:5], s[4:5], 0x0
	s_waitcnt lgkmcnt(0)
	s_add_u32 s28, s4, s6
	s_addc_u32 s29, s5, s7
.LBB333_5:
	s_clause 0x1
	s_load_b128 s[4:7], s[0:1], 0x38
	s_load_b64 s[20:21], s[0:1], 0x48
	s_and_not1_b32 vcc_lo, exec_lo, s30
	s_cbranch_vccnz .LBB333_7
; %bb.6:
	s_lshl_b64 s[22:23], s[2:3], 3
	s_waitcnt lgkmcnt(0)
	s_add_u32 s4, s4, s22
	s_addc_u32 s5, s5, s23
	s_lshl_b64 s[6:7], s[6:7], 3
	s_load_b64 s[4:5], s[4:5], 0x0
	s_waitcnt lgkmcnt(0)
	s_add_u32 s24, s4, s6
	s_addc_u32 s25, s5, s7
.LBB333_7:
	s_lshl_b64 s[2:3], s[2:3], 3
	s_delay_alu instid0(SALU_CYCLE_1)
	s_add_u32 s2, s8, s2
	s_addc_u32 s3, s9, s3
	s_waitcnt lgkmcnt(0)
	s_lshl_b64 s[6:7], s[10:11], 3
	s_load_b64 s[4:5], s[2:3], 0x0
	v_cmp_eq_u32_e64 s2, 0, v0
	s_waitcnt lgkmcnt(0)
	s_add_u32 s6, s4, s6
	s_addc_u32 s7, s5, s7
	s_and_not1_b32 vcc_lo, exec_lo, s15
	s_mov_b32 s4, -1
	s_cbranch_vccnz .LBB333_13
; %bb.8:
	s_mov_b32 s4, 0
	s_and_saveexec_b32 s5, s2
	s_cbranch_execz .LBB333_12
; %bb.9:
	v_cmp_neq_f32_e64 s2, s12, 0
	v_cmp_neq_f32_e64 s3, s13, 0
	s_mul_i32 s8, s14, s19
	s_ashr_i32 s9, s14, 31
	v_dual_mov_b32 v3, 0 :: v_dual_mov_b32 v2, 0
	s_delay_alu instid0(VALU_DEP_2)
	s_or_b32 s2, s2, s3
	s_mul_hi_u32 s3, s14, s18
	v_mov_b32_e32 v1, 0
	s_add_i32 s3, s3, s8
	s_mul_i32 s9, s9, s18
	s_and_not1_b32 vcc_lo, exec_lo, s2
	s_add_i32 s3, s3, s9
	s_mul_i32 s2, s14, s18
	s_cbranch_vccnz .LBB333_11
; %bb.10:
	s_lshl_b64 s[8:9], s[2:3], 3
	s_delay_alu instid0(SALU_CYCLE_1)
	s_add_u32 s8, s6, s8
	s_addc_u32 s9, s7, s9
	s_load_b64 s[8:9], s[8:9], 0x0
	s_waitcnt lgkmcnt(0)
	v_mul_f32_e64 v1, s13, s9
	v_mul_f32_e64 v2, s12, s9
	s_delay_alu instid0(VALU_DEP_2) | instskip(NEXT) | instid1(VALU_DEP_2)
	v_fma_f32 v1, s12, s8, -v1
	v_fmac_f32_e64 v2, s13, s8
.LBB333_11:
	s_lshl_b64 s[2:3], s[2:3], 3
	s_delay_alu instid0(SALU_CYCLE_1)
	s_add_u32 s2, s6, s2
	s_addc_u32 s3, s7, s3
	global_store_b64 v3, v[1:2], s[2:3]
.LBB333_12:
	s_or_b32 exec_lo, exec_lo, s5
.LBB333_13:
	s_delay_alu instid0(SALU_CYCLE_1)
	s_and_not1_b32 vcc_lo, exec_lo, s4
	s_cbranch_vccnz .LBB333_32
; %bb.14:
	s_load_b32 s3, s[0:1], 0x0
	s_mul_i32 s0, s14, s27
	s_mul_hi_u32 s2, s14, s26
	s_ashr_i32 s1, s14, 31
	s_add_i32 s0, s2, s0
	s_mul_i32 s2, s1, s26
	s_mul_i32 s4, s14, s26
	s_add_i32 s5, s0, s2
	v_mov_b32_e32 v7, 0
	s_lshl_b64 s[4:5], s[4:5], 3
	s_mov_b32 s8, exec_lo
	s_add_u32 s0, s4, s28
	s_addc_u32 s4, s5, s29
	v_mov_b32_e32 v8, 0
	s_waitcnt lgkmcnt(0)
	v_cmp_gt_i32_e32 vcc_lo, s3, v0
	s_ashr_i32 s2, s3, 31
	s_delay_alu instid0(SALU_CYCLE_1) | instskip(SKIP_2) | instid1(SALU_CYCLE_1)
	s_lshr_b32 s2, s2, 22
	v_cndmask_b32_e32 v1, 0, v0, vcc_lo
	s_add_i32 s2, s3, s2
	s_and_b32 s2, s2, 0xfffffc00
	s_delay_alu instid0(VALU_DEP_1) | instskip(NEXT) | instid1(VALU_DEP_1)
	v_lshlrev_b32_e32 v1, 3, v1
	v_add_co_u32 v1, s0, s0, v1
	s_delay_alu instid0(VALU_DEP_1)
	v_add_co_ci_u32_e64 v2, null, s4, 0, s0
	v_cmpx_gt_i32_e64 s2, v0
	s_cbranch_execz .LBB333_18
; %bb.15:
	v_mad_u64_u32 v[3:4], null, s20, v0, 0
	v_dual_mov_b32 v9, v0 :: v_dual_mov_b32 v8, 0
	s_lshl_b64 s[4:5], s[20:21], 13
	s_mov_b32 s9, 0
	v_mov_b32_e32 v7, 0
	s_delay_alu instid0(VALU_DEP_3) | instskip(NEXT) | instid1(VALU_DEP_1)
	v_mad_u64_u32 v[5:6], null, s21, v0, v[4:5]
	v_mov_b32_e32 v4, v5
	s_delay_alu instid0(VALU_DEP_1) | instskip(SKIP_1) | instid1(VALU_DEP_2)
	v_lshlrev_b64 v[5:6], 3, v[3:4]
	v_dual_mov_b32 v4, v2 :: v_dual_mov_b32 v3, v1
	v_add_co_u32 v5, vcc_lo, s24, v5
	s_delay_alu instid0(VALU_DEP_3)
	v_add_co_ci_u32_e32 v6, vcc_lo, s25, v6, vcc_lo
	.p2align	6
.LBB333_16:                             ; =>This Inner Loop Header: Depth=1
	flat_load_b64 v[10:11], v[3:4]
	flat_load_b64 v[12:13], v[5:6]
	v_add_co_u32 v3, vcc_lo, 0x2000, v3
	v_add_co_ci_u32_e32 v4, vcc_lo, 0, v4, vcc_lo
	v_add_co_u32 v5, vcc_lo, v5, s4
	v_add_co_ci_u32_e32 v6, vcc_lo, s5, v6, vcc_lo
	s_waitcnt vmcnt(0) lgkmcnt(0)
	v_mul_f32_e32 v14, v11, v13
	s_delay_alu instid0(VALU_DEP_1) | instskip(SKIP_1) | instid1(VALU_DEP_2)
	v_dual_fmac_f32 v14, v10, v12 :: v_dual_add_nc_u32 v9, 0x400, v9
	v_mul_f32_e32 v11, v11, v12
	v_cmp_le_i32_e64 s0, s2, v9
	s_delay_alu instid0(VALU_DEP_3) | instskip(NEXT) | instid1(VALU_DEP_3)
	v_add_f32_e32 v8, v8, v14
	v_fma_f32 v10, v10, v13, -v11
	s_delay_alu instid0(VALU_DEP_3) | instskip(NEXT) | instid1(VALU_DEP_1)
	s_or_b32 s9, s0, s9
	v_add_f32_e32 v7, v7, v10
	s_and_not1_b32 exec_lo, exec_lo, s9
	s_cbranch_execnz .LBB333_16
; %bb.17:
	s_or_b32 exec_lo, exec_lo, s9
.LBB333_18:
	s_delay_alu instid0(SALU_CYCLE_1) | instskip(SKIP_2) | instid1(VALU_DEP_1)
	s_or_b32 exec_lo, exec_lo, s8
	v_or_b32_e32 v3, s2, v0
	s_mov_b32 s0, exec_lo
	v_cmpx_gt_i32_e64 s3, v3
	s_cbranch_execz .LBB333_20
; %bb.19:
	v_ashrrev_i32_e32 v6, 31, v3
	v_mul_lo_u32 v9, v3, s21
	v_mad_u64_u32 v[4:5], null, v3, s20, 0
	s_ashr_i32 s3, s2, 31
	s_delay_alu instid0(VALU_DEP_3) | instskip(SKIP_1) | instid1(SALU_CYCLE_1)
	v_mul_lo_u32 v3, v6, s20
	s_lshl_b64 s[2:3], s[2:3], 3
	v_add_co_u32 v1, vcc_lo, v1, s2
	v_add_co_ci_u32_e32 v2, vcc_lo, s3, v2, vcc_lo
	s_delay_alu instid0(VALU_DEP_3) | instskip(NEXT) | instid1(VALU_DEP_1)
	v_add3_u32 v5, v5, v9, v3
	v_lshlrev_b64 v[3:4], 3, v[4:5]
	s_delay_alu instid0(VALU_DEP_1) | instskip(NEXT) | instid1(VALU_DEP_2)
	v_add_co_u32 v3, vcc_lo, s24, v3
	v_add_co_ci_u32_e32 v4, vcc_lo, s25, v4, vcc_lo
	flat_load_b64 v[1:2], v[1:2]
	flat_load_b64 v[3:4], v[3:4]
	s_waitcnt vmcnt(0) lgkmcnt(0)
	v_mul_f32_e32 v5, v2, v4
	v_mul_f32_e32 v2, v2, v3
	s_delay_alu instid0(VALU_DEP_2) | instskip(NEXT) | instid1(VALU_DEP_2)
	v_fmac_f32_e32 v5, v1, v3
	v_fma_f32 v1, v1, v4, -v2
	s_delay_alu instid0(VALU_DEP_2) | instskip(NEXT) | instid1(VALU_DEP_2)
	v_add_f32_e32 v8, v8, v5
	v_add_f32_e32 v7, v7, v1
.LBB333_20:
	s_or_b32 exec_lo, exec_lo, s0
	v_and_b32_e32 v1, 31, v0
	v_cmp_gt_u32_e32 vcc_lo, 32, v0
	s_delay_alu instid0(VALU_DEP_2)
	v_lshlrev_b32_e32 v3, 3, v1
	s_and_saveexec_b32 s0, vcc_lo
	s_cbranch_execz .LBB333_22
; %bb.21:
	v_mov_b32_e32 v4, 0
	s_delay_alu instid0(VALU_DEP_1)
	v_mov_b32_e32 v5, v4
	ds_store_b64 v3, v[4:5]
.LBB333_22:
	s_or_b32 exec_lo, exec_lo, s0
	v_mbcnt_lo_u32_b32 v2, -1, 0
	s_mov_b32 s2, exec_lo
	s_waitcnt lgkmcnt(0)
	s_waitcnt_vscnt null, 0x0
	s_barrier
	buffer_gl0_inv
	v_cmp_gt_u32_e64 s0, 16, v2
	s_delay_alu instid0(VALU_DEP_1) | instskip(SKIP_1) | instid1(VALU_DEP_2)
	v_cndmask_b32_e64 v4, 0, 1, s0
	v_cmp_gt_u32_e64 s0, 24, v2
	v_lshlrev_b32_e32 v4, 4, v4
	s_delay_alu instid0(VALU_DEP_2) | instskip(SKIP_1) | instid1(VALU_DEP_3)
	v_cndmask_b32_e64 v5, 0, 1, s0
	v_cmp_gt_u32_e64 s0, 28, v2
	v_add_lshl_u32 v4, v4, v2, 2
	ds_bpermute_b32 v6, v4, v8
	ds_bpermute_b32 v9, v4, v7
	s_waitcnt lgkmcnt(1)
	v_dual_add_f32 v8, v8, v6 :: v_dual_lshlrev_b32 v5, 3, v5
	s_delay_alu instid0(VALU_DEP_1)
	v_add_lshl_u32 v5, v5, v2, 2
	s_waitcnt lgkmcnt(0)
	v_add_f32_e32 v7, v7, v9
	v_cndmask_b32_e64 v6, 0, 1, s0
	v_cmp_gt_u32_e64 s0, 30, v2
	ds_bpermute_b32 v9, v5, v8
	ds_bpermute_b32 v10, v5, v7
	s_waitcnt lgkmcnt(0)
	v_dual_add_f32 v8, v8, v9 :: v_dual_add_f32 v9, v7, v10
	v_lshlrev_b32_e32 v6, 2, v6
	v_cndmask_b32_e64 v7, 0, 1, s0
	v_cmp_ne_u32_e64 s0, 31, v2
	s_delay_alu instid0(VALU_DEP_3) | instskip(SKIP_4) | instid1(VALU_DEP_1)
	v_add_lshl_u32 v6, v6, v2, 2
	ds_bpermute_b32 v10, v6, v8
	ds_bpermute_b32 v11, v6, v9
	s_waitcnt lgkmcnt(1)
	v_dual_add_f32 v10, v8, v10 :: v_dual_lshlrev_b32 v7, 1, v7
	v_add_lshl_u32 v7, v7, v2, 2
	s_waitcnt lgkmcnt(0)
	v_add_f32_e32 v9, v9, v11
	v_add_co_ci_u32_e64 v2, s0, 0, v2, s0
	ds_bpermute_b32 v11, v7, v10
	ds_bpermute_b32 v12, v7, v9
	v_lshlrev_b32_e32 v8, 2, v2
	s_waitcnt lgkmcnt(1)
	v_add_f32_e32 v2, v10, v11
	s_waitcnt lgkmcnt(0)
	v_add_f32_e32 v10, v9, v12
	ds_bpermute_b32 v9, v8, v2
	ds_bpermute_b32 v11, v8, v10
	v_cmpx_eq_u32_e32 0, v1
	s_cbranch_execz .LBB333_24
; %bb.23:
	v_lshrrev_b32_e32 v1, 2, v0
	s_waitcnt lgkmcnt(0)
	v_add_f32_e32 v10, v10, v11
	v_add_f32_e32 v9, v2, v9
	s_delay_alu instid0(VALU_DEP_3)
	v_and_b32_e32 v1, 0xf8, v1
	ds_store_b64 v1, v[9:10]
.LBB333_24:
	s_or_b32 exec_lo, exec_lo, s2
	v_dual_mov_b32 v2, 0 :: v_dual_mov_b32 v1, 0
	s_waitcnt lgkmcnt(0)
	s_barrier
	buffer_gl0_inv
	s_and_saveexec_b32 s0, vcc_lo
	s_cbranch_execz .LBB333_26
; %bb.25:
	ds_load_b64 v[1:2], v3
.LBB333_26:
	s_or_b32 exec_lo, exec_lo, s0
	s_and_saveexec_b32 s0, vcc_lo
	s_cbranch_execz .LBB333_28
; %bb.27:
	s_waitcnt lgkmcnt(0)
	ds_bpermute_b32 v3, v4, v1
	ds_bpermute_b32 v4, v4, v2
	s_waitcnt lgkmcnt(0)
	v_dual_add_f32 v1, v1, v3 :: v_dual_add_f32 v2, v2, v4
	ds_bpermute_b32 v3, v5, v1
	ds_bpermute_b32 v4, v5, v2
	s_waitcnt lgkmcnt(0)
	v_dual_add_f32 v1, v1, v3 :: v_dual_add_f32 v2, v2, v4
	;; [unrolled: 4-line block ×5, first 2 shown]
.LBB333_28:
	s_or_b32 exec_lo, exec_lo, s0
	s_delay_alu instid0(SALU_CYCLE_1)
	s_mov_b32 s0, exec_lo
	v_cmpx_eq_u32_e32 0, v0
	s_cbranch_execz .LBB333_32
; %bb.29:
	v_cmp_neq_f32_e64 s0, s12, 0
	v_cmp_neq_f32_e64 s2, s13, 0
	s_waitcnt lgkmcnt(0)
	v_mul_f32_e32 v0, s17, v2
	v_mul_f32_e32 v4, s16, v2
	s_mul_hi_u32 s3, s14, s18
	s_mul_i32 s1, s1, s18
	s_or_b32 s0, s0, s2
	s_mul_i32 s2, s14, s19
	v_fma_f32 v3, v1, s16, -v0
	v_fmac_f32_e32 v4, s17, v1
	s_add_i32 s2, s3, s2
	s_and_not1_b32 vcc_lo, exec_lo, s0
	s_add_i32 s1, s2, s1
	s_mul_i32 s0, s14, s18
	s_cbranch_vccnz .LBB333_31
; %bb.30:
	s_lshl_b64 s[2:3], s[0:1], 3
	v_mov_b32_e32 v0, 0
	s_add_u32 s2, s6, s2
	s_addc_u32 s3, s7, s3
	global_load_b64 v[0:1], v0, s[2:3]
	s_waitcnt vmcnt(0)
	v_mul_f32_e32 v2, s13, v1
	v_mul_f32_e32 v1, s12, v1
	s_delay_alu instid0(VALU_DEP_1) | instskip(NEXT) | instid1(VALU_DEP_3)
	v_fmac_f32_e32 v1, s13, v0
	v_fma_f32 v2, s12, v0, -v2
	s_delay_alu instid0(VALU_DEP_1)
	v_dual_add_f32 v4, v4, v1 :: v_dual_add_f32 v3, v3, v2
.LBB333_31:
	s_lshl_b64 s[0:1], s[0:1], 3
	v_mov_b32_e32 v0, 0
	s_add_u32 s0, s6, s0
	s_addc_u32 s1, s7, s1
	global_store_b64 v0, v[3:4], s[0:1]
.LBB333_32:
	s_nop 0
	s_sendmsg sendmsg(MSG_DEALLOC_VGPRS)
	s_endpgm
	.section	.rodata,"a",@progbits
	.p2align	6, 0x0
	.amdhsa_kernel _ZL32rocblas_gemvt_warp_reduce_kernelILb1ELi1024ElPK19rocblas_complex_numIfES3_KPS1_EviiT3_lPKT2_lT1_lS9_lSA_lS6_lPT4_lSA_li
		.amdhsa_group_segment_fixed_size 256
		.amdhsa_private_segment_fixed_size 0
		.amdhsa_kernarg_size 140
		.amdhsa_user_sgpr_count 14
		.amdhsa_user_sgpr_dispatch_ptr 0
		.amdhsa_user_sgpr_queue_ptr 0
		.amdhsa_user_sgpr_kernarg_segment_ptr 1
		.amdhsa_user_sgpr_dispatch_id 0
		.amdhsa_user_sgpr_private_segment_size 0
		.amdhsa_wavefront_size32 1
		.amdhsa_uses_dynamic_stack 0
		.amdhsa_enable_private_segment 0
		.amdhsa_system_sgpr_workgroup_id_x 1
		.amdhsa_system_sgpr_workgroup_id_y 0
		.amdhsa_system_sgpr_workgroup_id_z 1
		.amdhsa_system_sgpr_workgroup_info 0
		.amdhsa_system_vgpr_workitem_id 0
		.amdhsa_next_free_vgpr 15
		.amdhsa_next_free_sgpr 31
		.amdhsa_reserve_vcc 1
		.amdhsa_float_round_mode_32 0
		.amdhsa_float_round_mode_16_64 0
		.amdhsa_float_denorm_mode_32 3
		.amdhsa_float_denorm_mode_16_64 3
		.amdhsa_dx10_clamp 1
		.amdhsa_ieee_mode 1
		.amdhsa_fp16_overflow 0
		.amdhsa_workgroup_processor_mode 1
		.amdhsa_memory_ordered 1
		.amdhsa_forward_progress 0
		.amdhsa_shared_vgpr_count 0
		.amdhsa_exception_fp_ieee_invalid_op 0
		.amdhsa_exception_fp_denorm_src 0
		.amdhsa_exception_fp_ieee_div_zero 0
		.amdhsa_exception_fp_ieee_overflow 0
		.amdhsa_exception_fp_ieee_underflow 0
		.amdhsa_exception_fp_ieee_inexact 0
		.amdhsa_exception_int_div_zero 0
	.end_amdhsa_kernel
	.section	.text._ZL32rocblas_gemvt_warp_reduce_kernelILb1ELi1024ElPK19rocblas_complex_numIfES3_KPS1_EviiT3_lPKT2_lT1_lS9_lSA_lS6_lPT4_lSA_li,"axG",@progbits,_ZL32rocblas_gemvt_warp_reduce_kernelILb1ELi1024ElPK19rocblas_complex_numIfES3_KPS1_EviiT3_lPKT2_lT1_lS9_lSA_lS6_lPT4_lSA_li,comdat
.Lfunc_end333:
	.size	_ZL32rocblas_gemvt_warp_reduce_kernelILb1ELi1024ElPK19rocblas_complex_numIfES3_KPS1_EviiT3_lPKT2_lT1_lS9_lSA_lS6_lPT4_lSA_li, .Lfunc_end333-_ZL32rocblas_gemvt_warp_reduce_kernelILb1ELi1024ElPK19rocblas_complex_numIfES3_KPS1_EviiT3_lPKT2_lT1_lS9_lSA_lS6_lPT4_lSA_li
                                        ; -- End function
	.section	.AMDGPU.csdata,"",@progbits
; Kernel info:
; codeLenInByte = 1928
; NumSgprs: 33
; NumVgprs: 15
; ScratchSize: 0
; MemoryBound: 0
; FloatMode: 240
; IeeeMode: 1
; LDSByteSize: 256 bytes/workgroup (compile time only)
; SGPRBlocks: 4
; VGPRBlocks: 1
; NumSGPRsForWavesPerEU: 33
; NumVGPRsForWavesPerEU: 15
; Occupancy: 16
; WaveLimiterHint : 1
; COMPUTE_PGM_RSRC2:SCRATCH_EN: 0
; COMPUTE_PGM_RSRC2:USER_SGPR: 14
; COMPUTE_PGM_RSRC2:TRAP_HANDLER: 0
; COMPUTE_PGM_RSRC2:TGID_X_EN: 1
; COMPUTE_PGM_RSRC2:TGID_Y_EN: 0
; COMPUTE_PGM_RSRC2:TGID_Z_EN: 1
; COMPUTE_PGM_RSRC2:TIDIG_COMP_CNT: 0
	.section	.text._ZL32rocblas_gemvt_warp_reduce_kernelILb1ELi1024EiPK19rocblas_complex_numIfES1_KPS1_EviiT3_lPKT2_lT1_lS9_lSA_lS6_lPT4_lSA_li,"axG",@progbits,_ZL32rocblas_gemvt_warp_reduce_kernelILb1ELi1024EiPK19rocblas_complex_numIfES1_KPS1_EviiT3_lPKT2_lT1_lS9_lSA_lS6_lPT4_lSA_li,comdat
	.globl	_ZL32rocblas_gemvt_warp_reduce_kernelILb1ELi1024EiPK19rocblas_complex_numIfES1_KPS1_EviiT3_lPKT2_lT1_lS9_lSA_lS6_lPT4_lSA_li ; -- Begin function _ZL32rocblas_gemvt_warp_reduce_kernelILb1ELi1024EiPK19rocblas_complex_numIfES1_KPS1_EviiT3_lPKT2_lT1_lS9_lSA_lS6_lPT4_lSA_li
	.p2align	8
	.type	_ZL32rocblas_gemvt_warp_reduce_kernelILb1ELi1024EiPK19rocblas_complex_numIfES1_KPS1_EviiT3_lPKT2_lT1_lS9_lSA_lS6_lPT4_lSA_li,@function
_ZL32rocblas_gemvt_warp_reduce_kernelILb1ELi1024EiPK19rocblas_complex_numIfES1_KPS1_EviiT3_lPKT2_lT1_lS9_lSA_lS6_lPT4_lSA_li: ; @_ZL32rocblas_gemvt_warp_reduce_kernelILb1ELi1024EiPK19rocblas_complex_numIfES1_KPS1_EviiT3_lPKT2_lT1_lS9_lSA_lS6_lPT4_lSA_li
; %bb.0:
	s_clause 0x1
	s_load_b64 s[6:7], s[0:1], 0x8
	s_load_b64 s[4:5], s[0:1], 0x58
	s_mov_b32 s2, s15
	s_waitcnt lgkmcnt(0)
	v_cmp_neq_f32_e64 s3, s6, 0
	v_cmp_neq_f32_e64 s8, s7, 0
	s_delay_alu instid0(VALU_DEP_1) | instskip(NEXT) | instid1(SALU_CYCLE_1)
	s_or_b32 s3, s3, s8
	s_and_b32 vcc_lo, exec_lo, s3
	s_mov_b32 s3, -1
	s_cbranch_vccnz .LBB334_2
; %bb.1:
	v_cmp_neq_f32_e64 s3, s4, 1.0
	v_cmp_neq_f32_e64 s8, s5, 0
	s_delay_alu instid0(VALU_DEP_1)
	s_or_b32 s3, s3, s8
.LBB334_2:
	s_delay_alu instid0(SALU_CYCLE_1)
	s_and_not1_b32 vcc_lo, exec_lo, s3
	s_cbranch_vccnz .LBB334_34
; %bb.3:
	s_or_b32 s3, s6, s7
	s_delay_alu instid0(SALU_CYCLE_1) | instskip(NEXT) | instid1(SALU_CYCLE_1)
	s_bitset0_b32 s3, 31
	s_cmp_lg_u32 s3, 0
	s_cselect_b32 s8, -1, 0
	s_cmp_eq_u32 s3, 0
	s_mov_b32 s3, 0
	s_cselect_b32 s16, -1, 0
	s_and_b32 vcc_lo, exec_lo, s8
	s_cbranch_vccnz .LBB334_5
; %bb.4:
	s_mov_b64 s[10:11], 0
	s_and_not1_b32 vcc_lo, exec_lo, s3
	s_cbranch_vccz .LBB334_6
	s_branch .LBB334_7
.LBB334_5:
	s_mov_b32 s3, -1
                                        ; implicit-def: $sgpr10_sgpr11
.LBB334_6:
	s_load_b128 s[20:23], s[0:1], 0x18
	s_mov_b32 s3, 0
	s_delay_alu instid0(SALU_CYCLE_1)
	s_lshl_b64 s[10:11], s[2:3], 3
	s_waitcnt lgkmcnt(0)
	s_add_u32 s10, s20, s10
	s_addc_u32 s11, s21, s11
	s_lshl_b64 s[12:13], s[22:23], 3
	s_load_b64 s[10:11], s[10:11], 0x0
	s_waitcnt lgkmcnt(0)
	s_add_u32 s10, s10, s12
	s_addc_u32 s11, s11, s13
.LBB334_7:
	s_and_not1_b32 vcc_lo, exec_lo, s8
	s_mov_b64 s[8:9], 0
	s_cbranch_vccnz .LBB334_9
; %bb.8:
	s_load_b128 s[20:23], s[0:1], 0x38
	s_lshl_b64 s[8:9], s[2:3], 3
	s_waitcnt lgkmcnt(0)
	s_add_u32 s8, s20, s8
	s_addc_u32 s9, s21, s9
	s_lshl_b64 s[12:13], s[22:23], 3
	s_load_b64 s[8:9], s[8:9], 0x0
	s_waitcnt lgkmcnt(0)
	s_add_u32 s8, s8, s12
	s_addc_u32 s9, s9, s13
.LBB334_9:
	s_clause 0x1
	s_load_b128 s[20:23], s[0:1], 0x68
	s_load_b32 s15, s[0:1], 0x78
	s_lshl_b64 s[2:3], s[2:3], 3
	s_waitcnt lgkmcnt(0)
	s_add_u32 s2, s20, s2
	s_addc_u32 s3, s21, s3
	s_lshl_b64 s[18:19], s[22:23], 3
	s_load_b64 s[12:13], s[2:3], 0x0
	v_cmp_eq_u32_e64 s2, 0, v0
	s_waitcnt lgkmcnt(0)
	s_add_u32 s12, s12, s18
	s_addc_u32 s13, s13, s19
	s_and_not1_b32 vcc_lo, exec_lo, s16
	s_mov_b32 s16, -1
	s_cbranch_vccnz .LBB334_15
; %bb.10:
	s_mov_b32 s16, 0
	s_and_saveexec_b32 s17, s2
	s_cbranch_execz .LBB334_14
; %bb.11:
	v_cmp_neq_f32_e64 s2, s4, 0
	v_cmp_neq_f32_e64 s3, s5, 0
	v_dual_mov_b32 v3, 0 :: v_dual_mov_b32 v2, 0
	v_mov_b32_e32 v1, 0
	s_delay_alu instid0(VALU_DEP_3)
	s_or_b32 s3, s2, s3
	s_mul_i32 s2, s14, s15
	s_and_not1_b32 vcc_lo, exec_lo, s3
	s_ashr_i32 s3, s2, 31
	s_cbranch_vccnz .LBB334_13
; %bb.12:
	s_lshl_b64 s[18:19], s[2:3], 3
	s_delay_alu instid0(SALU_CYCLE_1)
	s_add_u32 s18, s12, s18
	s_addc_u32 s19, s13, s19
	s_load_b64 s[18:19], s[18:19], 0x0
	s_waitcnt lgkmcnt(0)
	v_mul_f32_e64 v1, s5, s19
	v_mul_f32_e64 v2, s4, s19
	s_delay_alu instid0(VALU_DEP_2) | instskip(NEXT) | instid1(VALU_DEP_2)
	v_fma_f32 v1, s4, s18, -v1
	v_fmac_f32_e64 v2, s5, s18
.LBB334_13:
	s_lshl_b64 s[2:3], s[2:3], 3
	s_delay_alu instid0(SALU_CYCLE_1)
	s_add_u32 s2, s12, s2
	s_addc_u32 s3, s13, s3
	global_store_b64 v3, v[1:2], s[2:3]
.LBB334_14:
	s_or_b32 exec_lo, exec_lo, s17
.LBB334_15:
	s_delay_alu instid0(SALU_CYCLE_1)
	s_and_not1_b32 vcc_lo, exec_lo, s16
	s_cbranch_vccnz .LBB334_34
; %bb.16:
	s_clause 0x2
	s_load_b32 s3, s[0:1], 0x28
	s_load_b32 s2, s[0:1], 0x0
	s_load_b32 s1, s[0:1], 0x48
	v_dual_mov_b32 v7, 0 :: v_dual_mov_b32 v8, 0
	s_waitcnt lgkmcnt(0)
	s_mul_i32 s16, s14, s3
	v_cmp_gt_i32_e32 vcc_lo, s2, v0
	s_ashr_i32 s17, s16, 31
	s_delay_alu instid0(SALU_CYCLE_1) | instskip(SKIP_4) | instid1(SALU_CYCLE_1)
	s_lshl_b64 s[16:17], s[16:17], 3
	v_cndmask_b32_e32 v1, 0, v0, vcc_lo
	s_add_u32 s3, s16, s10
	s_addc_u32 s10, s17, s11
	s_ashr_i32 s0, s2, 31
	s_lshr_b32 s0, s0, 22
	v_lshlrev_b32_e32 v1, 3, v1
	s_add_i32 s0, s2, s0
	s_delay_alu instid0(SALU_CYCLE_1) | instskip(NEXT) | instid1(VALU_DEP_1)
	s_and_b32 s0, s0, 0xfffffc00
	v_add_co_u32 v1, s3, s3, v1
	s_delay_alu instid0(VALU_DEP_1)
	v_add_co_ci_u32_e64 v2, null, s10, 0, s3
	s_mov_b32 s3, exec_lo
	v_cmpx_gt_i32_e64 s0, v0
	s_cbranch_execz .LBB334_20
; %bb.17:
	v_mul_lo_u32 v3, v0, s1
	v_dual_mov_b32 v7, 0 :: v_dual_mov_b32 v6, v2
	v_dual_mov_b32 v5, v1 :: v_dual_mov_b32 v8, 0
	v_mov_b32_e32 v9, v0
	s_lshl_b32 s11, s1, 10
	s_mov_b32 s10, 0
	.p2align	6
.LBB334_18:                             ; =>This Inner Loop Header: Depth=1
	s_delay_alu instid0(VALU_DEP_4) | instskip(NEXT) | instid1(VALU_DEP_1)
	v_ashrrev_i32_e32 v4, 31, v3
	v_lshlrev_b64 v[10:11], 3, v[3:4]
	v_add_nc_u32_e32 v3, s11, v3
	s_delay_alu instid0(VALU_DEP_2) | instskip(NEXT) | instid1(VALU_DEP_3)
	v_add_co_u32 v10, vcc_lo, s8, v10
	v_add_co_ci_u32_e32 v11, vcc_lo, s9, v11, vcc_lo
	flat_load_b64 v[12:13], v[5:6]
	flat_load_b64 v[10:11], v[10:11]
	v_add_nc_u32_e32 v9, 0x400, v9
	v_add_co_u32 v5, vcc_lo, 0x2000, v5
	v_add_co_ci_u32_e32 v6, vcc_lo, 0, v6, vcc_lo
	s_waitcnt vmcnt(0) lgkmcnt(0)
	v_mul_f32_e32 v4, v13, v11
	v_cmp_le_i32_e32 vcc_lo, s0, v9
	s_delay_alu instid0(VALU_DEP_2) | instskip(SKIP_2) | instid1(VALU_DEP_2)
	v_fmac_f32_e32 v4, v12, v10
	v_mul_f32_e32 v13, v13, v10
	s_or_b32 s10, vcc_lo, s10
	v_add_f32_e32 v8, v8, v4
	s_delay_alu instid0(VALU_DEP_2) | instskip(NEXT) | instid1(VALU_DEP_1)
	v_fma_f32 v10, v12, v11, -v13
	v_add_f32_e32 v7, v7, v10
	s_and_not1_b32 exec_lo, exec_lo, s10
	s_cbranch_execnz .LBB334_18
; %bb.19:
	s_or_b32 exec_lo, exec_lo, s10
.LBB334_20:
	s_delay_alu instid0(SALU_CYCLE_1) | instskip(SKIP_1) | instid1(VALU_DEP_1)
	s_or_b32 exec_lo, exec_lo, s3
	v_or_b32_e32 v3, s0, v0
	v_cmp_gt_i32_e32 vcc_lo, s2, v3
	s_and_saveexec_b32 s2, vcc_lo
	s_cbranch_execz .LBB334_22
; %bb.21:
	v_mul_lo_u32 v3, v3, s1
	s_ashr_i32 s1, s0, 31
	s_delay_alu instid0(SALU_CYCLE_1) | instskip(NEXT) | instid1(SALU_CYCLE_1)
	s_lshl_b64 s[0:1], s[0:1], 3
	v_add_co_u32 v1, vcc_lo, v1, s0
	v_add_co_ci_u32_e32 v2, vcc_lo, s1, v2, vcc_lo
	s_delay_alu instid0(VALU_DEP_3) | instskip(NEXT) | instid1(VALU_DEP_1)
	v_ashrrev_i32_e32 v4, 31, v3
	v_lshlrev_b64 v[3:4], 3, v[3:4]
	s_delay_alu instid0(VALU_DEP_1) | instskip(NEXT) | instid1(VALU_DEP_2)
	v_add_co_u32 v3, vcc_lo, s8, v3
	v_add_co_ci_u32_e32 v4, vcc_lo, s9, v4, vcc_lo
	flat_load_b64 v[1:2], v[1:2]
	flat_load_b64 v[3:4], v[3:4]
	s_waitcnt vmcnt(0) lgkmcnt(0)
	v_mul_f32_e32 v5, v2, v4
	v_mul_f32_e32 v2, v2, v3
	s_delay_alu instid0(VALU_DEP_2) | instskip(NEXT) | instid1(VALU_DEP_2)
	v_fmac_f32_e32 v5, v1, v3
	v_fma_f32 v1, v1, v4, -v2
	s_delay_alu instid0(VALU_DEP_2) | instskip(NEXT) | instid1(VALU_DEP_2)
	v_add_f32_e32 v8, v8, v5
	v_add_f32_e32 v7, v7, v1
.LBB334_22:
	s_or_b32 exec_lo, exec_lo, s2
	v_and_b32_e32 v1, 31, v0
	v_cmp_gt_u32_e32 vcc_lo, 32, v0
	s_delay_alu instid0(VALU_DEP_2)
	v_lshlrev_b32_e32 v3, 3, v1
	s_and_saveexec_b32 s0, vcc_lo
	s_cbranch_execz .LBB334_24
; %bb.23:
	v_mov_b32_e32 v4, 0
	s_delay_alu instid0(VALU_DEP_1)
	v_mov_b32_e32 v5, v4
	ds_store_b64 v3, v[4:5]
.LBB334_24:
	s_or_b32 exec_lo, exec_lo, s0
	v_mbcnt_lo_u32_b32 v2, -1, 0
	s_mov_b32 s1, exec_lo
	s_waitcnt lgkmcnt(0)
	s_waitcnt_vscnt null, 0x0
	s_barrier
	buffer_gl0_inv
	v_cmp_gt_u32_e64 s0, 16, v2
	s_delay_alu instid0(VALU_DEP_1) | instskip(SKIP_1) | instid1(VALU_DEP_2)
	v_cndmask_b32_e64 v4, 0, 1, s0
	v_cmp_gt_u32_e64 s0, 24, v2
	v_lshlrev_b32_e32 v4, 4, v4
	s_delay_alu instid0(VALU_DEP_2) | instskip(SKIP_1) | instid1(VALU_DEP_3)
	v_cndmask_b32_e64 v5, 0, 1, s0
	v_cmp_gt_u32_e64 s0, 28, v2
	v_add_lshl_u32 v4, v4, v2, 2
	ds_bpermute_b32 v6, v4, v8
	ds_bpermute_b32 v9, v4, v7
	s_waitcnt lgkmcnt(1)
	v_dual_add_f32 v8, v8, v6 :: v_dual_lshlrev_b32 v5, 3, v5
	s_delay_alu instid0(VALU_DEP_1)
	v_add_lshl_u32 v5, v5, v2, 2
	s_waitcnt lgkmcnt(0)
	v_add_f32_e32 v7, v7, v9
	v_cndmask_b32_e64 v6, 0, 1, s0
	v_cmp_gt_u32_e64 s0, 30, v2
	ds_bpermute_b32 v9, v5, v8
	ds_bpermute_b32 v10, v5, v7
	s_waitcnt lgkmcnt(0)
	v_dual_add_f32 v8, v8, v9 :: v_dual_add_f32 v9, v7, v10
	v_lshlrev_b32_e32 v6, 2, v6
	v_cndmask_b32_e64 v7, 0, 1, s0
	v_cmp_ne_u32_e64 s0, 31, v2
	s_delay_alu instid0(VALU_DEP_3) | instskip(SKIP_4) | instid1(VALU_DEP_1)
	v_add_lshl_u32 v6, v6, v2, 2
	ds_bpermute_b32 v10, v6, v8
	ds_bpermute_b32 v11, v6, v9
	s_waitcnt lgkmcnt(1)
	v_dual_add_f32 v10, v8, v10 :: v_dual_lshlrev_b32 v7, 1, v7
	v_add_lshl_u32 v7, v7, v2, 2
	s_waitcnt lgkmcnt(0)
	v_add_f32_e32 v9, v9, v11
	v_add_co_ci_u32_e64 v2, s0, 0, v2, s0
	ds_bpermute_b32 v11, v7, v10
	ds_bpermute_b32 v12, v7, v9
	v_lshlrev_b32_e32 v8, 2, v2
	s_waitcnt lgkmcnt(1)
	v_add_f32_e32 v2, v10, v11
	s_waitcnt lgkmcnt(0)
	v_add_f32_e32 v10, v9, v12
	ds_bpermute_b32 v9, v8, v2
	ds_bpermute_b32 v11, v8, v10
	v_cmpx_eq_u32_e32 0, v1
	s_cbranch_execz .LBB334_26
; %bb.25:
	v_lshrrev_b32_e32 v1, 2, v0
	s_waitcnt lgkmcnt(0)
	v_add_f32_e32 v10, v10, v11
	v_add_f32_e32 v9, v2, v9
	s_delay_alu instid0(VALU_DEP_3)
	v_and_b32_e32 v1, 0xf8, v1
	ds_store_b64 v1, v[9:10]
.LBB334_26:
	s_or_b32 exec_lo, exec_lo, s1
	v_dual_mov_b32 v2, 0 :: v_dual_mov_b32 v1, 0
	s_waitcnt lgkmcnt(0)
	s_barrier
	buffer_gl0_inv
	s_and_saveexec_b32 s0, vcc_lo
	s_cbranch_execz .LBB334_28
; %bb.27:
	ds_load_b64 v[1:2], v3
.LBB334_28:
	s_or_b32 exec_lo, exec_lo, s0
	s_and_saveexec_b32 s0, vcc_lo
	s_cbranch_execz .LBB334_30
; %bb.29:
	s_waitcnt lgkmcnt(0)
	ds_bpermute_b32 v3, v4, v1
	ds_bpermute_b32 v4, v4, v2
	s_waitcnt lgkmcnt(0)
	v_dual_add_f32 v1, v1, v3 :: v_dual_add_f32 v2, v2, v4
	ds_bpermute_b32 v3, v5, v1
	ds_bpermute_b32 v4, v5, v2
	s_waitcnt lgkmcnt(0)
	v_dual_add_f32 v1, v1, v3 :: v_dual_add_f32 v2, v2, v4
	;; [unrolled: 4-line block ×5, first 2 shown]
.LBB334_30:
	s_or_b32 exec_lo, exec_lo, s0
	s_delay_alu instid0(SALU_CYCLE_1)
	s_mov_b32 s0, exec_lo
	v_cmpx_eq_u32_e32 0, v0
	s_cbranch_execz .LBB334_34
; %bb.31:
	s_waitcnt lgkmcnt(0)
	v_mul_f32_e32 v3, s6, v2
	v_mul_f32_e32 v0, s7, v2
	v_cmp_neq_f32_e64 s0, s4, 0
	v_cmp_neq_f32_e64 s1, s5, 0
	s_delay_alu instid0(VALU_DEP_4) | instskip(NEXT) | instid1(VALU_DEP_4)
	v_fmac_f32_e32 v3, s7, v1
	v_fma_f32 v2, v1, s6, -v0
	s_delay_alu instid0(VALU_DEP_3)
	s_or_b32 s1, s0, s1
	s_mul_i32 s0, s14, s15
	s_and_not1_b32 vcc_lo, exec_lo, s1
	s_ashr_i32 s1, s0, 31
	s_cbranch_vccnz .LBB334_33
; %bb.32:
	s_lshl_b64 s[2:3], s[0:1], 3
	v_mov_b32_e32 v0, 0
	s_add_u32 s2, s12, s2
	s_addc_u32 s3, s13, s3
	global_load_b64 v[0:1], v0, s[2:3]
	s_waitcnt vmcnt(0)
	v_mul_f32_e32 v4, s5, v1
	v_mul_f32_e32 v1, s4, v1
	s_delay_alu instid0(VALU_DEP_1) | instskip(NEXT) | instid1(VALU_DEP_3)
	v_fmac_f32_e32 v1, s5, v0
	v_fma_f32 v4, s4, v0, -v4
	s_delay_alu instid0(VALU_DEP_1)
	v_dual_add_f32 v3, v3, v1 :: v_dual_add_f32 v2, v2, v4
.LBB334_33:
	s_lshl_b64 s[0:1], s[0:1], 3
	v_mov_b32_e32 v0, 0
	s_add_u32 s0, s12, s0
	s_addc_u32 s1, s13, s1
	global_store_b64 v0, v[2:3], s[0:1]
.LBB334_34:
	s_nop 0
	s_sendmsg sendmsg(MSG_DEALLOC_VGPRS)
	s_endpgm
	.section	.rodata,"a",@progbits
	.p2align	6, 0x0
	.amdhsa_kernel _ZL32rocblas_gemvt_warp_reduce_kernelILb1ELi1024EiPK19rocblas_complex_numIfES1_KPS1_EviiT3_lPKT2_lT1_lS9_lSA_lS6_lPT4_lSA_li
		.amdhsa_group_segment_fixed_size 256
		.amdhsa_private_segment_fixed_size 0
		.amdhsa_kernarg_size 140
		.amdhsa_user_sgpr_count 14
		.amdhsa_user_sgpr_dispatch_ptr 0
		.amdhsa_user_sgpr_queue_ptr 0
		.amdhsa_user_sgpr_kernarg_segment_ptr 1
		.amdhsa_user_sgpr_dispatch_id 0
		.amdhsa_user_sgpr_private_segment_size 0
		.amdhsa_wavefront_size32 1
		.amdhsa_uses_dynamic_stack 0
		.amdhsa_enable_private_segment 0
		.amdhsa_system_sgpr_workgroup_id_x 1
		.amdhsa_system_sgpr_workgroup_id_y 0
		.amdhsa_system_sgpr_workgroup_id_z 1
		.amdhsa_system_sgpr_workgroup_info 0
		.amdhsa_system_vgpr_workitem_id 0
		.amdhsa_next_free_vgpr 14
		.amdhsa_next_free_sgpr 24
		.amdhsa_reserve_vcc 1
		.amdhsa_float_round_mode_32 0
		.amdhsa_float_round_mode_16_64 0
		.amdhsa_float_denorm_mode_32 3
		.amdhsa_float_denorm_mode_16_64 3
		.amdhsa_dx10_clamp 1
		.amdhsa_ieee_mode 1
		.amdhsa_fp16_overflow 0
		.amdhsa_workgroup_processor_mode 1
		.amdhsa_memory_ordered 1
		.amdhsa_forward_progress 0
		.amdhsa_shared_vgpr_count 0
		.amdhsa_exception_fp_ieee_invalid_op 0
		.amdhsa_exception_fp_denorm_src 0
		.amdhsa_exception_fp_ieee_div_zero 0
		.amdhsa_exception_fp_ieee_overflow 0
		.amdhsa_exception_fp_ieee_underflow 0
		.amdhsa_exception_fp_ieee_inexact 0
		.amdhsa_exception_int_div_zero 0
	.end_amdhsa_kernel
	.section	.text._ZL32rocblas_gemvt_warp_reduce_kernelILb1ELi1024EiPK19rocblas_complex_numIfES1_KPS1_EviiT3_lPKT2_lT1_lS9_lSA_lS6_lPT4_lSA_li,"axG",@progbits,_ZL32rocblas_gemvt_warp_reduce_kernelILb1ELi1024EiPK19rocblas_complex_numIfES1_KPS1_EviiT3_lPKT2_lT1_lS9_lSA_lS6_lPT4_lSA_li,comdat
.Lfunc_end334:
	.size	_ZL32rocblas_gemvt_warp_reduce_kernelILb1ELi1024EiPK19rocblas_complex_numIfES1_KPS1_EviiT3_lPKT2_lT1_lS9_lSA_lS6_lPT4_lSA_li, .Lfunc_end334-_ZL32rocblas_gemvt_warp_reduce_kernelILb1ELi1024EiPK19rocblas_complex_numIfES1_KPS1_EviiT3_lPKT2_lT1_lS9_lSA_lS6_lPT4_lSA_li
                                        ; -- End function
	.section	.AMDGPU.csdata,"",@progbits
; Kernel info:
; codeLenInByte = 1780
; NumSgprs: 26
; NumVgprs: 14
; ScratchSize: 0
; MemoryBound: 0
; FloatMode: 240
; IeeeMode: 1
; LDSByteSize: 256 bytes/workgroup (compile time only)
; SGPRBlocks: 3
; VGPRBlocks: 1
; NumSGPRsForWavesPerEU: 26
; NumVGPRsForWavesPerEU: 14
; Occupancy: 16
; WaveLimiterHint : 1
; COMPUTE_PGM_RSRC2:SCRATCH_EN: 0
; COMPUTE_PGM_RSRC2:USER_SGPR: 14
; COMPUTE_PGM_RSRC2:TRAP_HANDLER: 0
; COMPUTE_PGM_RSRC2:TGID_X_EN: 1
; COMPUTE_PGM_RSRC2:TGID_Y_EN: 0
; COMPUTE_PGM_RSRC2:TGID_Z_EN: 1
; COMPUTE_PGM_RSRC2:TIDIG_COMP_CNT: 0
	.section	.text._ZL32rocblas_gemvt_warp_reduce_kernelILb1ELi1024ElPK19rocblas_complex_numIfES1_KPS1_EviiT3_lPKT2_lT1_lS9_lSA_lS6_lPT4_lSA_li,"axG",@progbits,_ZL32rocblas_gemvt_warp_reduce_kernelILb1ELi1024ElPK19rocblas_complex_numIfES1_KPS1_EviiT3_lPKT2_lT1_lS9_lSA_lS6_lPT4_lSA_li,comdat
	.globl	_ZL32rocblas_gemvt_warp_reduce_kernelILb1ELi1024ElPK19rocblas_complex_numIfES1_KPS1_EviiT3_lPKT2_lT1_lS9_lSA_lS6_lPT4_lSA_li ; -- Begin function _ZL32rocblas_gemvt_warp_reduce_kernelILb1ELi1024ElPK19rocblas_complex_numIfES1_KPS1_EviiT3_lPKT2_lT1_lS9_lSA_lS6_lPT4_lSA_li
	.p2align	8
	.type	_ZL32rocblas_gemvt_warp_reduce_kernelILb1ELi1024ElPK19rocblas_complex_numIfES1_KPS1_EviiT3_lPKT2_lT1_lS9_lSA_lS6_lPT4_lSA_li,@function
_ZL32rocblas_gemvt_warp_reduce_kernelILb1ELi1024ElPK19rocblas_complex_numIfES1_KPS1_EviiT3_lPKT2_lT1_lS9_lSA_lS6_lPT4_lSA_li: ; @_ZL32rocblas_gemvt_warp_reduce_kernelILb1ELi1024ElPK19rocblas_complex_numIfES1_KPS1_EviiT3_lPKT2_lT1_lS9_lSA_lS6_lPT4_lSA_li
; %bb.0:
	s_clause 0x1
	s_load_b64 s[10:11], s[0:1], 0x8
	s_load_b64 s[8:9], s[0:1], 0x58
	s_mov_b32 s2, s15
	s_waitcnt lgkmcnt(0)
	v_cmp_neq_f32_e64 s3, s10, 0
	v_cmp_neq_f32_e64 s4, s11, 0
	s_delay_alu instid0(VALU_DEP_1) | instskip(NEXT) | instid1(SALU_CYCLE_1)
	s_or_b32 s3, s3, s4
	s_and_b32 vcc_lo, exec_lo, s3
	s_mov_b32 s3, -1
	s_cbranch_vccnz .LBB335_2
; %bb.1:
	v_cmp_neq_f32_e64 s3, s8, 1.0
	v_cmp_neq_f32_e64 s4, s9, 0
	s_delay_alu instid0(VALU_DEP_1)
	s_or_b32 s3, s3, s4
.LBB335_2:
	s_delay_alu instid0(SALU_CYCLE_1)
	s_and_not1_b32 vcc_lo, exec_lo, s3
	s_cbranch_vccnz .LBB335_34
; %bb.3:
	s_clause 0x1
	s_load_b128 s[4:7], s[0:1], 0x18
	s_load_b64 s[18:19], s[0:1], 0x28
	s_or_b32 s3, s10, s11
	s_delay_alu instid0(SALU_CYCLE_1) | instskip(NEXT) | instid1(SALU_CYCLE_1)
	s_bitset0_b32 s3, 31
	s_cmp_lg_u32 s3, 0
	s_cselect_b32 s15, -1, 0
	s_cmp_eq_u32 s3, 0
	s_mov_b32 s3, 0
	s_cselect_b32 s23, -1, 0
	s_and_b32 vcc_lo, exec_lo, s15
	s_cbranch_vccnz .LBB335_5
; %bb.4:
	s_mov_b64 s[20:21], 0
	s_and_not1_b32 vcc_lo, exec_lo, s3
	s_cbranch_vccz .LBB335_6
	s_branch .LBB335_7
.LBB335_5:
	s_mov_b32 s3, -1
                                        ; implicit-def: $sgpr20_sgpr21
.LBB335_6:
	s_mov_b32 s3, 0
	s_delay_alu instid0(SALU_CYCLE_1)
	s_lshl_b64 s[12:13], s[2:3], 3
	s_waitcnt lgkmcnt(0)
	s_add_u32 s4, s4, s12
	s_addc_u32 s5, s5, s13
	s_lshl_b64 s[6:7], s[6:7], 3
	s_load_b64 s[4:5], s[4:5], 0x0
	s_waitcnt lgkmcnt(0)
	s_add_u32 s20, s4, s6
	s_addc_u32 s21, s5, s7
.LBB335_7:
	s_waitcnt lgkmcnt(0)
	s_clause 0x1
	s_load_b128 s[4:7], s[0:1], 0x38
	s_load_b64 s[12:13], s[0:1], 0x48
	s_and_not1_b32 vcc_lo, exec_lo, s15
	s_mov_b64 s[16:17], 0
	s_cbranch_vccnz .LBB335_9
; %bb.8:
	s_lshl_b64 s[16:17], s[2:3], 3
	s_waitcnt lgkmcnt(0)
	s_add_u32 s4, s4, s16
	s_addc_u32 s5, s5, s17
	s_lshl_b64 s[6:7], s[6:7], 3
	s_load_b64 s[4:5], s[4:5], 0x0
	s_waitcnt lgkmcnt(0)
	s_add_u32 s16, s4, s6
	s_addc_u32 s17, s5, s7
.LBB335_9:
	s_load_b128 s[24:27], s[0:1], 0x68
	s_waitcnt lgkmcnt(0)
	s_load_b64 s[4:5], s[0:1], 0x78
	s_lshl_b64 s[2:3], s[2:3], 3
	s_delay_alu instid0(SALU_CYCLE_1)
	s_add_u32 s2, s24, s2
	s_addc_u32 s3, s25, s3
	s_lshl_b64 s[24:25], s[26:27], 3
	s_load_b64 s[6:7], s[2:3], 0x0
	v_cmp_eq_u32_e64 s2, 0, v0
	s_waitcnt lgkmcnt(0)
	s_add_u32 s15, s6, s24
	s_addc_u32 s22, s7, s25
	s_and_not1_b32 vcc_lo, exec_lo, s23
	s_mov_b32 s6, -1
	s_cbranch_vccnz .LBB335_15
; %bb.10:
	s_mov_b32 s6, 0
	s_and_saveexec_b32 s7, s2
	s_cbranch_execz .LBB335_14
; %bb.11:
	v_cmp_neq_f32_e64 s2, s8, 0
	v_cmp_neq_f32_e64 s3, s9, 0
	s_mul_i32 s23, s14, s5
	s_ashr_i32 s24, s14, 31
	v_dual_mov_b32 v3, 0 :: v_dual_mov_b32 v2, 0
	s_delay_alu instid0(VALU_DEP_2)
	s_or_b32 s2, s2, s3
	s_mul_hi_u32 s3, s14, s4
	v_mov_b32_e32 v1, 0
	s_add_i32 s3, s3, s23
	s_mul_i32 s24, s24, s4
	s_and_not1_b32 vcc_lo, exec_lo, s2
	s_add_i32 s3, s3, s24
	s_mul_i32 s2, s14, s4
	s_cbranch_vccnz .LBB335_13
; %bb.12:
	s_lshl_b64 s[24:25], s[2:3], 3
	s_delay_alu instid0(SALU_CYCLE_1)
	s_add_u32 s24, s15, s24
	s_addc_u32 s25, s22, s25
	s_load_b64 s[24:25], s[24:25], 0x0
	s_waitcnt lgkmcnt(0)
	v_mul_f32_e64 v1, s9, s25
	v_mul_f32_e64 v2, s8, s25
	s_delay_alu instid0(VALU_DEP_2) | instskip(NEXT) | instid1(VALU_DEP_2)
	v_fma_f32 v1, s8, s24, -v1
	v_fmac_f32_e64 v2, s9, s24
.LBB335_13:
	s_lshl_b64 s[2:3], s[2:3], 3
	s_delay_alu instid0(SALU_CYCLE_1)
	s_add_u32 s2, s15, s2
	s_addc_u32 s3, s22, s3
	global_store_b64 v3, v[1:2], s[2:3]
.LBB335_14:
	s_or_b32 exec_lo, exec_lo, s7
.LBB335_15:
	s_delay_alu instid0(SALU_CYCLE_1)
	s_and_not1_b32 vcc_lo, exec_lo, s6
	s_cbranch_vccnz .LBB335_34
; %bb.16:
	s_load_b32 s3, s[0:1], 0x0
	s_mul_i32 s0, s14, s19
	s_mul_hi_u32 s2, s14, s18
	s_ashr_i32 s1, s14, 31
	s_add_i32 s0, s2, s0
	s_mul_i32 s2, s1, s18
	s_mul_i32 s6, s14, s18
	s_add_i32 s7, s0, s2
	v_mov_b32_e32 v7, 0
	s_lshl_b64 s[6:7], s[6:7], 3
	s_mov_b32 s18, exec_lo
	s_add_u32 s0, s6, s20
	s_addc_u32 s6, s7, s21
	v_mov_b32_e32 v8, 0
	s_waitcnt lgkmcnt(0)
	v_cmp_gt_i32_e32 vcc_lo, s3, v0
	s_ashr_i32 s2, s3, 31
	s_delay_alu instid0(SALU_CYCLE_1) | instskip(SKIP_2) | instid1(SALU_CYCLE_1)
	s_lshr_b32 s2, s2, 22
	v_cndmask_b32_e32 v1, 0, v0, vcc_lo
	s_add_i32 s2, s3, s2
	s_and_b32 s2, s2, 0xfffffc00
	s_delay_alu instid0(VALU_DEP_1) | instskip(NEXT) | instid1(VALU_DEP_1)
	v_lshlrev_b32_e32 v1, 3, v1
	v_add_co_u32 v1, s0, s0, v1
	s_delay_alu instid0(VALU_DEP_1)
	v_add_co_ci_u32_e64 v2, null, s6, 0, s0
	v_cmpx_gt_i32_e64 s2, v0
	s_cbranch_execz .LBB335_20
; %bb.17:
	v_mad_u64_u32 v[3:4], null, s12, v0, 0
	v_dual_mov_b32 v9, v0 :: v_dual_mov_b32 v8, 0
	s_lshl_b64 s[6:7], s[12:13], 13
	s_mov_b32 s19, 0
	v_mov_b32_e32 v7, 0
	s_delay_alu instid0(VALU_DEP_3) | instskip(NEXT) | instid1(VALU_DEP_1)
	v_mad_u64_u32 v[5:6], null, s13, v0, v[4:5]
	v_mov_b32_e32 v4, v5
	s_delay_alu instid0(VALU_DEP_1) | instskip(SKIP_1) | instid1(VALU_DEP_2)
	v_lshlrev_b64 v[5:6], 3, v[3:4]
	v_dual_mov_b32 v4, v2 :: v_dual_mov_b32 v3, v1
	v_add_co_u32 v5, vcc_lo, s16, v5
	s_delay_alu instid0(VALU_DEP_3)
	v_add_co_ci_u32_e32 v6, vcc_lo, s17, v6, vcc_lo
	.p2align	6
.LBB335_18:                             ; =>This Inner Loop Header: Depth=1
	flat_load_b64 v[10:11], v[3:4]
	flat_load_b64 v[12:13], v[5:6]
	v_add_co_u32 v3, vcc_lo, 0x2000, v3
	v_add_co_ci_u32_e32 v4, vcc_lo, 0, v4, vcc_lo
	v_add_co_u32 v5, vcc_lo, v5, s6
	v_add_co_ci_u32_e32 v6, vcc_lo, s7, v6, vcc_lo
	s_waitcnt vmcnt(0) lgkmcnt(0)
	v_mul_f32_e32 v14, v11, v13
	s_delay_alu instid0(VALU_DEP_1) | instskip(SKIP_1) | instid1(VALU_DEP_2)
	v_dual_fmac_f32 v14, v10, v12 :: v_dual_add_nc_u32 v9, 0x400, v9
	v_mul_f32_e32 v11, v11, v12
	v_cmp_le_i32_e64 s0, s2, v9
	s_delay_alu instid0(VALU_DEP_3) | instskip(NEXT) | instid1(VALU_DEP_3)
	v_add_f32_e32 v8, v8, v14
	v_fma_f32 v10, v10, v13, -v11
	s_delay_alu instid0(VALU_DEP_3) | instskip(NEXT) | instid1(VALU_DEP_1)
	s_or_b32 s19, s0, s19
	v_add_f32_e32 v7, v7, v10
	s_and_not1_b32 exec_lo, exec_lo, s19
	s_cbranch_execnz .LBB335_18
; %bb.19:
	s_or_b32 exec_lo, exec_lo, s19
.LBB335_20:
	s_delay_alu instid0(SALU_CYCLE_1) | instskip(SKIP_2) | instid1(VALU_DEP_1)
	s_or_b32 exec_lo, exec_lo, s18
	v_or_b32_e32 v3, s2, v0
	s_mov_b32 s0, exec_lo
	v_cmpx_gt_i32_e64 s3, v3
	s_cbranch_execz .LBB335_22
; %bb.21:
	v_ashrrev_i32_e32 v6, 31, v3
	v_mul_lo_u32 v9, v3, s13
	v_mad_u64_u32 v[4:5], null, v3, s12, 0
	s_ashr_i32 s3, s2, 31
	s_delay_alu instid0(VALU_DEP_3) | instskip(SKIP_1) | instid1(SALU_CYCLE_1)
	v_mul_lo_u32 v3, v6, s12
	s_lshl_b64 s[2:3], s[2:3], 3
	v_add_co_u32 v1, vcc_lo, v1, s2
	v_add_co_ci_u32_e32 v2, vcc_lo, s3, v2, vcc_lo
	s_delay_alu instid0(VALU_DEP_3) | instskip(NEXT) | instid1(VALU_DEP_1)
	v_add3_u32 v5, v5, v9, v3
	v_lshlrev_b64 v[3:4], 3, v[4:5]
	s_delay_alu instid0(VALU_DEP_1) | instskip(NEXT) | instid1(VALU_DEP_2)
	v_add_co_u32 v3, vcc_lo, s16, v3
	v_add_co_ci_u32_e32 v4, vcc_lo, s17, v4, vcc_lo
	flat_load_b64 v[1:2], v[1:2]
	flat_load_b64 v[3:4], v[3:4]
	s_waitcnt vmcnt(0) lgkmcnt(0)
	v_mul_f32_e32 v5, v2, v4
	v_mul_f32_e32 v2, v2, v3
	s_delay_alu instid0(VALU_DEP_2) | instskip(NEXT) | instid1(VALU_DEP_2)
	v_fmac_f32_e32 v5, v1, v3
	v_fma_f32 v1, v1, v4, -v2
	s_delay_alu instid0(VALU_DEP_2) | instskip(NEXT) | instid1(VALU_DEP_2)
	v_add_f32_e32 v8, v8, v5
	v_add_f32_e32 v7, v7, v1
.LBB335_22:
	s_or_b32 exec_lo, exec_lo, s0
	v_and_b32_e32 v1, 31, v0
	v_cmp_gt_u32_e32 vcc_lo, 32, v0
	s_delay_alu instid0(VALU_DEP_2)
	v_lshlrev_b32_e32 v3, 3, v1
	s_and_saveexec_b32 s0, vcc_lo
	s_cbranch_execz .LBB335_24
; %bb.23:
	v_mov_b32_e32 v4, 0
	s_delay_alu instid0(VALU_DEP_1)
	v_mov_b32_e32 v5, v4
	ds_store_b64 v3, v[4:5]
.LBB335_24:
	s_or_b32 exec_lo, exec_lo, s0
	v_mbcnt_lo_u32_b32 v2, -1, 0
	s_mov_b32 s2, exec_lo
	s_waitcnt lgkmcnt(0)
	s_waitcnt_vscnt null, 0x0
	s_barrier
	buffer_gl0_inv
	v_cmp_gt_u32_e64 s0, 16, v2
	s_delay_alu instid0(VALU_DEP_1) | instskip(SKIP_1) | instid1(VALU_DEP_2)
	v_cndmask_b32_e64 v4, 0, 1, s0
	v_cmp_gt_u32_e64 s0, 24, v2
	v_lshlrev_b32_e32 v4, 4, v4
	s_delay_alu instid0(VALU_DEP_2) | instskip(SKIP_1) | instid1(VALU_DEP_3)
	v_cndmask_b32_e64 v5, 0, 1, s0
	v_cmp_gt_u32_e64 s0, 28, v2
	v_add_lshl_u32 v4, v4, v2, 2
	ds_bpermute_b32 v6, v4, v8
	ds_bpermute_b32 v9, v4, v7
	s_waitcnt lgkmcnt(1)
	v_dual_add_f32 v8, v8, v6 :: v_dual_lshlrev_b32 v5, 3, v5
	s_delay_alu instid0(VALU_DEP_1)
	v_add_lshl_u32 v5, v5, v2, 2
	s_waitcnt lgkmcnt(0)
	v_add_f32_e32 v7, v7, v9
	v_cndmask_b32_e64 v6, 0, 1, s0
	v_cmp_gt_u32_e64 s0, 30, v2
	ds_bpermute_b32 v9, v5, v8
	ds_bpermute_b32 v10, v5, v7
	s_waitcnt lgkmcnt(0)
	v_dual_add_f32 v8, v8, v9 :: v_dual_add_f32 v9, v7, v10
	v_lshlrev_b32_e32 v6, 2, v6
	v_cndmask_b32_e64 v7, 0, 1, s0
	v_cmp_ne_u32_e64 s0, 31, v2
	s_delay_alu instid0(VALU_DEP_3) | instskip(SKIP_4) | instid1(VALU_DEP_1)
	v_add_lshl_u32 v6, v6, v2, 2
	ds_bpermute_b32 v10, v6, v8
	ds_bpermute_b32 v11, v6, v9
	s_waitcnt lgkmcnt(1)
	v_dual_add_f32 v10, v8, v10 :: v_dual_lshlrev_b32 v7, 1, v7
	v_add_lshl_u32 v7, v7, v2, 2
	s_waitcnt lgkmcnt(0)
	v_add_f32_e32 v9, v9, v11
	v_add_co_ci_u32_e64 v2, s0, 0, v2, s0
	ds_bpermute_b32 v11, v7, v10
	ds_bpermute_b32 v12, v7, v9
	v_lshlrev_b32_e32 v8, 2, v2
	s_waitcnt lgkmcnt(1)
	v_add_f32_e32 v2, v10, v11
	s_waitcnt lgkmcnt(0)
	v_add_f32_e32 v10, v9, v12
	ds_bpermute_b32 v9, v8, v2
	ds_bpermute_b32 v11, v8, v10
	v_cmpx_eq_u32_e32 0, v1
	s_cbranch_execz .LBB335_26
; %bb.25:
	v_lshrrev_b32_e32 v1, 2, v0
	s_waitcnt lgkmcnt(0)
	v_add_f32_e32 v10, v10, v11
	v_add_f32_e32 v9, v2, v9
	s_delay_alu instid0(VALU_DEP_3)
	v_and_b32_e32 v1, 0xf8, v1
	ds_store_b64 v1, v[9:10]
.LBB335_26:
	s_or_b32 exec_lo, exec_lo, s2
	v_dual_mov_b32 v2, 0 :: v_dual_mov_b32 v1, 0
	s_waitcnt lgkmcnt(0)
	s_barrier
	buffer_gl0_inv
	s_and_saveexec_b32 s0, vcc_lo
	s_cbranch_execz .LBB335_28
; %bb.27:
	ds_load_b64 v[1:2], v3
.LBB335_28:
	s_or_b32 exec_lo, exec_lo, s0
	s_and_saveexec_b32 s0, vcc_lo
	s_cbranch_execz .LBB335_30
; %bb.29:
	s_waitcnt lgkmcnt(0)
	ds_bpermute_b32 v3, v4, v1
	ds_bpermute_b32 v4, v4, v2
	s_waitcnt lgkmcnt(0)
	v_dual_add_f32 v1, v1, v3 :: v_dual_add_f32 v2, v2, v4
	ds_bpermute_b32 v3, v5, v1
	ds_bpermute_b32 v4, v5, v2
	s_waitcnt lgkmcnt(0)
	v_dual_add_f32 v1, v1, v3 :: v_dual_add_f32 v2, v2, v4
	;; [unrolled: 4-line block ×5, first 2 shown]
.LBB335_30:
	s_or_b32 exec_lo, exec_lo, s0
	s_delay_alu instid0(SALU_CYCLE_1)
	s_mov_b32 s0, exec_lo
	v_cmpx_eq_u32_e32 0, v0
	s_cbranch_execz .LBB335_34
; %bb.31:
	v_cmp_neq_f32_e64 s0, s8, 0
	v_cmp_neq_f32_e64 s2, s9, 0
	s_waitcnt lgkmcnt(0)
	v_mul_f32_e32 v0, s11, v2
	v_mul_f32_e32 v4, s10, v2
	s_mul_hi_u32 s3, s14, s4
	s_mul_i32 s1, s1, s4
	s_or_b32 s0, s0, s2
	s_mul_i32 s2, s14, s5
	v_fma_f32 v3, v1, s10, -v0
	v_fmac_f32_e32 v4, s11, v1
	s_add_i32 s2, s3, s2
	s_and_not1_b32 vcc_lo, exec_lo, s0
	s_add_i32 s1, s2, s1
	s_mul_i32 s0, s14, s4
	s_cbranch_vccnz .LBB335_33
; %bb.32:
	s_lshl_b64 s[2:3], s[0:1], 3
	v_mov_b32_e32 v0, 0
	s_add_u32 s2, s15, s2
	s_addc_u32 s3, s22, s3
	global_load_b64 v[0:1], v0, s[2:3]
	s_waitcnt vmcnt(0)
	v_mul_f32_e32 v2, s9, v1
	v_mul_f32_e32 v1, s8, v1
	s_delay_alu instid0(VALU_DEP_1) | instskip(NEXT) | instid1(VALU_DEP_3)
	v_fmac_f32_e32 v1, s9, v0
	v_fma_f32 v2, s8, v0, -v2
	s_delay_alu instid0(VALU_DEP_1)
	v_dual_add_f32 v4, v4, v1 :: v_dual_add_f32 v3, v3, v2
.LBB335_33:
	s_lshl_b64 s[0:1], s[0:1], 3
	v_mov_b32_e32 v0, 0
	s_add_u32 s0, s15, s0
	s_addc_u32 s1, s22, s1
	global_store_b64 v0, v[3:4], s[0:1]
.LBB335_34:
	s_nop 0
	s_sendmsg sendmsg(MSG_DEALLOC_VGPRS)
	s_endpgm
	.section	.rodata,"a",@progbits
	.p2align	6, 0x0
	.amdhsa_kernel _ZL32rocblas_gemvt_warp_reduce_kernelILb1ELi1024ElPK19rocblas_complex_numIfES1_KPS1_EviiT3_lPKT2_lT1_lS9_lSA_lS6_lPT4_lSA_li
		.amdhsa_group_segment_fixed_size 256
		.amdhsa_private_segment_fixed_size 0
		.amdhsa_kernarg_size 140
		.amdhsa_user_sgpr_count 14
		.amdhsa_user_sgpr_dispatch_ptr 0
		.amdhsa_user_sgpr_queue_ptr 0
		.amdhsa_user_sgpr_kernarg_segment_ptr 1
		.amdhsa_user_sgpr_dispatch_id 0
		.amdhsa_user_sgpr_private_segment_size 0
		.amdhsa_wavefront_size32 1
		.amdhsa_uses_dynamic_stack 0
		.amdhsa_enable_private_segment 0
		.amdhsa_system_sgpr_workgroup_id_x 1
		.amdhsa_system_sgpr_workgroup_id_y 0
		.amdhsa_system_sgpr_workgroup_id_z 1
		.amdhsa_system_sgpr_workgroup_info 0
		.amdhsa_system_vgpr_workitem_id 0
		.amdhsa_next_free_vgpr 15
		.amdhsa_next_free_sgpr 28
		.amdhsa_reserve_vcc 1
		.amdhsa_float_round_mode_32 0
		.amdhsa_float_round_mode_16_64 0
		.amdhsa_float_denorm_mode_32 3
		.amdhsa_float_denorm_mode_16_64 3
		.amdhsa_dx10_clamp 1
		.amdhsa_ieee_mode 1
		.amdhsa_fp16_overflow 0
		.amdhsa_workgroup_processor_mode 1
		.amdhsa_memory_ordered 1
		.amdhsa_forward_progress 0
		.amdhsa_shared_vgpr_count 0
		.amdhsa_exception_fp_ieee_invalid_op 0
		.amdhsa_exception_fp_denorm_src 0
		.amdhsa_exception_fp_ieee_div_zero 0
		.amdhsa_exception_fp_ieee_overflow 0
		.amdhsa_exception_fp_ieee_underflow 0
		.amdhsa_exception_fp_ieee_inexact 0
		.amdhsa_exception_int_div_zero 0
	.end_amdhsa_kernel
	.section	.text._ZL32rocblas_gemvt_warp_reduce_kernelILb1ELi1024ElPK19rocblas_complex_numIfES1_KPS1_EviiT3_lPKT2_lT1_lS9_lSA_lS6_lPT4_lSA_li,"axG",@progbits,_ZL32rocblas_gemvt_warp_reduce_kernelILb1ELi1024ElPK19rocblas_complex_numIfES1_KPS1_EviiT3_lPKT2_lT1_lS9_lSA_lS6_lPT4_lSA_li,comdat
.Lfunc_end335:
	.size	_ZL32rocblas_gemvt_warp_reduce_kernelILb1ELi1024ElPK19rocblas_complex_numIfES1_KPS1_EviiT3_lPKT2_lT1_lS9_lSA_lS6_lPT4_lSA_li, .Lfunc_end335-_ZL32rocblas_gemvt_warp_reduce_kernelILb1ELi1024ElPK19rocblas_complex_numIfES1_KPS1_EviiT3_lPKT2_lT1_lS9_lSA_lS6_lPT4_lSA_li
                                        ; -- End function
	.section	.AMDGPU.csdata,"",@progbits
; Kernel info:
; codeLenInByte = 1892
; NumSgprs: 30
; NumVgprs: 15
; ScratchSize: 0
; MemoryBound: 0
; FloatMode: 240
; IeeeMode: 1
; LDSByteSize: 256 bytes/workgroup (compile time only)
; SGPRBlocks: 3
; VGPRBlocks: 1
; NumSGPRsForWavesPerEU: 30
; NumVGPRsForWavesPerEU: 15
; Occupancy: 16
; WaveLimiterHint : 1
; COMPUTE_PGM_RSRC2:SCRATCH_EN: 0
; COMPUTE_PGM_RSRC2:USER_SGPR: 14
; COMPUTE_PGM_RSRC2:TRAP_HANDLER: 0
; COMPUTE_PGM_RSRC2:TGID_X_EN: 1
; COMPUTE_PGM_RSRC2:TGID_Y_EN: 0
; COMPUTE_PGM_RSRC2:TGID_Z_EN: 1
; COMPUTE_PGM_RSRC2:TIDIG_COMP_CNT: 0
	.section	.text._ZL34rocblas_gemvn_sm_mn_batched_kernelILi32ELi24EPK19rocblas_complex_numIdES3_KPS1_EviiT2_lPKT1_lilS9_lilS6_lPT3_lili,"axG",@progbits,_ZL34rocblas_gemvn_sm_mn_batched_kernelILi32ELi24EPK19rocblas_complex_numIdES3_KPS1_EviiT2_lPKT1_lilS9_lilS6_lPT3_lili,comdat
	.globl	_ZL34rocblas_gemvn_sm_mn_batched_kernelILi32ELi24EPK19rocblas_complex_numIdES3_KPS1_EviiT2_lPKT1_lilS9_lilS6_lPT3_lili ; -- Begin function _ZL34rocblas_gemvn_sm_mn_batched_kernelILi32ELi24EPK19rocblas_complex_numIdES3_KPS1_EviiT2_lPKT1_lilS9_lilS6_lPT3_lili
	.p2align	8
	.type	_ZL34rocblas_gemvn_sm_mn_batched_kernelILi32ELi24EPK19rocblas_complex_numIdES3_KPS1_EviiT2_lPKT1_lilS9_lilS6_lPT3_lili,@function
_ZL34rocblas_gemvn_sm_mn_batched_kernelILi32ELi24EPK19rocblas_complex_numIdES3_KPS1_EviiT2_lPKT1_lilS9_lilS6_lPT3_lili: ; @_ZL34rocblas_gemvn_sm_mn_batched_kernelILi32ELi24EPK19rocblas_complex_numIdES3_KPS1_EviiT2_lPKT1_lilS9_lilS6_lPT3_lili
; %bb.0:
	s_endpgm
	.section	.rodata,"a",@progbits
	.p2align	6, 0x0
	.amdhsa_kernel _ZL34rocblas_gemvn_sm_mn_batched_kernelILi32ELi24EPK19rocblas_complex_numIdES3_KPS1_EviiT2_lPKT1_lilS9_lilS6_lPT3_lili
		.amdhsa_group_segment_fixed_size 0
		.amdhsa_private_segment_fixed_size 0
		.amdhsa_kernarg_size 140
		.amdhsa_user_sgpr_count 15
		.amdhsa_user_sgpr_dispatch_ptr 0
		.amdhsa_user_sgpr_queue_ptr 0
		.amdhsa_user_sgpr_kernarg_segment_ptr 1
		.amdhsa_user_sgpr_dispatch_id 0
		.amdhsa_user_sgpr_private_segment_size 0
		.amdhsa_wavefront_size32 1
		.amdhsa_uses_dynamic_stack 0
		.amdhsa_enable_private_segment 0
		.amdhsa_system_sgpr_workgroup_id_x 1
		.amdhsa_system_sgpr_workgroup_id_y 0
		.amdhsa_system_sgpr_workgroup_id_z 0
		.amdhsa_system_sgpr_workgroup_info 0
		.amdhsa_system_vgpr_workitem_id 0
		.amdhsa_next_free_vgpr 1
		.amdhsa_next_free_sgpr 1
		.amdhsa_reserve_vcc 0
		.amdhsa_float_round_mode_32 0
		.amdhsa_float_round_mode_16_64 0
		.amdhsa_float_denorm_mode_32 3
		.amdhsa_float_denorm_mode_16_64 3
		.amdhsa_dx10_clamp 1
		.amdhsa_ieee_mode 1
		.amdhsa_fp16_overflow 0
		.amdhsa_workgroup_processor_mode 1
		.amdhsa_memory_ordered 1
		.amdhsa_forward_progress 0
		.amdhsa_shared_vgpr_count 0
		.amdhsa_exception_fp_ieee_invalid_op 0
		.amdhsa_exception_fp_denorm_src 0
		.amdhsa_exception_fp_ieee_div_zero 0
		.amdhsa_exception_fp_ieee_overflow 0
		.amdhsa_exception_fp_ieee_underflow 0
		.amdhsa_exception_fp_ieee_inexact 0
		.amdhsa_exception_int_div_zero 0
	.end_amdhsa_kernel
	.section	.text._ZL34rocblas_gemvn_sm_mn_batched_kernelILi32ELi24EPK19rocblas_complex_numIdES3_KPS1_EviiT2_lPKT1_lilS9_lilS6_lPT3_lili,"axG",@progbits,_ZL34rocblas_gemvn_sm_mn_batched_kernelILi32ELi24EPK19rocblas_complex_numIdES3_KPS1_EviiT2_lPKT1_lilS9_lilS6_lPT3_lili,comdat
.Lfunc_end336:
	.size	_ZL34rocblas_gemvn_sm_mn_batched_kernelILi32ELi24EPK19rocblas_complex_numIdES3_KPS1_EviiT2_lPKT1_lilS9_lilS6_lPT3_lili, .Lfunc_end336-_ZL34rocblas_gemvn_sm_mn_batched_kernelILi32ELi24EPK19rocblas_complex_numIdES3_KPS1_EviiT2_lPKT1_lilS9_lilS6_lPT3_lili
                                        ; -- End function
	.section	.AMDGPU.csdata,"",@progbits
; Kernel info:
; codeLenInByte = 4
; NumSgprs: 0
; NumVgprs: 0
; ScratchSize: 0
; MemoryBound: 0
; FloatMode: 240
; IeeeMode: 1
; LDSByteSize: 0 bytes/workgroup (compile time only)
; SGPRBlocks: 0
; VGPRBlocks: 0
; NumSGPRsForWavesPerEU: 1
; NumVGPRsForWavesPerEU: 1
; Occupancy: 12
; WaveLimiterHint : 0
; COMPUTE_PGM_RSRC2:SCRATCH_EN: 0
; COMPUTE_PGM_RSRC2:USER_SGPR: 15
; COMPUTE_PGM_RSRC2:TRAP_HANDLER: 0
; COMPUTE_PGM_RSRC2:TGID_X_EN: 1
; COMPUTE_PGM_RSRC2:TGID_Y_EN: 0
; COMPUTE_PGM_RSRC2:TGID_Z_EN: 0
; COMPUTE_PGM_RSRC2:TIDIG_COMP_CNT: 0
	.section	.text._ZL34rocblas_gemvn_sm_mn_batched_kernelILi32ELi24EPK19rocblas_complex_numIdES1_KPS1_EviiT2_lPKT1_lilS9_lilS6_lPT3_lili,"axG",@progbits,_ZL34rocblas_gemvn_sm_mn_batched_kernelILi32ELi24EPK19rocblas_complex_numIdES1_KPS1_EviiT2_lPKT1_lilS9_lilS6_lPT3_lili,comdat
	.globl	_ZL34rocblas_gemvn_sm_mn_batched_kernelILi32ELi24EPK19rocblas_complex_numIdES1_KPS1_EviiT2_lPKT1_lilS9_lilS6_lPT3_lili ; -- Begin function _ZL34rocblas_gemvn_sm_mn_batched_kernelILi32ELi24EPK19rocblas_complex_numIdES1_KPS1_EviiT2_lPKT1_lilS9_lilS6_lPT3_lili
	.p2align	8
	.type	_ZL34rocblas_gemvn_sm_mn_batched_kernelILi32ELi24EPK19rocblas_complex_numIdES1_KPS1_EviiT2_lPKT1_lilS9_lilS6_lPT3_lili,@function
_ZL34rocblas_gemvn_sm_mn_batched_kernelILi32ELi24EPK19rocblas_complex_numIdES1_KPS1_EviiT2_lPKT1_lilS9_lilS6_lPT3_lili: ; @_ZL34rocblas_gemvn_sm_mn_batched_kernelILi32ELi24EPK19rocblas_complex_numIdES1_KPS1_EviiT2_lPKT1_lilS9_lilS6_lPT3_lili
; %bb.0:
	s_endpgm
	.section	.rodata,"a",@progbits
	.p2align	6, 0x0
	.amdhsa_kernel _ZL34rocblas_gemvn_sm_mn_batched_kernelILi32ELi24EPK19rocblas_complex_numIdES1_KPS1_EviiT2_lPKT1_lilS9_lilS6_lPT3_lili
		.amdhsa_group_segment_fixed_size 0
		.amdhsa_private_segment_fixed_size 0
		.amdhsa_kernarg_size 156
		.amdhsa_user_sgpr_count 15
		.amdhsa_user_sgpr_dispatch_ptr 0
		.amdhsa_user_sgpr_queue_ptr 0
		.amdhsa_user_sgpr_kernarg_segment_ptr 1
		.amdhsa_user_sgpr_dispatch_id 0
		.amdhsa_user_sgpr_private_segment_size 0
		.amdhsa_wavefront_size32 1
		.amdhsa_uses_dynamic_stack 0
		.amdhsa_enable_private_segment 0
		.amdhsa_system_sgpr_workgroup_id_x 1
		.amdhsa_system_sgpr_workgroup_id_y 0
		.amdhsa_system_sgpr_workgroup_id_z 0
		.amdhsa_system_sgpr_workgroup_info 0
		.amdhsa_system_vgpr_workitem_id 0
		.amdhsa_next_free_vgpr 1
		.amdhsa_next_free_sgpr 1
		.amdhsa_reserve_vcc 0
		.amdhsa_float_round_mode_32 0
		.amdhsa_float_round_mode_16_64 0
		.amdhsa_float_denorm_mode_32 3
		.amdhsa_float_denorm_mode_16_64 3
		.amdhsa_dx10_clamp 1
		.amdhsa_ieee_mode 1
		.amdhsa_fp16_overflow 0
		.amdhsa_workgroup_processor_mode 1
		.amdhsa_memory_ordered 1
		.amdhsa_forward_progress 0
		.amdhsa_shared_vgpr_count 0
		.amdhsa_exception_fp_ieee_invalid_op 0
		.amdhsa_exception_fp_denorm_src 0
		.amdhsa_exception_fp_ieee_div_zero 0
		.amdhsa_exception_fp_ieee_overflow 0
		.amdhsa_exception_fp_ieee_underflow 0
		.amdhsa_exception_fp_ieee_inexact 0
		.amdhsa_exception_int_div_zero 0
	.end_amdhsa_kernel
	.section	.text._ZL34rocblas_gemvn_sm_mn_batched_kernelILi32ELi24EPK19rocblas_complex_numIdES1_KPS1_EviiT2_lPKT1_lilS9_lilS6_lPT3_lili,"axG",@progbits,_ZL34rocblas_gemvn_sm_mn_batched_kernelILi32ELi24EPK19rocblas_complex_numIdES1_KPS1_EviiT2_lPKT1_lilS9_lilS6_lPT3_lili,comdat
.Lfunc_end337:
	.size	_ZL34rocblas_gemvn_sm_mn_batched_kernelILi32ELi24EPK19rocblas_complex_numIdES1_KPS1_EviiT2_lPKT1_lilS9_lilS6_lPT3_lili, .Lfunc_end337-_ZL34rocblas_gemvn_sm_mn_batched_kernelILi32ELi24EPK19rocblas_complex_numIdES1_KPS1_EviiT2_lPKT1_lilS9_lilS6_lPT3_lili
                                        ; -- End function
	.section	.AMDGPU.csdata,"",@progbits
; Kernel info:
; codeLenInByte = 4
; NumSgprs: 0
; NumVgprs: 0
; ScratchSize: 0
; MemoryBound: 0
; FloatMode: 240
; IeeeMode: 1
; LDSByteSize: 0 bytes/workgroup (compile time only)
; SGPRBlocks: 0
; VGPRBlocks: 0
; NumSGPRsForWavesPerEU: 1
; NumVGPRsForWavesPerEU: 1
; Occupancy: 12
; WaveLimiterHint : 0
; COMPUTE_PGM_RSRC2:SCRATCH_EN: 0
; COMPUTE_PGM_RSRC2:USER_SGPR: 15
; COMPUTE_PGM_RSRC2:TRAP_HANDLER: 0
; COMPUTE_PGM_RSRC2:TGID_X_EN: 1
; COMPUTE_PGM_RSRC2:TGID_Y_EN: 0
; COMPUTE_PGM_RSRC2:TGID_Z_EN: 0
; COMPUTE_PGM_RSRC2:TIDIG_COMP_CNT: 0
	.section	.text._ZL20rocblas_gemvn_kernelILi64ELi4EiPK19rocblas_complex_numIdES3_KPS1_EviiT3_lPKT2_lT1_lS9_lSA_lS6_lPT4_lSA_li,"axG",@progbits,_ZL20rocblas_gemvn_kernelILi64ELi4EiPK19rocblas_complex_numIdES3_KPS1_EviiT3_lPKT2_lT1_lS9_lSA_lS6_lPT4_lSA_li,comdat
	.globl	_ZL20rocblas_gemvn_kernelILi64ELi4EiPK19rocblas_complex_numIdES3_KPS1_EviiT3_lPKT2_lT1_lS9_lSA_lS6_lPT4_lSA_li ; -- Begin function _ZL20rocblas_gemvn_kernelILi64ELi4EiPK19rocblas_complex_numIdES3_KPS1_EviiT3_lPKT2_lT1_lS9_lSA_lS6_lPT4_lSA_li
	.p2align	8
	.type	_ZL20rocblas_gemvn_kernelILi64ELi4EiPK19rocblas_complex_numIdES3_KPS1_EviiT3_lPKT2_lT1_lS9_lSA_lS6_lPT4_lSA_li,@function
_ZL20rocblas_gemvn_kernelILi64ELi4EiPK19rocblas_complex_numIdES3_KPS1_EviiT3_lPKT2_lT1_lS9_lSA_lS6_lPT4_lSA_li: ; @_ZL20rocblas_gemvn_kernelILi64ELi4EiPK19rocblas_complex_numIdES3_KPS1_EviiT3_lPKT2_lT1_lS9_lSA_lS6_lPT4_lSA_li
; %bb.0:
	s_load_b64 s[4:5], s[0:1], 0x9c
	s_waitcnt lgkmcnt(0)
	s_lshr_b32 s3, s4, 16
	s_and_b32 s24, s4, 0xffff
	s_and_b32 s4, s5, 0xffff
	s_mul_i32 s3, s3, s24
	s_delay_alu instid0(SALU_CYCLE_1) | instskip(NEXT) | instid1(SALU_CYCLE_1)
	s_mul_i32 s3, s3, s4
	s_cmpk_lg_i32 s3, 0x100
	s_cbranch_scc1 .LBB338_4
; %bb.1:
	s_load_b256 s[16:23], s[0:1], 0x8
	s_mov_b32 s2, s15
	s_mov_b64 s[12:13], 0
	s_mov_b32 s26, -1
	s_waitcnt lgkmcnt(0)
	s_mul_i32 s3, s15, s19
	s_mul_hi_u32 s5, s15, s18
	s_mul_i32 s4, s15, s18
	s_add_i32 s5, s5, s3
	s_delay_alu instid0(SALU_CYCLE_1) | instskip(NEXT) | instid1(SALU_CYCLE_1)
	s_lshl_b64 s[4:5], s[4:5], 4
	s_add_u32 s4, s16, s4
	s_addc_u32 s5, s17, s5
	s_load_b128 s[16:19], s[4:5], 0x0
	s_load_b256 s[4:11], s[0:1], 0x58
	s_waitcnt lgkmcnt(0)
	v_cmp_neq_f64_e64 s15, s[16:17], 0
	v_cmp_neq_f64_e64 s25, s[18:19], 0
	s_mul_i32 s3, s2, s7
	s_mul_hi_u32 s7, s2, s6
	s_mul_i32 s6, s2, s6
	s_add_i32 s7, s7, s3
	s_mov_b32 s3, 0
	s_lshl_b64 s[6:7], s[6:7], 4
	s_delay_alu instid0(SALU_CYCLE_1) | instskip(SKIP_2) | instid1(VALU_DEP_1)
	s_add_u32 s4, s4, s6
	s_addc_u32 s5, s5, s7
	s_load_b128 s[4:7], s[4:5], 0x0
	s_or_b32 s15, s15, s25
	s_mov_b32 s25, s3
	s_and_b32 vcc_lo, exec_lo, s15
	s_cbranch_vccz .LBB338_5
; %bb.2:
	s_and_not1_b32 vcc_lo, exec_lo, s26
	s_cbranch_vccz .LBB338_6
.LBB338_3:
	s_and_not1_b32 vcc_lo, exec_lo, s25
	s_cbranch_vccz .LBB338_7
.LBB338_4:
	s_endpgm
.LBB338_5:
	s_waitcnt lgkmcnt(0)
	v_cmp_neq_f64_e64 s25, s[4:5], 1.0
	v_cmp_neq_f64_e64 s26, s[6:7], 0
	s_delay_alu instid0(VALU_DEP_1)
	s_or_b32 s25, s25, s26
	s_cbranch_execnz .LBB338_3
.LBB338_6:
	s_lshl_b64 s[12:13], s[2:3], 3
	s_delay_alu instid0(SALU_CYCLE_1)
	s_add_u32 s12, s20, s12
	s_addc_u32 s13, s21, s13
	s_lshl_b64 s[20:21], s[22:23], 4
	s_load_b64 s[12:13], s[12:13], 0x0
	s_waitcnt lgkmcnt(0)
	s_add_u32 s12, s12, s20
	s_addc_u32 s13, s13, s21
.LBB338_7:
	v_cndmask_b32_e64 v1, 0, 1, s15
	s_xor_b32 s22, s15, -1
	s_mov_b64 s[20:21], 0
	s_delay_alu instid0(VALU_DEP_1)
	v_cmp_ne_u32_e32 vcc_lo, 1, v1
	s_cbranch_vccnz .LBB338_9
; %bb.8:
	s_load_b128 s[28:31], s[0:1], 0x38
	s_lshl_b64 s[20:21], s[2:3], 3
	s_waitcnt lgkmcnt(0)
	s_add_u32 s20, s28, s20
	s_addc_u32 s21, s29, s21
	s_lshl_b64 s[26:27], s[30:31], 4
	s_load_b64 s[20:21], s[20:21], 0x0
	s_waitcnt lgkmcnt(0)
	s_add_u32 s20, s20, s26
	s_addc_u32 s21, s21, s27
.LBB338_9:
	s_lshl_b64 s[2:3], s[2:3], 3
	v_and_b32_e32 v1, 0x3ff, v0
	s_add_u32 s2, s8, s2
	s_addc_u32 s3, s9, s3
	v_bfe_u32 v0, v0, 10, 10
	s_load_b64 s[26:27], s[2:3], 0x0
	s_clause 0x1
	s_load_b64 s[8:9], s[0:1], 0x0
	s_load_b32 s15, s[0:1], 0x78
	s_lshl_b64 s[10:11], s[10:11], 4
	v_mad_u32_u24 v10, v0, s24, v1
	s_delay_alu instid0(VALU_DEP_1)
	v_cmp_gt_u32_e64 s2, 64, v10
	s_waitcnt lgkmcnt(0)
	s_add_u32 s3, s26, s10
	s_addc_u32 s10, s27, s11
	s_and_not1_b32 vcc_lo, exec_lo, s22
	s_cbranch_vccnz .LBB338_16
; %bb.10:
	s_mov_b32 s22, 0
	s_mov_b32 s11, 0
                                        ; implicit-def: $vgpr2_vgpr3
                                        ; implicit-def: $vgpr8_vgpr9
	s_and_saveexec_b32 s23, s2
	s_cbranch_execz .LBB338_17
; %bb.11:
	v_lshl_or_b32 v0, s14, 6, v10
	v_mov_b32_e32 v1, 0
	s_ashr_i32 s25, s8, 31
	s_mov_b32 s24, s8
	s_mov_b32 s2, exec_lo
                                        ; implicit-def: $vgpr2_vgpr3
                                        ; implicit-def: $vgpr8_vgpr9
	s_delay_alu instid0(VALU_DEP_1)
	v_cmpx_gt_i64_e64 s[24:25], v[0:1]
	s_cbranch_execz .LBB338_15
; %bb.12:
	v_cmp_neq_f64_e64 s11, s[4:5], 0
	v_cmp_neq_f64_e64 s24, s[6:7], 0
	v_mad_u64_u32 v[8:9], null, v0, s15, 0
	s_ashr_i32 s25, s15, 31
	s_delay_alu instid0(VALU_DEP_1) | instskip(NEXT) | instid1(VALU_DEP_1)
	v_mov_b32_e32 v1, v9
	v_mad_u64_u32 v[4:5], null, v0, s25, v[1:2]
	v_mov_b32_e32 v2, 0
	v_mov_b32_e32 v3, 0
	s_delay_alu instid0(VALU_DEP_2) | instskip(NEXT) | instid1(VALU_DEP_2)
	v_dual_mov_b32 v0, v2 :: v_dual_mov_b32 v9, v4
	v_mov_b32_e32 v1, v3
	s_or_b32 s11, s11, s24
	s_delay_alu instid0(SALU_CYCLE_1)
	s_and_not1_b32 vcc_lo, exec_lo, s11
	s_cbranch_vccnz .LBB338_14
; %bb.13:
	v_lshlrev_b64 v[0:1], 4, v[8:9]
	s_delay_alu instid0(VALU_DEP_1) | instskip(NEXT) | instid1(VALU_DEP_2)
	v_add_co_u32 v0, vcc_lo, s3, v0
	v_add_co_ci_u32_e32 v1, vcc_lo, s10, v1, vcc_lo
	global_load_b128 v[2:5], v[0:1], off
	s_waitcnt vmcnt(0)
	v_mul_f64 v[0:1], s[6:7], v[4:5]
	v_mul_f64 v[4:5], s[4:5], v[4:5]
	s_delay_alu instid0(VALU_DEP_2) | instskip(NEXT) | instid1(VALU_DEP_2)
	v_fma_f64 v[0:1], s[4:5], v[2:3], -v[0:1]
	v_fma_f64 v[2:3], s[6:7], v[2:3], v[4:5]
.LBB338_14:
	s_mov_b32 s11, exec_lo
.LBB338_15:
	s_or_b32 exec_lo, exec_lo, s2
	s_delay_alu instid0(SALU_CYCLE_1) | instskip(SKIP_1) | instid1(SALU_CYCLE_1)
	s_and_b32 s11, s11, exec_lo
	s_or_b32 exec_lo, exec_lo, s23
	s_and_b32 vcc_lo, exec_lo, s22
	s_cbranch_vccnz .LBB338_18
	s_branch .LBB338_37
.LBB338_16:
	s_mov_b32 s11, 0
                                        ; implicit-def: $vgpr2_vgpr3
                                        ; implicit-def: $vgpr8_vgpr9
	s_cbranch_execnz .LBB338_18
	s_branch .LBB338_37
.LBB338_17:
	s_or_b32 exec_lo, exec_lo, s23
	s_delay_alu instid0(SALU_CYCLE_1)
	s_and_b32 vcc_lo, exec_lo, s22
	s_cbranch_vccz .LBB338_37
.LBB338_18:
	s_clause 0x1
	s_load_b32 s2, s[0:1], 0x28
	s_load_b32 s22, s[0:1], 0x48
	v_dual_mov_b32 v2, 0 :: v_dual_and_b32 v5, 63, v10
	v_mov_b32_e32 v3, 0
	s_ashr_i32 s0, s9, 31
	s_lshl_b32 s1, s14, 6
	s_lshr_b32 s0, s0, 30
	v_lshrrev_b32_e32 v8, 6, v10
	v_or_b32_e32 v9, s1, v5
	v_dual_mov_b32 v0, v2 :: v_dual_mov_b32 v1, v3
	s_add_i32 s0, s9, s0
	s_mov_b32 s23, exec_lo
	s_and_b32 s14, s0, -4
	s_delay_alu instid0(SALU_CYCLE_1)
	v_cmpx_gt_i32_e64 s14, v8
	s_cbranch_execz .LBB338_24
; %bb.19:
	s_waitcnt lgkmcnt(0)
	v_mul_lo_u32 v0, s2, v8
	v_mov_b32_e32 v2, 0
	v_mov_b32_e32 v3, 0
	v_mul_lo_u32 v4, s22, v8
	v_cmp_gt_i32_e32 vcc_lo, s8, v9
	s_lshl_b32 s24, s22, 2
	s_lshl_b32 s26, s2, 2
	s_mov_b32 s25, 0
	v_add3_u32 v6, v0, s1, v5
	v_dual_mov_b32 v0, v2 :: v_dual_mov_b32 v1, v3
	s_set_inst_prefetch_distance 0x1
	s_branch .LBB338_21
	.p2align	6
.LBB338_20:                             ;   in Loop: Header=BB338_21 Depth=1
	s_or_b32 exec_lo, exec_lo, s27
	v_add_nc_u32_e32 v8, 4, v8
	v_add_nc_u32_e32 v4, s24, v4
	;; [unrolled: 1-line block ×3, first 2 shown]
	s_delay_alu instid0(VALU_DEP_3) | instskip(NEXT) | instid1(VALU_DEP_1)
	v_cmp_le_i32_e64 s0, s14, v8
	s_or_b32 s25, s0, s25
	s_delay_alu instid0(SALU_CYCLE_1)
	s_and_not1_b32 exec_lo, exec_lo, s25
	s_cbranch_execz .LBB338_23
.LBB338_21:                             ; =>This Inner Loop Header: Depth=1
	s_and_saveexec_b32 s27, vcc_lo
	s_cbranch_execz .LBB338_20
; %bb.22:                               ;   in Loop: Header=BB338_21 Depth=1
	v_ashrrev_i32_e32 v5, 31, v4
	v_ashrrev_i32_e32 v7, 31, v6
	s_delay_alu instid0(VALU_DEP_2) | instskip(NEXT) | instid1(VALU_DEP_2)
	v_lshlrev_b64 v[11:12], 4, v[4:5]
	v_lshlrev_b64 v[13:14], 4, v[6:7]
	s_delay_alu instid0(VALU_DEP_2) | instskip(NEXT) | instid1(VALU_DEP_1)
	v_add_co_u32 v11, s0, s20, v11
	v_add_co_ci_u32_e64 v12, s0, s21, v12, s0
	s_delay_alu instid0(VALU_DEP_3) | instskip(NEXT) | instid1(VALU_DEP_1)
	v_add_co_u32 v15, s0, s12, v13
	v_add_co_ci_u32_e64 v16, s0, s13, v14, s0
	flat_load_b128 v[11:14], v[11:12]
	flat_load_b128 v[15:18], v[15:16]
	s_waitcnt vmcnt(0) lgkmcnt(0)
	v_mul_f64 v[19:20], v[13:14], v[17:18]
	v_mul_f64 v[17:18], v[11:12], v[17:18]
	s_delay_alu instid0(VALU_DEP_2) | instskip(NEXT) | instid1(VALU_DEP_2)
	v_fma_f64 v[11:12], v[11:12], v[15:16], -v[19:20]
	v_fma_f64 v[13:14], v[13:14], v[15:16], v[17:18]
	s_delay_alu instid0(VALU_DEP_2) | instskip(NEXT) | instid1(VALU_DEP_2)
	v_add_f64 v[0:1], v[0:1], v[11:12]
	v_add_f64 v[2:3], v[2:3], v[13:14]
	s_branch .LBB338_20
.LBB338_23:
	s_set_inst_prefetch_distance 0x2
	s_or_b32 exec_lo, exec_lo, s25
.LBB338_24:
	s_delay_alu instid0(SALU_CYCLE_1) | instskip(SKIP_1) | instid1(SALU_CYCLE_1)
	s_or_b32 exec_lo, exec_lo, s23
	s_sub_i32 s0, s9, s14
	s_cmp_lt_i32 s0, 1
	s_cbranch_scc1 .LBB338_30
; %bb.25:
	v_mov_b32_e32 v4, 0
	v_mov_b32_e32 v5, 0
	v_cmp_gt_i32_e32 vcc_lo, s9, v8
	s_delay_alu instid0(VALU_DEP_2)
	v_dual_mov_b32 v7, v5 :: v_dual_mov_b32 v6, v4
	s_and_saveexec_b32 s9, vcc_lo
	s_cbranch_execz .LBB338_27
; %bb.26:
	s_waitcnt lgkmcnt(0)
	v_mul_lo_u32 v4, v8, s22
	s_delay_alu instid0(VALU_DEP_1) | instskip(NEXT) | instid1(VALU_DEP_1)
	v_ashrrev_i32_e32 v5, 31, v4
	v_lshlrev_b64 v[4:5], 4, v[4:5]
	s_delay_alu instid0(VALU_DEP_1) | instskip(NEXT) | instid1(VALU_DEP_1)
	v_add_co_u32 v4, s0, s20, v4
	v_add_co_ci_u32_e64 v5, s0, s21, v5, s0
	flat_load_b128 v[4:7], v[4:5]
.LBB338_27:
	s_or_b32 exec_lo, exec_lo, s9
	s_delay_alu instid0(SALU_CYCLE_1)
	s_mov_b32 s9, exec_lo
	v_cmpx_gt_i32_e64 s8, v9
	s_cbranch_execz .LBB338_29
; %bb.28:
	s_waitcnt lgkmcnt(0)
	v_mul_lo_u32 v8, v8, s2
	s_delay_alu instid0(VALU_DEP_1) | instskip(NEXT) | instid1(VALU_DEP_1)
	v_cndmask_b32_e32 v8, 0, v8, vcc_lo
	v_add_nc_u32_e32 v8, v8, v9
	s_delay_alu instid0(VALU_DEP_1) | instskip(NEXT) | instid1(VALU_DEP_1)
	v_ashrrev_i32_e32 v9, 31, v8
	v_lshlrev_b64 v[8:9], 4, v[8:9]
	s_delay_alu instid0(VALU_DEP_1) | instskip(NEXT) | instid1(VALU_DEP_2)
	v_add_co_u32 v8, vcc_lo, s12, v8
	v_add_co_ci_u32_e32 v9, vcc_lo, s13, v9, vcc_lo
	flat_load_b128 v[11:14], v[8:9]
	s_waitcnt vmcnt(0) lgkmcnt(0)
	v_mul_f64 v[8:9], v[6:7], v[13:14]
	v_mul_f64 v[13:14], v[4:5], v[13:14]
	s_delay_alu instid0(VALU_DEP_2) | instskip(NEXT) | instid1(VALU_DEP_2)
	v_fma_f64 v[4:5], v[4:5], v[11:12], -v[8:9]
	v_fma_f64 v[6:7], v[6:7], v[11:12], v[13:14]
	s_delay_alu instid0(VALU_DEP_2) | instskip(NEXT) | instid1(VALU_DEP_2)
	v_add_f64 v[0:1], v[0:1], v[4:5]
	v_add_f64 v[2:3], v[2:3], v[6:7]
.LBB338_29:
	s_or_b32 exec_lo, exec_lo, s9
.LBB338_30:
	v_lshlrev_b32_e32 v11, 4, v10
	s_mov_b32 s0, exec_lo
                                        ; implicit-def: $vgpr8_vgpr9
	ds_store_b128 v11, v[0:3]
	s_waitcnt vmcnt(0) lgkmcnt(0)
	s_barrier
	buffer_gl0_inv
                                        ; implicit-def: $vgpr2_vgpr3
	v_cmpx_gt_u32_e32 64, v10
	s_cbranch_execz .LBB338_36
; %bb.31:
	ds_load_b128 v[0:3], v11
	ds_load_b128 v[4:7], v11 offset:1024
	v_or_b32_e32 v10, s1, v10
	s_mov_b32 s2, s11
	s_mov_b32 s1, exec_lo
	s_waitcnt lgkmcnt(0)
	v_add_f64 v[8:9], v[0:1], v[4:5]
	v_add_f64 v[12:13], v[2:3], v[6:7]
	ds_load_b128 v[0:3], v11 offset:2048
	ds_load_b128 v[4:7], v11 offset:3072
	s_waitcnt lgkmcnt(1)
	v_add_f64 v[0:1], v[8:9], v[0:1]
	v_add_f64 v[2:3], v[12:13], v[2:3]
                                        ; implicit-def: $vgpr8_vgpr9
	s_waitcnt lgkmcnt(0)
	s_delay_alu instid0(VALU_DEP_2) | instskip(NEXT) | instid1(VALU_DEP_2)
	v_add_f64 v[4:5], v[0:1], v[4:5]
	v_add_f64 v[6:7], v[2:3], v[6:7]
                                        ; implicit-def: $vgpr2_vgpr3
	ds_store_b128 v11, v[4:7]
	v_cmpx_gt_i32_e64 s8, v10
	s_cbranch_execz .LBB338_35
; %bb.32:
	v_mul_f64 v[0:1], s[18:19], v[6:7]
	v_mul_f64 v[2:3], s[16:17], v[6:7]
	v_cmp_neq_f64_e64 s2, s[4:5], 0
	v_cmp_neq_f64_e64 s8, s[6:7], 0
	v_mul_lo_u32 v8, v10, s15
	s_delay_alu instid0(VALU_DEP_1) | instskip(SKIP_3) | instid1(SALU_CYCLE_1)
	v_ashrrev_i32_e32 v9, 31, v8
	v_fma_f64 v[0:1], s[16:17], v[4:5], -v[0:1]
	v_fma_f64 v[2:3], s[18:19], v[4:5], v[2:3]
	s_or_b32 s2, s2, s8
	s_and_not1_b32 vcc_lo, exec_lo, s2
	s_cbranch_vccnz .LBB338_34
; %bb.33:
	v_lshlrev_b64 v[4:5], 4, v[8:9]
	s_delay_alu instid0(VALU_DEP_1) | instskip(NEXT) | instid1(VALU_DEP_2)
	v_add_co_u32 v4, vcc_lo, s3, v4
	v_add_co_ci_u32_e32 v5, vcc_lo, s10, v5, vcc_lo
	global_load_b128 v[4:7], v[4:5], off
	s_waitcnt vmcnt(0)
	v_mul_f64 v[10:11], s[6:7], v[6:7]
	v_mul_f64 v[6:7], s[4:5], v[6:7]
	s_delay_alu instid0(VALU_DEP_2) | instskip(NEXT) | instid1(VALU_DEP_2)
	v_fma_f64 v[10:11], s[4:5], v[4:5], -v[10:11]
	v_fma_f64 v[4:5], s[6:7], v[4:5], v[6:7]
	s_delay_alu instid0(VALU_DEP_2) | instskip(NEXT) | instid1(VALU_DEP_2)
	v_add_f64 v[0:1], v[0:1], v[10:11]
	v_add_f64 v[2:3], v[2:3], v[4:5]
.LBB338_34:
	s_or_b32 s2, s11, exec_lo
.LBB338_35:
	s_or_b32 exec_lo, exec_lo, s1
	s_delay_alu instid0(SALU_CYCLE_1) | instskip(SKIP_1) | instid1(SALU_CYCLE_1)
	s_and_not1_b32 s1, s11, exec_lo
	s_and_b32 s2, s2, exec_lo
	s_or_b32 s11, s1, s2
.LBB338_36:
	s_or_b32 exec_lo, exec_lo, s0
.LBB338_37:
	s_and_saveexec_b32 s0, s11
	s_cbranch_execz .LBB338_4
; %bb.38:
	v_lshlrev_b64 v[4:5], 4, v[8:9]
	s_delay_alu instid0(VALU_DEP_1) | instskip(NEXT) | instid1(VALU_DEP_2)
	v_add_co_u32 v4, vcc_lo, s3, v4
	v_add_co_ci_u32_e32 v5, vcc_lo, s10, v5, vcc_lo
	global_store_b128 v[4:5], v[0:3], off
	s_nop 0
	s_sendmsg sendmsg(MSG_DEALLOC_VGPRS)
	s_endpgm
	.section	.rodata,"a",@progbits
	.p2align	6, 0x0
	.amdhsa_kernel _ZL20rocblas_gemvn_kernelILi64ELi4EiPK19rocblas_complex_numIdES3_KPS1_EviiT3_lPKT2_lT1_lS9_lSA_lS6_lPT4_lSA_li
		.amdhsa_group_segment_fixed_size 4096
		.amdhsa_private_segment_fixed_size 0
		.amdhsa_kernarg_size 400
		.amdhsa_user_sgpr_count 14
		.amdhsa_user_sgpr_dispatch_ptr 0
		.amdhsa_user_sgpr_queue_ptr 0
		.amdhsa_user_sgpr_kernarg_segment_ptr 1
		.amdhsa_user_sgpr_dispatch_id 0
		.amdhsa_user_sgpr_private_segment_size 0
		.amdhsa_wavefront_size32 1
		.amdhsa_uses_dynamic_stack 0
		.amdhsa_enable_private_segment 0
		.amdhsa_system_sgpr_workgroup_id_x 1
		.amdhsa_system_sgpr_workgroup_id_y 0
		.amdhsa_system_sgpr_workgroup_id_z 1
		.amdhsa_system_sgpr_workgroup_info 0
		.amdhsa_system_vgpr_workitem_id 1
		.amdhsa_next_free_vgpr 21
		.amdhsa_next_free_sgpr 32
		.amdhsa_reserve_vcc 1
		.amdhsa_float_round_mode_32 0
		.amdhsa_float_round_mode_16_64 0
		.amdhsa_float_denorm_mode_32 3
		.amdhsa_float_denorm_mode_16_64 3
		.amdhsa_dx10_clamp 1
		.amdhsa_ieee_mode 1
		.amdhsa_fp16_overflow 0
		.amdhsa_workgroup_processor_mode 1
		.amdhsa_memory_ordered 1
		.amdhsa_forward_progress 0
		.amdhsa_shared_vgpr_count 0
		.amdhsa_exception_fp_ieee_invalid_op 0
		.amdhsa_exception_fp_denorm_src 0
		.amdhsa_exception_fp_ieee_div_zero 0
		.amdhsa_exception_fp_ieee_overflow 0
		.amdhsa_exception_fp_ieee_underflow 0
		.amdhsa_exception_fp_ieee_inexact 0
		.amdhsa_exception_int_div_zero 0
	.end_amdhsa_kernel
	.section	.text._ZL20rocblas_gemvn_kernelILi64ELi4EiPK19rocblas_complex_numIdES3_KPS1_EviiT3_lPKT2_lT1_lS9_lSA_lS6_lPT4_lSA_li,"axG",@progbits,_ZL20rocblas_gemvn_kernelILi64ELi4EiPK19rocblas_complex_numIdES3_KPS1_EviiT3_lPKT2_lT1_lS9_lSA_lS6_lPT4_lSA_li,comdat
.Lfunc_end338:
	.size	_ZL20rocblas_gemvn_kernelILi64ELi4EiPK19rocblas_complex_numIdES3_KPS1_EviiT3_lPKT2_lT1_lS9_lSA_lS6_lPT4_lSA_li, .Lfunc_end338-_ZL20rocblas_gemvn_kernelILi64ELi4EiPK19rocblas_complex_numIdES3_KPS1_EviiT3_lPKT2_lT1_lS9_lSA_lS6_lPT4_lSA_li
                                        ; -- End function
	.section	.AMDGPU.csdata,"",@progbits
; Kernel info:
; codeLenInByte = 1784
; NumSgprs: 34
; NumVgprs: 21
; ScratchSize: 0
; MemoryBound: 1
; FloatMode: 240
; IeeeMode: 1
; LDSByteSize: 4096 bytes/workgroup (compile time only)
; SGPRBlocks: 4
; VGPRBlocks: 2
; NumSGPRsForWavesPerEU: 34
; NumVGPRsForWavesPerEU: 21
; Occupancy: 16
; WaveLimiterHint : 1
; COMPUTE_PGM_RSRC2:SCRATCH_EN: 0
; COMPUTE_PGM_RSRC2:USER_SGPR: 14
; COMPUTE_PGM_RSRC2:TRAP_HANDLER: 0
; COMPUTE_PGM_RSRC2:TGID_X_EN: 1
; COMPUTE_PGM_RSRC2:TGID_Y_EN: 0
; COMPUTE_PGM_RSRC2:TGID_Z_EN: 1
; COMPUTE_PGM_RSRC2:TIDIG_COMP_CNT: 1
	.section	.text._ZL20rocblas_gemvn_kernelILi64ELi4ElPK19rocblas_complex_numIdES3_KPS1_EviiT3_lPKT2_lT1_lS9_lSA_lS6_lPT4_lSA_li,"axG",@progbits,_ZL20rocblas_gemvn_kernelILi64ELi4ElPK19rocblas_complex_numIdES3_KPS1_EviiT3_lPKT2_lT1_lS9_lSA_lS6_lPT4_lSA_li,comdat
	.globl	_ZL20rocblas_gemvn_kernelILi64ELi4ElPK19rocblas_complex_numIdES3_KPS1_EviiT3_lPKT2_lT1_lS9_lSA_lS6_lPT4_lSA_li ; -- Begin function _ZL20rocblas_gemvn_kernelILi64ELi4ElPK19rocblas_complex_numIdES3_KPS1_EviiT3_lPKT2_lT1_lS9_lSA_lS6_lPT4_lSA_li
	.p2align	8
	.type	_ZL20rocblas_gemvn_kernelILi64ELi4ElPK19rocblas_complex_numIdES3_KPS1_EviiT3_lPKT2_lT1_lS9_lSA_lS6_lPT4_lSA_li,@function
_ZL20rocblas_gemvn_kernelILi64ELi4ElPK19rocblas_complex_numIdES3_KPS1_EviiT3_lPKT2_lT1_lS9_lSA_lS6_lPT4_lSA_li: ; @_ZL20rocblas_gemvn_kernelILi64ELi4ElPK19rocblas_complex_numIdES3_KPS1_EviiT3_lPKT2_lT1_lS9_lSA_lS6_lPT4_lSA_li
; %bb.0:
	s_load_b64 s[2:3], s[0:1], 0x9c
	s_mov_b32 s30, s15
	s_waitcnt lgkmcnt(0)
	s_lshr_b32 s4, s2, 16
	s_and_b32 s15, s2, 0xffff
	s_and_b32 s2, s3, 0xffff
	s_mul_i32 s3, s4, s15
	s_delay_alu instid0(SALU_CYCLE_1) | instskip(NEXT) | instid1(SALU_CYCLE_1)
	s_mul_i32 s3, s3, s2
	s_cmpk_lg_i32 s3, 0x100
	s_cbranch_scc1 .LBB339_4
; %bb.1:
	s_load_b256 s[16:23], s[0:1], 0x8
	s_mov_b32 s31, 0
	s_mov_b64 s[24:25], 0
	s_waitcnt lgkmcnt(0)
	s_mul_i32 s3, s30, s19
	s_mul_hi_u32 s4, s30, s18
	s_mul_i32 s2, s30, s18
	s_add_i32 s3, s4, s3
	s_delay_alu instid0(SALU_CYCLE_1) | instskip(NEXT) | instid1(SALU_CYCLE_1)
	s_lshl_b64 s[2:3], s[2:3], 4
	s_add_u32 s2, s16, s2
	s_addc_u32 s3, s17, s3
	s_load_b128 s[16:19], s[2:3], 0x0
	s_load_b256 s[4:11], s[0:1], 0x58
	s_waitcnt lgkmcnt(0)
	v_cmp_neq_f64_e64 s26, s[16:17], 0
	v_cmp_neq_f64_e64 s27, s[18:19], 0
	s_mul_i32 s2, s30, s7
	s_mul_hi_u32 s3, s30, s6
	s_delay_alu instid0(SALU_CYCLE_1) | instskip(SKIP_1) | instid1(SALU_CYCLE_1)
	s_add_i32 s3, s3, s2
	s_mul_i32 s2, s30, s6
	s_lshl_b64 s[2:3], s[2:3], 4
	s_delay_alu instid0(SALU_CYCLE_1)
	s_add_u32 s2, s4, s2
	s_addc_u32 s3, s5, s3
	s_load_b64 s[12:13], s[0:1], 0x28
	s_load_b128 s[4:7], s[2:3], 0x0
	s_mov_b32 s3, -1
	s_mov_b32 s2, s31
	s_delay_alu instid0(VALU_DEP_1) | instskip(NEXT) | instid1(SALU_CYCLE_1)
	s_or_b32 s28, s26, s27
	s_and_b32 vcc_lo, exec_lo, s28
	s_cbranch_vccz .LBB339_5
; %bb.2:
	s_and_not1_b32 vcc_lo, exec_lo, s3
	s_cbranch_vccz .LBB339_6
.LBB339_3:
	s_and_not1_b32 vcc_lo, exec_lo, s2
	s_cbranch_vccz .LBB339_7
.LBB339_4:
	s_endpgm
.LBB339_5:
	s_waitcnt lgkmcnt(0)
	v_cmp_neq_f64_e64 s2, s[4:5], 1.0
	v_cmp_neq_f64_e64 s3, s[6:7], 0
	s_delay_alu instid0(VALU_DEP_1)
	s_or_b32 s2, s2, s3
	s_cbranch_execnz .LBB339_3
.LBB339_6:
	s_lshl_b64 s[2:3], s[30:31], 3
	s_delay_alu instid0(SALU_CYCLE_1)
	s_add_u32 s2, s20, s2
	s_addc_u32 s3, s21, s3
	s_lshl_b64 s[20:21], s[22:23], 4
	s_load_b64 s[2:3], s[2:3], 0x0
	s_waitcnt lgkmcnt(0)
	s_add_u32 s24, s2, s20
	s_addc_u32 s25, s3, s21
.LBB339_7:
	s_clause 0x2
	s_load_b64 s[2:3], s[0:1], 0x78
	s_load_b128 s[20:23], s[0:1], 0x38
	s_load_b64 s[26:27], s[0:1], 0x48
	v_cndmask_b32_e64 v1, 0, 1, s28
	s_xor_b32 s33, s28, -1
	s_mov_b64 s[28:29], 0
	s_delay_alu instid0(VALU_DEP_1)
	v_cmp_ne_u32_e32 vcc_lo, 1, v1
	s_cbranch_vccnz .LBB339_9
; %bb.8:
	s_lshl_b64 s[28:29], s[30:31], 3
	s_waitcnt lgkmcnt(0)
	s_add_u32 s20, s20, s28
	s_addc_u32 s21, s21, s29
	s_lshl_b64 s[22:23], s[22:23], 4
	s_load_b64 s[20:21], s[20:21], 0x0
	s_waitcnt lgkmcnt(0)
	s_add_u32 s28, s20, s22
	s_addc_u32 s29, s21, s23
.LBB339_9:
	s_waitcnt lgkmcnt(0)
	s_lshl_b64 s[20:21], s[30:31], 3
	v_and_b32_e32 v1, 0x3ff, v0
	s_add_u32 s8, s8, s20
	s_addc_u32 s9, s9, s21
	v_bfe_u32 v0, v0, 10, 10
	s_load_b64 s[20:21], s[8:9], 0x0
	s_load_b64 s[8:9], s[0:1], 0x0
	s_lshl_b64 s[10:11], s[10:11], 4
	s_delay_alu instid0(VALU_DEP_1) | instskip(NEXT) | instid1(VALU_DEP_1)
	v_mad_u32_u24 v10, v0, s15, v1
	v_cmp_gt_u32_e64 s0, 64, v10
	s_waitcnt lgkmcnt(0)
	s_add_u32 s20, s20, s10
	s_addc_u32 s21, s21, s11
	s_and_not1_b32 vcc_lo, exec_lo, s33
	s_cbranch_vccnz .LBB339_16
; %bb.10:
	s_mov_b32 s1, 0
	s_mov_b32 s22, 0
                                        ; implicit-def: $vgpr2_vgpr3
                                        ; implicit-def: $vgpr8_vgpr9
	s_and_saveexec_b32 s10, s0
	s_cbranch_execz .LBB339_17
; %bb.11:
	v_lshl_or_b32 v0, s14, 6, v10
	v_mov_b32_e32 v1, 0
	s_ashr_i32 s23, s8, 31
	s_mov_b32 s22, s8
	s_mov_b32 s11, 0
	s_mov_b32 s0, exec_lo
                                        ; implicit-def: $vgpr2_vgpr3
                                        ; implicit-def: $vgpr8_vgpr9
	v_cmpx_gt_i64_e64 s[22:23], v[0:1]
	s_cbranch_execz .LBB339_15
; %bb.12:
	v_cmp_neq_f64_e64 s11, s[4:5], 0
	v_cmp_neq_f64_e64 s15, s[6:7], 0
	v_mad_u64_u32 v[8:9], null, v0, s2, 0
	s_delay_alu instid0(VALU_DEP_1) | instskip(NEXT) | instid1(VALU_DEP_1)
	v_mov_b32_e32 v1, v9
	v_mad_u64_u32 v[4:5], null, v0, s3, v[1:2]
	v_mov_b32_e32 v2, 0
	v_mov_b32_e32 v3, 0
	s_delay_alu instid0(VALU_DEP_2) | instskip(NEXT) | instid1(VALU_DEP_2)
	v_dual_mov_b32 v0, v2 :: v_dual_mov_b32 v9, v4
	v_mov_b32_e32 v1, v3
	s_or_b32 s11, s11, s15
	s_delay_alu instid0(SALU_CYCLE_1)
	s_and_not1_b32 vcc_lo, exec_lo, s11
	s_cbranch_vccnz .LBB339_14
; %bb.13:
	v_lshlrev_b64 v[0:1], 4, v[8:9]
	s_delay_alu instid0(VALU_DEP_1) | instskip(NEXT) | instid1(VALU_DEP_2)
	v_add_co_u32 v0, vcc_lo, s20, v0
	v_add_co_ci_u32_e32 v1, vcc_lo, s21, v1, vcc_lo
	global_load_b128 v[2:5], v[0:1], off
	s_waitcnt vmcnt(0)
	v_mul_f64 v[0:1], s[6:7], v[4:5]
	v_mul_f64 v[4:5], s[4:5], v[4:5]
	s_delay_alu instid0(VALU_DEP_2) | instskip(NEXT) | instid1(VALU_DEP_2)
	v_fma_f64 v[0:1], s[4:5], v[2:3], -v[0:1]
	v_fma_f64 v[2:3], s[6:7], v[2:3], v[4:5]
.LBB339_14:
	s_mov_b32 s11, exec_lo
.LBB339_15:
	s_or_b32 exec_lo, exec_lo, s0
	s_delay_alu instid0(SALU_CYCLE_1) | instskip(SKIP_1) | instid1(SALU_CYCLE_1)
	s_and_b32 s22, s11, exec_lo
	s_or_b32 exec_lo, exec_lo, s10
	s_and_b32 vcc_lo, exec_lo, s1
	s_cbranch_vccnz .LBB339_18
	s_branch .LBB339_37
.LBB339_16:
	s_mov_b32 s22, 0
                                        ; implicit-def: $vgpr2_vgpr3
                                        ; implicit-def: $vgpr8_vgpr9
	s_cbranch_execnz .LBB339_18
	s_branch .LBB339_37
.LBB339_17:
	s_or_b32 exec_lo, exec_lo, s10
	s_delay_alu instid0(SALU_CYCLE_1)
	s_and_b32 vcc_lo, exec_lo, s1
	s_cbranch_vccz .LBB339_37
.LBB339_18:
	v_mov_b32_e32 v2, 0
	v_dual_mov_b32 v3, 0 :: v_dual_and_b32 v4, 63, v10
	s_ashr_i32 s0, s9, 31
	s_lshl_b32 s23, s14, 6
	s_lshr_b32 s0, s0, 30
	v_lshrrev_b32_e32 v9, 6, v10
	v_or_b32_e32 v8, s23, v4
	v_dual_mov_b32 v0, v2 :: v_dual_mov_b32 v1, v3
	s_add_i32 s0, s9, s0
	s_mov_b32 s31, exec_lo
	s_and_b32 s30, s0, -4
	s_delay_alu instid0(SALU_CYCLE_1)
	v_cmpx_gt_i32_e64 s30, v9
	s_cbranch_execz .LBB339_24
; %bb.19:
	v_lshrrev_b32_e32 v13, 6, v10
	v_cmp_gt_i32_e32 vcc_lo, s8, v8
	s_lshl_b64 s[10:11], s[26:27], 6
	s_lshl_b64 s[14:15], s[12:13], 6
	s_mov_b32 s33, 0
	v_mad_u64_u32 v[5:6], null, s26, v13, 0
	v_mad_u64_u32 v[0:1], null, s12, v13, 0
	s_delay_alu instid0(VALU_DEP_2) | instskip(NEXT) | instid1(VALU_DEP_1)
	v_dual_mov_b32 v2, v6 :: v_dual_add_nc_u32 v3, s23, v4
	v_ashrrev_i32_e32 v4, 31, v3
	s_delay_alu instid0(VALU_DEP_2) | instskip(SKIP_1) | instid1(VALU_DEP_3)
	v_mad_u64_u32 v[6:7], null, s13, v13, v[1:2]
	v_mad_u64_u32 v[11:12], null, s27, v13, v[2:3]
	v_lshlrev_b64 v[12:13], 4, v[3:4]
	v_mov_b32_e32 v2, 0
	v_mov_b32_e32 v3, 0
	s_delay_alu instid0(VALU_DEP_4) | instskip(NEXT) | instid1(VALU_DEP_1)
	v_dual_mov_b32 v1, v6 :: v_dual_mov_b32 v6, v11
	v_lshlrev_b64 v[0:1], 4, v[0:1]
	s_delay_alu instid0(VALU_DEP_2) | instskip(NEXT) | instid1(VALU_DEP_2)
	v_lshlrev_b64 v[4:5], 4, v[5:6]
	v_add_co_u32 v0, s0, v0, v12
	s_delay_alu instid0(VALU_DEP_1) | instskip(NEXT) | instid1(VALU_DEP_3)
	v_add_co_ci_u32_e64 v1, s0, v1, v13, s0
	v_add_co_u32 v4, s0, s28, v4
	s_delay_alu instid0(VALU_DEP_1) | instskip(NEXT) | instid1(VALU_DEP_4)
	v_add_co_ci_u32_e64 v5, s0, s29, v5, s0
	v_add_co_u32 v6, s0, s24, v0
	s_delay_alu instid0(VALU_DEP_1)
	v_add_co_ci_u32_e64 v7, s0, s25, v1, s0
	v_dual_mov_b32 v0, v2 :: v_dual_mov_b32 v1, v3
	s_set_inst_prefetch_distance 0x1
	s_branch .LBB339_21
	.p2align	6
.LBB339_20:                             ;   in Loop: Header=BB339_21 Depth=1
	s_or_b32 exec_lo, exec_lo, s0
	v_add_nc_u32_e32 v9, 4, v9
	v_add_co_u32 v4, s0, v4, s10
	s_delay_alu instid0(VALU_DEP_1) | instskip(NEXT) | instid1(VALU_DEP_3)
	v_add_co_ci_u32_e64 v5, s0, s11, v5, s0
	v_cmp_le_i32_e64 s0, s30, v9
	v_add_co_u32 v6, s1, v6, s14
	s_delay_alu instid0(VALU_DEP_1) | instskip(NEXT) | instid1(VALU_DEP_3)
	v_add_co_ci_u32_e64 v7, s1, s15, v7, s1
	s_or_b32 s33, s0, s33
	s_delay_alu instid0(SALU_CYCLE_1)
	s_and_not1_b32 exec_lo, exec_lo, s33
	s_cbranch_execz .LBB339_23
.LBB339_21:                             ; =>This Inner Loop Header: Depth=1
	s_and_saveexec_b32 s0, vcc_lo
	s_cbranch_execz .LBB339_20
; %bb.22:                               ;   in Loop: Header=BB339_21 Depth=1
	flat_load_b128 v[11:14], v[4:5]
	flat_load_b128 v[15:18], v[6:7]
	s_waitcnt vmcnt(0) lgkmcnt(0)
	v_mul_f64 v[19:20], v[13:14], v[17:18]
	v_mul_f64 v[17:18], v[11:12], v[17:18]
	s_delay_alu instid0(VALU_DEP_2) | instskip(NEXT) | instid1(VALU_DEP_2)
	v_fma_f64 v[11:12], v[11:12], v[15:16], -v[19:20]
	v_fma_f64 v[13:14], v[13:14], v[15:16], v[17:18]
	s_delay_alu instid0(VALU_DEP_2) | instskip(NEXT) | instid1(VALU_DEP_2)
	v_add_f64 v[0:1], v[0:1], v[11:12]
	v_add_f64 v[2:3], v[2:3], v[13:14]
	s_branch .LBB339_20
.LBB339_23:
	s_set_inst_prefetch_distance 0x2
	s_or_b32 exec_lo, exec_lo, s33
.LBB339_24:
	s_delay_alu instid0(SALU_CYCLE_1) | instskip(SKIP_1) | instid1(SALU_CYCLE_1)
	s_or_b32 exec_lo, exec_lo, s31
	s_sub_i32 s0, s9, s30
	s_cmp_lt_i32 s0, 1
	s_cbranch_scc1 .LBB339_30
; %bb.25:
	v_mov_b32_e32 v4, 0
	v_mov_b32_e32 v5, 0
	v_cmp_gt_i32_e32 vcc_lo, s9, v9
	s_delay_alu instid0(VALU_DEP_2)
	v_dual_mov_b32 v7, v5 :: v_dual_mov_b32 v6, v4
	s_and_saveexec_b32 s1, vcc_lo
	s_cbranch_execz .LBB339_27
; %bb.26:
	v_mad_u64_u32 v[4:5], null, v9, s26, 0
	s_delay_alu instid0(VALU_DEP_1) | instskip(NEXT) | instid1(VALU_DEP_1)
	v_mad_u64_u32 v[6:7], null, v9, s27, v[5:6]
	v_mov_b32_e32 v5, v6
	s_delay_alu instid0(VALU_DEP_1) | instskip(NEXT) | instid1(VALU_DEP_1)
	v_lshlrev_b64 v[4:5], 4, v[4:5]
	v_add_co_u32 v4, s0, s28, v4
	s_delay_alu instid0(VALU_DEP_1)
	v_add_co_ci_u32_e64 v5, s0, s29, v5, s0
	flat_load_b128 v[4:7], v[4:5]
.LBB339_27:
	s_or_b32 exec_lo, exec_lo, s1
	s_delay_alu instid0(SALU_CYCLE_1)
	s_mov_b32 s1, exec_lo
	v_cmpx_gt_i32_e64 s8, v8
	s_cbranch_execz .LBB339_29
; %bb.28:
	v_mad_u64_u32 v[11:12], null, v9, s12, 0
	s_delay_alu instid0(VALU_DEP_1) | instskip(NEXT) | instid1(VALU_DEP_2)
	v_mad_u64_u32 v[13:14], null, v9, s13, v[12:13]
	v_cndmask_b32_e32 v11, 0, v11, vcc_lo
	v_ashrrev_i32_e32 v9, 31, v8
	s_delay_alu instid0(VALU_DEP_3) | instskip(NEXT) | instid1(VALU_DEP_2)
	v_cndmask_b32_e32 v12, 0, v13, vcc_lo
	v_lshlrev_b64 v[8:9], 4, v[8:9]
	s_delay_alu instid0(VALU_DEP_2) | instskip(NEXT) | instid1(VALU_DEP_1)
	v_lshlrev_b64 v[11:12], 4, v[11:12]
	v_add_co_u32 v11, vcc_lo, s24, v11
	s_delay_alu instid0(VALU_DEP_2) | instskip(NEXT) | instid1(VALU_DEP_2)
	v_add_co_ci_u32_e32 v12, vcc_lo, s25, v12, vcc_lo
	v_add_co_u32 v8, vcc_lo, v11, v8
	s_delay_alu instid0(VALU_DEP_2) | instskip(SKIP_4) | instid1(VALU_DEP_2)
	v_add_co_ci_u32_e32 v9, vcc_lo, v12, v9, vcc_lo
	flat_load_b128 v[11:14], v[8:9]
	s_waitcnt vmcnt(0) lgkmcnt(0)
	v_mul_f64 v[8:9], v[6:7], v[13:14]
	v_mul_f64 v[13:14], v[4:5], v[13:14]
	v_fma_f64 v[4:5], v[4:5], v[11:12], -v[8:9]
	s_delay_alu instid0(VALU_DEP_2) | instskip(NEXT) | instid1(VALU_DEP_2)
	v_fma_f64 v[6:7], v[6:7], v[11:12], v[13:14]
	v_add_f64 v[0:1], v[0:1], v[4:5]
	s_delay_alu instid0(VALU_DEP_2)
	v_add_f64 v[2:3], v[2:3], v[6:7]
.LBB339_29:
	s_or_b32 exec_lo, exec_lo, s1
.LBB339_30:
	v_lshlrev_b32_e32 v11, 4, v10
	s_mov_b32 s0, exec_lo
                                        ; implicit-def: $vgpr8_vgpr9
	ds_store_b128 v11, v[0:3]
	s_waitcnt vmcnt(0) lgkmcnt(0)
	s_barrier
	buffer_gl0_inv
                                        ; implicit-def: $vgpr2_vgpr3
	v_cmpx_gt_u32_e32 64, v10
	s_cbranch_execz .LBB339_36
; %bb.31:
	ds_load_b128 v[0:3], v11
	ds_load_b128 v[4:7], v11 offset:1024
	v_or_b32_e32 v10, s23, v10
	s_delay_alu instid0(VALU_DEP_1)
	v_cmp_gt_i32_e32 vcc_lo, s8, v10
	s_mov_b32 s8, s22
	s_waitcnt lgkmcnt(0)
	v_add_f64 v[8:9], v[0:1], v[4:5]
	v_add_f64 v[12:13], v[2:3], v[6:7]
	ds_load_b128 v[0:3], v11 offset:2048
	ds_load_b128 v[4:7], v11 offset:3072
	s_waitcnt lgkmcnt(1)
	v_add_f64 v[0:1], v[8:9], v[0:1]
	v_add_f64 v[2:3], v[12:13], v[2:3]
                                        ; implicit-def: $vgpr8_vgpr9
	s_waitcnt lgkmcnt(0)
	s_delay_alu instid0(VALU_DEP_2) | instskip(NEXT) | instid1(VALU_DEP_2)
	v_add_f64 v[4:5], v[0:1], v[4:5]
	v_add_f64 v[6:7], v[2:3], v[6:7]
                                        ; implicit-def: $vgpr2_vgpr3
	ds_store_b128 v11, v[4:7]
	s_and_saveexec_b32 s1, vcc_lo
	s_cbranch_execz .LBB339_35
; %bb.32:
	v_mul_f64 v[0:1], s[18:19], v[6:7]
	v_mul_f64 v[2:3], s[16:17], v[6:7]
	v_cmp_neq_f64_e64 s8, s[4:5], 0
	v_cmp_neq_f64_e64 s9, s[6:7], 0
	v_mad_u64_u32 v[8:9], null, v10, s2, 0
	v_fma_f64 v[0:1], s[16:17], v[4:5], -v[0:1]
	v_fma_f64 v[2:3], s[18:19], v[4:5], v[2:3]
	v_ashrrev_i32_e32 v4, 31, v10
	v_mul_lo_u32 v5, v10, s3
	s_delay_alu instid0(VALU_DEP_2) | instskip(SKIP_1) | instid1(SALU_CYCLE_1)
	v_mul_lo_u32 v4, v4, s2
	s_or_b32 s2, s8, s9
	s_and_not1_b32 vcc_lo, exec_lo, s2
	s_delay_alu instid0(VALU_DEP_1)
	v_add3_u32 v9, v9, v5, v4
	s_cbranch_vccnz .LBB339_34
; %bb.33:
	s_delay_alu instid0(VALU_DEP_1) | instskip(NEXT) | instid1(VALU_DEP_1)
	v_lshlrev_b64 v[4:5], 4, v[8:9]
	v_add_co_u32 v4, vcc_lo, s20, v4
	s_delay_alu instid0(VALU_DEP_2) | instskip(SKIP_4) | instid1(VALU_DEP_2)
	v_add_co_ci_u32_e32 v5, vcc_lo, s21, v5, vcc_lo
	global_load_b128 v[4:7], v[4:5], off
	s_waitcnt vmcnt(0)
	v_mul_f64 v[10:11], s[6:7], v[6:7]
	v_mul_f64 v[6:7], s[4:5], v[6:7]
	v_fma_f64 v[10:11], s[4:5], v[4:5], -v[10:11]
	s_delay_alu instid0(VALU_DEP_2) | instskip(NEXT) | instid1(VALU_DEP_2)
	v_fma_f64 v[4:5], s[6:7], v[4:5], v[6:7]
	v_add_f64 v[0:1], v[0:1], v[10:11]
	s_delay_alu instid0(VALU_DEP_2)
	v_add_f64 v[2:3], v[2:3], v[4:5]
.LBB339_34:
	s_or_b32 s8, s22, exec_lo
.LBB339_35:
	s_or_b32 exec_lo, exec_lo, s1
	s_delay_alu instid0(SALU_CYCLE_1) | instskip(SKIP_1) | instid1(SALU_CYCLE_1)
	s_and_not1_b32 s1, s22, exec_lo
	s_and_b32 s2, s8, exec_lo
	s_or_b32 s22, s1, s2
.LBB339_36:
	s_or_b32 exec_lo, exec_lo, s0
.LBB339_37:
	s_and_saveexec_b32 s0, s22
	s_cbranch_execz .LBB339_4
; %bb.38:
	v_lshlrev_b64 v[4:5], 4, v[8:9]
	s_delay_alu instid0(VALU_DEP_1) | instskip(NEXT) | instid1(VALU_DEP_2)
	v_add_co_u32 v4, vcc_lo, s20, v4
	v_add_co_ci_u32_e32 v5, vcc_lo, s21, v5, vcc_lo
	global_store_b128 v[4:5], v[0:3], off
	s_nop 0
	s_sendmsg sendmsg(MSG_DEALLOC_VGPRS)
	s_endpgm
	.section	.rodata,"a",@progbits
	.p2align	6, 0x0
	.amdhsa_kernel _ZL20rocblas_gemvn_kernelILi64ELi4ElPK19rocblas_complex_numIdES3_KPS1_EviiT3_lPKT2_lT1_lS9_lSA_lS6_lPT4_lSA_li
		.amdhsa_group_segment_fixed_size 4096
		.amdhsa_private_segment_fixed_size 0
		.amdhsa_kernarg_size 400
		.amdhsa_user_sgpr_count 14
		.amdhsa_user_sgpr_dispatch_ptr 0
		.amdhsa_user_sgpr_queue_ptr 0
		.amdhsa_user_sgpr_kernarg_segment_ptr 1
		.amdhsa_user_sgpr_dispatch_id 0
		.amdhsa_user_sgpr_private_segment_size 0
		.amdhsa_wavefront_size32 1
		.amdhsa_uses_dynamic_stack 0
		.amdhsa_enable_private_segment 0
		.amdhsa_system_sgpr_workgroup_id_x 1
		.amdhsa_system_sgpr_workgroup_id_y 0
		.amdhsa_system_sgpr_workgroup_id_z 1
		.amdhsa_system_sgpr_workgroup_info 0
		.amdhsa_system_vgpr_workitem_id 1
		.amdhsa_next_free_vgpr 21
		.amdhsa_next_free_sgpr 34
		.amdhsa_reserve_vcc 1
		.amdhsa_float_round_mode_32 0
		.amdhsa_float_round_mode_16_64 0
		.amdhsa_float_denorm_mode_32 3
		.amdhsa_float_denorm_mode_16_64 3
		.amdhsa_dx10_clamp 1
		.amdhsa_ieee_mode 1
		.amdhsa_fp16_overflow 0
		.amdhsa_workgroup_processor_mode 1
		.amdhsa_memory_ordered 1
		.amdhsa_forward_progress 0
		.amdhsa_shared_vgpr_count 0
		.amdhsa_exception_fp_ieee_invalid_op 0
		.amdhsa_exception_fp_denorm_src 0
		.amdhsa_exception_fp_ieee_div_zero 0
		.amdhsa_exception_fp_ieee_overflow 0
		.amdhsa_exception_fp_ieee_underflow 0
		.amdhsa_exception_fp_ieee_inexact 0
		.amdhsa_exception_int_div_zero 0
	.end_amdhsa_kernel
	.section	.text._ZL20rocblas_gemvn_kernelILi64ELi4ElPK19rocblas_complex_numIdES3_KPS1_EviiT3_lPKT2_lT1_lS9_lSA_lS6_lPT4_lSA_li,"axG",@progbits,_ZL20rocblas_gemvn_kernelILi64ELi4ElPK19rocblas_complex_numIdES3_KPS1_EviiT3_lPKT2_lT1_lS9_lSA_lS6_lPT4_lSA_li,comdat
.Lfunc_end339:
	.size	_ZL20rocblas_gemvn_kernelILi64ELi4ElPK19rocblas_complex_numIdES3_KPS1_EviiT3_lPKT2_lT1_lS9_lSA_lS6_lPT4_lSA_li, .Lfunc_end339-_ZL20rocblas_gemvn_kernelILi64ELi4ElPK19rocblas_complex_numIdES3_KPS1_EviiT3_lPKT2_lT1_lS9_lSA_lS6_lPT4_lSA_li
                                        ; -- End function
	.section	.AMDGPU.csdata,"",@progbits
; Kernel info:
; codeLenInByte = 1948
; NumSgprs: 36
; NumVgprs: 21
; ScratchSize: 0
; MemoryBound: 1
; FloatMode: 240
; IeeeMode: 1
; LDSByteSize: 4096 bytes/workgroup (compile time only)
; SGPRBlocks: 4
; VGPRBlocks: 2
; NumSGPRsForWavesPerEU: 36
; NumVGPRsForWavesPerEU: 21
; Occupancy: 16
; WaveLimiterHint : 1
; COMPUTE_PGM_RSRC2:SCRATCH_EN: 0
; COMPUTE_PGM_RSRC2:USER_SGPR: 14
; COMPUTE_PGM_RSRC2:TRAP_HANDLER: 0
; COMPUTE_PGM_RSRC2:TGID_X_EN: 1
; COMPUTE_PGM_RSRC2:TGID_Y_EN: 0
; COMPUTE_PGM_RSRC2:TGID_Z_EN: 1
; COMPUTE_PGM_RSRC2:TIDIG_COMP_CNT: 1
	.section	.text._ZL20rocblas_gemvn_kernelILi64ELi4EiPK19rocblas_complex_numIdES1_KPS1_EviiT3_lPKT2_lT1_lS9_lSA_lS6_lPT4_lSA_li,"axG",@progbits,_ZL20rocblas_gemvn_kernelILi64ELi4EiPK19rocblas_complex_numIdES1_KPS1_EviiT3_lPKT2_lT1_lS9_lSA_lS6_lPT4_lSA_li,comdat
	.globl	_ZL20rocblas_gemvn_kernelILi64ELi4EiPK19rocblas_complex_numIdES1_KPS1_EviiT3_lPKT2_lT1_lS9_lSA_lS6_lPT4_lSA_li ; -- Begin function _ZL20rocblas_gemvn_kernelILi64ELi4EiPK19rocblas_complex_numIdES1_KPS1_EviiT3_lPKT2_lT1_lS9_lSA_lS6_lPT4_lSA_li
	.p2align	8
	.type	_ZL20rocblas_gemvn_kernelILi64ELi4EiPK19rocblas_complex_numIdES1_KPS1_EviiT3_lPKT2_lT1_lS9_lSA_lS6_lPT4_lSA_li,@function
_ZL20rocblas_gemvn_kernelILi64ELi4EiPK19rocblas_complex_numIdES1_KPS1_EviiT3_lPKT2_lT1_lS9_lSA_lS6_lPT4_lSA_li: ; @_ZL20rocblas_gemvn_kernelILi64ELi4EiPK19rocblas_complex_numIdES1_KPS1_EviiT3_lPKT2_lT1_lS9_lSA_lS6_lPT4_lSA_li
; %bb.0:
	s_load_b64 s[4:5], s[0:1], 0xac
	s_mov_b32 s2, s15
	s_waitcnt lgkmcnt(0)
	s_lshr_b32 s3, s4, 16
	s_and_b32 s15, s4, 0xffff
	s_and_b32 s4, s5, 0xffff
	s_mul_i32 s3, s3, s15
	s_delay_alu instid0(SALU_CYCLE_1) | instskip(NEXT) | instid1(SALU_CYCLE_1)
	s_mul_i32 s3, s3, s4
	s_cmpk_lg_i32 s3, 0x100
	s_cbranch_scc1 .LBB340_39
; %bb.1:
	s_clause 0x1
	s_load_b128 s[8:11], s[0:1], 0x8
	s_load_b128 s[4:7], s[0:1], 0x60
	s_mov_b32 s18, -1
	s_waitcnt lgkmcnt(0)
	v_cmp_neq_f64_e64 s3, s[8:9], 0
	v_cmp_neq_f64_e64 s12, s[10:11], 0
	s_delay_alu instid0(VALU_DEP_1) | instskip(NEXT) | instid1(SALU_CYCLE_1)
	s_or_b32 s12, s3, s12
                                        ; implicit-def: $sgpr3
	s_and_b32 vcc_lo, exec_lo, s12
	s_cbranch_vccnz .LBB340_4
; %bb.2:
	v_cmp_eq_f64_e64 s3, s[4:5], 1.0
	v_cmp_eq_f64_e64 s13, s[6:7], 0
	s_mov_b32 s18, 0
	s_delay_alu instid0(VALU_DEP_1) | instskip(NEXT) | instid1(SALU_CYCLE_1)
	s_and_b32 s3, s3, s13
	s_and_not1_b32 vcc_lo, exec_lo, s3
	s_cbranch_vccz .LBB340_4
; %bb.3:
	s_mov_b32 s3, 0
	s_mov_b32 s13, -1
	s_mov_b64 s[16:17], 0
	s_and_b32 vcc_lo, exec_lo, s18
	s_cbranch_vccnz .LBB340_5
	s_branch .LBB340_6
.LBB340_4:
	s_mov_b32 s13, 0
                                        ; implicit-def: $sgpr16_sgpr17
	s_and_b32 vcc_lo, exec_lo, s18
	s_cbranch_vccz .LBB340_6
.LBB340_5:
	s_load_b128 s[16:19], s[0:1], 0x20
	s_mov_b32 s3, 0
	s_mov_b32 s13, -1
	s_lshl_b64 s[20:21], s[2:3], 3
	s_waitcnt lgkmcnt(0)
	s_add_u32 s16, s16, s20
	s_addc_u32 s17, s17, s21
	s_lshl_b64 s[18:19], s[18:19], 4
	s_load_b64 s[16:17], s[16:17], 0x0
	s_waitcnt lgkmcnt(0)
	s_add_u32 s16, s16, s18
	s_addc_u32 s17, s17, s19
.LBB340_6:
	s_and_not1_b32 vcc_lo, exec_lo, s13
	s_cbranch_vccnz .LBB340_39
; %bb.7:
	v_cndmask_b32_e64 v1, 0, 1, s12
	s_xor_b32 s21, s12, -1
	s_mov_b64 s[18:19], 0
	s_delay_alu instid0(VALU_DEP_1)
	v_cmp_ne_u32_e32 vcc_lo, 1, v1
	s_cbranch_vccnz .LBB340_9
; %bb.8:
	s_load_b128 s[24:27], s[0:1], 0x40
	s_lshl_b64 s[12:13], s[2:3], 3
	s_waitcnt lgkmcnt(0)
	s_add_u32 s12, s24, s12
	s_addc_u32 s13, s25, s13
	s_lshl_b64 s[18:19], s[26:27], 4
	s_load_b64 s[12:13], s[12:13], 0x0
	s_waitcnt lgkmcnt(0)
	s_add_u32 s18, s12, s18
	s_addc_u32 s19, s13, s19
.LBB340_9:
	s_load_b128 s[24:27], s[0:1], 0x78
	s_lshl_b64 s[2:3], s[2:3], 3
	v_and_b32_e32 v1, 0x3ff, v0
	v_bfe_u32 v0, v0, 10, 10
	s_delay_alu instid0(VALU_DEP_1)
	v_mad_u32_u24 v10, v0, s15, v1
	s_waitcnt lgkmcnt(0)
	s_add_u32 s2, s24, s2
	s_addc_u32 s3, s25, s3
	s_lshl_b64 s[24:25], s[26:27], 4
	s_load_b64 s[22:23], s[2:3], 0x0
	s_clause 0x1
	s_load_b64 s[12:13], s[0:1], 0x0
	s_load_b32 s20, s[0:1], 0x88
	v_cmp_gt_u32_e64 s2, 64, v10
	s_waitcnt lgkmcnt(0)
	s_add_u32 s3, s22, s24
	s_addc_u32 s15, s23, s25
	s_and_not1_b32 vcc_lo, exec_lo, s21
	s_cbranch_vccnz .LBB340_16
; %bb.10:
	s_mov_b32 s22, 0
	s_mov_b32 s21, 0
                                        ; implicit-def: $vgpr2_vgpr3
                                        ; implicit-def: $vgpr8_vgpr9
	s_and_saveexec_b32 s23, s2
	s_cbranch_execz .LBB340_17
; %bb.11:
	v_lshl_or_b32 v0, s14, 6, v10
	v_mov_b32_e32 v1, 0
	s_ashr_i32 s25, s12, 31
	s_mov_b32 s24, s12
	s_mov_b32 s2, exec_lo
                                        ; implicit-def: $vgpr2_vgpr3
                                        ; implicit-def: $vgpr8_vgpr9
	s_delay_alu instid0(VALU_DEP_1)
	v_cmpx_gt_i64_e64 s[24:25], v[0:1]
	s_cbranch_execz .LBB340_15
; %bb.12:
	v_cmp_neq_f64_e64 s21, s[4:5], 0
	v_cmp_neq_f64_e64 s24, s[6:7], 0
	v_mad_u64_u32 v[8:9], null, v0, s20, 0
	s_ashr_i32 s25, s20, 31
	s_delay_alu instid0(VALU_DEP_1) | instskip(NEXT) | instid1(VALU_DEP_1)
	v_mov_b32_e32 v1, v9
	v_mad_u64_u32 v[4:5], null, v0, s25, v[1:2]
	v_mov_b32_e32 v2, 0
	v_mov_b32_e32 v3, 0
	s_delay_alu instid0(VALU_DEP_2) | instskip(NEXT) | instid1(VALU_DEP_2)
	v_dual_mov_b32 v0, v2 :: v_dual_mov_b32 v9, v4
	v_mov_b32_e32 v1, v3
	s_or_b32 s21, s21, s24
	s_delay_alu instid0(SALU_CYCLE_1)
	s_and_not1_b32 vcc_lo, exec_lo, s21
	s_cbranch_vccnz .LBB340_14
; %bb.13:
	v_lshlrev_b64 v[0:1], 4, v[8:9]
	s_delay_alu instid0(VALU_DEP_1) | instskip(NEXT) | instid1(VALU_DEP_2)
	v_add_co_u32 v0, vcc_lo, s3, v0
	v_add_co_ci_u32_e32 v1, vcc_lo, s15, v1, vcc_lo
	global_load_b128 v[2:5], v[0:1], off
	s_waitcnt vmcnt(0)
	v_mul_f64 v[0:1], s[6:7], v[4:5]
	v_mul_f64 v[4:5], s[4:5], v[4:5]
	s_delay_alu instid0(VALU_DEP_2) | instskip(NEXT) | instid1(VALU_DEP_2)
	v_fma_f64 v[0:1], s[4:5], v[2:3], -v[0:1]
	v_fma_f64 v[2:3], s[6:7], v[2:3], v[4:5]
.LBB340_14:
	s_mov_b32 s21, exec_lo
.LBB340_15:
	s_or_b32 exec_lo, exec_lo, s2
	s_delay_alu instid0(SALU_CYCLE_1) | instskip(SKIP_1) | instid1(SALU_CYCLE_1)
	s_and_b32 s21, s21, exec_lo
	s_or_b32 exec_lo, exec_lo, s23
	s_and_b32 vcc_lo, exec_lo, s22
	s_cbranch_vccnz .LBB340_18
	s_branch .LBB340_37
.LBB340_16:
	s_mov_b32 s21, 0
                                        ; implicit-def: $vgpr2_vgpr3
                                        ; implicit-def: $vgpr8_vgpr9
	s_cbranch_execnz .LBB340_18
	s_branch .LBB340_37
.LBB340_17:
	s_or_b32 exec_lo, exec_lo, s23
	s_delay_alu instid0(SALU_CYCLE_1)
	s_and_b32 vcc_lo, exec_lo, s22
	s_cbranch_vccz .LBB340_37
.LBB340_18:
	s_clause 0x1
	s_load_b32 s2, s[0:1], 0x30
	s_load_b32 s22, s[0:1], 0x50
	v_dual_mov_b32 v2, 0 :: v_dual_and_b32 v5, 63, v10
	v_mov_b32_e32 v3, 0
	s_ashr_i32 s0, s13, 31
	s_lshl_b32 s1, s14, 6
	s_lshr_b32 s0, s0, 30
	v_lshrrev_b32_e32 v8, 6, v10
	v_or_b32_e32 v9, s1, v5
	v_dual_mov_b32 v0, v2 :: v_dual_mov_b32 v1, v3
	s_add_i32 s0, s13, s0
	s_mov_b32 s23, exec_lo
	s_and_b32 s14, s0, -4
	s_delay_alu instid0(SALU_CYCLE_1)
	v_cmpx_gt_i32_e64 s14, v8
	s_cbranch_execz .LBB340_24
; %bb.19:
	s_waitcnt lgkmcnt(0)
	v_mul_lo_u32 v0, s2, v8
	v_mov_b32_e32 v2, 0
	v_mov_b32_e32 v3, 0
	v_mul_lo_u32 v4, s22, v8
	v_cmp_gt_i32_e32 vcc_lo, s12, v9
	s_lshl_b32 s24, s22, 2
	s_lshl_b32 s26, s2, 2
	s_mov_b32 s25, 0
	v_add3_u32 v6, v0, s1, v5
	v_dual_mov_b32 v0, v2 :: v_dual_mov_b32 v1, v3
	s_set_inst_prefetch_distance 0x1
	s_branch .LBB340_21
	.p2align	6
.LBB340_20:                             ;   in Loop: Header=BB340_21 Depth=1
	s_or_b32 exec_lo, exec_lo, s27
	v_add_nc_u32_e32 v8, 4, v8
	v_add_nc_u32_e32 v4, s24, v4
	;; [unrolled: 1-line block ×3, first 2 shown]
	s_delay_alu instid0(VALU_DEP_3) | instskip(NEXT) | instid1(VALU_DEP_1)
	v_cmp_le_i32_e64 s0, s14, v8
	s_or_b32 s25, s0, s25
	s_delay_alu instid0(SALU_CYCLE_1)
	s_and_not1_b32 exec_lo, exec_lo, s25
	s_cbranch_execz .LBB340_23
.LBB340_21:                             ; =>This Inner Loop Header: Depth=1
	s_and_saveexec_b32 s27, vcc_lo
	s_cbranch_execz .LBB340_20
; %bb.22:                               ;   in Loop: Header=BB340_21 Depth=1
	v_ashrrev_i32_e32 v5, 31, v4
	v_ashrrev_i32_e32 v7, 31, v6
	s_delay_alu instid0(VALU_DEP_2) | instskip(NEXT) | instid1(VALU_DEP_2)
	v_lshlrev_b64 v[11:12], 4, v[4:5]
	v_lshlrev_b64 v[13:14], 4, v[6:7]
	s_delay_alu instid0(VALU_DEP_2) | instskip(NEXT) | instid1(VALU_DEP_1)
	v_add_co_u32 v11, s0, s18, v11
	v_add_co_ci_u32_e64 v12, s0, s19, v12, s0
	s_delay_alu instid0(VALU_DEP_3) | instskip(NEXT) | instid1(VALU_DEP_1)
	v_add_co_u32 v15, s0, s16, v13
	v_add_co_ci_u32_e64 v16, s0, s17, v14, s0
	flat_load_b128 v[11:14], v[11:12]
	flat_load_b128 v[15:18], v[15:16]
	s_waitcnt vmcnt(0) lgkmcnt(0)
	v_mul_f64 v[19:20], v[13:14], v[17:18]
	v_mul_f64 v[17:18], v[11:12], v[17:18]
	s_delay_alu instid0(VALU_DEP_2) | instskip(NEXT) | instid1(VALU_DEP_2)
	v_fma_f64 v[11:12], v[11:12], v[15:16], -v[19:20]
	v_fma_f64 v[13:14], v[13:14], v[15:16], v[17:18]
	s_delay_alu instid0(VALU_DEP_2) | instskip(NEXT) | instid1(VALU_DEP_2)
	v_add_f64 v[0:1], v[0:1], v[11:12]
	v_add_f64 v[2:3], v[2:3], v[13:14]
	s_branch .LBB340_20
.LBB340_23:
	s_set_inst_prefetch_distance 0x2
	s_or_b32 exec_lo, exec_lo, s25
.LBB340_24:
	s_delay_alu instid0(SALU_CYCLE_1) | instskip(SKIP_1) | instid1(SALU_CYCLE_1)
	s_or_b32 exec_lo, exec_lo, s23
	s_sub_i32 s0, s13, s14
	s_cmp_lt_i32 s0, 1
	s_cbranch_scc1 .LBB340_30
; %bb.25:
	v_mov_b32_e32 v4, 0
	v_mov_b32_e32 v5, 0
	v_cmp_gt_i32_e32 vcc_lo, s13, v8
	s_delay_alu instid0(VALU_DEP_2)
	v_dual_mov_b32 v7, v5 :: v_dual_mov_b32 v6, v4
	s_and_saveexec_b32 s13, vcc_lo
	s_cbranch_execz .LBB340_27
; %bb.26:
	s_waitcnt lgkmcnt(0)
	v_mul_lo_u32 v4, v8, s22
	s_delay_alu instid0(VALU_DEP_1) | instskip(NEXT) | instid1(VALU_DEP_1)
	v_ashrrev_i32_e32 v5, 31, v4
	v_lshlrev_b64 v[4:5], 4, v[4:5]
	s_delay_alu instid0(VALU_DEP_1) | instskip(NEXT) | instid1(VALU_DEP_1)
	v_add_co_u32 v4, s0, s18, v4
	v_add_co_ci_u32_e64 v5, s0, s19, v5, s0
	flat_load_b128 v[4:7], v[4:5]
.LBB340_27:
	s_or_b32 exec_lo, exec_lo, s13
	s_delay_alu instid0(SALU_CYCLE_1)
	s_mov_b32 s13, exec_lo
	v_cmpx_gt_i32_e64 s12, v9
	s_cbranch_execz .LBB340_29
; %bb.28:
	s_waitcnt lgkmcnt(0)
	v_mul_lo_u32 v8, v8, s2
	s_delay_alu instid0(VALU_DEP_1) | instskip(NEXT) | instid1(VALU_DEP_1)
	v_cndmask_b32_e32 v8, 0, v8, vcc_lo
	v_add_nc_u32_e32 v8, v8, v9
	s_delay_alu instid0(VALU_DEP_1) | instskip(NEXT) | instid1(VALU_DEP_1)
	v_ashrrev_i32_e32 v9, 31, v8
	v_lshlrev_b64 v[8:9], 4, v[8:9]
	s_delay_alu instid0(VALU_DEP_1) | instskip(NEXT) | instid1(VALU_DEP_2)
	v_add_co_u32 v8, vcc_lo, s16, v8
	v_add_co_ci_u32_e32 v9, vcc_lo, s17, v9, vcc_lo
	flat_load_b128 v[11:14], v[8:9]
	s_waitcnt vmcnt(0) lgkmcnt(0)
	v_mul_f64 v[8:9], v[6:7], v[13:14]
	v_mul_f64 v[13:14], v[4:5], v[13:14]
	s_delay_alu instid0(VALU_DEP_2) | instskip(NEXT) | instid1(VALU_DEP_2)
	v_fma_f64 v[4:5], v[4:5], v[11:12], -v[8:9]
	v_fma_f64 v[6:7], v[6:7], v[11:12], v[13:14]
	s_delay_alu instid0(VALU_DEP_2) | instskip(NEXT) | instid1(VALU_DEP_2)
	v_add_f64 v[0:1], v[0:1], v[4:5]
	v_add_f64 v[2:3], v[2:3], v[6:7]
.LBB340_29:
	s_or_b32 exec_lo, exec_lo, s13
.LBB340_30:
	v_lshlrev_b32_e32 v11, 4, v10
	s_mov_b32 s0, exec_lo
                                        ; implicit-def: $vgpr8_vgpr9
	ds_store_b128 v11, v[0:3]
	s_waitcnt vmcnt(0) lgkmcnt(0)
	s_barrier
	buffer_gl0_inv
                                        ; implicit-def: $vgpr2_vgpr3
	v_cmpx_gt_u32_e32 64, v10
	s_cbranch_execz .LBB340_36
; %bb.31:
	ds_load_b128 v[0:3], v11
	ds_load_b128 v[4:7], v11 offset:1024
	v_or_b32_e32 v10, s1, v10
	s_mov_b32 s2, s21
	s_mov_b32 s1, exec_lo
	s_waitcnt lgkmcnt(0)
	v_add_f64 v[8:9], v[0:1], v[4:5]
	v_add_f64 v[12:13], v[2:3], v[6:7]
	ds_load_b128 v[0:3], v11 offset:2048
	ds_load_b128 v[4:7], v11 offset:3072
	s_waitcnt lgkmcnt(1)
	v_add_f64 v[0:1], v[8:9], v[0:1]
	v_add_f64 v[2:3], v[12:13], v[2:3]
                                        ; implicit-def: $vgpr8_vgpr9
	s_waitcnt lgkmcnt(0)
	s_delay_alu instid0(VALU_DEP_2) | instskip(NEXT) | instid1(VALU_DEP_2)
	v_add_f64 v[4:5], v[0:1], v[4:5]
	v_add_f64 v[6:7], v[2:3], v[6:7]
                                        ; implicit-def: $vgpr2_vgpr3
	ds_store_b128 v11, v[4:7]
	v_cmpx_gt_i32_e64 s12, v10
	s_cbranch_execz .LBB340_35
; %bb.32:
	v_mul_f64 v[0:1], s[10:11], v[6:7]
	v_mul_f64 v[2:3], s[8:9], v[6:7]
	v_cmp_neq_f64_e64 s2, s[4:5], 0
	v_cmp_neq_f64_e64 s12, s[6:7], 0
	v_mul_lo_u32 v8, v10, s20
	s_delay_alu instid0(VALU_DEP_1) | instskip(SKIP_3) | instid1(SALU_CYCLE_1)
	v_ashrrev_i32_e32 v9, 31, v8
	v_fma_f64 v[0:1], s[8:9], v[4:5], -v[0:1]
	v_fma_f64 v[2:3], s[10:11], v[4:5], v[2:3]
	s_or_b32 s2, s2, s12
	s_and_not1_b32 vcc_lo, exec_lo, s2
	s_cbranch_vccnz .LBB340_34
; %bb.33:
	v_lshlrev_b64 v[4:5], 4, v[8:9]
	s_delay_alu instid0(VALU_DEP_1) | instskip(NEXT) | instid1(VALU_DEP_2)
	v_add_co_u32 v4, vcc_lo, s3, v4
	v_add_co_ci_u32_e32 v5, vcc_lo, s15, v5, vcc_lo
	global_load_b128 v[4:7], v[4:5], off
	s_waitcnt vmcnt(0)
	v_mul_f64 v[10:11], s[6:7], v[6:7]
	v_mul_f64 v[6:7], s[4:5], v[6:7]
	s_delay_alu instid0(VALU_DEP_2) | instskip(NEXT) | instid1(VALU_DEP_2)
	v_fma_f64 v[10:11], s[4:5], v[4:5], -v[10:11]
	v_fma_f64 v[4:5], s[6:7], v[4:5], v[6:7]
	s_delay_alu instid0(VALU_DEP_2) | instskip(NEXT) | instid1(VALU_DEP_2)
	v_add_f64 v[0:1], v[0:1], v[10:11]
	v_add_f64 v[2:3], v[2:3], v[4:5]
.LBB340_34:
	s_or_b32 s2, s21, exec_lo
.LBB340_35:
	s_or_b32 exec_lo, exec_lo, s1
	s_delay_alu instid0(SALU_CYCLE_1) | instskip(SKIP_1) | instid1(SALU_CYCLE_1)
	s_and_not1_b32 s1, s21, exec_lo
	s_and_b32 s2, s2, exec_lo
	s_or_b32 s21, s1, s2
.LBB340_36:
	s_or_b32 exec_lo, exec_lo, s0
.LBB340_37:
	s_and_saveexec_b32 s0, s21
	s_cbranch_execz .LBB340_39
; %bb.38:
	v_lshlrev_b64 v[4:5], 4, v[8:9]
	s_delay_alu instid0(VALU_DEP_1) | instskip(NEXT) | instid1(VALU_DEP_2)
	v_add_co_u32 v4, vcc_lo, s3, v4
	v_add_co_ci_u32_e32 v5, vcc_lo, s15, v5, vcc_lo
	global_store_b128 v[4:5], v[0:3], off
.LBB340_39:
	s_nop 0
	s_sendmsg sendmsg(MSG_DEALLOC_VGPRS)
	s_endpgm
	.section	.rodata,"a",@progbits
	.p2align	6, 0x0
	.amdhsa_kernel _ZL20rocblas_gemvn_kernelILi64ELi4EiPK19rocblas_complex_numIdES1_KPS1_EviiT3_lPKT2_lT1_lS9_lSA_lS6_lPT4_lSA_li
		.amdhsa_group_segment_fixed_size 4096
		.amdhsa_private_segment_fixed_size 0
		.amdhsa_kernarg_size 416
		.amdhsa_user_sgpr_count 14
		.amdhsa_user_sgpr_dispatch_ptr 0
		.amdhsa_user_sgpr_queue_ptr 0
		.amdhsa_user_sgpr_kernarg_segment_ptr 1
		.amdhsa_user_sgpr_dispatch_id 0
		.amdhsa_user_sgpr_private_segment_size 0
		.amdhsa_wavefront_size32 1
		.amdhsa_uses_dynamic_stack 0
		.amdhsa_enable_private_segment 0
		.amdhsa_system_sgpr_workgroup_id_x 1
		.amdhsa_system_sgpr_workgroup_id_y 0
		.amdhsa_system_sgpr_workgroup_id_z 1
		.amdhsa_system_sgpr_workgroup_info 0
		.amdhsa_system_vgpr_workitem_id 1
		.amdhsa_next_free_vgpr 21
		.amdhsa_next_free_sgpr 28
		.amdhsa_reserve_vcc 1
		.amdhsa_float_round_mode_32 0
		.amdhsa_float_round_mode_16_64 0
		.amdhsa_float_denorm_mode_32 3
		.amdhsa_float_denorm_mode_16_64 3
		.amdhsa_dx10_clamp 1
		.amdhsa_ieee_mode 1
		.amdhsa_fp16_overflow 0
		.amdhsa_workgroup_processor_mode 1
		.amdhsa_memory_ordered 1
		.amdhsa_forward_progress 0
		.amdhsa_shared_vgpr_count 0
		.amdhsa_exception_fp_ieee_invalid_op 0
		.amdhsa_exception_fp_denorm_src 0
		.amdhsa_exception_fp_ieee_div_zero 0
		.amdhsa_exception_fp_ieee_overflow 0
		.amdhsa_exception_fp_ieee_underflow 0
		.amdhsa_exception_fp_ieee_inexact 0
		.amdhsa_exception_int_div_zero 0
	.end_amdhsa_kernel
	.section	.text._ZL20rocblas_gemvn_kernelILi64ELi4EiPK19rocblas_complex_numIdES1_KPS1_EviiT3_lPKT2_lT1_lS9_lSA_lS6_lPT4_lSA_li,"axG",@progbits,_ZL20rocblas_gemvn_kernelILi64ELi4EiPK19rocblas_complex_numIdES1_KPS1_EviiT3_lPKT2_lT1_lS9_lSA_lS6_lPT4_lSA_li,comdat
.Lfunc_end340:
	.size	_ZL20rocblas_gemvn_kernelILi64ELi4EiPK19rocblas_complex_numIdES1_KPS1_EviiT3_lPKT2_lT1_lS9_lSA_lS6_lPT4_lSA_li, .Lfunc_end340-_ZL20rocblas_gemvn_kernelILi64ELi4EiPK19rocblas_complex_numIdES1_KPS1_EviiT3_lPKT2_lT1_lS9_lSA_lS6_lPT4_lSA_li
                                        ; -- End function
	.section	.AMDGPU.csdata,"",@progbits
; Kernel info:
; codeLenInByte = 1752
; NumSgprs: 30
; NumVgprs: 21
; ScratchSize: 0
; MemoryBound: 1
; FloatMode: 240
; IeeeMode: 1
; LDSByteSize: 4096 bytes/workgroup (compile time only)
; SGPRBlocks: 3
; VGPRBlocks: 2
; NumSGPRsForWavesPerEU: 30
; NumVGPRsForWavesPerEU: 21
; Occupancy: 16
; WaveLimiterHint : 1
; COMPUTE_PGM_RSRC2:SCRATCH_EN: 0
; COMPUTE_PGM_RSRC2:USER_SGPR: 14
; COMPUTE_PGM_RSRC2:TRAP_HANDLER: 0
; COMPUTE_PGM_RSRC2:TGID_X_EN: 1
; COMPUTE_PGM_RSRC2:TGID_Y_EN: 0
; COMPUTE_PGM_RSRC2:TGID_Z_EN: 1
; COMPUTE_PGM_RSRC2:TIDIG_COMP_CNT: 1
	.section	.text._ZL20rocblas_gemvn_kernelILi64ELi4ElPK19rocblas_complex_numIdES1_KPS1_EviiT3_lPKT2_lT1_lS9_lSA_lS6_lPT4_lSA_li,"axG",@progbits,_ZL20rocblas_gemvn_kernelILi64ELi4ElPK19rocblas_complex_numIdES1_KPS1_EviiT3_lPKT2_lT1_lS9_lSA_lS6_lPT4_lSA_li,comdat
	.globl	_ZL20rocblas_gemvn_kernelILi64ELi4ElPK19rocblas_complex_numIdES1_KPS1_EviiT3_lPKT2_lT1_lS9_lSA_lS6_lPT4_lSA_li ; -- Begin function _ZL20rocblas_gemvn_kernelILi64ELi4ElPK19rocblas_complex_numIdES1_KPS1_EviiT3_lPKT2_lT1_lS9_lSA_lS6_lPT4_lSA_li
	.p2align	8
	.type	_ZL20rocblas_gemvn_kernelILi64ELi4ElPK19rocblas_complex_numIdES1_KPS1_EviiT3_lPKT2_lT1_lS9_lSA_lS6_lPT4_lSA_li,@function
_ZL20rocblas_gemvn_kernelILi64ELi4ElPK19rocblas_complex_numIdES1_KPS1_EviiT3_lPKT2_lT1_lS9_lSA_lS6_lPT4_lSA_li: ; @_ZL20rocblas_gemvn_kernelILi64ELi4ElPK19rocblas_complex_numIdES1_KPS1_EviiT3_lPKT2_lT1_lS9_lSA_lS6_lPT4_lSA_li
; %bb.0:
	s_load_b64 s[4:5], s[0:1], 0xac
	s_mov_b32 s2, s15
	s_waitcnt lgkmcnt(0)
	s_lshr_b32 s3, s4, 16
	s_and_b32 s15, s4, 0xffff
	s_and_b32 s4, s5, 0xffff
	s_mul_i32 s3, s3, s15
	s_delay_alu instid0(SALU_CYCLE_1) | instskip(NEXT) | instid1(SALU_CYCLE_1)
	s_mul_i32 s3, s3, s4
	s_cmpk_lg_i32 s3, 0x100
	s_cbranch_scc1 .LBB341_39
; %bb.1:
	s_clause 0x3
	s_load_b128 s[8:11], s[0:1], 0x8
	s_load_b128 s[16:19], s[0:1], 0x20
	s_load_b64 s[12:13], s[0:1], 0x30
	s_load_b128 s[4:7], s[0:1], 0x60
	s_mov_b32 s23, -1
	s_waitcnt lgkmcnt(0)
	v_cmp_neq_f64_e64 s3, s[8:9], 0
	v_cmp_neq_f64_e64 s20, s[10:11], 0
	s_delay_alu instid0(VALU_DEP_1) | instskip(NEXT) | instid1(SALU_CYCLE_1)
	s_or_b32 s24, s3, s20
                                        ; implicit-def: $sgpr3
	s_and_b32 vcc_lo, exec_lo, s24
	s_cbranch_vccnz .LBB341_4
; %bb.2:
	v_cmp_eq_f64_e64 s3, s[4:5], 1.0
	v_cmp_eq_f64_e64 s20, s[6:7], 0
	s_mov_b32 s23, 0
	s_delay_alu instid0(VALU_DEP_1) | instskip(NEXT) | instid1(SALU_CYCLE_1)
	s_and_b32 s3, s3, s20
	s_and_not1_b32 vcc_lo, exec_lo, s3
	s_cbranch_vccz .LBB341_4
; %bb.3:
	s_mov_b32 s3, 0
	s_mov_b32 s22, -1
	s_mov_b64 s[20:21], 0
	s_and_b32 vcc_lo, exec_lo, s23
	s_cbranch_vccnz .LBB341_5
	s_branch .LBB341_6
.LBB341_4:
	s_mov_b32 s22, 0
                                        ; implicit-def: $sgpr20_sgpr21
	s_and_b32 vcc_lo, exec_lo, s23
	s_cbranch_vccz .LBB341_6
.LBB341_5:
	s_mov_b32 s3, 0
	s_mov_b32 s22, -1
	s_lshl_b64 s[20:21], s[2:3], 3
	s_delay_alu instid0(SALU_CYCLE_1)
	s_add_u32 s16, s16, s20
	s_addc_u32 s17, s17, s21
	s_lshl_b64 s[18:19], s[18:19], 4
	s_load_b64 s[16:17], s[16:17], 0x0
	s_waitcnt lgkmcnt(0)
	s_add_u32 s20, s16, s18
	s_addc_u32 s21, s17, s19
.LBB341_6:
	s_and_not1_b32 vcc_lo, exec_lo, s22
	s_cbranch_vccnz .LBB341_39
; %bb.7:
	s_clause 0x1
	s_load_b128 s[16:19], s[0:1], 0x40
	s_load_b64 s[22:23], s[0:1], 0x50
	v_cndmask_b32_e64 v1, 0, 1, s24
	s_xor_b32 s28, s24, -1
	s_mov_b64 s[24:25], 0
	s_delay_alu instid0(VALU_DEP_1)
	v_cmp_ne_u32_e32 vcc_lo, 1, v1
	s_cbranch_vccnz .LBB341_9
; %bb.8:
	s_lshl_b64 s[24:25], s[2:3], 3
	s_waitcnt lgkmcnt(0)
	s_add_u32 s16, s16, s24
	s_addc_u32 s17, s17, s25
	s_lshl_b64 s[18:19], s[18:19], 4
	s_load_b64 s[16:17], s[16:17], 0x0
	s_waitcnt lgkmcnt(0)
	s_add_u32 s24, s16, s18
	s_addc_u32 s25, s17, s19
.LBB341_9:
	s_waitcnt lgkmcnt(0)
	s_load_b128 s[16:19], s[0:1], 0x78
	s_lshl_b64 s[2:3], s[2:3], 3
	v_and_b32_e32 v1, 0x3ff, v0
	v_bfe_u32 v0, v0, 10, 10
	s_delay_alu instid0(VALU_DEP_1)
	v_mad_u32_u24 v10, v0, s15, v1
	s_waitcnt lgkmcnt(0)
	s_add_u32 s2, s16, s2
	s_addc_u32 s3, s17, s3
	s_lshl_b64 s[18:19], s[18:19], 4
	s_load_b64 s[26:27], s[2:3], 0x0
	s_clause 0x1
	s_load_b64 s[16:17], s[0:1], 0x0
	s_load_b64 s[2:3], s[0:1], 0x88
	v_cmp_gt_u32_e64 s0, 64, v10
	s_waitcnt lgkmcnt(0)
	s_add_u32 s26, s26, s18
	s_addc_u32 s27, s27, s19
	s_and_not1_b32 vcc_lo, exec_lo, s28
	s_cbranch_vccnz .LBB341_16
; %bb.10:
	s_mov_b32 s1, 0
	s_mov_b32 s28, 0
                                        ; implicit-def: $vgpr2_vgpr3
                                        ; implicit-def: $vgpr8_vgpr9
	s_and_saveexec_b32 s15, s0
	s_cbranch_execz .LBB341_17
; %bb.11:
	v_lshl_or_b32 v0, s14, 6, v10
	v_mov_b32_e32 v1, 0
	s_ashr_i32 s19, s16, 31
	s_mov_b32 s18, s16
                                        ; implicit-def: $vgpr2_vgpr3
                                        ; implicit-def: $vgpr8_vgpr9
	s_delay_alu instid0(VALU_DEP_1) | instid1(SALU_CYCLE_1)
	v_cmp_gt_i64_e32 vcc_lo, s[18:19], v[0:1]
	s_mov_b32 s18, 0
	s_and_saveexec_b32 s0, vcc_lo
	s_cbranch_execz .LBB341_15
; %bb.12:
	v_cmp_neq_f64_e64 s18, s[4:5], 0
	v_cmp_neq_f64_e64 s19, s[6:7], 0
	v_mad_u64_u32 v[8:9], null, v0, s2, 0
	s_delay_alu instid0(VALU_DEP_1) | instskip(NEXT) | instid1(VALU_DEP_1)
	v_mov_b32_e32 v1, v9
	v_mad_u64_u32 v[4:5], null, v0, s3, v[1:2]
	v_mov_b32_e32 v2, 0
	v_mov_b32_e32 v3, 0
	s_delay_alu instid0(VALU_DEP_2) | instskip(NEXT) | instid1(VALU_DEP_2)
	v_dual_mov_b32 v0, v2 :: v_dual_mov_b32 v9, v4
	v_mov_b32_e32 v1, v3
	s_or_b32 s18, s18, s19
	s_delay_alu instid0(SALU_CYCLE_1)
	s_and_not1_b32 vcc_lo, exec_lo, s18
	s_cbranch_vccnz .LBB341_14
; %bb.13:
	v_lshlrev_b64 v[0:1], 4, v[8:9]
	s_delay_alu instid0(VALU_DEP_1) | instskip(NEXT) | instid1(VALU_DEP_2)
	v_add_co_u32 v0, vcc_lo, s26, v0
	v_add_co_ci_u32_e32 v1, vcc_lo, s27, v1, vcc_lo
	global_load_b128 v[2:5], v[0:1], off
	s_waitcnt vmcnt(0)
	v_mul_f64 v[0:1], s[6:7], v[4:5]
	v_mul_f64 v[4:5], s[4:5], v[4:5]
	s_delay_alu instid0(VALU_DEP_2) | instskip(NEXT) | instid1(VALU_DEP_2)
	v_fma_f64 v[0:1], s[4:5], v[2:3], -v[0:1]
	v_fma_f64 v[2:3], s[6:7], v[2:3], v[4:5]
.LBB341_14:
	s_mov_b32 s18, exec_lo
.LBB341_15:
	s_or_b32 exec_lo, exec_lo, s0
	s_delay_alu instid0(SALU_CYCLE_1) | instskip(SKIP_1) | instid1(SALU_CYCLE_1)
	s_and_b32 s28, s18, exec_lo
	s_or_b32 exec_lo, exec_lo, s15
	s_and_b32 vcc_lo, exec_lo, s1
	s_cbranch_vccnz .LBB341_18
	s_branch .LBB341_37
.LBB341_16:
	s_mov_b32 s28, 0
                                        ; implicit-def: $vgpr2_vgpr3
                                        ; implicit-def: $vgpr8_vgpr9
	s_cbranch_execnz .LBB341_18
	s_branch .LBB341_37
.LBB341_17:
	s_or_b32 exec_lo, exec_lo, s15
	s_delay_alu instid0(SALU_CYCLE_1)
	s_and_b32 vcc_lo, exec_lo, s1
	s_cbranch_vccz .LBB341_37
.LBB341_18:
	v_mov_b32_e32 v2, 0
	v_dual_mov_b32 v3, 0 :: v_dual_and_b32 v4, 63, v10
	s_ashr_i32 s0, s17, 31
	s_lshl_b32 s29, s14, 6
	s_lshr_b32 s0, s0, 30
	v_lshrrev_b32_e32 v9, 6, v10
	v_or_b32_e32 v8, s29, v4
	v_dual_mov_b32 v0, v2 :: v_dual_mov_b32 v1, v3
	s_add_i32 s0, s17, s0
	s_mov_b32 s31, exec_lo
	s_and_b32 s30, s0, -4
	s_delay_alu instid0(SALU_CYCLE_1)
	v_cmpx_gt_i32_e64 s30, v9
	s_cbranch_execz .LBB341_24
; %bb.19:
	v_lshrrev_b32_e32 v13, 6, v10
	v_cmp_gt_i32_e32 vcc_lo, s16, v8
	s_lshl_b64 s[14:15], s[22:23], 6
	s_lshl_b64 s[18:19], s[12:13], 6
	s_mov_b32 s33, 0
	v_mad_u64_u32 v[5:6], null, s22, v13, 0
	v_mad_u64_u32 v[0:1], null, s12, v13, 0
	s_delay_alu instid0(VALU_DEP_2) | instskip(NEXT) | instid1(VALU_DEP_1)
	v_dual_mov_b32 v2, v6 :: v_dual_add_nc_u32 v3, s29, v4
	v_ashrrev_i32_e32 v4, 31, v3
	s_delay_alu instid0(VALU_DEP_2) | instskip(SKIP_1) | instid1(VALU_DEP_3)
	v_mad_u64_u32 v[6:7], null, s13, v13, v[1:2]
	v_mad_u64_u32 v[11:12], null, s23, v13, v[2:3]
	v_lshlrev_b64 v[12:13], 4, v[3:4]
	v_mov_b32_e32 v2, 0
	v_mov_b32_e32 v3, 0
	s_delay_alu instid0(VALU_DEP_4) | instskip(NEXT) | instid1(VALU_DEP_1)
	v_dual_mov_b32 v1, v6 :: v_dual_mov_b32 v6, v11
	v_lshlrev_b64 v[0:1], 4, v[0:1]
	s_delay_alu instid0(VALU_DEP_2) | instskip(NEXT) | instid1(VALU_DEP_2)
	v_lshlrev_b64 v[4:5], 4, v[5:6]
	v_add_co_u32 v0, s0, v0, v12
	s_delay_alu instid0(VALU_DEP_1) | instskip(NEXT) | instid1(VALU_DEP_3)
	v_add_co_ci_u32_e64 v1, s0, v1, v13, s0
	v_add_co_u32 v4, s0, s24, v4
	s_delay_alu instid0(VALU_DEP_1) | instskip(NEXT) | instid1(VALU_DEP_4)
	v_add_co_ci_u32_e64 v5, s0, s25, v5, s0
	v_add_co_u32 v6, s0, s20, v0
	s_delay_alu instid0(VALU_DEP_1)
	v_add_co_ci_u32_e64 v7, s0, s21, v1, s0
	v_dual_mov_b32 v0, v2 :: v_dual_mov_b32 v1, v3
	s_set_inst_prefetch_distance 0x1
	s_branch .LBB341_21
	.p2align	6
.LBB341_20:                             ;   in Loop: Header=BB341_21 Depth=1
	s_or_b32 exec_lo, exec_lo, s0
	v_add_nc_u32_e32 v9, 4, v9
	v_add_co_u32 v4, s0, v4, s14
	s_delay_alu instid0(VALU_DEP_1) | instskip(NEXT) | instid1(VALU_DEP_3)
	v_add_co_ci_u32_e64 v5, s0, s15, v5, s0
	v_cmp_le_i32_e64 s0, s30, v9
	v_add_co_u32 v6, s1, v6, s18
	s_delay_alu instid0(VALU_DEP_1) | instskip(NEXT) | instid1(VALU_DEP_3)
	v_add_co_ci_u32_e64 v7, s1, s19, v7, s1
	s_or_b32 s33, s0, s33
	s_delay_alu instid0(SALU_CYCLE_1)
	s_and_not1_b32 exec_lo, exec_lo, s33
	s_cbranch_execz .LBB341_23
.LBB341_21:                             ; =>This Inner Loop Header: Depth=1
	s_and_saveexec_b32 s0, vcc_lo
	s_cbranch_execz .LBB341_20
; %bb.22:                               ;   in Loop: Header=BB341_21 Depth=1
	flat_load_b128 v[11:14], v[4:5]
	flat_load_b128 v[15:18], v[6:7]
	s_waitcnt vmcnt(0) lgkmcnt(0)
	v_mul_f64 v[19:20], v[13:14], v[17:18]
	v_mul_f64 v[17:18], v[11:12], v[17:18]
	s_delay_alu instid0(VALU_DEP_2) | instskip(NEXT) | instid1(VALU_DEP_2)
	v_fma_f64 v[11:12], v[11:12], v[15:16], -v[19:20]
	v_fma_f64 v[13:14], v[13:14], v[15:16], v[17:18]
	s_delay_alu instid0(VALU_DEP_2) | instskip(NEXT) | instid1(VALU_DEP_2)
	v_add_f64 v[0:1], v[0:1], v[11:12]
	v_add_f64 v[2:3], v[2:3], v[13:14]
	s_branch .LBB341_20
.LBB341_23:
	s_set_inst_prefetch_distance 0x2
	s_or_b32 exec_lo, exec_lo, s33
.LBB341_24:
	s_delay_alu instid0(SALU_CYCLE_1) | instskip(SKIP_1) | instid1(SALU_CYCLE_1)
	s_or_b32 exec_lo, exec_lo, s31
	s_sub_i32 s0, s17, s30
	s_cmp_lt_i32 s0, 1
	s_cbranch_scc1 .LBB341_30
; %bb.25:
	v_mov_b32_e32 v4, 0
	v_mov_b32_e32 v5, 0
	v_cmp_gt_i32_e32 vcc_lo, s17, v9
	s_delay_alu instid0(VALU_DEP_2)
	v_dual_mov_b32 v7, v5 :: v_dual_mov_b32 v6, v4
	s_and_saveexec_b32 s1, vcc_lo
	s_cbranch_execz .LBB341_27
; %bb.26:
	v_mad_u64_u32 v[4:5], null, v9, s22, 0
	s_delay_alu instid0(VALU_DEP_1) | instskip(NEXT) | instid1(VALU_DEP_1)
	v_mad_u64_u32 v[6:7], null, v9, s23, v[5:6]
	v_mov_b32_e32 v5, v6
	s_delay_alu instid0(VALU_DEP_1) | instskip(NEXT) | instid1(VALU_DEP_1)
	v_lshlrev_b64 v[4:5], 4, v[4:5]
	v_add_co_u32 v4, s0, s24, v4
	s_delay_alu instid0(VALU_DEP_1)
	v_add_co_ci_u32_e64 v5, s0, s25, v5, s0
	flat_load_b128 v[4:7], v[4:5]
.LBB341_27:
	s_or_b32 exec_lo, exec_lo, s1
	s_delay_alu instid0(SALU_CYCLE_1)
	s_mov_b32 s1, exec_lo
	v_cmpx_gt_i32_e64 s16, v8
	s_cbranch_execz .LBB341_29
; %bb.28:
	v_mad_u64_u32 v[11:12], null, v9, s12, 0
	s_delay_alu instid0(VALU_DEP_1) | instskip(NEXT) | instid1(VALU_DEP_2)
	v_mad_u64_u32 v[13:14], null, v9, s13, v[12:13]
	v_cndmask_b32_e32 v11, 0, v11, vcc_lo
	v_ashrrev_i32_e32 v9, 31, v8
	s_delay_alu instid0(VALU_DEP_3) | instskip(NEXT) | instid1(VALU_DEP_2)
	v_cndmask_b32_e32 v12, 0, v13, vcc_lo
	v_lshlrev_b64 v[8:9], 4, v[8:9]
	s_delay_alu instid0(VALU_DEP_2) | instskip(NEXT) | instid1(VALU_DEP_1)
	v_lshlrev_b64 v[11:12], 4, v[11:12]
	v_add_co_u32 v11, vcc_lo, s20, v11
	s_delay_alu instid0(VALU_DEP_2) | instskip(NEXT) | instid1(VALU_DEP_2)
	v_add_co_ci_u32_e32 v12, vcc_lo, s21, v12, vcc_lo
	v_add_co_u32 v8, vcc_lo, v11, v8
	s_delay_alu instid0(VALU_DEP_2) | instskip(SKIP_4) | instid1(VALU_DEP_2)
	v_add_co_ci_u32_e32 v9, vcc_lo, v12, v9, vcc_lo
	flat_load_b128 v[11:14], v[8:9]
	s_waitcnt vmcnt(0) lgkmcnt(0)
	v_mul_f64 v[8:9], v[6:7], v[13:14]
	v_mul_f64 v[13:14], v[4:5], v[13:14]
	v_fma_f64 v[4:5], v[4:5], v[11:12], -v[8:9]
	s_delay_alu instid0(VALU_DEP_2) | instskip(NEXT) | instid1(VALU_DEP_2)
	v_fma_f64 v[6:7], v[6:7], v[11:12], v[13:14]
	v_add_f64 v[0:1], v[0:1], v[4:5]
	s_delay_alu instid0(VALU_DEP_2)
	v_add_f64 v[2:3], v[2:3], v[6:7]
.LBB341_29:
	s_or_b32 exec_lo, exec_lo, s1
.LBB341_30:
	v_lshlrev_b32_e32 v11, 4, v10
	s_mov_b32 s0, exec_lo
                                        ; implicit-def: $vgpr8_vgpr9
	ds_store_b128 v11, v[0:3]
	s_waitcnt vmcnt(0) lgkmcnt(0)
	s_barrier
	buffer_gl0_inv
                                        ; implicit-def: $vgpr2_vgpr3
	v_cmpx_gt_u32_e32 64, v10
	s_cbranch_execz .LBB341_36
; %bb.31:
	ds_load_b128 v[0:3], v11
	ds_load_b128 v[4:7], v11 offset:1024
	v_or_b32_e32 v10, s29, v10
	s_mov_b32 s12, s28
	s_mov_b32 s1, exec_lo
	s_waitcnt lgkmcnt(0)
	v_add_f64 v[8:9], v[0:1], v[4:5]
	v_add_f64 v[12:13], v[2:3], v[6:7]
	ds_load_b128 v[0:3], v11 offset:2048
	ds_load_b128 v[4:7], v11 offset:3072
	s_waitcnt lgkmcnt(1)
	v_add_f64 v[0:1], v[8:9], v[0:1]
	v_add_f64 v[2:3], v[12:13], v[2:3]
                                        ; implicit-def: $vgpr8_vgpr9
	s_waitcnt lgkmcnt(0)
	s_delay_alu instid0(VALU_DEP_2) | instskip(NEXT) | instid1(VALU_DEP_2)
	v_add_f64 v[4:5], v[0:1], v[4:5]
	v_add_f64 v[6:7], v[2:3], v[6:7]
                                        ; implicit-def: $vgpr2_vgpr3
	ds_store_b128 v11, v[4:7]
	v_cmpx_gt_i32_e64 s16, v10
	s_cbranch_execz .LBB341_35
; %bb.32:
	v_mul_f64 v[0:1], s[10:11], v[6:7]
	v_mul_f64 v[2:3], s[8:9], v[6:7]
	v_cmp_neq_f64_e64 s12, s[4:5], 0
	v_cmp_neq_f64_e64 s13, s[6:7], 0
	v_mad_u64_u32 v[8:9], null, v10, s2, 0
	v_fma_f64 v[0:1], s[8:9], v[4:5], -v[0:1]
	v_fma_f64 v[2:3], s[10:11], v[4:5], v[2:3]
	v_ashrrev_i32_e32 v4, 31, v10
	v_mul_lo_u32 v5, v10, s3
	s_delay_alu instid0(VALU_DEP_2) | instskip(SKIP_1) | instid1(SALU_CYCLE_1)
	v_mul_lo_u32 v4, v4, s2
	s_or_b32 s2, s12, s13
	s_and_not1_b32 vcc_lo, exec_lo, s2
	s_delay_alu instid0(VALU_DEP_1)
	v_add3_u32 v9, v9, v5, v4
	s_cbranch_vccnz .LBB341_34
; %bb.33:
	s_delay_alu instid0(VALU_DEP_1) | instskip(NEXT) | instid1(VALU_DEP_1)
	v_lshlrev_b64 v[4:5], 4, v[8:9]
	v_add_co_u32 v4, vcc_lo, s26, v4
	s_delay_alu instid0(VALU_DEP_2) | instskip(SKIP_4) | instid1(VALU_DEP_2)
	v_add_co_ci_u32_e32 v5, vcc_lo, s27, v5, vcc_lo
	global_load_b128 v[4:7], v[4:5], off
	s_waitcnt vmcnt(0)
	v_mul_f64 v[10:11], s[6:7], v[6:7]
	v_mul_f64 v[6:7], s[4:5], v[6:7]
	v_fma_f64 v[10:11], s[4:5], v[4:5], -v[10:11]
	s_delay_alu instid0(VALU_DEP_2) | instskip(NEXT) | instid1(VALU_DEP_2)
	v_fma_f64 v[4:5], s[6:7], v[4:5], v[6:7]
	v_add_f64 v[0:1], v[0:1], v[10:11]
	s_delay_alu instid0(VALU_DEP_2)
	v_add_f64 v[2:3], v[2:3], v[4:5]
.LBB341_34:
	s_or_b32 s12, s28, exec_lo
.LBB341_35:
	s_or_b32 exec_lo, exec_lo, s1
	s_delay_alu instid0(SALU_CYCLE_1) | instskip(SKIP_1) | instid1(SALU_CYCLE_1)
	s_and_not1_b32 s1, s28, exec_lo
	s_and_b32 s2, s12, exec_lo
	s_or_b32 s28, s1, s2
.LBB341_36:
	s_or_b32 exec_lo, exec_lo, s0
.LBB341_37:
	s_and_saveexec_b32 s0, s28
	s_cbranch_execz .LBB341_39
; %bb.38:
	v_lshlrev_b64 v[4:5], 4, v[8:9]
	s_delay_alu instid0(VALU_DEP_1) | instskip(NEXT) | instid1(VALU_DEP_2)
	v_add_co_u32 v4, vcc_lo, s26, v4
	v_add_co_ci_u32_e32 v5, vcc_lo, s27, v5, vcc_lo
	global_store_b128 v[4:5], v[0:3], off
.LBB341_39:
	s_nop 0
	s_sendmsg sendmsg(MSG_DEALLOC_VGPRS)
	s_endpgm
	.section	.rodata,"a",@progbits
	.p2align	6, 0x0
	.amdhsa_kernel _ZL20rocblas_gemvn_kernelILi64ELi4ElPK19rocblas_complex_numIdES1_KPS1_EviiT3_lPKT2_lT1_lS9_lSA_lS6_lPT4_lSA_li
		.amdhsa_group_segment_fixed_size 4096
		.amdhsa_private_segment_fixed_size 0
		.amdhsa_kernarg_size 416
		.amdhsa_user_sgpr_count 14
		.amdhsa_user_sgpr_dispatch_ptr 0
		.amdhsa_user_sgpr_queue_ptr 0
		.amdhsa_user_sgpr_kernarg_segment_ptr 1
		.amdhsa_user_sgpr_dispatch_id 0
		.amdhsa_user_sgpr_private_segment_size 0
		.amdhsa_wavefront_size32 1
		.amdhsa_uses_dynamic_stack 0
		.amdhsa_enable_private_segment 0
		.amdhsa_system_sgpr_workgroup_id_x 1
		.amdhsa_system_sgpr_workgroup_id_y 0
		.amdhsa_system_sgpr_workgroup_id_z 1
		.amdhsa_system_sgpr_workgroup_info 0
		.amdhsa_system_vgpr_workitem_id 1
		.amdhsa_next_free_vgpr 21
		.amdhsa_next_free_sgpr 34
		.amdhsa_reserve_vcc 1
		.amdhsa_float_round_mode_32 0
		.amdhsa_float_round_mode_16_64 0
		.amdhsa_float_denorm_mode_32 3
		.amdhsa_float_denorm_mode_16_64 3
		.amdhsa_dx10_clamp 1
		.amdhsa_ieee_mode 1
		.amdhsa_fp16_overflow 0
		.amdhsa_workgroup_processor_mode 1
		.amdhsa_memory_ordered 1
		.amdhsa_forward_progress 0
		.amdhsa_shared_vgpr_count 0
		.amdhsa_exception_fp_ieee_invalid_op 0
		.amdhsa_exception_fp_denorm_src 0
		.amdhsa_exception_fp_ieee_div_zero 0
		.amdhsa_exception_fp_ieee_overflow 0
		.amdhsa_exception_fp_ieee_underflow 0
		.amdhsa_exception_fp_ieee_inexact 0
		.amdhsa_exception_int_div_zero 0
	.end_amdhsa_kernel
	.section	.text._ZL20rocblas_gemvn_kernelILi64ELi4ElPK19rocblas_complex_numIdES1_KPS1_EviiT3_lPKT2_lT1_lS9_lSA_lS6_lPT4_lSA_li,"axG",@progbits,_ZL20rocblas_gemvn_kernelILi64ELi4ElPK19rocblas_complex_numIdES1_KPS1_EviiT3_lPKT2_lT1_lS9_lSA_lS6_lPT4_lSA_li,comdat
.Lfunc_end341:
	.size	_ZL20rocblas_gemvn_kernelILi64ELi4ElPK19rocblas_complex_numIdES1_KPS1_EviiT3_lPKT2_lT1_lS9_lSA_lS6_lPT4_lSA_li, .Lfunc_end341-_ZL20rocblas_gemvn_kernelILi64ELi4ElPK19rocblas_complex_numIdES1_KPS1_EviiT3_lPKT2_lT1_lS9_lSA_lS6_lPT4_lSA_li
                                        ; -- End function
	.section	.AMDGPU.csdata,"",@progbits
; Kernel info:
; codeLenInByte = 1912
; NumSgprs: 36
; NumVgprs: 21
; ScratchSize: 0
; MemoryBound: 1
; FloatMode: 240
; IeeeMode: 1
; LDSByteSize: 4096 bytes/workgroup (compile time only)
; SGPRBlocks: 4
; VGPRBlocks: 2
; NumSGPRsForWavesPerEU: 36
; NumVGPRsForWavesPerEU: 21
; Occupancy: 16
; WaveLimiterHint : 1
; COMPUTE_PGM_RSRC2:SCRATCH_EN: 0
; COMPUTE_PGM_RSRC2:USER_SGPR: 14
; COMPUTE_PGM_RSRC2:TRAP_HANDLER: 0
; COMPUTE_PGM_RSRC2:TGID_X_EN: 1
; COMPUTE_PGM_RSRC2:TGID_Y_EN: 0
; COMPUTE_PGM_RSRC2:TGID_Z_EN: 1
; COMPUTE_PGM_RSRC2:TIDIG_COMP_CNT: 1
	.section	.text._ZL20rocblas_gemvn_kernelILi32ELi16EiPK19rocblas_complex_numIdES3_KPS1_EviiT3_lPKT2_lT1_lS9_lSA_lS6_lPT4_lSA_li,"axG",@progbits,_ZL20rocblas_gemvn_kernelILi32ELi16EiPK19rocblas_complex_numIdES3_KPS1_EviiT3_lPKT2_lT1_lS9_lSA_lS6_lPT4_lSA_li,comdat
	.globl	_ZL20rocblas_gemvn_kernelILi32ELi16EiPK19rocblas_complex_numIdES3_KPS1_EviiT3_lPKT2_lT1_lS9_lSA_lS6_lPT4_lSA_li ; -- Begin function _ZL20rocblas_gemvn_kernelILi32ELi16EiPK19rocblas_complex_numIdES3_KPS1_EviiT3_lPKT2_lT1_lS9_lSA_lS6_lPT4_lSA_li
	.p2align	8
	.type	_ZL20rocblas_gemvn_kernelILi32ELi16EiPK19rocblas_complex_numIdES3_KPS1_EviiT3_lPKT2_lT1_lS9_lSA_lS6_lPT4_lSA_li,@function
_ZL20rocblas_gemvn_kernelILi32ELi16EiPK19rocblas_complex_numIdES3_KPS1_EviiT3_lPKT2_lT1_lS9_lSA_lS6_lPT4_lSA_li: ; @_ZL20rocblas_gemvn_kernelILi32ELi16EiPK19rocblas_complex_numIdES3_KPS1_EviiT3_lPKT2_lT1_lS9_lSA_lS6_lPT4_lSA_li
; %bb.0:
	s_load_b64 s[4:5], s[0:1], 0x9c
	s_waitcnt lgkmcnt(0)
	s_lshr_b32 s3, s4, 16
	s_and_b32 s24, s4, 0xffff
	s_and_b32 s4, s5, 0xffff
	s_mul_i32 s3, s3, s24
	s_delay_alu instid0(SALU_CYCLE_1) | instskip(NEXT) | instid1(SALU_CYCLE_1)
	s_mul_i32 s3, s3, s4
	s_cmpk_lg_i32 s3, 0x200
	s_cbranch_scc1 .LBB342_4
; %bb.1:
	s_load_b256 s[16:23], s[0:1], 0x8
	s_mov_b32 s2, s15
	s_mov_b64 s[12:13], 0
	s_mov_b32 s26, -1
	s_waitcnt lgkmcnt(0)
	s_mul_i32 s3, s15, s19
	s_mul_hi_u32 s5, s15, s18
	s_mul_i32 s4, s15, s18
	s_add_i32 s5, s5, s3
	s_delay_alu instid0(SALU_CYCLE_1) | instskip(NEXT) | instid1(SALU_CYCLE_1)
	s_lshl_b64 s[4:5], s[4:5], 4
	s_add_u32 s4, s16, s4
	s_addc_u32 s5, s17, s5
	s_load_b128 s[16:19], s[4:5], 0x0
	s_load_b256 s[4:11], s[0:1], 0x58
	s_waitcnt lgkmcnt(0)
	v_cmp_neq_f64_e64 s15, s[16:17], 0
	v_cmp_neq_f64_e64 s25, s[18:19], 0
	s_mul_i32 s3, s2, s7
	s_mul_hi_u32 s7, s2, s6
	s_mul_i32 s6, s2, s6
	s_add_i32 s7, s7, s3
	s_mov_b32 s3, 0
	s_lshl_b64 s[6:7], s[6:7], 4
	s_delay_alu instid0(SALU_CYCLE_1) | instskip(SKIP_2) | instid1(VALU_DEP_1)
	s_add_u32 s4, s4, s6
	s_addc_u32 s5, s5, s7
	s_load_b128 s[4:7], s[4:5], 0x0
	s_or_b32 s15, s15, s25
	s_mov_b32 s25, s3
	s_and_b32 vcc_lo, exec_lo, s15
	s_cbranch_vccz .LBB342_5
; %bb.2:
	s_and_not1_b32 vcc_lo, exec_lo, s26
	s_cbranch_vccz .LBB342_6
.LBB342_3:
	s_and_not1_b32 vcc_lo, exec_lo, s25
	s_cbranch_vccz .LBB342_7
.LBB342_4:
	s_endpgm
.LBB342_5:
	s_waitcnt lgkmcnt(0)
	v_cmp_neq_f64_e64 s25, s[4:5], 1.0
	v_cmp_neq_f64_e64 s26, s[6:7], 0
	s_delay_alu instid0(VALU_DEP_1)
	s_or_b32 s25, s25, s26
	s_cbranch_execnz .LBB342_3
.LBB342_6:
	s_lshl_b64 s[12:13], s[2:3], 3
	s_delay_alu instid0(SALU_CYCLE_1)
	s_add_u32 s12, s20, s12
	s_addc_u32 s13, s21, s13
	s_lshl_b64 s[20:21], s[22:23], 4
	s_load_b64 s[12:13], s[12:13], 0x0
	s_waitcnt lgkmcnt(0)
	s_add_u32 s12, s12, s20
	s_addc_u32 s13, s13, s21
.LBB342_7:
	v_cndmask_b32_e64 v1, 0, 1, s15
	s_xor_b32 s22, s15, -1
	s_mov_b64 s[20:21], 0
	s_delay_alu instid0(VALU_DEP_1)
	v_cmp_ne_u32_e32 vcc_lo, 1, v1
	s_cbranch_vccnz .LBB342_9
; %bb.8:
	s_load_b128 s[28:31], s[0:1], 0x38
	s_lshl_b64 s[20:21], s[2:3], 3
	s_waitcnt lgkmcnt(0)
	s_add_u32 s20, s28, s20
	s_addc_u32 s21, s29, s21
	s_lshl_b64 s[26:27], s[30:31], 4
	s_load_b64 s[20:21], s[20:21], 0x0
	s_waitcnt lgkmcnt(0)
	s_add_u32 s20, s20, s26
	s_addc_u32 s21, s21, s27
.LBB342_9:
	s_lshl_b64 s[2:3], s[2:3], 3
	v_and_b32_e32 v1, 0x3ff, v0
	s_add_u32 s2, s8, s2
	s_addc_u32 s3, s9, s3
	v_bfe_u32 v0, v0, 10, 10
	s_load_b64 s[26:27], s[2:3], 0x0
	s_clause 0x1
	s_load_b64 s[8:9], s[0:1], 0x0
	s_load_b32 s15, s[0:1], 0x78
	s_lshl_b64 s[10:11], s[10:11], 4
	v_mad_u32_u24 v10, v0, s24, v1
	s_delay_alu instid0(VALU_DEP_1)
	v_cmp_gt_u32_e64 s2, 32, v10
	s_waitcnt lgkmcnt(0)
	s_add_u32 s3, s26, s10
	s_addc_u32 s10, s27, s11
	s_and_not1_b32 vcc_lo, exec_lo, s22
	s_cbranch_vccnz .LBB342_16
; %bb.10:
	s_mov_b32 s22, 0
	s_mov_b32 s11, 0
                                        ; implicit-def: $vgpr2_vgpr3
                                        ; implicit-def: $vgpr8_vgpr9
	s_and_saveexec_b32 s23, s2
	s_cbranch_execz .LBB342_17
; %bb.11:
	v_lshl_or_b32 v0, s14, 5, v10
	v_mov_b32_e32 v1, 0
	s_ashr_i32 s25, s8, 31
	s_mov_b32 s24, s8
	s_mov_b32 s2, exec_lo
                                        ; implicit-def: $vgpr2_vgpr3
                                        ; implicit-def: $vgpr8_vgpr9
	s_delay_alu instid0(VALU_DEP_1)
	v_cmpx_gt_i64_e64 s[24:25], v[0:1]
	s_cbranch_execz .LBB342_15
; %bb.12:
	v_cmp_neq_f64_e64 s11, s[4:5], 0
	v_cmp_neq_f64_e64 s24, s[6:7], 0
	v_mad_u64_u32 v[8:9], null, v0, s15, 0
	s_ashr_i32 s25, s15, 31
	s_delay_alu instid0(VALU_DEP_1) | instskip(NEXT) | instid1(VALU_DEP_1)
	v_mov_b32_e32 v1, v9
	v_mad_u64_u32 v[4:5], null, v0, s25, v[1:2]
	v_mov_b32_e32 v2, 0
	v_mov_b32_e32 v3, 0
	s_delay_alu instid0(VALU_DEP_2) | instskip(NEXT) | instid1(VALU_DEP_2)
	v_dual_mov_b32 v0, v2 :: v_dual_mov_b32 v9, v4
	v_mov_b32_e32 v1, v3
	s_or_b32 s11, s11, s24
	s_delay_alu instid0(SALU_CYCLE_1)
	s_and_not1_b32 vcc_lo, exec_lo, s11
	s_cbranch_vccnz .LBB342_14
; %bb.13:
	v_lshlrev_b64 v[0:1], 4, v[8:9]
	s_delay_alu instid0(VALU_DEP_1) | instskip(NEXT) | instid1(VALU_DEP_2)
	v_add_co_u32 v0, vcc_lo, s3, v0
	v_add_co_ci_u32_e32 v1, vcc_lo, s10, v1, vcc_lo
	global_load_b128 v[2:5], v[0:1], off
	s_waitcnt vmcnt(0)
	v_mul_f64 v[0:1], s[6:7], v[4:5]
	v_mul_f64 v[4:5], s[4:5], v[4:5]
	s_delay_alu instid0(VALU_DEP_2) | instskip(NEXT) | instid1(VALU_DEP_2)
	v_fma_f64 v[0:1], s[4:5], v[2:3], -v[0:1]
	v_fma_f64 v[2:3], s[6:7], v[2:3], v[4:5]
.LBB342_14:
	s_mov_b32 s11, exec_lo
.LBB342_15:
	s_or_b32 exec_lo, exec_lo, s2
	s_delay_alu instid0(SALU_CYCLE_1) | instskip(SKIP_1) | instid1(SALU_CYCLE_1)
	s_and_b32 s11, s11, exec_lo
	s_or_b32 exec_lo, exec_lo, s23
	s_and_b32 vcc_lo, exec_lo, s22
	s_cbranch_vccnz .LBB342_18
	s_branch .LBB342_37
.LBB342_16:
	s_mov_b32 s11, 0
                                        ; implicit-def: $vgpr2_vgpr3
                                        ; implicit-def: $vgpr8_vgpr9
	s_cbranch_execnz .LBB342_18
	s_branch .LBB342_37
.LBB342_17:
	s_or_b32 exec_lo, exec_lo, s23
	s_delay_alu instid0(SALU_CYCLE_1)
	s_and_b32 vcc_lo, exec_lo, s22
	s_cbranch_vccz .LBB342_37
.LBB342_18:
	s_clause 0x1
	s_load_b32 s2, s[0:1], 0x28
	s_load_b32 s22, s[0:1], 0x48
	v_dual_mov_b32 v2, 0 :: v_dual_and_b32 v5, 31, v10
	v_mov_b32_e32 v3, 0
	s_ashr_i32 s0, s9, 31
	s_lshl_b32 s1, s14, 5
	s_lshr_b32 s0, s0, 28
	v_lshrrev_b32_e32 v8, 5, v10
	v_or_b32_e32 v9, s1, v5
	v_dual_mov_b32 v0, v2 :: v_dual_mov_b32 v1, v3
	s_add_i32 s0, s9, s0
	s_mov_b32 s23, exec_lo
	s_and_b32 s14, s0, -16
	s_delay_alu instid0(SALU_CYCLE_1)
	v_cmpx_gt_i32_e64 s14, v8
	s_cbranch_execz .LBB342_24
; %bb.19:
	s_waitcnt lgkmcnt(0)
	v_mul_lo_u32 v0, s2, v8
	v_mov_b32_e32 v2, 0
	v_mov_b32_e32 v3, 0
	v_mul_lo_u32 v4, s22, v8
	v_cmp_gt_i32_e32 vcc_lo, s8, v9
	s_lshl_b32 s24, s22, 4
	s_lshl_b32 s26, s2, 4
	s_mov_b32 s25, 0
	v_add3_u32 v6, v0, s1, v5
	v_dual_mov_b32 v0, v2 :: v_dual_mov_b32 v1, v3
	s_set_inst_prefetch_distance 0x1
	s_branch .LBB342_21
	.p2align	6
.LBB342_20:                             ;   in Loop: Header=BB342_21 Depth=1
	s_or_b32 exec_lo, exec_lo, s27
	v_add_nc_u32_e32 v8, 16, v8
	v_add_nc_u32_e32 v4, s24, v4
	;; [unrolled: 1-line block ×3, first 2 shown]
	s_delay_alu instid0(VALU_DEP_3) | instskip(NEXT) | instid1(VALU_DEP_1)
	v_cmp_le_i32_e64 s0, s14, v8
	s_or_b32 s25, s0, s25
	s_delay_alu instid0(SALU_CYCLE_1)
	s_and_not1_b32 exec_lo, exec_lo, s25
	s_cbranch_execz .LBB342_23
.LBB342_21:                             ; =>This Inner Loop Header: Depth=1
	s_and_saveexec_b32 s27, vcc_lo
	s_cbranch_execz .LBB342_20
; %bb.22:                               ;   in Loop: Header=BB342_21 Depth=1
	v_ashrrev_i32_e32 v5, 31, v4
	v_ashrrev_i32_e32 v7, 31, v6
	s_delay_alu instid0(VALU_DEP_2) | instskip(NEXT) | instid1(VALU_DEP_2)
	v_lshlrev_b64 v[11:12], 4, v[4:5]
	v_lshlrev_b64 v[13:14], 4, v[6:7]
	s_delay_alu instid0(VALU_DEP_2) | instskip(NEXT) | instid1(VALU_DEP_1)
	v_add_co_u32 v11, s0, s20, v11
	v_add_co_ci_u32_e64 v12, s0, s21, v12, s0
	s_delay_alu instid0(VALU_DEP_3) | instskip(NEXT) | instid1(VALU_DEP_1)
	v_add_co_u32 v15, s0, s12, v13
	v_add_co_ci_u32_e64 v16, s0, s13, v14, s0
	flat_load_b128 v[11:14], v[11:12]
	flat_load_b128 v[15:18], v[15:16]
	s_waitcnt vmcnt(0) lgkmcnt(0)
	v_mul_f64 v[19:20], v[13:14], v[17:18]
	v_mul_f64 v[17:18], v[11:12], v[17:18]
	s_delay_alu instid0(VALU_DEP_2) | instskip(NEXT) | instid1(VALU_DEP_2)
	v_fma_f64 v[11:12], v[11:12], v[15:16], -v[19:20]
	v_fma_f64 v[13:14], v[13:14], v[15:16], v[17:18]
	s_delay_alu instid0(VALU_DEP_2) | instskip(NEXT) | instid1(VALU_DEP_2)
	v_add_f64 v[0:1], v[0:1], v[11:12]
	v_add_f64 v[2:3], v[2:3], v[13:14]
	s_branch .LBB342_20
.LBB342_23:
	s_set_inst_prefetch_distance 0x2
	s_or_b32 exec_lo, exec_lo, s25
.LBB342_24:
	s_delay_alu instid0(SALU_CYCLE_1) | instskip(SKIP_1) | instid1(SALU_CYCLE_1)
	s_or_b32 exec_lo, exec_lo, s23
	s_sub_i32 s0, s9, s14
	s_cmp_lt_i32 s0, 1
	s_cbranch_scc1 .LBB342_30
; %bb.25:
	v_mov_b32_e32 v4, 0
	v_mov_b32_e32 v5, 0
	v_cmp_gt_i32_e32 vcc_lo, s9, v8
	s_delay_alu instid0(VALU_DEP_2)
	v_dual_mov_b32 v7, v5 :: v_dual_mov_b32 v6, v4
	s_and_saveexec_b32 s9, vcc_lo
	s_cbranch_execz .LBB342_27
; %bb.26:
	s_waitcnt lgkmcnt(0)
	v_mul_lo_u32 v4, v8, s22
	s_delay_alu instid0(VALU_DEP_1) | instskip(NEXT) | instid1(VALU_DEP_1)
	v_ashrrev_i32_e32 v5, 31, v4
	v_lshlrev_b64 v[4:5], 4, v[4:5]
	s_delay_alu instid0(VALU_DEP_1) | instskip(NEXT) | instid1(VALU_DEP_1)
	v_add_co_u32 v4, s0, s20, v4
	v_add_co_ci_u32_e64 v5, s0, s21, v5, s0
	flat_load_b128 v[4:7], v[4:5]
.LBB342_27:
	s_or_b32 exec_lo, exec_lo, s9
	s_delay_alu instid0(SALU_CYCLE_1)
	s_mov_b32 s9, exec_lo
	v_cmpx_gt_i32_e64 s8, v9
	s_cbranch_execz .LBB342_29
; %bb.28:
	s_waitcnt lgkmcnt(0)
	v_mul_lo_u32 v8, v8, s2
	s_delay_alu instid0(VALU_DEP_1) | instskip(NEXT) | instid1(VALU_DEP_1)
	v_cndmask_b32_e32 v8, 0, v8, vcc_lo
	v_add_nc_u32_e32 v8, v8, v9
	s_delay_alu instid0(VALU_DEP_1) | instskip(NEXT) | instid1(VALU_DEP_1)
	v_ashrrev_i32_e32 v9, 31, v8
	v_lshlrev_b64 v[8:9], 4, v[8:9]
	s_delay_alu instid0(VALU_DEP_1) | instskip(NEXT) | instid1(VALU_DEP_2)
	v_add_co_u32 v8, vcc_lo, s12, v8
	v_add_co_ci_u32_e32 v9, vcc_lo, s13, v9, vcc_lo
	flat_load_b128 v[11:14], v[8:9]
	s_waitcnt vmcnt(0) lgkmcnt(0)
	v_mul_f64 v[8:9], v[6:7], v[13:14]
	v_mul_f64 v[13:14], v[4:5], v[13:14]
	s_delay_alu instid0(VALU_DEP_2) | instskip(NEXT) | instid1(VALU_DEP_2)
	v_fma_f64 v[4:5], v[4:5], v[11:12], -v[8:9]
	v_fma_f64 v[6:7], v[6:7], v[11:12], v[13:14]
	s_delay_alu instid0(VALU_DEP_2) | instskip(NEXT) | instid1(VALU_DEP_2)
	v_add_f64 v[0:1], v[0:1], v[4:5]
	v_add_f64 v[2:3], v[2:3], v[6:7]
.LBB342_29:
	s_or_b32 exec_lo, exec_lo, s9
.LBB342_30:
	v_lshlrev_b32_e32 v11, 4, v10
	s_mov_b32 s0, exec_lo
                                        ; implicit-def: $vgpr8_vgpr9
	ds_store_b128 v11, v[0:3]
	s_waitcnt vmcnt(0) lgkmcnt(0)
	s_barrier
	buffer_gl0_inv
                                        ; implicit-def: $vgpr2_vgpr3
	v_cmpx_gt_u32_e32 32, v10
	s_cbranch_execz .LBB342_36
; %bb.31:
	ds_load_b128 v[0:3], v11
	ds_load_b128 v[4:7], v11 offset:512
	v_or_b32_e32 v10, s1, v10
	s_mov_b32 s2, s11
	s_mov_b32 s1, exec_lo
	s_waitcnt lgkmcnt(0)
	v_add_f64 v[8:9], v[0:1], v[4:5]
	v_add_f64 v[12:13], v[2:3], v[6:7]
	ds_load_b128 v[0:3], v11 offset:1024
	ds_load_b128 v[4:7], v11 offset:1536
	s_waitcnt lgkmcnt(1)
	v_add_f64 v[0:1], v[8:9], v[0:1]
	v_add_f64 v[2:3], v[12:13], v[2:3]
	s_waitcnt lgkmcnt(0)
	s_delay_alu instid0(VALU_DEP_2) | instskip(NEXT) | instid1(VALU_DEP_2)
	v_add_f64 v[8:9], v[0:1], v[4:5]
	v_add_f64 v[12:13], v[2:3], v[6:7]
	ds_load_b128 v[0:3], v11 offset:2048
	ds_load_b128 v[4:7], v11 offset:2560
	s_waitcnt lgkmcnt(1)
	v_add_f64 v[0:1], v[8:9], v[0:1]
	v_add_f64 v[2:3], v[12:13], v[2:3]
	s_waitcnt lgkmcnt(0)
	s_delay_alu instid0(VALU_DEP_2) | instskip(NEXT) | instid1(VALU_DEP_2)
	;; [unrolled: 9-line block ×6, first 2 shown]
	v_add_f64 v[8:9], v[0:1], v[4:5]
	v_add_f64 v[12:13], v[2:3], v[6:7]
	ds_load_b128 v[0:3], v11 offset:7168
	ds_load_b128 v[4:7], v11 offset:7680
	s_waitcnt lgkmcnt(1)
	v_add_f64 v[0:1], v[8:9], v[0:1]
	v_add_f64 v[2:3], v[12:13], v[2:3]
                                        ; implicit-def: $vgpr8_vgpr9
	s_waitcnt lgkmcnt(0)
	s_delay_alu instid0(VALU_DEP_2) | instskip(NEXT) | instid1(VALU_DEP_2)
	v_add_f64 v[4:5], v[0:1], v[4:5]
	v_add_f64 v[6:7], v[2:3], v[6:7]
                                        ; implicit-def: $vgpr2_vgpr3
	ds_store_b128 v11, v[4:7]
	v_cmpx_gt_i32_e64 s8, v10
	s_cbranch_execz .LBB342_35
; %bb.32:
	v_mul_f64 v[0:1], s[18:19], v[6:7]
	v_mul_f64 v[2:3], s[16:17], v[6:7]
	v_cmp_neq_f64_e64 s2, s[4:5], 0
	v_cmp_neq_f64_e64 s8, s[6:7], 0
	v_mul_lo_u32 v8, v10, s15
	s_delay_alu instid0(VALU_DEP_1) | instskip(SKIP_3) | instid1(SALU_CYCLE_1)
	v_ashrrev_i32_e32 v9, 31, v8
	v_fma_f64 v[0:1], s[16:17], v[4:5], -v[0:1]
	v_fma_f64 v[2:3], s[18:19], v[4:5], v[2:3]
	s_or_b32 s2, s2, s8
	s_and_not1_b32 vcc_lo, exec_lo, s2
	s_cbranch_vccnz .LBB342_34
; %bb.33:
	v_lshlrev_b64 v[4:5], 4, v[8:9]
	s_delay_alu instid0(VALU_DEP_1) | instskip(NEXT) | instid1(VALU_DEP_2)
	v_add_co_u32 v4, vcc_lo, s3, v4
	v_add_co_ci_u32_e32 v5, vcc_lo, s10, v5, vcc_lo
	global_load_b128 v[4:7], v[4:5], off
	s_waitcnt vmcnt(0)
	v_mul_f64 v[10:11], s[6:7], v[6:7]
	v_mul_f64 v[6:7], s[4:5], v[6:7]
	s_delay_alu instid0(VALU_DEP_2) | instskip(NEXT) | instid1(VALU_DEP_2)
	v_fma_f64 v[10:11], s[4:5], v[4:5], -v[10:11]
	v_fma_f64 v[4:5], s[6:7], v[4:5], v[6:7]
	s_delay_alu instid0(VALU_DEP_2) | instskip(NEXT) | instid1(VALU_DEP_2)
	v_add_f64 v[0:1], v[0:1], v[10:11]
	v_add_f64 v[2:3], v[2:3], v[4:5]
.LBB342_34:
	s_or_b32 s2, s11, exec_lo
.LBB342_35:
	s_or_b32 exec_lo, exec_lo, s1
	s_delay_alu instid0(SALU_CYCLE_1) | instskip(SKIP_1) | instid1(SALU_CYCLE_1)
	s_and_not1_b32 s1, s11, exec_lo
	s_and_b32 s2, s2, exec_lo
	s_or_b32 s11, s1, s2
.LBB342_36:
	s_or_b32 exec_lo, exec_lo, s0
.LBB342_37:
	s_and_saveexec_b32 s0, s11
	s_cbranch_execz .LBB342_4
; %bb.38:
	v_lshlrev_b64 v[4:5], 4, v[8:9]
	s_delay_alu instid0(VALU_DEP_1) | instskip(NEXT) | instid1(VALU_DEP_2)
	v_add_co_u32 v4, vcc_lo, s3, v4
	v_add_co_ci_u32_e32 v5, vcc_lo, s10, v5, vcc_lo
	global_store_b128 v[4:5], v[0:3], off
	s_nop 0
	s_sendmsg sendmsg(MSG_DEALLOC_VGPRS)
	s_endpgm
	.section	.rodata,"a",@progbits
	.p2align	6, 0x0
	.amdhsa_kernel _ZL20rocblas_gemvn_kernelILi32ELi16EiPK19rocblas_complex_numIdES3_KPS1_EviiT3_lPKT2_lT1_lS9_lSA_lS6_lPT4_lSA_li
		.amdhsa_group_segment_fixed_size 8192
		.amdhsa_private_segment_fixed_size 0
		.amdhsa_kernarg_size 400
		.amdhsa_user_sgpr_count 14
		.amdhsa_user_sgpr_dispatch_ptr 0
		.amdhsa_user_sgpr_queue_ptr 0
		.amdhsa_user_sgpr_kernarg_segment_ptr 1
		.amdhsa_user_sgpr_dispatch_id 0
		.amdhsa_user_sgpr_private_segment_size 0
		.amdhsa_wavefront_size32 1
		.amdhsa_uses_dynamic_stack 0
		.amdhsa_enable_private_segment 0
		.amdhsa_system_sgpr_workgroup_id_x 1
		.amdhsa_system_sgpr_workgroup_id_y 0
		.amdhsa_system_sgpr_workgroup_id_z 1
		.amdhsa_system_sgpr_workgroup_info 0
		.amdhsa_system_vgpr_workitem_id 1
		.amdhsa_next_free_vgpr 21
		.amdhsa_next_free_sgpr 32
		.amdhsa_reserve_vcc 1
		.amdhsa_float_round_mode_32 0
		.amdhsa_float_round_mode_16_64 0
		.amdhsa_float_denorm_mode_32 3
		.amdhsa_float_denorm_mode_16_64 3
		.amdhsa_dx10_clamp 1
		.amdhsa_ieee_mode 1
		.amdhsa_fp16_overflow 0
		.amdhsa_workgroup_processor_mode 1
		.amdhsa_memory_ordered 1
		.amdhsa_forward_progress 0
		.amdhsa_shared_vgpr_count 0
		.amdhsa_exception_fp_ieee_invalid_op 0
		.amdhsa_exception_fp_denorm_src 0
		.amdhsa_exception_fp_ieee_div_zero 0
		.amdhsa_exception_fp_ieee_overflow 0
		.amdhsa_exception_fp_ieee_underflow 0
		.amdhsa_exception_fp_ieee_inexact 0
		.amdhsa_exception_int_div_zero 0
	.end_amdhsa_kernel
	.section	.text._ZL20rocblas_gemvn_kernelILi32ELi16EiPK19rocblas_complex_numIdES3_KPS1_EviiT3_lPKT2_lT1_lS9_lSA_lS6_lPT4_lSA_li,"axG",@progbits,_ZL20rocblas_gemvn_kernelILi32ELi16EiPK19rocblas_complex_numIdES3_KPS1_EviiT3_lPKT2_lT1_lS9_lSA_lS6_lPT4_lSA_li,comdat
.Lfunc_end342:
	.size	_ZL20rocblas_gemvn_kernelILi32ELi16EiPK19rocblas_complex_numIdES3_KPS1_EviiT3_lPKT2_lT1_lS9_lSA_lS6_lPT4_lSA_li, .Lfunc_end342-_ZL20rocblas_gemvn_kernelILi32ELi16EiPK19rocblas_complex_numIdES3_KPS1_EviiT3_lPKT2_lT1_lS9_lSA_lS6_lPT4_lSA_li
                                        ; -- End function
	.section	.AMDGPU.csdata,"",@progbits
; Kernel info:
; codeLenInByte = 2144
; NumSgprs: 34
; NumVgprs: 21
; ScratchSize: 0
; MemoryBound: 1
; FloatMode: 240
; IeeeMode: 1
; LDSByteSize: 8192 bytes/workgroup (compile time only)
; SGPRBlocks: 4
; VGPRBlocks: 2
; NumSGPRsForWavesPerEU: 34
; NumVGPRsForWavesPerEU: 21
; Occupancy: 16
; WaveLimiterHint : 1
; COMPUTE_PGM_RSRC2:SCRATCH_EN: 0
; COMPUTE_PGM_RSRC2:USER_SGPR: 14
; COMPUTE_PGM_RSRC2:TRAP_HANDLER: 0
; COMPUTE_PGM_RSRC2:TGID_X_EN: 1
; COMPUTE_PGM_RSRC2:TGID_Y_EN: 0
; COMPUTE_PGM_RSRC2:TGID_Z_EN: 1
; COMPUTE_PGM_RSRC2:TIDIG_COMP_CNT: 1
	.section	.text._ZL20rocblas_gemvn_kernelILi32ELi16ElPK19rocblas_complex_numIdES3_KPS1_EviiT3_lPKT2_lT1_lS9_lSA_lS6_lPT4_lSA_li,"axG",@progbits,_ZL20rocblas_gemvn_kernelILi32ELi16ElPK19rocblas_complex_numIdES3_KPS1_EviiT3_lPKT2_lT1_lS9_lSA_lS6_lPT4_lSA_li,comdat
	.globl	_ZL20rocblas_gemvn_kernelILi32ELi16ElPK19rocblas_complex_numIdES3_KPS1_EviiT3_lPKT2_lT1_lS9_lSA_lS6_lPT4_lSA_li ; -- Begin function _ZL20rocblas_gemvn_kernelILi32ELi16ElPK19rocblas_complex_numIdES3_KPS1_EviiT3_lPKT2_lT1_lS9_lSA_lS6_lPT4_lSA_li
	.p2align	8
	.type	_ZL20rocblas_gemvn_kernelILi32ELi16ElPK19rocblas_complex_numIdES3_KPS1_EviiT3_lPKT2_lT1_lS9_lSA_lS6_lPT4_lSA_li,@function
_ZL20rocblas_gemvn_kernelILi32ELi16ElPK19rocblas_complex_numIdES3_KPS1_EviiT3_lPKT2_lT1_lS9_lSA_lS6_lPT4_lSA_li: ; @_ZL20rocblas_gemvn_kernelILi32ELi16ElPK19rocblas_complex_numIdES3_KPS1_EviiT3_lPKT2_lT1_lS9_lSA_lS6_lPT4_lSA_li
; %bb.0:
	s_load_b64 s[2:3], s[0:1], 0x9c
	s_mov_b32 s30, s15
	s_waitcnt lgkmcnt(0)
	s_lshr_b32 s4, s2, 16
	s_and_b32 s15, s2, 0xffff
	s_and_b32 s2, s3, 0xffff
	s_mul_i32 s3, s4, s15
	s_delay_alu instid0(SALU_CYCLE_1) | instskip(NEXT) | instid1(SALU_CYCLE_1)
	s_mul_i32 s3, s3, s2
	s_cmpk_lg_i32 s3, 0x200
	s_cbranch_scc1 .LBB343_4
; %bb.1:
	s_load_b256 s[16:23], s[0:1], 0x8
	s_mov_b32 s31, 0
	s_mov_b64 s[24:25], 0
	s_waitcnt lgkmcnt(0)
	s_mul_i32 s3, s30, s19
	s_mul_hi_u32 s4, s30, s18
	s_mul_i32 s2, s30, s18
	s_add_i32 s3, s4, s3
	s_delay_alu instid0(SALU_CYCLE_1) | instskip(NEXT) | instid1(SALU_CYCLE_1)
	s_lshl_b64 s[2:3], s[2:3], 4
	s_add_u32 s2, s16, s2
	s_addc_u32 s3, s17, s3
	s_load_b128 s[16:19], s[2:3], 0x0
	s_load_b256 s[4:11], s[0:1], 0x58
	s_waitcnt lgkmcnt(0)
	v_cmp_neq_f64_e64 s26, s[16:17], 0
	v_cmp_neq_f64_e64 s27, s[18:19], 0
	s_mul_i32 s2, s30, s7
	s_mul_hi_u32 s3, s30, s6
	s_delay_alu instid0(SALU_CYCLE_1) | instskip(SKIP_1) | instid1(SALU_CYCLE_1)
	s_add_i32 s3, s3, s2
	s_mul_i32 s2, s30, s6
	s_lshl_b64 s[2:3], s[2:3], 4
	s_delay_alu instid0(SALU_CYCLE_1)
	s_add_u32 s2, s4, s2
	s_addc_u32 s3, s5, s3
	s_load_b64 s[12:13], s[0:1], 0x28
	s_load_b128 s[4:7], s[2:3], 0x0
	s_mov_b32 s3, -1
	s_mov_b32 s2, s31
	s_delay_alu instid0(VALU_DEP_1) | instskip(NEXT) | instid1(SALU_CYCLE_1)
	s_or_b32 s28, s26, s27
	s_and_b32 vcc_lo, exec_lo, s28
	s_cbranch_vccz .LBB343_5
; %bb.2:
	s_and_not1_b32 vcc_lo, exec_lo, s3
	s_cbranch_vccz .LBB343_6
.LBB343_3:
	s_and_not1_b32 vcc_lo, exec_lo, s2
	s_cbranch_vccz .LBB343_7
.LBB343_4:
	s_endpgm
.LBB343_5:
	s_waitcnt lgkmcnt(0)
	v_cmp_neq_f64_e64 s2, s[4:5], 1.0
	v_cmp_neq_f64_e64 s3, s[6:7], 0
	s_delay_alu instid0(VALU_DEP_1)
	s_or_b32 s2, s2, s3
	s_cbranch_execnz .LBB343_3
.LBB343_6:
	s_lshl_b64 s[2:3], s[30:31], 3
	s_delay_alu instid0(SALU_CYCLE_1)
	s_add_u32 s2, s20, s2
	s_addc_u32 s3, s21, s3
	s_lshl_b64 s[20:21], s[22:23], 4
	s_load_b64 s[2:3], s[2:3], 0x0
	s_waitcnt lgkmcnt(0)
	s_add_u32 s24, s2, s20
	s_addc_u32 s25, s3, s21
.LBB343_7:
	s_clause 0x2
	s_load_b64 s[2:3], s[0:1], 0x78
	s_load_b128 s[20:23], s[0:1], 0x38
	s_load_b64 s[26:27], s[0:1], 0x48
	v_cndmask_b32_e64 v1, 0, 1, s28
	s_xor_b32 s33, s28, -1
	s_mov_b64 s[28:29], 0
	s_delay_alu instid0(VALU_DEP_1)
	v_cmp_ne_u32_e32 vcc_lo, 1, v1
	s_cbranch_vccnz .LBB343_9
; %bb.8:
	s_lshl_b64 s[28:29], s[30:31], 3
	s_waitcnt lgkmcnt(0)
	s_add_u32 s20, s20, s28
	s_addc_u32 s21, s21, s29
	s_lshl_b64 s[22:23], s[22:23], 4
	s_load_b64 s[20:21], s[20:21], 0x0
	s_waitcnt lgkmcnt(0)
	s_add_u32 s28, s20, s22
	s_addc_u32 s29, s21, s23
.LBB343_9:
	s_waitcnt lgkmcnt(0)
	s_lshl_b64 s[20:21], s[30:31], 3
	v_and_b32_e32 v1, 0x3ff, v0
	s_add_u32 s8, s8, s20
	s_addc_u32 s9, s9, s21
	v_bfe_u32 v0, v0, 10, 10
	s_load_b64 s[20:21], s[8:9], 0x0
	s_load_b64 s[8:9], s[0:1], 0x0
	s_lshl_b64 s[10:11], s[10:11], 4
	s_delay_alu instid0(VALU_DEP_1) | instskip(NEXT) | instid1(VALU_DEP_1)
	v_mad_u32_u24 v10, v0, s15, v1
	v_cmp_gt_u32_e64 s0, 32, v10
	s_waitcnt lgkmcnt(0)
	s_add_u32 s20, s20, s10
	s_addc_u32 s21, s21, s11
	s_and_not1_b32 vcc_lo, exec_lo, s33
	s_cbranch_vccnz .LBB343_16
; %bb.10:
	s_mov_b32 s1, 0
	s_mov_b32 s22, 0
                                        ; implicit-def: $vgpr2_vgpr3
                                        ; implicit-def: $vgpr8_vgpr9
	s_and_saveexec_b32 s10, s0
	s_cbranch_execz .LBB343_17
; %bb.11:
	v_lshl_or_b32 v0, s14, 5, v10
	v_mov_b32_e32 v1, 0
	s_ashr_i32 s23, s8, 31
	s_mov_b32 s22, s8
	s_mov_b32 s11, 0
	s_mov_b32 s0, exec_lo
                                        ; implicit-def: $vgpr2_vgpr3
                                        ; implicit-def: $vgpr8_vgpr9
	v_cmpx_gt_i64_e64 s[22:23], v[0:1]
	s_cbranch_execz .LBB343_15
; %bb.12:
	v_cmp_neq_f64_e64 s11, s[4:5], 0
	v_cmp_neq_f64_e64 s15, s[6:7], 0
	v_mad_u64_u32 v[8:9], null, v0, s2, 0
	s_delay_alu instid0(VALU_DEP_1) | instskip(NEXT) | instid1(VALU_DEP_1)
	v_mov_b32_e32 v1, v9
	v_mad_u64_u32 v[4:5], null, v0, s3, v[1:2]
	v_mov_b32_e32 v2, 0
	v_mov_b32_e32 v3, 0
	s_delay_alu instid0(VALU_DEP_2) | instskip(NEXT) | instid1(VALU_DEP_2)
	v_dual_mov_b32 v0, v2 :: v_dual_mov_b32 v9, v4
	v_mov_b32_e32 v1, v3
	s_or_b32 s11, s11, s15
	s_delay_alu instid0(SALU_CYCLE_1)
	s_and_not1_b32 vcc_lo, exec_lo, s11
	s_cbranch_vccnz .LBB343_14
; %bb.13:
	v_lshlrev_b64 v[0:1], 4, v[8:9]
	s_delay_alu instid0(VALU_DEP_1) | instskip(NEXT) | instid1(VALU_DEP_2)
	v_add_co_u32 v0, vcc_lo, s20, v0
	v_add_co_ci_u32_e32 v1, vcc_lo, s21, v1, vcc_lo
	global_load_b128 v[2:5], v[0:1], off
	s_waitcnt vmcnt(0)
	v_mul_f64 v[0:1], s[6:7], v[4:5]
	v_mul_f64 v[4:5], s[4:5], v[4:5]
	s_delay_alu instid0(VALU_DEP_2) | instskip(NEXT) | instid1(VALU_DEP_2)
	v_fma_f64 v[0:1], s[4:5], v[2:3], -v[0:1]
	v_fma_f64 v[2:3], s[6:7], v[2:3], v[4:5]
.LBB343_14:
	s_mov_b32 s11, exec_lo
.LBB343_15:
	s_or_b32 exec_lo, exec_lo, s0
	s_delay_alu instid0(SALU_CYCLE_1) | instskip(SKIP_1) | instid1(SALU_CYCLE_1)
	s_and_b32 s22, s11, exec_lo
	s_or_b32 exec_lo, exec_lo, s10
	s_and_b32 vcc_lo, exec_lo, s1
	s_cbranch_vccnz .LBB343_18
	s_branch .LBB343_37
.LBB343_16:
	s_mov_b32 s22, 0
                                        ; implicit-def: $vgpr2_vgpr3
                                        ; implicit-def: $vgpr8_vgpr9
	s_cbranch_execnz .LBB343_18
	s_branch .LBB343_37
.LBB343_17:
	s_or_b32 exec_lo, exec_lo, s10
	s_delay_alu instid0(SALU_CYCLE_1)
	s_and_b32 vcc_lo, exec_lo, s1
	s_cbranch_vccz .LBB343_37
.LBB343_18:
	v_mov_b32_e32 v2, 0
	v_dual_mov_b32 v3, 0 :: v_dual_and_b32 v4, 31, v10
	s_ashr_i32 s0, s9, 31
	s_lshl_b32 s23, s14, 5
	s_lshr_b32 s0, s0, 28
	v_lshrrev_b32_e32 v9, 5, v10
	v_or_b32_e32 v8, s23, v4
	v_dual_mov_b32 v0, v2 :: v_dual_mov_b32 v1, v3
	s_add_i32 s0, s9, s0
	s_mov_b32 s31, exec_lo
	s_and_b32 s30, s0, -16
	s_delay_alu instid0(SALU_CYCLE_1)
	v_cmpx_gt_i32_e64 s30, v9
	s_cbranch_execz .LBB343_24
; %bb.19:
	v_lshrrev_b32_e32 v13, 5, v10
	v_cmp_gt_i32_e32 vcc_lo, s8, v8
	s_lshl_b64 s[10:11], s[26:27], 8
	s_lshl_b64 s[14:15], s[12:13], 8
	s_mov_b32 s33, 0
	v_mad_u64_u32 v[5:6], null, s26, v13, 0
	v_mad_u64_u32 v[0:1], null, s12, v13, 0
	s_delay_alu instid0(VALU_DEP_2) | instskip(NEXT) | instid1(VALU_DEP_1)
	v_dual_mov_b32 v2, v6 :: v_dual_add_nc_u32 v3, s23, v4
	v_ashrrev_i32_e32 v4, 31, v3
	s_delay_alu instid0(VALU_DEP_2) | instskip(SKIP_1) | instid1(VALU_DEP_3)
	v_mad_u64_u32 v[6:7], null, s13, v13, v[1:2]
	v_mad_u64_u32 v[11:12], null, s27, v13, v[2:3]
	v_lshlrev_b64 v[12:13], 4, v[3:4]
	v_mov_b32_e32 v2, 0
	v_mov_b32_e32 v3, 0
	s_delay_alu instid0(VALU_DEP_4) | instskip(NEXT) | instid1(VALU_DEP_1)
	v_dual_mov_b32 v1, v6 :: v_dual_mov_b32 v6, v11
	v_lshlrev_b64 v[0:1], 4, v[0:1]
	s_delay_alu instid0(VALU_DEP_2) | instskip(NEXT) | instid1(VALU_DEP_2)
	v_lshlrev_b64 v[4:5], 4, v[5:6]
	v_add_co_u32 v0, s0, v0, v12
	s_delay_alu instid0(VALU_DEP_1) | instskip(NEXT) | instid1(VALU_DEP_3)
	v_add_co_ci_u32_e64 v1, s0, v1, v13, s0
	v_add_co_u32 v4, s0, s28, v4
	s_delay_alu instid0(VALU_DEP_1) | instskip(NEXT) | instid1(VALU_DEP_4)
	v_add_co_ci_u32_e64 v5, s0, s29, v5, s0
	v_add_co_u32 v6, s0, s24, v0
	s_delay_alu instid0(VALU_DEP_1)
	v_add_co_ci_u32_e64 v7, s0, s25, v1, s0
	v_dual_mov_b32 v0, v2 :: v_dual_mov_b32 v1, v3
	s_set_inst_prefetch_distance 0x1
	s_branch .LBB343_21
	.p2align	6
.LBB343_20:                             ;   in Loop: Header=BB343_21 Depth=1
	s_or_b32 exec_lo, exec_lo, s0
	v_add_nc_u32_e32 v9, 16, v9
	v_add_co_u32 v4, s0, v4, s10
	s_delay_alu instid0(VALU_DEP_1) | instskip(NEXT) | instid1(VALU_DEP_3)
	v_add_co_ci_u32_e64 v5, s0, s11, v5, s0
	v_cmp_le_i32_e64 s0, s30, v9
	v_add_co_u32 v6, s1, v6, s14
	s_delay_alu instid0(VALU_DEP_1) | instskip(NEXT) | instid1(VALU_DEP_3)
	v_add_co_ci_u32_e64 v7, s1, s15, v7, s1
	s_or_b32 s33, s0, s33
	s_delay_alu instid0(SALU_CYCLE_1)
	s_and_not1_b32 exec_lo, exec_lo, s33
	s_cbranch_execz .LBB343_23
.LBB343_21:                             ; =>This Inner Loop Header: Depth=1
	s_and_saveexec_b32 s0, vcc_lo
	s_cbranch_execz .LBB343_20
; %bb.22:                               ;   in Loop: Header=BB343_21 Depth=1
	flat_load_b128 v[11:14], v[4:5]
	flat_load_b128 v[15:18], v[6:7]
	s_waitcnt vmcnt(0) lgkmcnt(0)
	v_mul_f64 v[19:20], v[13:14], v[17:18]
	v_mul_f64 v[17:18], v[11:12], v[17:18]
	s_delay_alu instid0(VALU_DEP_2) | instskip(NEXT) | instid1(VALU_DEP_2)
	v_fma_f64 v[11:12], v[11:12], v[15:16], -v[19:20]
	v_fma_f64 v[13:14], v[13:14], v[15:16], v[17:18]
	s_delay_alu instid0(VALU_DEP_2) | instskip(NEXT) | instid1(VALU_DEP_2)
	v_add_f64 v[0:1], v[0:1], v[11:12]
	v_add_f64 v[2:3], v[2:3], v[13:14]
	s_branch .LBB343_20
.LBB343_23:
	s_set_inst_prefetch_distance 0x2
	s_or_b32 exec_lo, exec_lo, s33
.LBB343_24:
	s_delay_alu instid0(SALU_CYCLE_1) | instskip(SKIP_1) | instid1(SALU_CYCLE_1)
	s_or_b32 exec_lo, exec_lo, s31
	s_sub_i32 s0, s9, s30
	s_cmp_lt_i32 s0, 1
	s_cbranch_scc1 .LBB343_30
; %bb.25:
	v_mov_b32_e32 v4, 0
	v_mov_b32_e32 v5, 0
	v_cmp_gt_i32_e32 vcc_lo, s9, v9
	s_delay_alu instid0(VALU_DEP_2)
	v_dual_mov_b32 v7, v5 :: v_dual_mov_b32 v6, v4
	s_and_saveexec_b32 s1, vcc_lo
	s_cbranch_execz .LBB343_27
; %bb.26:
	v_mad_u64_u32 v[4:5], null, v9, s26, 0
	s_delay_alu instid0(VALU_DEP_1) | instskip(NEXT) | instid1(VALU_DEP_1)
	v_mad_u64_u32 v[6:7], null, v9, s27, v[5:6]
	v_mov_b32_e32 v5, v6
	s_delay_alu instid0(VALU_DEP_1) | instskip(NEXT) | instid1(VALU_DEP_1)
	v_lshlrev_b64 v[4:5], 4, v[4:5]
	v_add_co_u32 v4, s0, s28, v4
	s_delay_alu instid0(VALU_DEP_1)
	v_add_co_ci_u32_e64 v5, s0, s29, v5, s0
	flat_load_b128 v[4:7], v[4:5]
.LBB343_27:
	s_or_b32 exec_lo, exec_lo, s1
	s_delay_alu instid0(SALU_CYCLE_1)
	s_mov_b32 s1, exec_lo
	v_cmpx_gt_i32_e64 s8, v8
	s_cbranch_execz .LBB343_29
; %bb.28:
	v_mad_u64_u32 v[11:12], null, v9, s12, 0
	s_delay_alu instid0(VALU_DEP_1) | instskip(NEXT) | instid1(VALU_DEP_2)
	v_mad_u64_u32 v[13:14], null, v9, s13, v[12:13]
	v_cndmask_b32_e32 v11, 0, v11, vcc_lo
	v_ashrrev_i32_e32 v9, 31, v8
	s_delay_alu instid0(VALU_DEP_3) | instskip(NEXT) | instid1(VALU_DEP_2)
	v_cndmask_b32_e32 v12, 0, v13, vcc_lo
	v_lshlrev_b64 v[8:9], 4, v[8:9]
	s_delay_alu instid0(VALU_DEP_2) | instskip(NEXT) | instid1(VALU_DEP_1)
	v_lshlrev_b64 v[11:12], 4, v[11:12]
	v_add_co_u32 v11, vcc_lo, s24, v11
	s_delay_alu instid0(VALU_DEP_2) | instskip(NEXT) | instid1(VALU_DEP_2)
	v_add_co_ci_u32_e32 v12, vcc_lo, s25, v12, vcc_lo
	v_add_co_u32 v8, vcc_lo, v11, v8
	s_delay_alu instid0(VALU_DEP_2) | instskip(SKIP_4) | instid1(VALU_DEP_2)
	v_add_co_ci_u32_e32 v9, vcc_lo, v12, v9, vcc_lo
	flat_load_b128 v[11:14], v[8:9]
	s_waitcnt vmcnt(0) lgkmcnt(0)
	v_mul_f64 v[8:9], v[6:7], v[13:14]
	v_mul_f64 v[13:14], v[4:5], v[13:14]
	v_fma_f64 v[4:5], v[4:5], v[11:12], -v[8:9]
	s_delay_alu instid0(VALU_DEP_2) | instskip(NEXT) | instid1(VALU_DEP_2)
	v_fma_f64 v[6:7], v[6:7], v[11:12], v[13:14]
	v_add_f64 v[0:1], v[0:1], v[4:5]
	s_delay_alu instid0(VALU_DEP_2)
	v_add_f64 v[2:3], v[2:3], v[6:7]
.LBB343_29:
	s_or_b32 exec_lo, exec_lo, s1
.LBB343_30:
	v_lshlrev_b32_e32 v11, 4, v10
	s_mov_b32 s0, exec_lo
                                        ; implicit-def: $vgpr8_vgpr9
	ds_store_b128 v11, v[0:3]
	s_waitcnt vmcnt(0) lgkmcnt(0)
	s_barrier
	buffer_gl0_inv
                                        ; implicit-def: $vgpr2_vgpr3
	v_cmpx_gt_u32_e32 32, v10
	s_cbranch_execz .LBB343_36
; %bb.31:
	ds_load_b128 v[0:3], v11
	ds_load_b128 v[4:7], v11 offset:512
	v_or_b32_e32 v10, s23, v10
	s_delay_alu instid0(VALU_DEP_1)
	v_cmp_gt_i32_e32 vcc_lo, s8, v10
	s_mov_b32 s8, s22
	s_waitcnt lgkmcnt(0)
	v_add_f64 v[8:9], v[0:1], v[4:5]
	v_add_f64 v[12:13], v[2:3], v[6:7]
	ds_load_b128 v[0:3], v11 offset:1024
	ds_load_b128 v[4:7], v11 offset:1536
	s_waitcnt lgkmcnt(1)
	v_add_f64 v[0:1], v[8:9], v[0:1]
	v_add_f64 v[2:3], v[12:13], v[2:3]
	s_waitcnt lgkmcnt(0)
	s_delay_alu instid0(VALU_DEP_2) | instskip(NEXT) | instid1(VALU_DEP_2)
	v_add_f64 v[8:9], v[0:1], v[4:5]
	v_add_f64 v[12:13], v[2:3], v[6:7]
	ds_load_b128 v[0:3], v11 offset:2048
	ds_load_b128 v[4:7], v11 offset:2560
	s_waitcnt lgkmcnt(1)
	v_add_f64 v[0:1], v[8:9], v[0:1]
	v_add_f64 v[2:3], v[12:13], v[2:3]
	s_waitcnt lgkmcnt(0)
	s_delay_alu instid0(VALU_DEP_2) | instskip(NEXT) | instid1(VALU_DEP_2)
	;; [unrolled: 9-line block ×6, first 2 shown]
	v_add_f64 v[8:9], v[0:1], v[4:5]
	v_add_f64 v[12:13], v[2:3], v[6:7]
	ds_load_b128 v[0:3], v11 offset:7168
	ds_load_b128 v[4:7], v11 offset:7680
	s_waitcnt lgkmcnt(1)
	v_add_f64 v[0:1], v[8:9], v[0:1]
	v_add_f64 v[2:3], v[12:13], v[2:3]
                                        ; implicit-def: $vgpr8_vgpr9
	s_waitcnt lgkmcnt(0)
	s_delay_alu instid0(VALU_DEP_2) | instskip(NEXT) | instid1(VALU_DEP_2)
	v_add_f64 v[4:5], v[0:1], v[4:5]
	v_add_f64 v[6:7], v[2:3], v[6:7]
                                        ; implicit-def: $vgpr2_vgpr3
	ds_store_b128 v11, v[4:7]
	s_and_saveexec_b32 s1, vcc_lo
	s_cbranch_execz .LBB343_35
; %bb.32:
	v_mul_f64 v[0:1], s[18:19], v[6:7]
	v_mul_f64 v[2:3], s[16:17], v[6:7]
	v_cmp_neq_f64_e64 s8, s[4:5], 0
	v_cmp_neq_f64_e64 s9, s[6:7], 0
	v_mad_u64_u32 v[8:9], null, v10, s2, 0
	v_fma_f64 v[0:1], s[16:17], v[4:5], -v[0:1]
	v_fma_f64 v[2:3], s[18:19], v[4:5], v[2:3]
	v_ashrrev_i32_e32 v4, 31, v10
	v_mul_lo_u32 v5, v10, s3
	s_delay_alu instid0(VALU_DEP_2) | instskip(SKIP_1) | instid1(SALU_CYCLE_1)
	v_mul_lo_u32 v4, v4, s2
	s_or_b32 s2, s8, s9
	s_and_not1_b32 vcc_lo, exec_lo, s2
	s_delay_alu instid0(VALU_DEP_1)
	v_add3_u32 v9, v9, v5, v4
	s_cbranch_vccnz .LBB343_34
; %bb.33:
	s_delay_alu instid0(VALU_DEP_1) | instskip(NEXT) | instid1(VALU_DEP_1)
	v_lshlrev_b64 v[4:5], 4, v[8:9]
	v_add_co_u32 v4, vcc_lo, s20, v4
	s_delay_alu instid0(VALU_DEP_2) | instskip(SKIP_4) | instid1(VALU_DEP_2)
	v_add_co_ci_u32_e32 v5, vcc_lo, s21, v5, vcc_lo
	global_load_b128 v[4:7], v[4:5], off
	s_waitcnt vmcnt(0)
	v_mul_f64 v[10:11], s[6:7], v[6:7]
	v_mul_f64 v[6:7], s[4:5], v[6:7]
	v_fma_f64 v[10:11], s[4:5], v[4:5], -v[10:11]
	s_delay_alu instid0(VALU_DEP_2) | instskip(NEXT) | instid1(VALU_DEP_2)
	v_fma_f64 v[4:5], s[6:7], v[4:5], v[6:7]
	v_add_f64 v[0:1], v[0:1], v[10:11]
	s_delay_alu instid0(VALU_DEP_2)
	v_add_f64 v[2:3], v[2:3], v[4:5]
.LBB343_34:
	s_or_b32 s8, s22, exec_lo
.LBB343_35:
	s_or_b32 exec_lo, exec_lo, s1
	s_delay_alu instid0(SALU_CYCLE_1) | instskip(SKIP_1) | instid1(SALU_CYCLE_1)
	s_and_not1_b32 s1, s22, exec_lo
	s_and_b32 s2, s8, exec_lo
	s_or_b32 s22, s1, s2
.LBB343_36:
	s_or_b32 exec_lo, exec_lo, s0
.LBB343_37:
	s_and_saveexec_b32 s0, s22
	s_cbranch_execz .LBB343_4
; %bb.38:
	v_lshlrev_b64 v[4:5], 4, v[8:9]
	s_delay_alu instid0(VALU_DEP_1) | instskip(NEXT) | instid1(VALU_DEP_2)
	v_add_co_u32 v4, vcc_lo, s20, v4
	v_add_co_ci_u32_e32 v5, vcc_lo, s21, v5, vcc_lo
	global_store_b128 v[4:5], v[0:3], off
	s_nop 0
	s_sendmsg sendmsg(MSG_DEALLOC_VGPRS)
	s_endpgm
	.section	.rodata,"a",@progbits
	.p2align	6, 0x0
	.amdhsa_kernel _ZL20rocblas_gemvn_kernelILi32ELi16ElPK19rocblas_complex_numIdES3_KPS1_EviiT3_lPKT2_lT1_lS9_lSA_lS6_lPT4_lSA_li
		.amdhsa_group_segment_fixed_size 8192
		.amdhsa_private_segment_fixed_size 0
		.amdhsa_kernarg_size 400
		.amdhsa_user_sgpr_count 14
		.amdhsa_user_sgpr_dispatch_ptr 0
		.amdhsa_user_sgpr_queue_ptr 0
		.amdhsa_user_sgpr_kernarg_segment_ptr 1
		.amdhsa_user_sgpr_dispatch_id 0
		.amdhsa_user_sgpr_private_segment_size 0
		.amdhsa_wavefront_size32 1
		.amdhsa_uses_dynamic_stack 0
		.amdhsa_enable_private_segment 0
		.amdhsa_system_sgpr_workgroup_id_x 1
		.amdhsa_system_sgpr_workgroup_id_y 0
		.amdhsa_system_sgpr_workgroup_id_z 1
		.amdhsa_system_sgpr_workgroup_info 0
		.amdhsa_system_vgpr_workitem_id 1
		.amdhsa_next_free_vgpr 21
		.amdhsa_next_free_sgpr 34
		.amdhsa_reserve_vcc 1
		.amdhsa_float_round_mode_32 0
		.amdhsa_float_round_mode_16_64 0
		.amdhsa_float_denorm_mode_32 3
		.amdhsa_float_denorm_mode_16_64 3
		.amdhsa_dx10_clamp 1
		.amdhsa_ieee_mode 1
		.amdhsa_fp16_overflow 0
		.amdhsa_workgroup_processor_mode 1
		.amdhsa_memory_ordered 1
		.amdhsa_forward_progress 0
		.amdhsa_shared_vgpr_count 0
		.amdhsa_exception_fp_ieee_invalid_op 0
		.amdhsa_exception_fp_denorm_src 0
		.amdhsa_exception_fp_ieee_div_zero 0
		.amdhsa_exception_fp_ieee_overflow 0
		.amdhsa_exception_fp_ieee_underflow 0
		.amdhsa_exception_fp_ieee_inexact 0
		.amdhsa_exception_int_div_zero 0
	.end_amdhsa_kernel
	.section	.text._ZL20rocblas_gemvn_kernelILi32ELi16ElPK19rocblas_complex_numIdES3_KPS1_EviiT3_lPKT2_lT1_lS9_lSA_lS6_lPT4_lSA_li,"axG",@progbits,_ZL20rocblas_gemvn_kernelILi32ELi16ElPK19rocblas_complex_numIdES3_KPS1_EviiT3_lPKT2_lT1_lS9_lSA_lS6_lPT4_lSA_li,comdat
.Lfunc_end343:
	.size	_ZL20rocblas_gemvn_kernelILi32ELi16ElPK19rocblas_complex_numIdES3_KPS1_EviiT3_lPKT2_lT1_lS9_lSA_lS6_lPT4_lSA_li, .Lfunc_end343-_ZL20rocblas_gemvn_kernelILi32ELi16ElPK19rocblas_complex_numIdES3_KPS1_EviiT3_lPKT2_lT1_lS9_lSA_lS6_lPT4_lSA_li
                                        ; -- End function
	.section	.AMDGPU.csdata,"",@progbits
; Kernel info:
; codeLenInByte = 2308
; NumSgprs: 36
; NumVgprs: 21
; ScratchSize: 0
; MemoryBound: 1
; FloatMode: 240
; IeeeMode: 1
; LDSByteSize: 8192 bytes/workgroup (compile time only)
; SGPRBlocks: 4
; VGPRBlocks: 2
; NumSGPRsForWavesPerEU: 36
; NumVGPRsForWavesPerEU: 21
; Occupancy: 16
; WaveLimiterHint : 1
; COMPUTE_PGM_RSRC2:SCRATCH_EN: 0
; COMPUTE_PGM_RSRC2:USER_SGPR: 14
; COMPUTE_PGM_RSRC2:TRAP_HANDLER: 0
; COMPUTE_PGM_RSRC2:TGID_X_EN: 1
; COMPUTE_PGM_RSRC2:TGID_Y_EN: 0
; COMPUTE_PGM_RSRC2:TGID_Z_EN: 1
; COMPUTE_PGM_RSRC2:TIDIG_COMP_CNT: 1
	.section	.text._ZL20rocblas_gemvn_kernelILi32ELi16EiPK19rocblas_complex_numIdES1_KPS1_EviiT3_lPKT2_lT1_lS9_lSA_lS6_lPT4_lSA_li,"axG",@progbits,_ZL20rocblas_gemvn_kernelILi32ELi16EiPK19rocblas_complex_numIdES1_KPS1_EviiT3_lPKT2_lT1_lS9_lSA_lS6_lPT4_lSA_li,comdat
	.globl	_ZL20rocblas_gemvn_kernelILi32ELi16EiPK19rocblas_complex_numIdES1_KPS1_EviiT3_lPKT2_lT1_lS9_lSA_lS6_lPT4_lSA_li ; -- Begin function _ZL20rocblas_gemvn_kernelILi32ELi16EiPK19rocblas_complex_numIdES1_KPS1_EviiT3_lPKT2_lT1_lS9_lSA_lS6_lPT4_lSA_li
	.p2align	8
	.type	_ZL20rocblas_gemvn_kernelILi32ELi16EiPK19rocblas_complex_numIdES1_KPS1_EviiT3_lPKT2_lT1_lS9_lSA_lS6_lPT4_lSA_li,@function
_ZL20rocblas_gemvn_kernelILi32ELi16EiPK19rocblas_complex_numIdES1_KPS1_EviiT3_lPKT2_lT1_lS9_lSA_lS6_lPT4_lSA_li: ; @_ZL20rocblas_gemvn_kernelILi32ELi16EiPK19rocblas_complex_numIdES1_KPS1_EviiT3_lPKT2_lT1_lS9_lSA_lS6_lPT4_lSA_li
; %bb.0:
	s_load_b64 s[4:5], s[0:1], 0xac
	s_mov_b32 s2, s15
	s_waitcnt lgkmcnt(0)
	s_lshr_b32 s3, s4, 16
	s_and_b32 s15, s4, 0xffff
	s_and_b32 s4, s5, 0xffff
	s_mul_i32 s3, s3, s15
	s_delay_alu instid0(SALU_CYCLE_1) | instskip(NEXT) | instid1(SALU_CYCLE_1)
	s_mul_i32 s3, s3, s4
	s_cmpk_lg_i32 s3, 0x200
	s_cbranch_scc1 .LBB344_39
; %bb.1:
	s_clause 0x1
	s_load_b128 s[8:11], s[0:1], 0x8
	s_load_b128 s[4:7], s[0:1], 0x60
	s_mov_b32 s18, -1
	s_waitcnt lgkmcnt(0)
	v_cmp_neq_f64_e64 s3, s[8:9], 0
	v_cmp_neq_f64_e64 s12, s[10:11], 0
	s_delay_alu instid0(VALU_DEP_1) | instskip(NEXT) | instid1(SALU_CYCLE_1)
	s_or_b32 s12, s3, s12
                                        ; implicit-def: $sgpr3
	s_and_b32 vcc_lo, exec_lo, s12
	s_cbranch_vccnz .LBB344_4
; %bb.2:
	v_cmp_eq_f64_e64 s3, s[4:5], 1.0
	v_cmp_eq_f64_e64 s13, s[6:7], 0
	s_mov_b32 s18, 0
	s_delay_alu instid0(VALU_DEP_1) | instskip(NEXT) | instid1(SALU_CYCLE_1)
	s_and_b32 s3, s3, s13
	s_and_not1_b32 vcc_lo, exec_lo, s3
	s_cbranch_vccz .LBB344_4
; %bb.3:
	s_mov_b32 s3, 0
	s_mov_b32 s13, -1
	s_mov_b64 s[16:17], 0
	s_and_b32 vcc_lo, exec_lo, s18
	s_cbranch_vccnz .LBB344_5
	s_branch .LBB344_6
.LBB344_4:
	s_mov_b32 s13, 0
                                        ; implicit-def: $sgpr16_sgpr17
	s_and_b32 vcc_lo, exec_lo, s18
	s_cbranch_vccz .LBB344_6
.LBB344_5:
	s_load_b128 s[16:19], s[0:1], 0x20
	s_mov_b32 s3, 0
	s_mov_b32 s13, -1
	s_lshl_b64 s[20:21], s[2:3], 3
	s_waitcnt lgkmcnt(0)
	s_add_u32 s16, s16, s20
	s_addc_u32 s17, s17, s21
	s_lshl_b64 s[18:19], s[18:19], 4
	s_load_b64 s[16:17], s[16:17], 0x0
	s_waitcnt lgkmcnt(0)
	s_add_u32 s16, s16, s18
	s_addc_u32 s17, s17, s19
.LBB344_6:
	s_and_not1_b32 vcc_lo, exec_lo, s13
	s_cbranch_vccnz .LBB344_39
; %bb.7:
	v_cndmask_b32_e64 v1, 0, 1, s12
	s_xor_b32 s21, s12, -1
	s_mov_b64 s[18:19], 0
	s_delay_alu instid0(VALU_DEP_1)
	v_cmp_ne_u32_e32 vcc_lo, 1, v1
	s_cbranch_vccnz .LBB344_9
; %bb.8:
	s_load_b128 s[24:27], s[0:1], 0x40
	s_lshl_b64 s[12:13], s[2:3], 3
	s_waitcnt lgkmcnt(0)
	s_add_u32 s12, s24, s12
	s_addc_u32 s13, s25, s13
	s_lshl_b64 s[18:19], s[26:27], 4
	s_load_b64 s[12:13], s[12:13], 0x0
	s_waitcnt lgkmcnt(0)
	s_add_u32 s18, s12, s18
	s_addc_u32 s19, s13, s19
.LBB344_9:
	s_load_b128 s[24:27], s[0:1], 0x78
	s_lshl_b64 s[2:3], s[2:3], 3
	v_and_b32_e32 v1, 0x3ff, v0
	v_bfe_u32 v0, v0, 10, 10
	s_delay_alu instid0(VALU_DEP_1)
	v_mad_u32_u24 v10, v0, s15, v1
	s_waitcnt lgkmcnt(0)
	s_add_u32 s2, s24, s2
	s_addc_u32 s3, s25, s3
	s_lshl_b64 s[24:25], s[26:27], 4
	s_load_b64 s[22:23], s[2:3], 0x0
	s_clause 0x1
	s_load_b64 s[12:13], s[0:1], 0x0
	s_load_b32 s20, s[0:1], 0x88
	v_cmp_gt_u32_e64 s2, 32, v10
	s_waitcnt lgkmcnt(0)
	s_add_u32 s3, s22, s24
	s_addc_u32 s15, s23, s25
	s_and_not1_b32 vcc_lo, exec_lo, s21
	s_cbranch_vccnz .LBB344_16
; %bb.10:
	s_mov_b32 s22, 0
	s_mov_b32 s21, 0
                                        ; implicit-def: $vgpr2_vgpr3
                                        ; implicit-def: $vgpr8_vgpr9
	s_and_saveexec_b32 s23, s2
	s_cbranch_execz .LBB344_17
; %bb.11:
	v_lshl_or_b32 v0, s14, 5, v10
	v_mov_b32_e32 v1, 0
	s_ashr_i32 s25, s12, 31
	s_mov_b32 s24, s12
	s_mov_b32 s2, exec_lo
                                        ; implicit-def: $vgpr2_vgpr3
                                        ; implicit-def: $vgpr8_vgpr9
	s_delay_alu instid0(VALU_DEP_1)
	v_cmpx_gt_i64_e64 s[24:25], v[0:1]
	s_cbranch_execz .LBB344_15
; %bb.12:
	v_cmp_neq_f64_e64 s21, s[4:5], 0
	v_cmp_neq_f64_e64 s24, s[6:7], 0
	v_mad_u64_u32 v[8:9], null, v0, s20, 0
	s_ashr_i32 s25, s20, 31
	s_delay_alu instid0(VALU_DEP_1) | instskip(NEXT) | instid1(VALU_DEP_1)
	v_mov_b32_e32 v1, v9
	v_mad_u64_u32 v[4:5], null, v0, s25, v[1:2]
	v_mov_b32_e32 v2, 0
	v_mov_b32_e32 v3, 0
	s_delay_alu instid0(VALU_DEP_2) | instskip(NEXT) | instid1(VALU_DEP_2)
	v_dual_mov_b32 v0, v2 :: v_dual_mov_b32 v9, v4
	v_mov_b32_e32 v1, v3
	s_or_b32 s21, s21, s24
	s_delay_alu instid0(SALU_CYCLE_1)
	s_and_not1_b32 vcc_lo, exec_lo, s21
	s_cbranch_vccnz .LBB344_14
; %bb.13:
	v_lshlrev_b64 v[0:1], 4, v[8:9]
	s_delay_alu instid0(VALU_DEP_1) | instskip(NEXT) | instid1(VALU_DEP_2)
	v_add_co_u32 v0, vcc_lo, s3, v0
	v_add_co_ci_u32_e32 v1, vcc_lo, s15, v1, vcc_lo
	global_load_b128 v[2:5], v[0:1], off
	s_waitcnt vmcnt(0)
	v_mul_f64 v[0:1], s[6:7], v[4:5]
	v_mul_f64 v[4:5], s[4:5], v[4:5]
	s_delay_alu instid0(VALU_DEP_2) | instskip(NEXT) | instid1(VALU_DEP_2)
	v_fma_f64 v[0:1], s[4:5], v[2:3], -v[0:1]
	v_fma_f64 v[2:3], s[6:7], v[2:3], v[4:5]
.LBB344_14:
	s_mov_b32 s21, exec_lo
.LBB344_15:
	s_or_b32 exec_lo, exec_lo, s2
	s_delay_alu instid0(SALU_CYCLE_1) | instskip(SKIP_1) | instid1(SALU_CYCLE_1)
	s_and_b32 s21, s21, exec_lo
	s_or_b32 exec_lo, exec_lo, s23
	s_and_b32 vcc_lo, exec_lo, s22
	s_cbranch_vccnz .LBB344_18
	s_branch .LBB344_37
.LBB344_16:
	s_mov_b32 s21, 0
                                        ; implicit-def: $vgpr2_vgpr3
                                        ; implicit-def: $vgpr8_vgpr9
	s_cbranch_execnz .LBB344_18
	s_branch .LBB344_37
.LBB344_17:
	s_or_b32 exec_lo, exec_lo, s23
	s_delay_alu instid0(SALU_CYCLE_1)
	s_and_b32 vcc_lo, exec_lo, s22
	s_cbranch_vccz .LBB344_37
.LBB344_18:
	s_clause 0x1
	s_load_b32 s2, s[0:1], 0x30
	s_load_b32 s22, s[0:1], 0x50
	v_dual_mov_b32 v2, 0 :: v_dual_and_b32 v5, 31, v10
	v_mov_b32_e32 v3, 0
	s_ashr_i32 s0, s13, 31
	s_lshl_b32 s1, s14, 5
	s_lshr_b32 s0, s0, 28
	v_lshrrev_b32_e32 v8, 5, v10
	v_or_b32_e32 v9, s1, v5
	v_dual_mov_b32 v0, v2 :: v_dual_mov_b32 v1, v3
	s_add_i32 s0, s13, s0
	s_mov_b32 s23, exec_lo
	s_and_b32 s14, s0, -16
	s_delay_alu instid0(SALU_CYCLE_1)
	v_cmpx_gt_i32_e64 s14, v8
	s_cbranch_execz .LBB344_24
; %bb.19:
	s_waitcnt lgkmcnt(0)
	v_mul_lo_u32 v0, s2, v8
	v_mov_b32_e32 v2, 0
	v_mov_b32_e32 v3, 0
	v_mul_lo_u32 v4, s22, v8
	v_cmp_gt_i32_e32 vcc_lo, s12, v9
	s_lshl_b32 s24, s22, 4
	s_lshl_b32 s26, s2, 4
	s_mov_b32 s25, 0
	v_add3_u32 v6, v0, s1, v5
	v_dual_mov_b32 v0, v2 :: v_dual_mov_b32 v1, v3
	s_set_inst_prefetch_distance 0x1
	s_branch .LBB344_21
	.p2align	6
.LBB344_20:                             ;   in Loop: Header=BB344_21 Depth=1
	s_or_b32 exec_lo, exec_lo, s27
	v_add_nc_u32_e32 v8, 16, v8
	v_add_nc_u32_e32 v4, s24, v4
	;; [unrolled: 1-line block ×3, first 2 shown]
	s_delay_alu instid0(VALU_DEP_3) | instskip(NEXT) | instid1(VALU_DEP_1)
	v_cmp_le_i32_e64 s0, s14, v8
	s_or_b32 s25, s0, s25
	s_delay_alu instid0(SALU_CYCLE_1)
	s_and_not1_b32 exec_lo, exec_lo, s25
	s_cbranch_execz .LBB344_23
.LBB344_21:                             ; =>This Inner Loop Header: Depth=1
	s_and_saveexec_b32 s27, vcc_lo
	s_cbranch_execz .LBB344_20
; %bb.22:                               ;   in Loop: Header=BB344_21 Depth=1
	v_ashrrev_i32_e32 v5, 31, v4
	v_ashrrev_i32_e32 v7, 31, v6
	s_delay_alu instid0(VALU_DEP_2) | instskip(NEXT) | instid1(VALU_DEP_2)
	v_lshlrev_b64 v[11:12], 4, v[4:5]
	v_lshlrev_b64 v[13:14], 4, v[6:7]
	s_delay_alu instid0(VALU_DEP_2) | instskip(NEXT) | instid1(VALU_DEP_1)
	v_add_co_u32 v11, s0, s18, v11
	v_add_co_ci_u32_e64 v12, s0, s19, v12, s0
	s_delay_alu instid0(VALU_DEP_3) | instskip(NEXT) | instid1(VALU_DEP_1)
	v_add_co_u32 v15, s0, s16, v13
	v_add_co_ci_u32_e64 v16, s0, s17, v14, s0
	flat_load_b128 v[11:14], v[11:12]
	flat_load_b128 v[15:18], v[15:16]
	s_waitcnt vmcnt(0) lgkmcnt(0)
	v_mul_f64 v[19:20], v[13:14], v[17:18]
	v_mul_f64 v[17:18], v[11:12], v[17:18]
	s_delay_alu instid0(VALU_DEP_2) | instskip(NEXT) | instid1(VALU_DEP_2)
	v_fma_f64 v[11:12], v[11:12], v[15:16], -v[19:20]
	v_fma_f64 v[13:14], v[13:14], v[15:16], v[17:18]
	s_delay_alu instid0(VALU_DEP_2) | instskip(NEXT) | instid1(VALU_DEP_2)
	v_add_f64 v[0:1], v[0:1], v[11:12]
	v_add_f64 v[2:3], v[2:3], v[13:14]
	s_branch .LBB344_20
.LBB344_23:
	s_set_inst_prefetch_distance 0x2
	s_or_b32 exec_lo, exec_lo, s25
.LBB344_24:
	s_delay_alu instid0(SALU_CYCLE_1) | instskip(SKIP_1) | instid1(SALU_CYCLE_1)
	s_or_b32 exec_lo, exec_lo, s23
	s_sub_i32 s0, s13, s14
	s_cmp_lt_i32 s0, 1
	s_cbranch_scc1 .LBB344_30
; %bb.25:
	v_mov_b32_e32 v4, 0
	v_mov_b32_e32 v5, 0
	v_cmp_gt_i32_e32 vcc_lo, s13, v8
	s_delay_alu instid0(VALU_DEP_2)
	v_dual_mov_b32 v7, v5 :: v_dual_mov_b32 v6, v4
	s_and_saveexec_b32 s13, vcc_lo
	s_cbranch_execz .LBB344_27
; %bb.26:
	s_waitcnt lgkmcnt(0)
	v_mul_lo_u32 v4, v8, s22
	s_delay_alu instid0(VALU_DEP_1) | instskip(NEXT) | instid1(VALU_DEP_1)
	v_ashrrev_i32_e32 v5, 31, v4
	v_lshlrev_b64 v[4:5], 4, v[4:5]
	s_delay_alu instid0(VALU_DEP_1) | instskip(NEXT) | instid1(VALU_DEP_1)
	v_add_co_u32 v4, s0, s18, v4
	v_add_co_ci_u32_e64 v5, s0, s19, v5, s0
	flat_load_b128 v[4:7], v[4:5]
.LBB344_27:
	s_or_b32 exec_lo, exec_lo, s13
	s_delay_alu instid0(SALU_CYCLE_1)
	s_mov_b32 s13, exec_lo
	v_cmpx_gt_i32_e64 s12, v9
	s_cbranch_execz .LBB344_29
; %bb.28:
	s_waitcnt lgkmcnt(0)
	v_mul_lo_u32 v8, v8, s2
	s_delay_alu instid0(VALU_DEP_1) | instskip(NEXT) | instid1(VALU_DEP_1)
	v_cndmask_b32_e32 v8, 0, v8, vcc_lo
	v_add_nc_u32_e32 v8, v8, v9
	s_delay_alu instid0(VALU_DEP_1) | instskip(NEXT) | instid1(VALU_DEP_1)
	v_ashrrev_i32_e32 v9, 31, v8
	v_lshlrev_b64 v[8:9], 4, v[8:9]
	s_delay_alu instid0(VALU_DEP_1) | instskip(NEXT) | instid1(VALU_DEP_2)
	v_add_co_u32 v8, vcc_lo, s16, v8
	v_add_co_ci_u32_e32 v9, vcc_lo, s17, v9, vcc_lo
	flat_load_b128 v[11:14], v[8:9]
	s_waitcnt vmcnt(0) lgkmcnt(0)
	v_mul_f64 v[8:9], v[6:7], v[13:14]
	v_mul_f64 v[13:14], v[4:5], v[13:14]
	s_delay_alu instid0(VALU_DEP_2) | instskip(NEXT) | instid1(VALU_DEP_2)
	v_fma_f64 v[4:5], v[4:5], v[11:12], -v[8:9]
	v_fma_f64 v[6:7], v[6:7], v[11:12], v[13:14]
	s_delay_alu instid0(VALU_DEP_2) | instskip(NEXT) | instid1(VALU_DEP_2)
	v_add_f64 v[0:1], v[0:1], v[4:5]
	v_add_f64 v[2:3], v[2:3], v[6:7]
.LBB344_29:
	s_or_b32 exec_lo, exec_lo, s13
.LBB344_30:
	v_lshlrev_b32_e32 v11, 4, v10
	s_mov_b32 s0, exec_lo
                                        ; implicit-def: $vgpr8_vgpr9
	ds_store_b128 v11, v[0:3]
	s_waitcnt vmcnt(0) lgkmcnt(0)
	s_barrier
	buffer_gl0_inv
                                        ; implicit-def: $vgpr2_vgpr3
	v_cmpx_gt_u32_e32 32, v10
	s_cbranch_execz .LBB344_36
; %bb.31:
	ds_load_b128 v[0:3], v11
	ds_load_b128 v[4:7], v11 offset:512
	v_or_b32_e32 v10, s1, v10
	s_mov_b32 s2, s21
	s_mov_b32 s1, exec_lo
	s_waitcnt lgkmcnt(0)
	v_add_f64 v[8:9], v[0:1], v[4:5]
	v_add_f64 v[12:13], v[2:3], v[6:7]
	ds_load_b128 v[0:3], v11 offset:1024
	ds_load_b128 v[4:7], v11 offset:1536
	s_waitcnt lgkmcnt(1)
	v_add_f64 v[0:1], v[8:9], v[0:1]
	v_add_f64 v[2:3], v[12:13], v[2:3]
	s_waitcnt lgkmcnt(0)
	s_delay_alu instid0(VALU_DEP_2) | instskip(NEXT) | instid1(VALU_DEP_2)
	v_add_f64 v[8:9], v[0:1], v[4:5]
	v_add_f64 v[12:13], v[2:3], v[6:7]
	ds_load_b128 v[0:3], v11 offset:2048
	ds_load_b128 v[4:7], v11 offset:2560
	s_waitcnt lgkmcnt(1)
	v_add_f64 v[0:1], v[8:9], v[0:1]
	v_add_f64 v[2:3], v[12:13], v[2:3]
	s_waitcnt lgkmcnt(0)
	s_delay_alu instid0(VALU_DEP_2) | instskip(NEXT) | instid1(VALU_DEP_2)
	;; [unrolled: 9-line block ×6, first 2 shown]
	v_add_f64 v[8:9], v[0:1], v[4:5]
	v_add_f64 v[12:13], v[2:3], v[6:7]
	ds_load_b128 v[0:3], v11 offset:7168
	ds_load_b128 v[4:7], v11 offset:7680
	s_waitcnt lgkmcnt(1)
	v_add_f64 v[0:1], v[8:9], v[0:1]
	v_add_f64 v[2:3], v[12:13], v[2:3]
                                        ; implicit-def: $vgpr8_vgpr9
	s_waitcnt lgkmcnt(0)
	s_delay_alu instid0(VALU_DEP_2) | instskip(NEXT) | instid1(VALU_DEP_2)
	v_add_f64 v[4:5], v[0:1], v[4:5]
	v_add_f64 v[6:7], v[2:3], v[6:7]
                                        ; implicit-def: $vgpr2_vgpr3
	ds_store_b128 v11, v[4:7]
	v_cmpx_gt_i32_e64 s12, v10
	s_cbranch_execz .LBB344_35
; %bb.32:
	v_mul_f64 v[0:1], s[10:11], v[6:7]
	v_mul_f64 v[2:3], s[8:9], v[6:7]
	v_cmp_neq_f64_e64 s2, s[4:5], 0
	v_cmp_neq_f64_e64 s12, s[6:7], 0
	v_mul_lo_u32 v8, v10, s20
	s_delay_alu instid0(VALU_DEP_1) | instskip(SKIP_3) | instid1(SALU_CYCLE_1)
	v_ashrrev_i32_e32 v9, 31, v8
	v_fma_f64 v[0:1], s[8:9], v[4:5], -v[0:1]
	v_fma_f64 v[2:3], s[10:11], v[4:5], v[2:3]
	s_or_b32 s2, s2, s12
	s_and_not1_b32 vcc_lo, exec_lo, s2
	s_cbranch_vccnz .LBB344_34
; %bb.33:
	v_lshlrev_b64 v[4:5], 4, v[8:9]
	s_delay_alu instid0(VALU_DEP_1) | instskip(NEXT) | instid1(VALU_DEP_2)
	v_add_co_u32 v4, vcc_lo, s3, v4
	v_add_co_ci_u32_e32 v5, vcc_lo, s15, v5, vcc_lo
	global_load_b128 v[4:7], v[4:5], off
	s_waitcnt vmcnt(0)
	v_mul_f64 v[10:11], s[6:7], v[6:7]
	v_mul_f64 v[6:7], s[4:5], v[6:7]
	s_delay_alu instid0(VALU_DEP_2) | instskip(NEXT) | instid1(VALU_DEP_2)
	v_fma_f64 v[10:11], s[4:5], v[4:5], -v[10:11]
	v_fma_f64 v[4:5], s[6:7], v[4:5], v[6:7]
	s_delay_alu instid0(VALU_DEP_2) | instskip(NEXT) | instid1(VALU_DEP_2)
	v_add_f64 v[0:1], v[0:1], v[10:11]
	v_add_f64 v[2:3], v[2:3], v[4:5]
.LBB344_34:
	s_or_b32 s2, s21, exec_lo
.LBB344_35:
	s_or_b32 exec_lo, exec_lo, s1
	s_delay_alu instid0(SALU_CYCLE_1) | instskip(SKIP_1) | instid1(SALU_CYCLE_1)
	s_and_not1_b32 s1, s21, exec_lo
	s_and_b32 s2, s2, exec_lo
	s_or_b32 s21, s1, s2
.LBB344_36:
	s_or_b32 exec_lo, exec_lo, s0
.LBB344_37:
	s_and_saveexec_b32 s0, s21
	s_cbranch_execz .LBB344_39
; %bb.38:
	v_lshlrev_b64 v[4:5], 4, v[8:9]
	s_delay_alu instid0(VALU_DEP_1) | instskip(NEXT) | instid1(VALU_DEP_2)
	v_add_co_u32 v4, vcc_lo, s3, v4
	v_add_co_ci_u32_e32 v5, vcc_lo, s15, v5, vcc_lo
	global_store_b128 v[4:5], v[0:3], off
.LBB344_39:
	s_nop 0
	s_sendmsg sendmsg(MSG_DEALLOC_VGPRS)
	s_endpgm
	.section	.rodata,"a",@progbits
	.p2align	6, 0x0
	.amdhsa_kernel _ZL20rocblas_gemvn_kernelILi32ELi16EiPK19rocblas_complex_numIdES1_KPS1_EviiT3_lPKT2_lT1_lS9_lSA_lS6_lPT4_lSA_li
		.amdhsa_group_segment_fixed_size 8192
		.amdhsa_private_segment_fixed_size 0
		.amdhsa_kernarg_size 416
		.amdhsa_user_sgpr_count 14
		.amdhsa_user_sgpr_dispatch_ptr 0
		.amdhsa_user_sgpr_queue_ptr 0
		.amdhsa_user_sgpr_kernarg_segment_ptr 1
		.amdhsa_user_sgpr_dispatch_id 0
		.amdhsa_user_sgpr_private_segment_size 0
		.amdhsa_wavefront_size32 1
		.amdhsa_uses_dynamic_stack 0
		.amdhsa_enable_private_segment 0
		.amdhsa_system_sgpr_workgroup_id_x 1
		.amdhsa_system_sgpr_workgroup_id_y 0
		.amdhsa_system_sgpr_workgroup_id_z 1
		.amdhsa_system_sgpr_workgroup_info 0
		.amdhsa_system_vgpr_workitem_id 1
		.amdhsa_next_free_vgpr 21
		.amdhsa_next_free_sgpr 28
		.amdhsa_reserve_vcc 1
		.amdhsa_float_round_mode_32 0
		.amdhsa_float_round_mode_16_64 0
		.amdhsa_float_denorm_mode_32 3
		.amdhsa_float_denorm_mode_16_64 3
		.amdhsa_dx10_clamp 1
		.amdhsa_ieee_mode 1
		.amdhsa_fp16_overflow 0
		.amdhsa_workgroup_processor_mode 1
		.amdhsa_memory_ordered 1
		.amdhsa_forward_progress 0
		.amdhsa_shared_vgpr_count 0
		.amdhsa_exception_fp_ieee_invalid_op 0
		.amdhsa_exception_fp_denorm_src 0
		.amdhsa_exception_fp_ieee_div_zero 0
		.amdhsa_exception_fp_ieee_overflow 0
		.amdhsa_exception_fp_ieee_underflow 0
		.amdhsa_exception_fp_ieee_inexact 0
		.amdhsa_exception_int_div_zero 0
	.end_amdhsa_kernel
	.section	.text._ZL20rocblas_gemvn_kernelILi32ELi16EiPK19rocblas_complex_numIdES1_KPS1_EviiT3_lPKT2_lT1_lS9_lSA_lS6_lPT4_lSA_li,"axG",@progbits,_ZL20rocblas_gemvn_kernelILi32ELi16EiPK19rocblas_complex_numIdES1_KPS1_EviiT3_lPKT2_lT1_lS9_lSA_lS6_lPT4_lSA_li,comdat
.Lfunc_end344:
	.size	_ZL20rocblas_gemvn_kernelILi32ELi16EiPK19rocblas_complex_numIdES1_KPS1_EviiT3_lPKT2_lT1_lS9_lSA_lS6_lPT4_lSA_li, .Lfunc_end344-_ZL20rocblas_gemvn_kernelILi32ELi16EiPK19rocblas_complex_numIdES1_KPS1_EviiT3_lPKT2_lT1_lS9_lSA_lS6_lPT4_lSA_li
                                        ; -- End function
	.section	.AMDGPU.csdata,"",@progbits
; Kernel info:
; codeLenInByte = 2112
; NumSgprs: 30
; NumVgprs: 21
; ScratchSize: 0
; MemoryBound: 1
; FloatMode: 240
; IeeeMode: 1
; LDSByteSize: 8192 bytes/workgroup (compile time only)
; SGPRBlocks: 3
; VGPRBlocks: 2
; NumSGPRsForWavesPerEU: 30
; NumVGPRsForWavesPerEU: 21
; Occupancy: 16
; WaveLimiterHint : 1
; COMPUTE_PGM_RSRC2:SCRATCH_EN: 0
; COMPUTE_PGM_RSRC2:USER_SGPR: 14
; COMPUTE_PGM_RSRC2:TRAP_HANDLER: 0
; COMPUTE_PGM_RSRC2:TGID_X_EN: 1
; COMPUTE_PGM_RSRC2:TGID_Y_EN: 0
; COMPUTE_PGM_RSRC2:TGID_Z_EN: 1
; COMPUTE_PGM_RSRC2:TIDIG_COMP_CNT: 1
	.section	.text._ZL20rocblas_gemvn_kernelILi32ELi16ElPK19rocblas_complex_numIdES1_KPS1_EviiT3_lPKT2_lT1_lS9_lSA_lS6_lPT4_lSA_li,"axG",@progbits,_ZL20rocblas_gemvn_kernelILi32ELi16ElPK19rocblas_complex_numIdES1_KPS1_EviiT3_lPKT2_lT1_lS9_lSA_lS6_lPT4_lSA_li,comdat
	.globl	_ZL20rocblas_gemvn_kernelILi32ELi16ElPK19rocblas_complex_numIdES1_KPS1_EviiT3_lPKT2_lT1_lS9_lSA_lS6_lPT4_lSA_li ; -- Begin function _ZL20rocblas_gemvn_kernelILi32ELi16ElPK19rocblas_complex_numIdES1_KPS1_EviiT3_lPKT2_lT1_lS9_lSA_lS6_lPT4_lSA_li
	.p2align	8
	.type	_ZL20rocblas_gemvn_kernelILi32ELi16ElPK19rocblas_complex_numIdES1_KPS1_EviiT3_lPKT2_lT1_lS9_lSA_lS6_lPT4_lSA_li,@function
_ZL20rocblas_gemvn_kernelILi32ELi16ElPK19rocblas_complex_numIdES1_KPS1_EviiT3_lPKT2_lT1_lS9_lSA_lS6_lPT4_lSA_li: ; @_ZL20rocblas_gemvn_kernelILi32ELi16ElPK19rocblas_complex_numIdES1_KPS1_EviiT3_lPKT2_lT1_lS9_lSA_lS6_lPT4_lSA_li
; %bb.0:
	s_load_b64 s[4:5], s[0:1], 0xac
	s_mov_b32 s2, s15
	s_waitcnt lgkmcnt(0)
	s_lshr_b32 s3, s4, 16
	s_and_b32 s15, s4, 0xffff
	s_and_b32 s4, s5, 0xffff
	s_mul_i32 s3, s3, s15
	s_delay_alu instid0(SALU_CYCLE_1) | instskip(NEXT) | instid1(SALU_CYCLE_1)
	s_mul_i32 s3, s3, s4
	s_cmpk_lg_i32 s3, 0x200
	s_cbranch_scc1 .LBB345_39
; %bb.1:
	s_clause 0x3
	s_load_b128 s[8:11], s[0:1], 0x8
	s_load_b128 s[16:19], s[0:1], 0x20
	s_load_b64 s[20:21], s[0:1], 0x30
	s_load_b128 s[4:7], s[0:1], 0x60
	s_mov_b32 s24, -1
	s_waitcnt lgkmcnt(0)
	v_cmp_neq_f64_e64 s3, s[8:9], 0
	v_cmp_neq_f64_e64 s12, s[10:11], 0
	s_delay_alu instid0(VALU_DEP_1) | instskip(NEXT) | instid1(SALU_CYCLE_1)
	s_or_b32 s12, s3, s12
                                        ; implicit-def: $sgpr3
	s_and_b32 vcc_lo, exec_lo, s12
	s_cbranch_vccnz .LBB345_4
; %bb.2:
	v_cmp_eq_f64_e64 s3, s[4:5], 1.0
	v_cmp_eq_f64_e64 s13, s[6:7], 0
	s_mov_b32 s24, 0
	s_delay_alu instid0(VALU_DEP_1) | instskip(NEXT) | instid1(SALU_CYCLE_1)
	s_and_b32 s3, s3, s13
	s_and_not1_b32 vcc_lo, exec_lo, s3
	s_cbranch_vccz .LBB345_4
; %bb.3:
	s_mov_b32 s3, 0
	s_mov_b32 s13, -1
	s_mov_b64 s[22:23], 0
	s_and_b32 vcc_lo, exec_lo, s24
	s_cbranch_vccnz .LBB345_5
	s_branch .LBB345_6
.LBB345_4:
	s_mov_b32 s13, 0
                                        ; implicit-def: $sgpr22_sgpr23
	s_and_b32 vcc_lo, exec_lo, s24
	s_cbranch_vccz .LBB345_6
.LBB345_5:
	s_mov_b32 s3, 0
	s_mov_b32 s13, -1
	s_lshl_b64 s[22:23], s[2:3], 3
	s_delay_alu instid0(SALU_CYCLE_1)
	s_add_u32 s16, s16, s22
	s_addc_u32 s17, s17, s23
	s_lshl_b64 s[18:19], s[18:19], 4
	s_load_b64 s[16:17], s[16:17], 0x0
	s_waitcnt lgkmcnt(0)
	s_add_u32 s22, s16, s18
	s_addc_u32 s23, s17, s19
.LBB345_6:
	s_and_not1_b32 vcc_lo, exec_lo, s13
	s_cbranch_vccnz .LBB345_39
; %bb.7:
	s_clause 0x1
	s_load_b128 s[16:19], s[0:1], 0x40
	s_load_b64 s[24:25], s[0:1], 0x50
	v_cndmask_b32_e64 v1, 0, 1, s12
	s_xor_b32 s28, s12, -1
	s_mov_b64 s[26:27], 0
	s_delay_alu instid0(VALU_DEP_1)
	v_cmp_ne_u32_e32 vcc_lo, 1, v1
	s_cbranch_vccnz .LBB345_9
; %bb.8:
	s_lshl_b64 s[12:13], s[2:3], 3
	s_waitcnt lgkmcnt(0)
	s_add_u32 s12, s16, s12
	s_addc_u32 s13, s17, s13
	s_lshl_b64 s[16:17], s[18:19], 4
	s_load_b64 s[12:13], s[12:13], 0x0
	s_waitcnt lgkmcnt(0)
	s_add_u32 s26, s12, s16
	s_addc_u32 s27, s13, s17
.LBB345_9:
	s_waitcnt lgkmcnt(0)
	s_load_b128 s[16:19], s[0:1], 0x78
	s_lshl_b64 s[2:3], s[2:3], 3
	v_and_b32_e32 v1, 0x3ff, v0
	v_bfe_u32 v0, v0, 10, 10
	s_delay_alu instid0(VALU_DEP_1)
	v_mad_u32_u24 v10, v0, s15, v1
	s_waitcnt lgkmcnt(0)
	s_add_u32 s2, s16, s2
	s_addc_u32 s3, s17, s3
	s_lshl_b64 s[18:19], s[18:19], 4
	s_load_b64 s[16:17], s[2:3], 0x0
	s_clause 0x1
	s_load_b64 s[12:13], s[0:1], 0x0
	s_load_b64 s[2:3], s[0:1], 0x88
	v_cmp_gt_u32_e64 s0, 32, v10
	s_waitcnt lgkmcnt(0)
	s_add_u32 s18, s16, s18
	s_addc_u32 s19, s17, s19
	s_and_not1_b32 vcc_lo, exec_lo, s28
	s_cbranch_vccnz .LBB345_16
; %bb.10:
	s_mov_b32 s1, 0
	s_mov_b32 s28, 0
                                        ; implicit-def: $vgpr2_vgpr3
                                        ; implicit-def: $vgpr8_vgpr9
	s_and_saveexec_b32 s15, s0
	s_cbranch_execz .LBB345_17
; %bb.11:
	v_lshl_or_b32 v0, s14, 5, v10
	v_mov_b32_e32 v1, 0
	s_ashr_i32 s17, s12, 31
	s_mov_b32 s16, s12
                                        ; implicit-def: $vgpr2_vgpr3
                                        ; implicit-def: $vgpr8_vgpr9
	s_delay_alu instid0(VALU_DEP_1) | instid1(SALU_CYCLE_1)
	v_cmp_gt_i64_e32 vcc_lo, s[16:17], v[0:1]
	s_mov_b32 s16, 0
	s_and_saveexec_b32 s0, vcc_lo
	s_cbranch_execz .LBB345_15
; %bb.12:
	v_cmp_neq_f64_e64 s16, s[4:5], 0
	v_cmp_neq_f64_e64 s17, s[6:7], 0
	v_mad_u64_u32 v[8:9], null, v0, s2, 0
	s_delay_alu instid0(VALU_DEP_1) | instskip(NEXT) | instid1(VALU_DEP_1)
	v_mov_b32_e32 v1, v9
	v_mad_u64_u32 v[4:5], null, v0, s3, v[1:2]
	v_mov_b32_e32 v2, 0
	v_mov_b32_e32 v3, 0
	s_delay_alu instid0(VALU_DEP_2) | instskip(NEXT) | instid1(VALU_DEP_2)
	v_dual_mov_b32 v0, v2 :: v_dual_mov_b32 v9, v4
	v_mov_b32_e32 v1, v3
	s_or_b32 s16, s16, s17
	s_delay_alu instid0(SALU_CYCLE_1)
	s_and_not1_b32 vcc_lo, exec_lo, s16
	s_cbranch_vccnz .LBB345_14
; %bb.13:
	v_lshlrev_b64 v[0:1], 4, v[8:9]
	s_delay_alu instid0(VALU_DEP_1) | instskip(NEXT) | instid1(VALU_DEP_2)
	v_add_co_u32 v0, vcc_lo, s18, v0
	v_add_co_ci_u32_e32 v1, vcc_lo, s19, v1, vcc_lo
	global_load_b128 v[2:5], v[0:1], off
	s_waitcnt vmcnt(0)
	v_mul_f64 v[0:1], s[6:7], v[4:5]
	v_mul_f64 v[4:5], s[4:5], v[4:5]
	s_delay_alu instid0(VALU_DEP_2) | instskip(NEXT) | instid1(VALU_DEP_2)
	v_fma_f64 v[0:1], s[4:5], v[2:3], -v[0:1]
	v_fma_f64 v[2:3], s[6:7], v[2:3], v[4:5]
.LBB345_14:
	s_mov_b32 s16, exec_lo
.LBB345_15:
	s_or_b32 exec_lo, exec_lo, s0
	s_delay_alu instid0(SALU_CYCLE_1) | instskip(SKIP_1) | instid1(SALU_CYCLE_1)
	s_and_b32 s28, s16, exec_lo
	s_or_b32 exec_lo, exec_lo, s15
	s_and_b32 vcc_lo, exec_lo, s1
	s_cbranch_vccnz .LBB345_18
	s_branch .LBB345_37
.LBB345_16:
	s_mov_b32 s28, 0
                                        ; implicit-def: $vgpr2_vgpr3
                                        ; implicit-def: $vgpr8_vgpr9
	s_cbranch_execnz .LBB345_18
	s_branch .LBB345_37
.LBB345_17:
	s_or_b32 exec_lo, exec_lo, s15
	s_delay_alu instid0(SALU_CYCLE_1)
	s_and_b32 vcc_lo, exec_lo, s1
	s_cbranch_vccz .LBB345_37
.LBB345_18:
	v_mov_b32_e32 v2, 0
	v_dual_mov_b32 v3, 0 :: v_dual_and_b32 v4, 31, v10
	s_ashr_i32 s0, s13, 31
	s_lshl_b32 s29, s14, 5
	s_lshr_b32 s0, s0, 28
	v_lshrrev_b32_e32 v9, 5, v10
	v_or_b32_e32 v8, s29, v4
	v_dual_mov_b32 v0, v2 :: v_dual_mov_b32 v1, v3
	s_add_i32 s0, s13, s0
	s_mov_b32 s31, exec_lo
	s_and_b32 s30, s0, -16
	s_delay_alu instid0(SALU_CYCLE_1)
	v_cmpx_gt_i32_e64 s30, v9
	s_cbranch_execz .LBB345_24
; %bb.19:
	v_lshrrev_b32_e32 v13, 5, v10
	v_cmp_gt_i32_e32 vcc_lo, s12, v8
	s_lshl_b64 s[14:15], s[24:25], 8
	s_lshl_b64 s[16:17], s[20:21], 8
	s_mov_b32 s33, 0
	v_mad_u64_u32 v[5:6], null, s24, v13, 0
	v_mad_u64_u32 v[0:1], null, s20, v13, 0
	s_delay_alu instid0(VALU_DEP_2) | instskip(NEXT) | instid1(VALU_DEP_1)
	v_dual_mov_b32 v2, v6 :: v_dual_add_nc_u32 v3, s29, v4
	v_ashrrev_i32_e32 v4, 31, v3
	s_delay_alu instid0(VALU_DEP_2) | instskip(SKIP_1) | instid1(VALU_DEP_3)
	v_mad_u64_u32 v[6:7], null, s21, v13, v[1:2]
	v_mad_u64_u32 v[11:12], null, s25, v13, v[2:3]
	v_lshlrev_b64 v[12:13], 4, v[3:4]
	v_mov_b32_e32 v2, 0
	v_mov_b32_e32 v3, 0
	s_delay_alu instid0(VALU_DEP_4) | instskip(NEXT) | instid1(VALU_DEP_1)
	v_dual_mov_b32 v1, v6 :: v_dual_mov_b32 v6, v11
	v_lshlrev_b64 v[0:1], 4, v[0:1]
	s_delay_alu instid0(VALU_DEP_2) | instskip(NEXT) | instid1(VALU_DEP_2)
	v_lshlrev_b64 v[4:5], 4, v[5:6]
	v_add_co_u32 v0, s0, v0, v12
	s_delay_alu instid0(VALU_DEP_1) | instskip(NEXT) | instid1(VALU_DEP_3)
	v_add_co_ci_u32_e64 v1, s0, v1, v13, s0
	v_add_co_u32 v4, s0, s26, v4
	s_delay_alu instid0(VALU_DEP_1) | instskip(NEXT) | instid1(VALU_DEP_4)
	v_add_co_ci_u32_e64 v5, s0, s27, v5, s0
	v_add_co_u32 v6, s0, s22, v0
	s_delay_alu instid0(VALU_DEP_1)
	v_add_co_ci_u32_e64 v7, s0, s23, v1, s0
	v_dual_mov_b32 v0, v2 :: v_dual_mov_b32 v1, v3
	s_set_inst_prefetch_distance 0x1
	s_branch .LBB345_21
	.p2align	6
.LBB345_20:                             ;   in Loop: Header=BB345_21 Depth=1
	s_or_b32 exec_lo, exec_lo, s0
	v_add_nc_u32_e32 v9, 16, v9
	v_add_co_u32 v4, s0, v4, s14
	s_delay_alu instid0(VALU_DEP_1) | instskip(NEXT) | instid1(VALU_DEP_3)
	v_add_co_ci_u32_e64 v5, s0, s15, v5, s0
	v_cmp_le_i32_e64 s0, s30, v9
	v_add_co_u32 v6, s1, v6, s16
	s_delay_alu instid0(VALU_DEP_1) | instskip(NEXT) | instid1(VALU_DEP_3)
	v_add_co_ci_u32_e64 v7, s1, s17, v7, s1
	s_or_b32 s33, s0, s33
	s_delay_alu instid0(SALU_CYCLE_1)
	s_and_not1_b32 exec_lo, exec_lo, s33
	s_cbranch_execz .LBB345_23
.LBB345_21:                             ; =>This Inner Loop Header: Depth=1
	s_and_saveexec_b32 s0, vcc_lo
	s_cbranch_execz .LBB345_20
; %bb.22:                               ;   in Loop: Header=BB345_21 Depth=1
	flat_load_b128 v[11:14], v[4:5]
	flat_load_b128 v[15:18], v[6:7]
	s_waitcnt vmcnt(0) lgkmcnt(0)
	v_mul_f64 v[19:20], v[13:14], v[17:18]
	v_mul_f64 v[17:18], v[11:12], v[17:18]
	s_delay_alu instid0(VALU_DEP_2) | instskip(NEXT) | instid1(VALU_DEP_2)
	v_fma_f64 v[11:12], v[11:12], v[15:16], -v[19:20]
	v_fma_f64 v[13:14], v[13:14], v[15:16], v[17:18]
	s_delay_alu instid0(VALU_DEP_2) | instskip(NEXT) | instid1(VALU_DEP_2)
	v_add_f64 v[0:1], v[0:1], v[11:12]
	v_add_f64 v[2:3], v[2:3], v[13:14]
	s_branch .LBB345_20
.LBB345_23:
	s_set_inst_prefetch_distance 0x2
	s_or_b32 exec_lo, exec_lo, s33
.LBB345_24:
	s_delay_alu instid0(SALU_CYCLE_1) | instskip(SKIP_1) | instid1(SALU_CYCLE_1)
	s_or_b32 exec_lo, exec_lo, s31
	s_sub_i32 s0, s13, s30
	s_cmp_lt_i32 s0, 1
	s_cbranch_scc1 .LBB345_30
; %bb.25:
	v_mov_b32_e32 v4, 0
	v_mov_b32_e32 v5, 0
	v_cmp_gt_i32_e32 vcc_lo, s13, v9
	s_delay_alu instid0(VALU_DEP_2)
	v_dual_mov_b32 v7, v5 :: v_dual_mov_b32 v6, v4
	s_and_saveexec_b32 s1, vcc_lo
	s_cbranch_execz .LBB345_27
; %bb.26:
	v_mad_u64_u32 v[4:5], null, v9, s24, 0
	s_delay_alu instid0(VALU_DEP_1) | instskip(NEXT) | instid1(VALU_DEP_1)
	v_mad_u64_u32 v[6:7], null, v9, s25, v[5:6]
	v_mov_b32_e32 v5, v6
	s_delay_alu instid0(VALU_DEP_1) | instskip(NEXT) | instid1(VALU_DEP_1)
	v_lshlrev_b64 v[4:5], 4, v[4:5]
	v_add_co_u32 v4, s0, s26, v4
	s_delay_alu instid0(VALU_DEP_1)
	v_add_co_ci_u32_e64 v5, s0, s27, v5, s0
	flat_load_b128 v[4:7], v[4:5]
.LBB345_27:
	s_or_b32 exec_lo, exec_lo, s1
	s_delay_alu instid0(SALU_CYCLE_1)
	s_mov_b32 s1, exec_lo
	v_cmpx_gt_i32_e64 s12, v8
	s_cbranch_execz .LBB345_29
; %bb.28:
	v_mad_u64_u32 v[11:12], null, v9, s20, 0
	s_delay_alu instid0(VALU_DEP_1) | instskip(NEXT) | instid1(VALU_DEP_2)
	v_mad_u64_u32 v[13:14], null, v9, s21, v[12:13]
	v_cndmask_b32_e32 v11, 0, v11, vcc_lo
	v_ashrrev_i32_e32 v9, 31, v8
	s_delay_alu instid0(VALU_DEP_3) | instskip(NEXT) | instid1(VALU_DEP_2)
	v_cndmask_b32_e32 v12, 0, v13, vcc_lo
	v_lshlrev_b64 v[8:9], 4, v[8:9]
	s_delay_alu instid0(VALU_DEP_2) | instskip(NEXT) | instid1(VALU_DEP_1)
	v_lshlrev_b64 v[11:12], 4, v[11:12]
	v_add_co_u32 v11, vcc_lo, s22, v11
	s_delay_alu instid0(VALU_DEP_2) | instskip(NEXT) | instid1(VALU_DEP_2)
	v_add_co_ci_u32_e32 v12, vcc_lo, s23, v12, vcc_lo
	v_add_co_u32 v8, vcc_lo, v11, v8
	s_delay_alu instid0(VALU_DEP_2) | instskip(SKIP_4) | instid1(VALU_DEP_2)
	v_add_co_ci_u32_e32 v9, vcc_lo, v12, v9, vcc_lo
	flat_load_b128 v[11:14], v[8:9]
	s_waitcnt vmcnt(0) lgkmcnt(0)
	v_mul_f64 v[8:9], v[6:7], v[13:14]
	v_mul_f64 v[13:14], v[4:5], v[13:14]
	v_fma_f64 v[4:5], v[4:5], v[11:12], -v[8:9]
	s_delay_alu instid0(VALU_DEP_2) | instskip(NEXT) | instid1(VALU_DEP_2)
	v_fma_f64 v[6:7], v[6:7], v[11:12], v[13:14]
	v_add_f64 v[0:1], v[0:1], v[4:5]
	s_delay_alu instid0(VALU_DEP_2)
	v_add_f64 v[2:3], v[2:3], v[6:7]
.LBB345_29:
	s_or_b32 exec_lo, exec_lo, s1
.LBB345_30:
	v_lshlrev_b32_e32 v11, 4, v10
	s_mov_b32 s0, exec_lo
                                        ; implicit-def: $vgpr8_vgpr9
	ds_store_b128 v11, v[0:3]
	s_waitcnt vmcnt(0) lgkmcnt(0)
	s_barrier
	buffer_gl0_inv
                                        ; implicit-def: $vgpr2_vgpr3
	v_cmpx_gt_u32_e32 32, v10
	s_cbranch_execz .LBB345_36
; %bb.31:
	ds_load_b128 v[0:3], v11
	ds_load_b128 v[4:7], v11 offset:512
	v_or_b32_e32 v10, s29, v10
	s_delay_alu instid0(VALU_DEP_1)
	v_cmp_gt_i32_e32 vcc_lo, s12, v10
	s_mov_b32 s12, s28
	s_waitcnt lgkmcnt(0)
	v_add_f64 v[8:9], v[0:1], v[4:5]
	v_add_f64 v[12:13], v[2:3], v[6:7]
	ds_load_b128 v[0:3], v11 offset:1024
	ds_load_b128 v[4:7], v11 offset:1536
	s_waitcnt lgkmcnt(1)
	v_add_f64 v[0:1], v[8:9], v[0:1]
	v_add_f64 v[2:3], v[12:13], v[2:3]
	s_waitcnt lgkmcnt(0)
	s_delay_alu instid0(VALU_DEP_2) | instskip(NEXT) | instid1(VALU_DEP_2)
	v_add_f64 v[8:9], v[0:1], v[4:5]
	v_add_f64 v[12:13], v[2:3], v[6:7]
	ds_load_b128 v[0:3], v11 offset:2048
	ds_load_b128 v[4:7], v11 offset:2560
	s_waitcnt lgkmcnt(1)
	v_add_f64 v[0:1], v[8:9], v[0:1]
	v_add_f64 v[2:3], v[12:13], v[2:3]
	s_waitcnt lgkmcnt(0)
	s_delay_alu instid0(VALU_DEP_2) | instskip(NEXT) | instid1(VALU_DEP_2)
	;; [unrolled: 9-line block ×6, first 2 shown]
	v_add_f64 v[8:9], v[0:1], v[4:5]
	v_add_f64 v[12:13], v[2:3], v[6:7]
	ds_load_b128 v[0:3], v11 offset:7168
	ds_load_b128 v[4:7], v11 offset:7680
	s_waitcnt lgkmcnt(1)
	v_add_f64 v[0:1], v[8:9], v[0:1]
	v_add_f64 v[2:3], v[12:13], v[2:3]
                                        ; implicit-def: $vgpr8_vgpr9
	s_waitcnt lgkmcnt(0)
	s_delay_alu instid0(VALU_DEP_2) | instskip(NEXT) | instid1(VALU_DEP_2)
	v_add_f64 v[4:5], v[0:1], v[4:5]
	v_add_f64 v[6:7], v[2:3], v[6:7]
                                        ; implicit-def: $vgpr2_vgpr3
	ds_store_b128 v11, v[4:7]
	s_and_saveexec_b32 s1, vcc_lo
	s_cbranch_execz .LBB345_35
; %bb.32:
	v_mul_f64 v[0:1], s[10:11], v[6:7]
	v_mul_f64 v[2:3], s[8:9], v[6:7]
	v_cmp_neq_f64_e64 s12, s[4:5], 0
	v_cmp_neq_f64_e64 s13, s[6:7], 0
	v_mad_u64_u32 v[8:9], null, v10, s2, 0
	v_fma_f64 v[0:1], s[8:9], v[4:5], -v[0:1]
	v_fma_f64 v[2:3], s[10:11], v[4:5], v[2:3]
	v_ashrrev_i32_e32 v4, 31, v10
	v_mul_lo_u32 v5, v10, s3
	s_delay_alu instid0(VALU_DEP_2) | instskip(SKIP_1) | instid1(SALU_CYCLE_1)
	v_mul_lo_u32 v4, v4, s2
	s_or_b32 s2, s12, s13
	s_and_not1_b32 vcc_lo, exec_lo, s2
	s_delay_alu instid0(VALU_DEP_1)
	v_add3_u32 v9, v9, v5, v4
	s_cbranch_vccnz .LBB345_34
; %bb.33:
	s_delay_alu instid0(VALU_DEP_1) | instskip(NEXT) | instid1(VALU_DEP_1)
	v_lshlrev_b64 v[4:5], 4, v[8:9]
	v_add_co_u32 v4, vcc_lo, s18, v4
	s_delay_alu instid0(VALU_DEP_2) | instskip(SKIP_4) | instid1(VALU_DEP_2)
	v_add_co_ci_u32_e32 v5, vcc_lo, s19, v5, vcc_lo
	global_load_b128 v[4:7], v[4:5], off
	s_waitcnt vmcnt(0)
	v_mul_f64 v[10:11], s[6:7], v[6:7]
	v_mul_f64 v[6:7], s[4:5], v[6:7]
	v_fma_f64 v[10:11], s[4:5], v[4:5], -v[10:11]
	s_delay_alu instid0(VALU_DEP_2) | instskip(NEXT) | instid1(VALU_DEP_2)
	v_fma_f64 v[4:5], s[6:7], v[4:5], v[6:7]
	v_add_f64 v[0:1], v[0:1], v[10:11]
	s_delay_alu instid0(VALU_DEP_2)
	v_add_f64 v[2:3], v[2:3], v[4:5]
.LBB345_34:
	s_or_b32 s12, s28, exec_lo
.LBB345_35:
	s_or_b32 exec_lo, exec_lo, s1
	s_delay_alu instid0(SALU_CYCLE_1) | instskip(SKIP_1) | instid1(SALU_CYCLE_1)
	s_and_not1_b32 s1, s28, exec_lo
	s_and_b32 s2, s12, exec_lo
	s_or_b32 s28, s1, s2
.LBB345_36:
	s_or_b32 exec_lo, exec_lo, s0
.LBB345_37:
	s_and_saveexec_b32 s0, s28
	s_cbranch_execz .LBB345_39
; %bb.38:
	v_lshlrev_b64 v[4:5], 4, v[8:9]
	s_delay_alu instid0(VALU_DEP_1) | instskip(NEXT) | instid1(VALU_DEP_2)
	v_add_co_u32 v4, vcc_lo, s18, v4
	v_add_co_ci_u32_e32 v5, vcc_lo, s19, v5, vcc_lo
	global_store_b128 v[4:5], v[0:3], off
.LBB345_39:
	s_nop 0
	s_sendmsg sendmsg(MSG_DEALLOC_VGPRS)
	s_endpgm
	.section	.rodata,"a",@progbits
	.p2align	6, 0x0
	.amdhsa_kernel _ZL20rocblas_gemvn_kernelILi32ELi16ElPK19rocblas_complex_numIdES1_KPS1_EviiT3_lPKT2_lT1_lS9_lSA_lS6_lPT4_lSA_li
		.amdhsa_group_segment_fixed_size 8192
		.amdhsa_private_segment_fixed_size 0
		.amdhsa_kernarg_size 416
		.amdhsa_user_sgpr_count 14
		.amdhsa_user_sgpr_dispatch_ptr 0
		.amdhsa_user_sgpr_queue_ptr 0
		.amdhsa_user_sgpr_kernarg_segment_ptr 1
		.amdhsa_user_sgpr_dispatch_id 0
		.amdhsa_user_sgpr_private_segment_size 0
		.amdhsa_wavefront_size32 1
		.amdhsa_uses_dynamic_stack 0
		.amdhsa_enable_private_segment 0
		.amdhsa_system_sgpr_workgroup_id_x 1
		.amdhsa_system_sgpr_workgroup_id_y 0
		.amdhsa_system_sgpr_workgroup_id_z 1
		.amdhsa_system_sgpr_workgroup_info 0
		.amdhsa_system_vgpr_workitem_id 1
		.amdhsa_next_free_vgpr 21
		.amdhsa_next_free_sgpr 34
		.amdhsa_reserve_vcc 1
		.amdhsa_float_round_mode_32 0
		.amdhsa_float_round_mode_16_64 0
		.amdhsa_float_denorm_mode_32 3
		.amdhsa_float_denorm_mode_16_64 3
		.amdhsa_dx10_clamp 1
		.amdhsa_ieee_mode 1
		.amdhsa_fp16_overflow 0
		.amdhsa_workgroup_processor_mode 1
		.amdhsa_memory_ordered 1
		.amdhsa_forward_progress 0
		.amdhsa_shared_vgpr_count 0
		.amdhsa_exception_fp_ieee_invalid_op 0
		.amdhsa_exception_fp_denorm_src 0
		.amdhsa_exception_fp_ieee_div_zero 0
		.amdhsa_exception_fp_ieee_overflow 0
		.amdhsa_exception_fp_ieee_underflow 0
		.amdhsa_exception_fp_ieee_inexact 0
		.amdhsa_exception_int_div_zero 0
	.end_amdhsa_kernel
	.section	.text._ZL20rocblas_gemvn_kernelILi32ELi16ElPK19rocblas_complex_numIdES1_KPS1_EviiT3_lPKT2_lT1_lS9_lSA_lS6_lPT4_lSA_li,"axG",@progbits,_ZL20rocblas_gemvn_kernelILi32ELi16ElPK19rocblas_complex_numIdES1_KPS1_EviiT3_lPKT2_lT1_lS9_lSA_lS6_lPT4_lSA_li,comdat
.Lfunc_end345:
	.size	_ZL20rocblas_gemvn_kernelILi32ELi16ElPK19rocblas_complex_numIdES1_KPS1_EviiT3_lPKT2_lT1_lS9_lSA_lS6_lPT4_lSA_li, .Lfunc_end345-_ZL20rocblas_gemvn_kernelILi32ELi16ElPK19rocblas_complex_numIdES1_KPS1_EviiT3_lPKT2_lT1_lS9_lSA_lS6_lPT4_lSA_li
                                        ; -- End function
	.section	.AMDGPU.csdata,"",@progbits
; Kernel info:
; codeLenInByte = 2272
; NumSgprs: 36
; NumVgprs: 21
; ScratchSize: 0
; MemoryBound: 1
; FloatMode: 240
; IeeeMode: 1
; LDSByteSize: 8192 bytes/workgroup (compile time only)
; SGPRBlocks: 4
; VGPRBlocks: 2
; NumSGPRsForWavesPerEU: 36
; NumVGPRsForWavesPerEU: 21
; Occupancy: 16
; WaveLimiterHint : 1
; COMPUTE_PGM_RSRC2:SCRATCH_EN: 0
; COMPUTE_PGM_RSRC2:USER_SGPR: 14
; COMPUTE_PGM_RSRC2:TRAP_HANDLER: 0
; COMPUTE_PGM_RSRC2:TGID_X_EN: 1
; COMPUTE_PGM_RSRC2:TGID_Y_EN: 0
; COMPUTE_PGM_RSRC2:TGID_Z_EN: 1
; COMPUTE_PGM_RSRC2:TIDIG_COMP_CNT: 1
	.section	.text._ZL20rocblas_gemvn_kernelILi64ELi16EiPK19rocblas_complex_numIdES3_KPS1_EviiT3_lPKT2_lT1_lS9_lSA_lS6_lPT4_lSA_li,"axG",@progbits,_ZL20rocblas_gemvn_kernelILi64ELi16EiPK19rocblas_complex_numIdES3_KPS1_EviiT3_lPKT2_lT1_lS9_lSA_lS6_lPT4_lSA_li,comdat
	.globl	_ZL20rocblas_gemvn_kernelILi64ELi16EiPK19rocblas_complex_numIdES3_KPS1_EviiT3_lPKT2_lT1_lS9_lSA_lS6_lPT4_lSA_li ; -- Begin function _ZL20rocblas_gemvn_kernelILi64ELi16EiPK19rocblas_complex_numIdES3_KPS1_EviiT3_lPKT2_lT1_lS9_lSA_lS6_lPT4_lSA_li
	.p2align	8
	.type	_ZL20rocblas_gemvn_kernelILi64ELi16EiPK19rocblas_complex_numIdES3_KPS1_EviiT3_lPKT2_lT1_lS9_lSA_lS6_lPT4_lSA_li,@function
_ZL20rocblas_gemvn_kernelILi64ELi16EiPK19rocblas_complex_numIdES3_KPS1_EviiT3_lPKT2_lT1_lS9_lSA_lS6_lPT4_lSA_li: ; @_ZL20rocblas_gemvn_kernelILi64ELi16EiPK19rocblas_complex_numIdES3_KPS1_EviiT3_lPKT2_lT1_lS9_lSA_lS6_lPT4_lSA_li
; %bb.0:
	s_load_b64 s[4:5], s[0:1], 0x9c
	s_waitcnt lgkmcnt(0)
	s_lshr_b32 s3, s4, 16
	s_and_b32 s24, s4, 0xffff
	s_and_b32 s4, s5, 0xffff
	s_mul_i32 s3, s3, s24
	s_delay_alu instid0(SALU_CYCLE_1) | instskip(NEXT) | instid1(SALU_CYCLE_1)
	s_mul_i32 s3, s3, s4
	s_cmpk_lg_i32 s3, 0x400
	s_cbranch_scc1 .LBB346_4
; %bb.1:
	s_load_b256 s[16:23], s[0:1], 0x8
	s_mov_b32 s2, s15
	s_mov_b64 s[12:13], 0
	s_mov_b32 s26, -1
	s_waitcnt lgkmcnt(0)
	s_mul_i32 s3, s15, s19
	s_mul_hi_u32 s5, s15, s18
	s_mul_i32 s4, s15, s18
	s_add_i32 s5, s5, s3
	s_delay_alu instid0(SALU_CYCLE_1) | instskip(NEXT) | instid1(SALU_CYCLE_1)
	s_lshl_b64 s[4:5], s[4:5], 4
	s_add_u32 s4, s16, s4
	s_addc_u32 s5, s17, s5
	s_load_b128 s[16:19], s[4:5], 0x0
	s_load_b256 s[4:11], s[0:1], 0x58
	s_waitcnt lgkmcnt(0)
	v_cmp_neq_f64_e64 s15, s[16:17], 0
	v_cmp_neq_f64_e64 s25, s[18:19], 0
	s_mul_i32 s3, s2, s7
	s_mul_hi_u32 s7, s2, s6
	s_mul_i32 s6, s2, s6
	s_add_i32 s7, s7, s3
	s_mov_b32 s3, 0
	s_lshl_b64 s[6:7], s[6:7], 4
	s_delay_alu instid0(SALU_CYCLE_1) | instskip(SKIP_2) | instid1(VALU_DEP_1)
	s_add_u32 s4, s4, s6
	s_addc_u32 s5, s5, s7
	s_load_b128 s[4:7], s[4:5], 0x0
	s_or_b32 s15, s15, s25
	s_mov_b32 s25, s3
	s_and_b32 vcc_lo, exec_lo, s15
	s_cbranch_vccz .LBB346_5
; %bb.2:
	s_and_not1_b32 vcc_lo, exec_lo, s26
	s_cbranch_vccz .LBB346_6
.LBB346_3:
	s_and_not1_b32 vcc_lo, exec_lo, s25
	s_cbranch_vccz .LBB346_7
.LBB346_4:
	s_endpgm
.LBB346_5:
	s_waitcnt lgkmcnt(0)
	v_cmp_neq_f64_e64 s25, s[4:5], 1.0
	v_cmp_neq_f64_e64 s26, s[6:7], 0
	s_delay_alu instid0(VALU_DEP_1)
	s_or_b32 s25, s25, s26
	s_cbranch_execnz .LBB346_3
.LBB346_6:
	s_lshl_b64 s[12:13], s[2:3], 3
	s_delay_alu instid0(SALU_CYCLE_1)
	s_add_u32 s12, s20, s12
	s_addc_u32 s13, s21, s13
	s_lshl_b64 s[20:21], s[22:23], 4
	s_load_b64 s[12:13], s[12:13], 0x0
	s_waitcnt lgkmcnt(0)
	s_add_u32 s12, s12, s20
	s_addc_u32 s13, s13, s21
.LBB346_7:
	v_cndmask_b32_e64 v1, 0, 1, s15
	s_xor_b32 s22, s15, -1
	s_mov_b64 s[20:21], 0
	s_delay_alu instid0(VALU_DEP_1)
	v_cmp_ne_u32_e32 vcc_lo, 1, v1
	s_cbranch_vccnz .LBB346_9
; %bb.8:
	s_load_b128 s[28:31], s[0:1], 0x38
	s_lshl_b64 s[20:21], s[2:3], 3
	s_waitcnt lgkmcnt(0)
	s_add_u32 s20, s28, s20
	s_addc_u32 s21, s29, s21
	s_lshl_b64 s[26:27], s[30:31], 4
	s_load_b64 s[20:21], s[20:21], 0x0
	s_waitcnt lgkmcnt(0)
	s_add_u32 s20, s20, s26
	s_addc_u32 s21, s21, s27
.LBB346_9:
	s_lshl_b64 s[2:3], s[2:3], 3
	v_and_b32_e32 v1, 0x3ff, v0
	s_add_u32 s2, s8, s2
	s_addc_u32 s3, s9, s3
	v_bfe_u32 v0, v0, 10, 10
	s_load_b64 s[26:27], s[2:3], 0x0
	s_clause 0x1
	s_load_b64 s[8:9], s[0:1], 0x0
	s_load_b32 s15, s[0:1], 0x78
	s_lshl_b64 s[10:11], s[10:11], 4
	v_mad_u32_u24 v10, v0, s24, v1
	s_delay_alu instid0(VALU_DEP_1)
	v_cmp_gt_u32_e64 s2, 64, v10
	s_waitcnt lgkmcnt(0)
	s_add_u32 s3, s26, s10
	s_addc_u32 s10, s27, s11
	s_and_not1_b32 vcc_lo, exec_lo, s22
	s_cbranch_vccnz .LBB346_16
; %bb.10:
	s_mov_b32 s22, 0
	s_mov_b32 s11, 0
                                        ; implicit-def: $vgpr2_vgpr3
                                        ; implicit-def: $vgpr8_vgpr9
	s_and_saveexec_b32 s23, s2
	s_cbranch_execz .LBB346_17
; %bb.11:
	v_lshl_or_b32 v0, s14, 6, v10
	v_mov_b32_e32 v1, 0
	s_ashr_i32 s25, s8, 31
	s_mov_b32 s24, s8
	s_mov_b32 s2, exec_lo
                                        ; implicit-def: $vgpr2_vgpr3
                                        ; implicit-def: $vgpr8_vgpr9
	s_delay_alu instid0(VALU_DEP_1)
	v_cmpx_gt_i64_e64 s[24:25], v[0:1]
	s_cbranch_execz .LBB346_15
; %bb.12:
	v_cmp_neq_f64_e64 s11, s[4:5], 0
	v_cmp_neq_f64_e64 s24, s[6:7], 0
	v_mad_u64_u32 v[8:9], null, v0, s15, 0
	s_ashr_i32 s25, s15, 31
	s_delay_alu instid0(VALU_DEP_1) | instskip(NEXT) | instid1(VALU_DEP_1)
	v_mov_b32_e32 v1, v9
	v_mad_u64_u32 v[4:5], null, v0, s25, v[1:2]
	v_mov_b32_e32 v2, 0
	v_mov_b32_e32 v3, 0
	s_delay_alu instid0(VALU_DEP_2) | instskip(NEXT) | instid1(VALU_DEP_2)
	v_dual_mov_b32 v0, v2 :: v_dual_mov_b32 v9, v4
	v_mov_b32_e32 v1, v3
	s_or_b32 s11, s11, s24
	s_delay_alu instid0(SALU_CYCLE_1)
	s_and_not1_b32 vcc_lo, exec_lo, s11
	s_cbranch_vccnz .LBB346_14
; %bb.13:
	v_lshlrev_b64 v[0:1], 4, v[8:9]
	s_delay_alu instid0(VALU_DEP_1) | instskip(NEXT) | instid1(VALU_DEP_2)
	v_add_co_u32 v0, vcc_lo, s3, v0
	v_add_co_ci_u32_e32 v1, vcc_lo, s10, v1, vcc_lo
	global_load_b128 v[2:5], v[0:1], off
	s_waitcnt vmcnt(0)
	v_mul_f64 v[0:1], s[6:7], v[4:5]
	v_mul_f64 v[4:5], s[4:5], v[4:5]
	s_delay_alu instid0(VALU_DEP_2) | instskip(NEXT) | instid1(VALU_DEP_2)
	v_fma_f64 v[0:1], s[4:5], v[2:3], -v[0:1]
	v_fma_f64 v[2:3], s[6:7], v[2:3], v[4:5]
.LBB346_14:
	s_mov_b32 s11, exec_lo
.LBB346_15:
	s_or_b32 exec_lo, exec_lo, s2
	s_delay_alu instid0(SALU_CYCLE_1) | instskip(SKIP_1) | instid1(SALU_CYCLE_1)
	s_and_b32 s11, s11, exec_lo
	s_or_b32 exec_lo, exec_lo, s23
	s_and_b32 vcc_lo, exec_lo, s22
	s_cbranch_vccnz .LBB346_18
	s_branch .LBB346_37
.LBB346_16:
	s_mov_b32 s11, 0
                                        ; implicit-def: $vgpr2_vgpr3
                                        ; implicit-def: $vgpr8_vgpr9
	s_cbranch_execnz .LBB346_18
	s_branch .LBB346_37
.LBB346_17:
	s_or_b32 exec_lo, exec_lo, s23
	s_delay_alu instid0(SALU_CYCLE_1)
	s_and_b32 vcc_lo, exec_lo, s22
	s_cbranch_vccz .LBB346_37
.LBB346_18:
	s_clause 0x1
	s_load_b32 s2, s[0:1], 0x28
	s_load_b32 s22, s[0:1], 0x48
	v_dual_mov_b32 v2, 0 :: v_dual_and_b32 v5, 63, v10
	v_mov_b32_e32 v3, 0
	s_ashr_i32 s0, s9, 31
	s_lshl_b32 s1, s14, 6
	s_lshr_b32 s0, s0, 28
	v_lshrrev_b32_e32 v8, 6, v10
	v_or_b32_e32 v9, s1, v5
	v_dual_mov_b32 v0, v2 :: v_dual_mov_b32 v1, v3
	s_add_i32 s0, s9, s0
	s_mov_b32 s23, exec_lo
	s_and_b32 s14, s0, -16
	s_delay_alu instid0(SALU_CYCLE_1)
	v_cmpx_gt_i32_e64 s14, v8
	s_cbranch_execz .LBB346_24
; %bb.19:
	s_waitcnt lgkmcnt(0)
	v_mul_lo_u32 v0, s2, v8
	v_mov_b32_e32 v2, 0
	v_mov_b32_e32 v3, 0
	v_mul_lo_u32 v4, s22, v8
	v_cmp_gt_i32_e32 vcc_lo, s8, v9
	s_lshl_b32 s24, s22, 4
	s_lshl_b32 s26, s2, 4
	s_mov_b32 s25, 0
	v_add3_u32 v6, v0, s1, v5
	v_dual_mov_b32 v0, v2 :: v_dual_mov_b32 v1, v3
	s_set_inst_prefetch_distance 0x1
	s_branch .LBB346_21
	.p2align	6
.LBB346_20:                             ;   in Loop: Header=BB346_21 Depth=1
	s_or_b32 exec_lo, exec_lo, s27
	v_add_nc_u32_e32 v8, 16, v8
	v_add_nc_u32_e32 v4, s24, v4
	;; [unrolled: 1-line block ×3, first 2 shown]
	s_delay_alu instid0(VALU_DEP_3) | instskip(NEXT) | instid1(VALU_DEP_1)
	v_cmp_le_i32_e64 s0, s14, v8
	s_or_b32 s25, s0, s25
	s_delay_alu instid0(SALU_CYCLE_1)
	s_and_not1_b32 exec_lo, exec_lo, s25
	s_cbranch_execz .LBB346_23
.LBB346_21:                             ; =>This Inner Loop Header: Depth=1
	s_and_saveexec_b32 s27, vcc_lo
	s_cbranch_execz .LBB346_20
; %bb.22:                               ;   in Loop: Header=BB346_21 Depth=1
	v_ashrrev_i32_e32 v5, 31, v4
	v_ashrrev_i32_e32 v7, 31, v6
	s_delay_alu instid0(VALU_DEP_2) | instskip(NEXT) | instid1(VALU_DEP_2)
	v_lshlrev_b64 v[11:12], 4, v[4:5]
	v_lshlrev_b64 v[13:14], 4, v[6:7]
	s_delay_alu instid0(VALU_DEP_2) | instskip(NEXT) | instid1(VALU_DEP_1)
	v_add_co_u32 v11, s0, s20, v11
	v_add_co_ci_u32_e64 v12, s0, s21, v12, s0
	s_delay_alu instid0(VALU_DEP_3) | instskip(NEXT) | instid1(VALU_DEP_1)
	v_add_co_u32 v15, s0, s12, v13
	v_add_co_ci_u32_e64 v16, s0, s13, v14, s0
	flat_load_b128 v[11:14], v[11:12]
	flat_load_b128 v[15:18], v[15:16]
	s_waitcnt vmcnt(0) lgkmcnt(0)
	v_mul_f64 v[19:20], v[13:14], v[17:18]
	v_mul_f64 v[17:18], v[11:12], v[17:18]
	s_delay_alu instid0(VALU_DEP_2) | instskip(NEXT) | instid1(VALU_DEP_2)
	v_fma_f64 v[11:12], v[11:12], v[15:16], -v[19:20]
	v_fma_f64 v[13:14], v[13:14], v[15:16], v[17:18]
	s_delay_alu instid0(VALU_DEP_2) | instskip(NEXT) | instid1(VALU_DEP_2)
	v_add_f64 v[0:1], v[0:1], v[11:12]
	v_add_f64 v[2:3], v[2:3], v[13:14]
	s_branch .LBB346_20
.LBB346_23:
	s_set_inst_prefetch_distance 0x2
	s_or_b32 exec_lo, exec_lo, s25
.LBB346_24:
	s_delay_alu instid0(SALU_CYCLE_1) | instskip(SKIP_1) | instid1(SALU_CYCLE_1)
	s_or_b32 exec_lo, exec_lo, s23
	s_sub_i32 s0, s9, s14
	s_cmp_lt_i32 s0, 1
	s_cbranch_scc1 .LBB346_30
; %bb.25:
	v_mov_b32_e32 v4, 0
	v_mov_b32_e32 v5, 0
	v_cmp_gt_i32_e32 vcc_lo, s9, v8
	s_delay_alu instid0(VALU_DEP_2)
	v_dual_mov_b32 v7, v5 :: v_dual_mov_b32 v6, v4
	s_and_saveexec_b32 s9, vcc_lo
	s_cbranch_execz .LBB346_27
; %bb.26:
	s_waitcnt lgkmcnt(0)
	v_mul_lo_u32 v4, v8, s22
	s_delay_alu instid0(VALU_DEP_1) | instskip(NEXT) | instid1(VALU_DEP_1)
	v_ashrrev_i32_e32 v5, 31, v4
	v_lshlrev_b64 v[4:5], 4, v[4:5]
	s_delay_alu instid0(VALU_DEP_1) | instskip(NEXT) | instid1(VALU_DEP_1)
	v_add_co_u32 v4, s0, s20, v4
	v_add_co_ci_u32_e64 v5, s0, s21, v5, s0
	flat_load_b128 v[4:7], v[4:5]
.LBB346_27:
	s_or_b32 exec_lo, exec_lo, s9
	s_delay_alu instid0(SALU_CYCLE_1)
	s_mov_b32 s9, exec_lo
	v_cmpx_gt_i32_e64 s8, v9
	s_cbranch_execz .LBB346_29
; %bb.28:
	s_waitcnt lgkmcnt(0)
	v_mul_lo_u32 v8, v8, s2
	s_delay_alu instid0(VALU_DEP_1) | instskip(NEXT) | instid1(VALU_DEP_1)
	v_cndmask_b32_e32 v8, 0, v8, vcc_lo
	v_add_nc_u32_e32 v8, v8, v9
	s_delay_alu instid0(VALU_DEP_1) | instskip(NEXT) | instid1(VALU_DEP_1)
	v_ashrrev_i32_e32 v9, 31, v8
	v_lshlrev_b64 v[8:9], 4, v[8:9]
	s_delay_alu instid0(VALU_DEP_1) | instskip(NEXT) | instid1(VALU_DEP_2)
	v_add_co_u32 v8, vcc_lo, s12, v8
	v_add_co_ci_u32_e32 v9, vcc_lo, s13, v9, vcc_lo
	flat_load_b128 v[11:14], v[8:9]
	s_waitcnt vmcnt(0) lgkmcnt(0)
	v_mul_f64 v[8:9], v[6:7], v[13:14]
	v_mul_f64 v[13:14], v[4:5], v[13:14]
	s_delay_alu instid0(VALU_DEP_2) | instskip(NEXT) | instid1(VALU_DEP_2)
	v_fma_f64 v[4:5], v[4:5], v[11:12], -v[8:9]
	v_fma_f64 v[6:7], v[6:7], v[11:12], v[13:14]
	s_delay_alu instid0(VALU_DEP_2) | instskip(NEXT) | instid1(VALU_DEP_2)
	v_add_f64 v[0:1], v[0:1], v[4:5]
	v_add_f64 v[2:3], v[2:3], v[6:7]
.LBB346_29:
	s_or_b32 exec_lo, exec_lo, s9
.LBB346_30:
	v_lshlrev_b32_e32 v11, 4, v10
	s_mov_b32 s0, exec_lo
                                        ; implicit-def: $vgpr8_vgpr9
	ds_store_b128 v11, v[0:3]
	s_waitcnt vmcnt(0) lgkmcnt(0)
	s_barrier
	buffer_gl0_inv
                                        ; implicit-def: $vgpr2_vgpr3
	v_cmpx_gt_u32_e32 64, v10
	s_cbranch_execz .LBB346_36
; %bb.31:
	ds_load_b128 v[0:3], v11
	ds_load_b128 v[4:7], v11 offset:1024
	v_or_b32_e32 v10, s1, v10
	s_mov_b32 s2, s11
	s_mov_b32 s1, exec_lo
	s_waitcnt lgkmcnt(0)
	v_add_f64 v[8:9], v[0:1], v[4:5]
	v_add_f64 v[12:13], v[2:3], v[6:7]
	ds_load_b128 v[0:3], v11 offset:2048
	ds_load_b128 v[4:7], v11 offset:3072
	s_waitcnt lgkmcnt(1)
	v_add_f64 v[0:1], v[8:9], v[0:1]
	v_add_f64 v[2:3], v[12:13], v[2:3]
	s_waitcnt lgkmcnt(0)
	s_delay_alu instid0(VALU_DEP_2) | instskip(NEXT) | instid1(VALU_DEP_2)
	v_add_f64 v[8:9], v[0:1], v[4:5]
	v_add_f64 v[12:13], v[2:3], v[6:7]
	ds_load_b128 v[0:3], v11 offset:4096
	ds_load_b128 v[4:7], v11 offset:5120
	s_waitcnt lgkmcnt(1)
	v_add_f64 v[0:1], v[8:9], v[0:1]
	v_add_f64 v[2:3], v[12:13], v[2:3]
	s_waitcnt lgkmcnt(0)
	s_delay_alu instid0(VALU_DEP_2) | instskip(NEXT) | instid1(VALU_DEP_2)
	;; [unrolled: 9-line block ×6, first 2 shown]
	v_add_f64 v[8:9], v[0:1], v[4:5]
	v_add_f64 v[12:13], v[2:3], v[6:7]
	ds_load_b128 v[0:3], v11 offset:14336
	ds_load_b128 v[4:7], v11 offset:15360
	s_waitcnt lgkmcnt(1)
	v_add_f64 v[0:1], v[8:9], v[0:1]
	v_add_f64 v[2:3], v[12:13], v[2:3]
                                        ; implicit-def: $vgpr8_vgpr9
	s_waitcnt lgkmcnt(0)
	s_delay_alu instid0(VALU_DEP_2) | instskip(NEXT) | instid1(VALU_DEP_2)
	v_add_f64 v[4:5], v[0:1], v[4:5]
	v_add_f64 v[6:7], v[2:3], v[6:7]
                                        ; implicit-def: $vgpr2_vgpr3
	ds_store_b128 v11, v[4:7]
	v_cmpx_gt_i32_e64 s8, v10
	s_cbranch_execz .LBB346_35
; %bb.32:
	v_mul_f64 v[0:1], s[18:19], v[6:7]
	v_mul_f64 v[2:3], s[16:17], v[6:7]
	v_cmp_neq_f64_e64 s2, s[4:5], 0
	v_cmp_neq_f64_e64 s8, s[6:7], 0
	v_mul_lo_u32 v8, v10, s15
	s_delay_alu instid0(VALU_DEP_1) | instskip(SKIP_3) | instid1(SALU_CYCLE_1)
	v_ashrrev_i32_e32 v9, 31, v8
	v_fma_f64 v[0:1], s[16:17], v[4:5], -v[0:1]
	v_fma_f64 v[2:3], s[18:19], v[4:5], v[2:3]
	s_or_b32 s2, s2, s8
	s_and_not1_b32 vcc_lo, exec_lo, s2
	s_cbranch_vccnz .LBB346_34
; %bb.33:
	v_lshlrev_b64 v[4:5], 4, v[8:9]
	s_delay_alu instid0(VALU_DEP_1) | instskip(NEXT) | instid1(VALU_DEP_2)
	v_add_co_u32 v4, vcc_lo, s3, v4
	v_add_co_ci_u32_e32 v5, vcc_lo, s10, v5, vcc_lo
	global_load_b128 v[4:7], v[4:5], off
	s_waitcnt vmcnt(0)
	v_mul_f64 v[10:11], s[6:7], v[6:7]
	v_mul_f64 v[6:7], s[4:5], v[6:7]
	s_delay_alu instid0(VALU_DEP_2) | instskip(NEXT) | instid1(VALU_DEP_2)
	v_fma_f64 v[10:11], s[4:5], v[4:5], -v[10:11]
	v_fma_f64 v[4:5], s[6:7], v[4:5], v[6:7]
	s_delay_alu instid0(VALU_DEP_2) | instskip(NEXT) | instid1(VALU_DEP_2)
	v_add_f64 v[0:1], v[0:1], v[10:11]
	v_add_f64 v[2:3], v[2:3], v[4:5]
.LBB346_34:
	s_or_b32 s2, s11, exec_lo
.LBB346_35:
	s_or_b32 exec_lo, exec_lo, s1
	s_delay_alu instid0(SALU_CYCLE_1) | instskip(SKIP_1) | instid1(SALU_CYCLE_1)
	s_and_not1_b32 s1, s11, exec_lo
	s_and_b32 s2, s2, exec_lo
	s_or_b32 s11, s1, s2
.LBB346_36:
	s_or_b32 exec_lo, exec_lo, s0
.LBB346_37:
	s_and_saveexec_b32 s0, s11
	s_cbranch_execz .LBB346_4
; %bb.38:
	v_lshlrev_b64 v[4:5], 4, v[8:9]
	s_delay_alu instid0(VALU_DEP_1) | instskip(NEXT) | instid1(VALU_DEP_2)
	v_add_co_u32 v4, vcc_lo, s3, v4
	v_add_co_ci_u32_e32 v5, vcc_lo, s10, v5, vcc_lo
	global_store_b128 v[4:5], v[0:3], off
	s_nop 0
	s_sendmsg sendmsg(MSG_DEALLOC_VGPRS)
	s_endpgm
	.section	.rodata,"a",@progbits
	.p2align	6, 0x0
	.amdhsa_kernel _ZL20rocblas_gemvn_kernelILi64ELi16EiPK19rocblas_complex_numIdES3_KPS1_EviiT3_lPKT2_lT1_lS9_lSA_lS6_lPT4_lSA_li
		.amdhsa_group_segment_fixed_size 16384
		.amdhsa_private_segment_fixed_size 0
		.amdhsa_kernarg_size 400
		.amdhsa_user_sgpr_count 14
		.amdhsa_user_sgpr_dispatch_ptr 0
		.amdhsa_user_sgpr_queue_ptr 0
		.amdhsa_user_sgpr_kernarg_segment_ptr 1
		.amdhsa_user_sgpr_dispatch_id 0
		.amdhsa_user_sgpr_private_segment_size 0
		.amdhsa_wavefront_size32 1
		.amdhsa_uses_dynamic_stack 0
		.amdhsa_enable_private_segment 0
		.amdhsa_system_sgpr_workgroup_id_x 1
		.amdhsa_system_sgpr_workgroup_id_y 0
		.amdhsa_system_sgpr_workgroup_id_z 1
		.amdhsa_system_sgpr_workgroup_info 0
		.amdhsa_system_vgpr_workitem_id 1
		.amdhsa_next_free_vgpr 21
		.amdhsa_next_free_sgpr 32
		.amdhsa_reserve_vcc 1
		.amdhsa_float_round_mode_32 0
		.amdhsa_float_round_mode_16_64 0
		.amdhsa_float_denorm_mode_32 3
		.amdhsa_float_denorm_mode_16_64 3
		.amdhsa_dx10_clamp 1
		.amdhsa_ieee_mode 1
		.amdhsa_fp16_overflow 0
		.amdhsa_workgroup_processor_mode 1
		.amdhsa_memory_ordered 1
		.amdhsa_forward_progress 0
		.amdhsa_shared_vgpr_count 0
		.amdhsa_exception_fp_ieee_invalid_op 0
		.amdhsa_exception_fp_denorm_src 0
		.amdhsa_exception_fp_ieee_div_zero 0
		.amdhsa_exception_fp_ieee_overflow 0
		.amdhsa_exception_fp_ieee_underflow 0
		.amdhsa_exception_fp_ieee_inexact 0
		.amdhsa_exception_int_div_zero 0
	.end_amdhsa_kernel
	.section	.text._ZL20rocblas_gemvn_kernelILi64ELi16EiPK19rocblas_complex_numIdES3_KPS1_EviiT3_lPKT2_lT1_lS9_lSA_lS6_lPT4_lSA_li,"axG",@progbits,_ZL20rocblas_gemvn_kernelILi64ELi16EiPK19rocblas_complex_numIdES3_KPS1_EviiT3_lPKT2_lT1_lS9_lSA_lS6_lPT4_lSA_li,comdat
.Lfunc_end346:
	.size	_ZL20rocblas_gemvn_kernelILi64ELi16EiPK19rocblas_complex_numIdES3_KPS1_EviiT3_lPKT2_lT1_lS9_lSA_lS6_lPT4_lSA_li, .Lfunc_end346-_ZL20rocblas_gemvn_kernelILi64ELi16EiPK19rocblas_complex_numIdES3_KPS1_EviiT3_lPKT2_lT1_lS9_lSA_lS6_lPT4_lSA_li
                                        ; -- End function
	.section	.AMDGPU.csdata,"",@progbits
; Kernel info:
; codeLenInByte = 2144
; NumSgprs: 34
; NumVgprs: 21
; ScratchSize: 0
; MemoryBound: 1
; FloatMode: 240
; IeeeMode: 1
; LDSByteSize: 16384 bytes/workgroup (compile time only)
; SGPRBlocks: 4
; VGPRBlocks: 2
; NumSGPRsForWavesPerEU: 34
; NumVGPRsForWavesPerEU: 21
; Occupancy: 16
; WaveLimiterHint : 1
; COMPUTE_PGM_RSRC2:SCRATCH_EN: 0
; COMPUTE_PGM_RSRC2:USER_SGPR: 14
; COMPUTE_PGM_RSRC2:TRAP_HANDLER: 0
; COMPUTE_PGM_RSRC2:TGID_X_EN: 1
; COMPUTE_PGM_RSRC2:TGID_Y_EN: 0
; COMPUTE_PGM_RSRC2:TGID_Z_EN: 1
; COMPUTE_PGM_RSRC2:TIDIG_COMP_CNT: 1
	.section	.text._ZL20rocblas_gemvn_kernelILi64ELi16ElPK19rocblas_complex_numIdES3_KPS1_EviiT3_lPKT2_lT1_lS9_lSA_lS6_lPT4_lSA_li,"axG",@progbits,_ZL20rocblas_gemvn_kernelILi64ELi16ElPK19rocblas_complex_numIdES3_KPS1_EviiT3_lPKT2_lT1_lS9_lSA_lS6_lPT4_lSA_li,comdat
	.globl	_ZL20rocblas_gemvn_kernelILi64ELi16ElPK19rocblas_complex_numIdES3_KPS1_EviiT3_lPKT2_lT1_lS9_lSA_lS6_lPT4_lSA_li ; -- Begin function _ZL20rocblas_gemvn_kernelILi64ELi16ElPK19rocblas_complex_numIdES3_KPS1_EviiT3_lPKT2_lT1_lS9_lSA_lS6_lPT4_lSA_li
	.p2align	8
	.type	_ZL20rocblas_gemvn_kernelILi64ELi16ElPK19rocblas_complex_numIdES3_KPS1_EviiT3_lPKT2_lT1_lS9_lSA_lS6_lPT4_lSA_li,@function
_ZL20rocblas_gemvn_kernelILi64ELi16ElPK19rocblas_complex_numIdES3_KPS1_EviiT3_lPKT2_lT1_lS9_lSA_lS6_lPT4_lSA_li: ; @_ZL20rocblas_gemvn_kernelILi64ELi16ElPK19rocblas_complex_numIdES3_KPS1_EviiT3_lPKT2_lT1_lS9_lSA_lS6_lPT4_lSA_li
; %bb.0:
	s_load_b64 s[2:3], s[0:1], 0x9c
	s_mov_b32 s30, s15
	s_waitcnt lgkmcnt(0)
	s_lshr_b32 s4, s2, 16
	s_and_b32 s15, s2, 0xffff
	s_and_b32 s2, s3, 0xffff
	s_mul_i32 s3, s4, s15
	s_delay_alu instid0(SALU_CYCLE_1) | instskip(NEXT) | instid1(SALU_CYCLE_1)
	s_mul_i32 s3, s3, s2
	s_cmpk_lg_i32 s3, 0x400
	s_cbranch_scc1 .LBB347_4
; %bb.1:
	s_load_b256 s[16:23], s[0:1], 0x8
	s_mov_b32 s31, 0
	s_mov_b64 s[24:25], 0
	s_waitcnt lgkmcnt(0)
	s_mul_i32 s3, s30, s19
	s_mul_hi_u32 s4, s30, s18
	s_mul_i32 s2, s30, s18
	s_add_i32 s3, s4, s3
	s_delay_alu instid0(SALU_CYCLE_1) | instskip(NEXT) | instid1(SALU_CYCLE_1)
	s_lshl_b64 s[2:3], s[2:3], 4
	s_add_u32 s2, s16, s2
	s_addc_u32 s3, s17, s3
	s_load_b128 s[16:19], s[2:3], 0x0
	s_load_b256 s[4:11], s[0:1], 0x58
	s_waitcnt lgkmcnt(0)
	v_cmp_neq_f64_e64 s26, s[16:17], 0
	v_cmp_neq_f64_e64 s27, s[18:19], 0
	s_mul_i32 s2, s30, s7
	s_mul_hi_u32 s3, s30, s6
	s_delay_alu instid0(SALU_CYCLE_1) | instskip(SKIP_1) | instid1(SALU_CYCLE_1)
	s_add_i32 s3, s3, s2
	s_mul_i32 s2, s30, s6
	s_lshl_b64 s[2:3], s[2:3], 4
	s_delay_alu instid0(SALU_CYCLE_1)
	s_add_u32 s2, s4, s2
	s_addc_u32 s3, s5, s3
	s_load_b64 s[12:13], s[0:1], 0x28
	s_load_b128 s[4:7], s[2:3], 0x0
	s_mov_b32 s3, -1
	s_mov_b32 s2, s31
	s_delay_alu instid0(VALU_DEP_1) | instskip(NEXT) | instid1(SALU_CYCLE_1)
	s_or_b32 s28, s26, s27
	s_and_b32 vcc_lo, exec_lo, s28
	s_cbranch_vccz .LBB347_5
; %bb.2:
	s_and_not1_b32 vcc_lo, exec_lo, s3
	s_cbranch_vccz .LBB347_6
.LBB347_3:
	s_and_not1_b32 vcc_lo, exec_lo, s2
	s_cbranch_vccz .LBB347_7
.LBB347_4:
	s_endpgm
.LBB347_5:
	s_waitcnt lgkmcnt(0)
	v_cmp_neq_f64_e64 s2, s[4:5], 1.0
	v_cmp_neq_f64_e64 s3, s[6:7], 0
	s_delay_alu instid0(VALU_DEP_1)
	s_or_b32 s2, s2, s3
	s_cbranch_execnz .LBB347_3
.LBB347_6:
	s_lshl_b64 s[2:3], s[30:31], 3
	s_delay_alu instid0(SALU_CYCLE_1)
	s_add_u32 s2, s20, s2
	s_addc_u32 s3, s21, s3
	s_lshl_b64 s[20:21], s[22:23], 4
	s_load_b64 s[2:3], s[2:3], 0x0
	s_waitcnt lgkmcnt(0)
	s_add_u32 s24, s2, s20
	s_addc_u32 s25, s3, s21
.LBB347_7:
	s_clause 0x2
	s_load_b64 s[2:3], s[0:1], 0x78
	s_load_b128 s[20:23], s[0:1], 0x38
	s_load_b64 s[26:27], s[0:1], 0x48
	v_cndmask_b32_e64 v1, 0, 1, s28
	s_xor_b32 s33, s28, -1
	s_mov_b64 s[28:29], 0
	s_delay_alu instid0(VALU_DEP_1)
	v_cmp_ne_u32_e32 vcc_lo, 1, v1
	s_cbranch_vccnz .LBB347_9
; %bb.8:
	s_lshl_b64 s[28:29], s[30:31], 3
	s_waitcnt lgkmcnt(0)
	s_add_u32 s20, s20, s28
	s_addc_u32 s21, s21, s29
	s_lshl_b64 s[22:23], s[22:23], 4
	s_load_b64 s[20:21], s[20:21], 0x0
	s_waitcnt lgkmcnt(0)
	s_add_u32 s28, s20, s22
	s_addc_u32 s29, s21, s23
.LBB347_9:
	s_waitcnt lgkmcnt(0)
	s_lshl_b64 s[20:21], s[30:31], 3
	v_and_b32_e32 v1, 0x3ff, v0
	s_add_u32 s8, s8, s20
	s_addc_u32 s9, s9, s21
	v_bfe_u32 v0, v0, 10, 10
	s_load_b64 s[20:21], s[8:9], 0x0
	s_load_b64 s[8:9], s[0:1], 0x0
	s_lshl_b64 s[10:11], s[10:11], 4
	s_delay_alu instid0(VALU_DEP_1) | instskip(NEXT) | instid1(VALU_DEP_1)
	v_mad_u32_u24 v10, v0, s15, v1
	v_cmp_gt_u32_e64 s0, 64, v10
	s_waitcnt lgkmcnt(0)
	s_add_u32 s20, s20, s10
	s_addc_u32 s21, s21, s11
	s_and_not1_b32 vcc_lo, exec_lo, s33
	s_cbranch_vccnz .LBB347_16
; %bb.10:
	s_mov_b32 s1, 0
	s_mov_b32 s22, 0
                                        ; implicit-def: $vgpr2_vgpr3
                                        ; implicit-def: $vgpr8_vgpr9
	s_and_saveexec_b32 s10, s0
	s_cbranch_execz .LBB347_17
; %bb.11:
	v_lshl_or_b32 v0, s14, 6, v10
	v_mov_b32_e32 v1, 0
	s_ashr_i32 s23, s8, 31
	s_mov_b32 s22, s8
	s_mov_b32 s11, 0
	s_mov_b32 s0, exec_lo
                                        ; implicit-def: $vgpr2_vgpr3
                                        ; implicit-def: $vgpr8_vgpr9
	v_cmpx_gt_i64_e64 s[22:23], v[0:1]
	s_cbranch_execz .LBB347_15
; %bb.12:
	v_cmp_neq_f64_e64 s11, s[4:5], 0
	v_cmp_neq_f64_e64 s15, s[6:7], 0
	v_mad_u64_u32 v[8:9], null, v0, s2, 0
	s_delay_alu instid0(VALU_DEP_1) | instskip(NEXT) | instid1(VALU_DEP_1)
	v_mov_b32_e32 v1, v9
	v_mad_u64_u32 v[4:5], null, v0, s3, v[1:2]
	v_mov_b32_e32 v2, 0
	v_mov_b32_e32 v3, 0
	s_delay_alu instid0(VALU_DEP_2) | instskip(NEXT) | instid1(VALU_DEP_2)
	v_dual_mov_b32 v0, v2 :: v_dual_mov_b32 v9, v4
	v_mov_b32_e32 v1, v3
	s_or_b32 s11, s11, s15
	s_delay_alu instid0(SALU_CYCLE_1)
	s_and_not1_b32 vcc_lo, exec_lo, s11
	s_cbranch_vccnz .LBB347_14
; %bb.13:
	v_lshlrev_b64 v[0:1], 4, v[8:9]
	s_delay_alu instid0(VALU_DEP_1) | instskip(NEXT) | instid1(VALU_DEP_2)
	v_add_co_u32 v0, vcc_lo, s20, v0
	v_add_co_ci_u32_e32 v1, vcc_lo, s21, v1, vcc_lo
	global_load_b128 v[2:5], v[0:1], off
	s_waitcnt vmcnt(0)
	v_mul_f64 v[0:1], s[6:7], v[4:5]
	v_mul_f64 v[4:5], s[4:5], v[4:5]
	s_delay_alu instid0(VALU_DEP_2) | instskip(NEXT) | instid1(VALU_DEP_2)
	v_fma_f64 v[0:1], s[4:5], v[2:3], -v[0:1]
	v_fma_f64 v[2:3], s[6:7], v[2:3], v[4:5]
.LBB347_14:
	s_mov_b32 s11, exec_lo
.LBB347_15:
	s_or_b32 exec_lo, exec_lo, s0
	s_delay_alu instid0(SALU_CYCLE_1) | instskip(SKIP_1) | instid1(SALU_CYCLE_1)
	s_and_b32 s22, s11, exec_lo
	s_or_b32 exec_lo, exec_lo, s10
	s_and_b32 vcc_lo, exec_lo, s1
	s_cbranch_vccnz .LBB347_18
	s_branch .LBB347_37
.LBB347_16:
	s_mov_b32 s22, 0
                                        ; implicit-def: $vgpr2_vgpr3
                                        ; implicit-def: $vgpr8_vgpr9
	s_cbranch_execnz .LBB347_18
	s_branch .LBB347_37
.LBB347_17:
	s_or_b32 exec_lo, exec_lo, s10
	s_delay_alu instid0(SALU_CYCLE_1)
	s_and_b32 vcc_lo, exec_lo, s1
	s_cbranch_vccz .LBB347_37
.LBB347_18:
	v_mov_b32_e32 v2, 0
	v_dual_mov_b32 v3, 0 :: v_dual_and_b32 v4, 63, v10
	s_ashr_i32 s0, s9, 31
	s_lshl_b32 s23, s14, 6
	s_lshr_b32 s0, s0, 28
	v_lshrrev_b32_e32 v9, 6, v10
	v_or_b32_e32 v8, s23, v4
	v_dual_mov_b32 v0, v2 :: v_dual_mov_b32 v1, v3
	s_add_i32 s0, s9, s0
	s_mov_b32 s31, exec_lo
	s_and_b32 s30, s0, -16
	s_delay_alu instid0(SALU_CYCLE_1)
	v_cmpx_gt_i32_e64 s30, v9
	s_cbranch_execz .LBB347_24
; %bb.19:
	v_lshrrev_b32_e32 v13, 6, v10
	v_cmp_gt_i32_e32 vcc_lo, s8, v8
	s_lshl_b64 s[10:11], s[26:27], 8
	s_lshl_b64 s[14:15], s[12:13], 8
	s_mov_b32 s33, 0
	v_mad_u64_u32 v[5:6], null, s26, v13, 0
	v_mad_u64_u32 v[0:1], null, s12, v13, 0
	s_delay_alu instid0(VALU_DEP_2) | instskip(NEXT) | instid1(VALU_DEP_1)
	v_dual_mov_b32 v2, v6 :: v_dual_add_nc_u32 v3, s23, v4
	v_ashrrev_i32_e32 v4, 31, v3
	s_delay_alu instid0(VALU_DEP_2) | instskip(SKIP_1) | instid1(VALU_DEP_3)
	v_mad_u64_u32 v[6:7], null, s13, v13, v[1:2]
	v_mad_u64_u32 v[11:12], null, s27, v13, v[2:3]
	v_lshlrev_b64 v[12:13], 4, v[3:4]
	v_mov_b32_e32 v2, 0
	v_mov_b32_e32 v3, 0
	s_delay_alu instid0(VALU_DEP_4) | instskip(NEXT) | instid1(VALU_DEP_1)
	v_dual_mov_b32 v1, v6 :: v_dual_mov_b32 v6, v11
	v_lshlrev_b64 v[0:1], 4, v[0:1]
	s_delay_alu instid0(VALU_DEP_2) | instskip(NEXT) | instid1(VALU_DEP_2)
	v_lshlrev_b64 v[4:5], 4, v[5:6]
	v_add_co_u32 v0, s0, v0, v12
	s_delay_alu instid0(VALU_DEP_1) | instskip(NEXT) | instid1(VALU_DEP_3)
	v_add_co_ci_u32_e64 v1, s0, v1, v13, s0
	v_add_co_u32 v4, s0, s28, v4
	s_delay_alu instid0(VALU_DEP_1) | instskip(NEXT) | instid1(VALU_DEP_4)
	v_add_co_ci_u32_e64 v5, s0, s29, v5, s0
	v_add_co_u32 v6, s0, s24, v0
	s_delay_alu instid0(VALU_DEP_1)
	v_add_co_ci_u32_e64 v7, s0, s25, v1, s0
	v_dual_mov_b32 v0, v2 :: v_dual_mov_b32 v1, v3
	s_set_inst_prefetch_distance 0x1
	s_branch .LBB347_21
	.p2align	6
.LBB347_20:                             ;   in Loop: Header=BB347_21 Depth=1
	s_or_b32 exec_lo, exec_lo, s0
	v_add_nc_u32_e32 v9, 16, v9
	v_add_co_u32 v4, s0, v4, s10
	s_delay_alu instid0(VALU_DEP_1) | instskip(NEXT) | instid1(VALU_DEP_3)
	v_add_co_ci_u32_e64 v5, s0, s11, v5, s0
	v_cmp_le_i32_e64 s0, s30, v9
	v_add_co_u32 v6, s1, v6, s14
	s_delay_alu instid0(VALU_DEP_1) | instskip(NEXT) | instid1(VALU_DEP_3)
	v_add_co_ci_u32_e64 v7, s1, s15, v7, s1
	s_or_b32 s33, s0, s33
	s_delay_alu instid0(SALU_CYCLE_1)
	s_and_not1_b32 exec_lo, exec_lo, s33
	s_cbranch_execz .LBB347_23
.LBB347_21:                             ; =>This Inner Loop Header: Depth=1
	s_and_saveexec_b32 s0, vcc_lo
	s_cbranch_execz .LBB347_20
; %bb.22:                               ;   in Loop: Header=BB347_21 Depth=1
	flat_load_b128 v[11:14], v[4:5]
	flat_load_b128 v[15:18], v[6:7]
	s_waitcnt vmcnt(0) lgkmcnt(0)
	v_mul_f64 v[19:20], v[13:14], v[17:18]
	v_mul_f64 v[17:18], v[11:12], v[17:18]
	s_delay_alu instid0(VALU_DEP_2) | instskip(NEXT) | instid1(VALU_DEP_2)
	v_fma_f64 v[11:12], v[11:12], v[15:16], -v[19:20]
	v_fma_f64 v[13:14], v[13:14], v[15:16], v[17:18]
	s_delay_alu instid0(VALU_DEP_2) | instskip(NEXT) | instid1(VALU_DEP_2)
	v_add_f64 v[0:1], v[0:1], v[11:12]
	v_add_f64 v[2:3], v[2:3], v[13:14]
	s_branch .LBB347_20
.LBB347_23:
	s_set_inst_prefetch_distance 0x2
	s_or_b32 exec_lo, exec_lo, s33
.LBB347_24:
	s_delay_alu instid0(SALU_CYCLE_1) | instskip(SKIP_1) | instid1(SALU_CYCLE_1)
	s_or_b32 exec_lo, exec_lo, s31
	s_sub_i32 s0, s9, s30
	s_cmp_lt_i32 s0, 1
	s_cbranch_scc1 .LBB347_30
; %bb.25:
	v_mov_b32_e32 v4, 0
	v_mov_b32_e32 v5, 0
	v_cmp_gt_i32_e32 vcc_lo, s9, v9
	s_delay_alu instid0(VALU_DEP_2)
	v_dual_mov_b32 v7, v5 :: v_dual_mov_b32 v6, v4
	s_and_saveexec_b32 s1, vcc_lo
	s_cbranch_execz .LBB347_27
; %bb.26:
	v_mad_u64_u32 v[4:5], null, v9, s26, 0
	s_delay_alu instid0(VALU_DEP_1) | instskip(NEXT) | instid1(VALU_DEP_1)
	v_mad_u64_u32 v[6:7], null, v9, s27, v[5:6]
	v_mov_b32_e32 v5, v6
	s_delay_alu instid0(VALU_DEP_1) | instskip(NEXT) | instid1(VALU_DEP_1)
	v_lshlrev_b64 v[4:5], 4, v[4:5]
	v_add_co_u32 v4, s0, s28, v4
	s_delay_alu instid0(VALU_DEP_1)
	v_add_co_ci_u32_e64 v5, s0, s29, v5, s0
	flat_load_b128 v[4:7], v[4:5]
.LBB347_27:
	s_or_b32 exec_lo, exec_lo, s1
	s_delay_alu instid0(SALU_CYCLE_1)
	s_mov_b32 s1, exec_lo
	v_cmpx_gt_i32_e64 s8, v8
	s_cbranch_execz .LBB347_29
; %bb.28:
	v_mad_u64_u32 v[11:12], null, v9, s12, 0
	s_delay_alu instid0(VALU_DEP_1) | instskip(NEXT) | instid1(VALU_DEP_2)
	v_mad_u64_u32 v[13:14], null, v9, s13, v[12:13]
	v_cndmask_b32_e32 v11, 0, v11, vcc_lo
	v_ashrrev_i32_e32 v9, 31, v8
	s_delay_alu instid0(VALU_DEP_3) | instskip(NEXT) | instid1(VALU_DEP_2)
	v_cndmask_b32_e32 v12, 0, v13, vcc_lo
	v_lshlrev_b64 v[8:9], 4, v[8:9]
	s_delay_alu instid0(VALU_DEP_2) | instskip(NEXT) | instid1(VALU_DEP_1)
	v_lshlrev_b64 v[11:12], 4, v[11:12]
	v_add_co_u32 v11, vcc_lo, s24, v11
	s_delay_alu instid0(VALU_DEP_2) | instskip(NEXT) | instid1(VALU_DEP_2)
	v_add_co_ci_u32_e32 v12, vcc_lo, s25, v12, vcc_lo
	v_add_co_u32 v8, vcc_lo, v11, v8
	s_delay_alu instid0(VALU_DEP_2) | instskip(SKIP_4) | instid1(VALU_DEP_2)
	v_add_co_ci_u32_e32 v9, vcc_lo, v12, v9, vcc_lo
	flat_load_b128 v[11:14], v[8:9]
	s_waitcnt vmcnt(0) lgkmcnt(0)
	v_mul_f64 v[8:9], v[6:7], v[13:14]
	v_mul_f64 v[13:14], v[4:5], v[13:14]
	v_fma_f64 v[4:5], v[4:5], v[11:12], -v[8:9]
	s_delay_alu instid0(VALU_DEP_2) | instskip(NEXT) | instid1(VALU_DEP_2)
	v_fma_f64 v[6:7], v[6:7], v[11:12], v[13:14]
	v_add_f64 v[0:1], v[0:1], v[4:5]
	s_delay_alu instid0(VALU_DEP_2)
	v_add_f64 v[2:3], v[2:3], v[6:7]
.LBB347_29:
	s_or_b32 exec_lo, exec_lo, s1
.LBB347_30:
	v_lshlrev_b32_e32 v11, 4, v10
	s_mov_b32 s0, exec_lo
                                        ; implicit-def: $vgpr8_vgpr9
	ds_store_b128 v11, v[0:3]
	s_waitcnt vmcnt(0) lgkmcnt(0)
	s_barrier
	buffer_gl0_inv
                                        ; implicit-def: $vgpr2_vgpr3
	v_cmpx_gt_u32_e32 64, v10
	s_cbranch_execz .LBB347_36
; %bb.31:
	ds_load_b128 v[0:3], v11
	ds_load_b128 v[4:7], v11 offset:1024
	v_or_b32_e32 v10, s23, v10
	s_delay_alu instid0(VALU_DEP_1)
	v_cmp_gt_i32_e32 vcc_lo, s8, v10
	s_mov_b32 s8, s22
	s_waitcnt lgkmcnt(0)
	v_add_f64 v[8:9], v[0:1], v[4:5]
	v_add_f64 v[12:13], v[2:3], v[6:7]
	ds_load_b128 v[0:3], v11 offset:2048
	ds_load_b128 v[4:7], v11 offset:3072
	s_waitcnt lgkmcnt(1)
	v_add_f64 v[0:1], v[8:9], v[0:1]
	v_add_f64 v[2:3], v[12:13], v[2:3]
	s_waitcnt lgkmcnt(0)
	s_delay_alu instid0(VALU_DEP_2) | instskip(NEXT) | instid1(VALU_DEP_2)
	v_add_f64 v[8:9], v[0:1], v[4:5]
	v_add_f64 v[12:13], v[2:3], v[6:7]
	ds_load_b128 v[0:3], v11 offset:4096
	ds_load_b128 v[4:7], v11 offset:5120
	s_waitcnt lgkmcnt(1)
	v_add_f64 v[0:1], v[8:9], v[0:1]
	v_add_f64 v[2:3], v[12:13], v[2:3]
	s_waitcnt lgkmcnt(0)
	s_delay_alu instid0(VALU_DEP_2) | instskip(NEXT) | instid1(VALU_DEP_2)
	;; [unrolled: 9-line block ×6, first 2 shown]
	v_add_f64 v[8:9], v[0:1], v[4:5]
	v_add_f64 v[12:13], v[2:3], v[6:7]
	ds_load_b128 v[0:3], v11 offset:14336
	ds_load_b128 v[4:7], v11 offset:15360
	s_waitcnt lgkmcnt(1)
	v_add_f64 v[0:1], v[8:9], v[0:1]
	v_add_f64 v[2:3], v[12:13], v[2:3]
                                        ; implicit-def: $vgpr8_vgpr9
	s_waitcnt lgkmcnt(0)
	s_delay_alu instid0(VALU_DEP_2) | instskip(NEXT) | instid1(VALU_DEP_2)
	v_add_f64 v[4:5], v[0:1], v[4:5]
	v_add_f64 v[6:7], v[2:3], v[6:7]
                                        ; implicit-def: $vgpr2_vgpr3
	ds_store_b128 v11, v[4:7]
	s_and_saveexec_b32 s1, vcc_lo
	s_cbranch_execz .LBB347_35
; %bb.32:
	v_mul_f64 v[0:1], s[18:19], v[6:7]
	v_mul_f64 v[2:3], s[16:17], v[6:7]
	v_cmp_neq_f64_e64 s8, s[4:5], 0
	v_cmp_neq_f64_e64 s9, s[6:7], 0
	v_mad_u64_u32 v[8:9], null, v10, s2, 0
	v_fma_f64 v[0:1], s[16:17], v[4:5], -v[0:1]
	v_fma_f64 v[2:3], s[18:19], v[4:5], v[2:3]
	v_ashrrev_i32_e32 v4, 31, v10
	v_mul_lo_u32 v5, v10, s3
	s_delay_alu instid0(VALU_DEP_2) | instskip(SKIP_1) | instid1(SALU_CYCLE_1)
	v_mul_lo_u32 v4, v4, s2
	s_or_b32 s2, s8, s9
	s_and_not1_b32 vcc_lo, exec_lo, s2
	s_delay_alu instid0(VALU_DEP_1)
	v_add3_u32 v9, v9, v5, v4
	s_cbranch_vccnz .LBB347_34
; %bb.33:
	s_delay_alu instid0(VALU_DEP_1) | instskip(NEXT) | instid1(VALU_DEP_1)
	v_lshlrev_b64 v[4:5], 4, v[8:9]
	v_add_co_u32 v4, vcc_lo, s20, v4
	s_delay_alu instid0(VALU_DEP_2) | instskip(SKIP_4) | instid1(VALU_DEP_2)
	v_add_co_ci_u32_e32 v5, vcc_lo, s21, v5, vcc_lo
	global_load_b128 v[4:7], v[4:5], off
	s_waitcnt vmcnt(0)
	v_mul_f64 v[10:11], s[6:7], v[6:7]
	v_mul_f64 v[6:7], s[4:5], v[6:7]
	v_fma_f64 v[10:11], s[4:5], v[4:5], -v[10:11]
	s_delay_alu instid0(VALU_DEP_2) | instskip(NEXT) | instid1(VALU_DEP_2)
	v_fma_f64 v[4:5], s[6:7], v[4:5], v[6:7]
	v_add_f64 v[0:1], v[0:1], v[10:11]
	s_delay_alu instid0(VALU_DEP_2)
	v_add_f64 v[2:3], v[2:3], v[4:5]
.LBB347_34:
	s_or_b32 s8, s22, exec_lo
.LBB347_35:
	s_or_b32 exec_lo, exec_lo, s1
	s_delay_alu instid0(SALU_CYCLE_1) | instskip(SKIP_1) | instid1(SALU_CYCLE_1)
	s_and_not1_b32 s1, s22, exec_lo
	s_and_b32 s2, s8, exec_lo
	s_or_b32 s22, s1, s2
.LBB347_36:
	s_or_b32 exec_lo, exec_lo, s0
.LBB347_37:
	s_and_saveexec_b32 s0, s22
	s_cbranch_execz .LBB347_4
; %bb.38:
	v_lshlrev_b64 v[4:5], 4, v[8:9]
	s_delay_alu instid0(VALU_DEP_1) | instskip(NEXT) | instid1(VALU_DEP_2)
	v_add_co_u32 v4, vcc_lo, s20, v4
	v_add_co_ci_u32_e32 v5, vcc_lo, s21, v5, vcc_lo
	global_store_b128 v[4:5], v[0:3], off
	s_nop 0
	s_sendmsg sendmsg(MSG_DEALLOC_VGPRS)
	s_endpgm
	.section	.rodata,"a",@progbits
	.p2align	6, 0x0
	.amdhsa_kernel _ZL20rocblas_gemvn_kernelILi64ELi16ElPK19rocblas_complex_numIdES3_KPS1_EviiT3_lPKT2_lT1_lS9_lSA_lS6_lPT4_lSA_li
		.amdhsa_group_segment_fixed_size 16384
		.amdhsa_private_segment_fixed_size 0
		.amdhsa_kernarg_size 400
		.amdhsa_user_sgpr_count 14
		.amdhsa_user_sgpr_dispatch_ptr 0
		.amdhsa_user_sgpr_queue_ptr 0
		.amdhsa_user_sgpr_kernarg_segment_ptr 1
		.amdhsa_user_sgpr_dispatch_id 0
		.amdhsa_user_sgpr_private_segment_size 0
		.amdhsa_wavefront_size32 1
		.amdhsa_uses_dynamic_stack 0
		.amdhsa_enable_private_segment 0
		.amdhsa_system_sgpr_workgroup_id_x 1
		.amdhsa_system_sgpr_workgroup_id_y 0
		.amdhsa_system_sgpr_workgroup_id_z 1
		.amdhsa_system_sgpr_workgroup_info 0
		.amdhsa_system_vgpr_workitem_id 1
		.amdhsa_next_free_vgpr 21
		.amdhsa_next_free_sgpr 34
		.amdhsa_reserve_vcc 1
		.amdhsa_float_round_mode_32 0
		.amdhsa_float_round_mode_16_64 0
		.amdhsa_float_denorm_mode_32 3
		.amdhsa_float_denorm_mode_16_64 3
		.amdhsa_dx10_clamp 1
		.amdhsa_ieee_mode 1
		.amdhsa_fp16_overflow 0
		.amdhsa_workgroup_processor_mode 1
		.amdhsa_memory_ordered 1
		.amdhsa_forward_progress 0
		.amdhsa_shared_vgpr_count 0
		.amdhsa_exception_fp_ieee_invalid_op 0
		.amdhsa_exception_fp_denorm_src 0
		.amdhsa_exception_fp_ieee_div_zero 0
		.amdhsa_exception_fp_ieee_overflow 0
		.amdhsa_exception_fp_ieee_underflow 0
		.amdhsa_exception_fp_ieee_inexact 0
		.amdhsa_exception_int_div_zero 0
	.end_amdhsa_kernel
	.section	.text._ZL20rocblas_gemvn_kernelILi64ELi16ElPK19rocblas_complex_numIdES3_KPS1_EviiT3_lPKT2_lT1_lS9_lSA_lS6_lPT4_lSA_li,"axG",@progbits,_ZL20rocblas_gemvn_kernelILi64ELi16ElPK19rocblas_complex_numIdES3_KPS1_EviiT3_lPKT2_lT1_lS9_lSA_lS6_lPT4_lSA_li,comdat
.Lfunc_end347:
	.size	_ZL20rocblas_gemvn_kernelILi64ELi16ElPK19rocblas_complex_numIdES3_KPS1_EviiT3_lPKT2_lT1_lS9_lSA_lS6_lPT4_lSA_li, .Lfunc_end347-_ZL20rocblas_gemvn_kernelILi64ELi16ElPK19rocblas_complex_numIdES3_KPS1_EviiT3_lPKT2_lT1_lS9_lSA_lS6_lPT4_lSA_li
                                        ; -- End function
	.section	.AMDGPU.csdata,"",@progbits
; Kernel info:
; codeLenInByte = 2308
; NumSgprs: 36
; NumVgprs: 21
; ScratchSize: 0
; MemoryBound: 1
; FloatMode: 240
; IeeeMode: 1
; LDSByteSize: 16384 bytes/workgroup (compile time only)
; SGPRBlocks: 4
; VGPRBlocks: 2
; NumSGPRsForWavesPerEU: 36
; NumVGPRsForWavesPerEU: 21
; Occupancy: 16
; WaveLimiterHint : 1
; COMPUTE_PGM_RSRC2:SCRATCH_EN: 0
; COMPUTE_PGM_RSRC2:USER_SGPR: 14
; COMPUTE_PGM_RSRC2:TRAP_HANDLER: 0
; COMPUTE_PGM_RSRC2:TGID_X_EN: 1
; COMPUTE_PGM_RSRC2:TGID_Y_EN: 0
; COMPUTE_PGM_RSRC2:TGID_Z_EN: 1
; COMPUTE_PGM_RSRC2:TIDIG_COMP_CNT: 1
	.section	.text._ZL20rocblas_gemvn_kernelILi64ELi16EiPK19rocblas_complex_numIdES1_KPS1_EviiT3_lPKT2_lT1_lS9_lSA_lS6_lPT4_lSA_li,"axG",@progbits,_ZL20rocblas_gemvn_kernelILi64ELi16EiPK19rocblas_complex_numIdES1_KPS1_EviiT3_lPKT2_lT1_lS9_lSA_lS6_lPT4_lSA_li,comdat
	.globl	_ZL20rocblas_gemvn_kernelILi64ELi16EiPK19rocblas_complex_numIdES1_KPS1_EviiT3_lPKT2_lT1_lS9_lSA_lS6_lPT4_lSA_li ; -- Begin function _ZL20rocblas_gemvn_kernelILi64ELi16EiPK19rocblas_complex_numIdES1_KPS1_EviiT3_lPKT2_lT1_lS9_lSA_lS6_lPT4_lSA_li
	.p2align	8
	.type	_ZL20rocblas_gemvn_kernelILi64ELi16EiPK19rocblas_complex_numIdES1_KPS1_EviiT3_lPKT2_lT1_lS9_lSA_lS6_lPT4_lSA_li,@function
_ZL20rocblas_gemvn_kernelILi64ELi16EiPK19rocblas_complex_numIdES1_KPS1_EviiT3_lPKT2_lT1_lS9_lSA_lS6_lPT4_lSA_li: ; @_ZL20rocblas_gemvn_kernelILi64ELi16EiPK19rocblas_complex_numIdES1_KPS1_EviiT3_lPKT2_lT1_lS9_lSA_lS6_lPT4_lSA_li
; %bb.0:
	s_load_b64 s[4:5], s[0:1], 0xac
	s_mov_b32 s2, s15
	s_waitcnt lgkmcnt(0)
	s_lshr_b32 s3, s4, 16
	s_and_b32 s15, s4, 0xffff
	s_and_b32 s4, s5, 0xffff
	s_mul_i32 s3, s3, s15
	s_delay_alu instid0(SALU_CYCLE_1) | instskip(NEXT) | instid1(SALU_CYCLE_1)
	s_mul_i32 s3, s3, s4
	s_cmpk_lg_i32 s3, 0x400
	s_cbranch_scc1 .LBB348_39
; %bb.1:
	s_clause 0x1
	s_load_b128 s[8:11], s[0:1], 0x8
	s_load_b128 s[4:7], s[0:1], 0x60
	s_mov_b32 s18, -1
	s_waitcnt lgkmcnt(0)
	v_cmp_neq_f64_e64 s3, s[8:9], 0
	v_cmp_neq_f64_e64 s12, s[10:11], 0
	s_delay_alu instid0(VALU_DEP_1) | instskip(NEXT) | instid1(SALU_CYCLE_1)
	s_or_b32 s12, s3, s12
                                        ; implicit-def: $sgpr3
	s_and_b32 vcc_lo, exec_lo, s12
	s_cbranch_vccnz .LBB348_4
; %bb.2:
	v_cmp_eq_f64_e64 s3, s[4:5], 1.0
	v_cmp_eq_f64_e64 s13, s[6:7], 0
	s_mov_b32 s18, 0
	s_delay_alu instid0(VALU_DEP_1) | instskip(NEXT) | instid1(SALU_CYCLE_1)
	s_and_b32 s3, s3, s13
	s_and_not1_b32 vcc_lo, exec_lo, s3
	s_cbranch_vccz .LBB348_4
; %bb.3:
	s_mov_b32 s3, 0
	s_mov_b32 s13, -1
	s_mov_b64 s[16:17], 0
	s_and_b32 vcc_lo, exec_lo, s18
	s_cbranch_vccnz .LBB348_5
	s_branch .LBB348_6
.LBB348_4:
	s_mov_b32 s13, 0
                                        ; implicit-def: $sgpr16_sgpr17
	s_and_b32 vcc_lo, exec_lo, s18
	s_cbranch_vccz .LBB348_6
.LBB348_5:
	s_load_b128 s[16:19], s[0:1], 0x20
	s_mov_b32 s3, 0
	s_mov_b32 s13, -1
	s_lshl_b64 s[20:21], s[2:3], 3
	s_waitcnt lgkmcnt(0)
	s_add_u32 s16, s16, s20
	s_addc_u32 s17, s17, s21
	s_lshl_b64 s[18:19], s[18:19], 4
	s_load_b64 s[16:17], s[16:17], 0x0
	s_waitcnt lgkmcnt(0)
	s_add_u32 s16, s16, s18
	s_addc_u32 s17, s17, s19
.LBB348_6:
	s_and_not1_b32 vcc_lo, exec_lo, s13
	s_cbranch_vccnz .LBB348_39
; %bb.7:
	v_cndmask_b32_e64 v1, 0, 1, s12
	s_xor_b32 s21, s12, -1
	s_mov_b64 s[18:19], 0
	s_delay_alu instid0(VALU_DEP_1)
	v_cmp_ne_u32_e32 vcc_lo, 1, v1
	s_cbranch_vccnz .LBB348_9
; %bb.8:
	s_load_b128 s[24:27], s[0:1], 0x40
	s_lshl_b64 s[12:13], s[2:3], 3
	s_waitcnt lgkmcnt(0)
	s_add_u32 s12, s24, s12
	s_addc_u32 s13, s25, s13
	s_lshl_b64 s[18:19], s[26:27], 4
	s_load_b64 s[12:13], s[12:13], 0x0
	s_waitcnt lgkmcnt(0)
	s_add_u32 s18, s12, s18
	s_addc_u32 s19, s13, s19
.LBB348_9:
	s_load_b128 s[24:27], s[0:1], 0x78
	s_lshl_b64 s[2:3], s[2:3], 3
	v_and_b32_e32 v1, 0x3ff, v0
	v_bfe_u32 v0, v0, 10, 10
	s_delay_alu instid0(VALU_DEP_1)
	v_mad_u32_u24 v10, v0, s15, v1
	s_waitcnt lgkmcnt(0)
	s_add_u32 s2, s24, s2
	s_addc_u32 s3, s25, s3
	s_lshl_b64 s[24:25], s[26:27], 4
	s_load_b64 s[22:23], s[2:3], 0x0
	s_clause 0x1
	s_load_b64 s[12:13], s[0:1], 0x0
	s_load_b32 s20, s[0:1], 0x88
	v_cmp_gt_u32_e64 s2, 64, v10
	s_waitcnt lgkmcnt(0)
	s_add_u32 s3, s22, s24
	s_addc_u32 s15, s23, s25
	s_and_not1_b32 vcc_lo, exec_lo, s21
	s_cbranch_vccnz .LBB348_16
; %bb.10:
	s_mov_b32 s22, 0
	s_mov_b32 s21, 0
                                        ; implicit-def: $vgpr2_vgpr3
                                        ; implicit-def: $vgpr8_vgpr9
	s_and_saveexec_b32 s23, s2
	s_cbranch_execz .LBB348_17
; %bb.11:
	v_lshl_or_b32 v0, s14, 6, v10
	v_mov_b32_e32 v1, 0
	s_ashr_i32 s25, s12, 31
	s_mov_b32 s24, s12
	s_mov_b32 s2, exec_lo
                                        ; implicit-def: $vgpr2_vgpr3
                                        ; implicit-def: $vgpr8_vgpr9
	s_delay_alu instid0(VALU_DEP_1)
	v_cmpx_gt_i64_e64 s[24:25], v[0:1]
	s_cbranch_execz .LBB348_15
; %bb.12:
	v_cmp_neq_f64_e64 s21, s[4:5], 0
	v_cmp_neq_f64_e64 s24, s[6:7], 0
	v_mad_u64_u32 v[8:9], null, v0, s20, 0
	s_ashr_i32 s25, s20, 31
	s_delay_alu instid0(VALU_DEP_1) | instskip(NEXT) | instid1(VALU_DEP_1)
	v_mov_b32_e32 v1, v9
	v_mad_u64_u32 v[4:5], null, v0, s25, v[1:2]
	v_mov_b32_e32 v2, 0
	v_mov_b32_e32 v3, 0
	s_delay_alu instid0(VALU_DEP_2) | instskip(NEXT) | instid1(VALU_DEP_2)
	v_dual_mov_b32 v0, v2 :: v_dual_mov_b32 v9, v4
	v_mov_b32_e32 v1, v3
	s_or_b32 s21, s21, s24
	s_delay_alu instid0(SALU_CYCLE_1)
	s_and_not1_b32 vcc_lo, exec_lo, s21
	s_cbranch_vccnz .LBB348_14
; %bb.13:
	v_lshlrev_b64 v[0:1], 4, v[8:9]
	s_delay_alu instid0(VALU_DEP_1) | instskip(NEXT) | instid1(VALU_DEP_2)
	v_add_co_u32 v0, vcc_lo, s3, v0
	v_add_co_ci_u32_e32 v1, vcc_lo, s15, v1, vcc_lo
	global_load_b128 v[2:5], v[0:1], off
	s_waitcnt vmcnt(0)
	v_mul_f64 v[0:1], s[6:7], v[4:5]
	v_mul_f64 v[4:5], s[4:5], v[4:5]
	s_delay_alu instid0(VALU_DEP_2) | instskip(NEXT) | instid1(VALU_DEP_2)
	v_fma_f64 v[0:1], s[4:5], v[2:3], -v[0:1]
	v_fma_f64 v[2:3], s[6:7], v[2:3], v[4:5]
.LBB348_14:
	s_mov_b32 s21, exec_lo
.LBB348_15:
	s_or_b32 exec_lo, exec_lo, s2
	s_delay_alu instid0(SALU_CYCLE_1) | instskip(SKIP_1) | instid1(SALU_CYCLE_1)
	s_and_b32 s21, s21, exec_lo
	s_or_b32 exec_lo, exec_lo, s23
	s_and_b32 vcc_lo, exec_lo, s22
	s_cbranch_vccnz .LBB348_18
	s_branch .LBB348_37
.LBB348_16:
	s_mov_b32 s21, 0
                                        ; implicit-def: $vgpr2_vgpr3
                                        ; implicit-def: $vgpr8_vgpr9
	s_cbranch_execnz .LBB348_18
	s_branch .LBB348_37
.LBB348_17:
	s_or_b32 exec_lo, exec_lo, s23
	s_delay_alu instid0(SALU_CYCLE_1)
	s_and_b32 vcc_lo, exec_lo, s22
	s_cbranch_vccz .LBB348_37
.LBB348_18:
	s_clause 0x1
	s_load_b32 s2, s[0:1], 0x30
	s_load_b32 s22, s[0:1], 0x50
	v_dual_mov_b32 v2, 0 :: v_dual_and_b32 v5, 63, v10
	v_mov_b32_e32 v3, 0
	s_ashr_i32 s0, s13, 31
	s_lshl_b32 s1, s14, 6
	s_lshr_b32 s0, s0, 28
	v_lshrrev_b32_e32 v8, 6, v10
	v_or_b32_e32 v9, s1, v5
	v_dual_mov_b32 v0, v2 :: v_dual_mov_b32 v1, v3
	s_add_i32 s0, s13, s0
	s_mov_b32 s23, exec_lo
	s_and_b32 s14, s0, -16
	s_delay_alu instid0(SALU_CYCLE_1)
	v_cmpx_gt_i32_e64 s14, v8
	s_cbranch_execz .LBB348_24
; %bb.19:
	s_waitcnt lgkmcnt(0)
	v_mul_lo_u32 v0, s2, v8
	v_mov_b32_e32 v2, 0
	v_mov_b32_e32 v3, 0
	v_mul_lo_u32 v4, s22, v8
	v_cmp_gt_i32_e32 vcc_lo, s12, v9
	s_lshl_b32 s24, s22, 4
	s_lshl_b32 s26, s2, 4
	s_mov_b32 s25, 0
	v_add3_u32 v6, v0, s1, v5
	v_dual_mov_b32 v0, v2 :: v_dual_mov_b32 v1, v3
	s_set_inst_prefetch_distance 0x1
	s_branch .LBB348_21
	.p2align	6
.LBB348_20:                             ;   in Loop: Header=BB348_21 Depth=1
	s_or_b32 exec_lo, exec_lo, s27
	v_add_nc_u32_e32 v8, 16, v8
	v_add_nc_u32_e32 v4, s24, v4
	;; [unrolled: 1-line block ×3, first 2 shown]
	s_delay_alu instid0(VALU_DEP_3) | instskip(NEXT) | instid1(VALU_DEP_1)
	v_cmp_le_i32_e64 s0, s14, v8
	s_or_b32 s25, s0, s25
	s_delay_alu instid0(SALU_CYCLE_1)
	s_and_not1_b32 exec_lo, exec_lo, s25
	s_cbranch_execz .LBB348_23
.LBB348_21:                             ; =>This Inner Loop Header: Depth=1
	s_and_saveexec_b32 s27, vcc_lo
	s_cbranch_execz .LBB348_20
; %bb.22:                               ;   in Loop: Header=BB348_21 Depth=1
	v_ashrrev_i32_e32 v5, 31, v4
	v_ashrrev_i32_e32 v7, 31, v6
	s_delay_alu instid0(VALU_DEP_2) | instskip(NEXT) | instid1(VALU_DEP_2)
	v_lshlrev_b64 v[11:12], 4, v[4:5]
	v_lshlrev_b64 v[13:14], 4, v[6:7]
	s_delay_alu instid0(VALU_DEP_2) | instskip(NEXT) | instid1(VALU_DEP_1)
	v_add_co_u32 v11, s0, s18, v11
	v_add_co_ci_u32_e64 v12, s0, s19, v12, s0
	s_delay_alu instid0(VALU_DEP_3) | instskip(NEXT) | instid1(VALU_DEP_1)
	v_add_co_u32 v15, s0, s16, v13
	v_add_co_ci_u32_e64 v16, s0, s17, v14, s0
	flat_load_b128 v[11:14], v[11:12]
	flat_load_b128 v[15:18], v[15:16]
	s_waitcnt vmcnt(0) lgkmcnt(0)
	v_mul_f64 v[19:20], v[13:14], v[17:18]
	v_mul_f64 v[17:18], v[11:12], v[17:18]
	s_delay_alu instid0(VALU_DEP_2) | instskip(NEXT) | instid1(VALU_DEP_2)
	v_fma_f64 v[11:12], v[11:12], v[15:16], -v[19:20]
	v_fma_f64 v[13:14], v[13:14], v[15:16], v[17:18]
	s_delay_alu instid0(VALU_DEP_2) | instskip(NEXT) | instid1(VALU_DEP_2)
	v_add_f64 v[0:1], v[0:1], v[11:12]
	v_add_f64 v[2:3], v[2:3], v[13:14]
	s_branch .LBB348_20
.LBB348_23:
	s_set_inst_prefetch_distance 0x2
	s_or_b32 exec_lo, exec_lo, s25
.LBB348_24:
	s_delay_alu instid0(SALU_CYCLE_1) | instskip(SKIP_1) | instid1(SALU_CYCLE_1)
	s_or_b32 exec_lo, exec_lo, s23
	s_sub_i32 s0, s13, s14
	s_cmp_lt_i32 s0, 1
	s_cbranch_scc1 .LBB348_30
; %bb.25:
	v_mov_b32_e32 v4, 0
	v_mov_b32_e32 v5, 0
	v_cmp_gt_i32_e32 vcc_lo, s13, v8
	s_delay_alu instid0(VALU_DEP_2)
	v_dual_mov_b32 v7, v5 :: v_dual_mov_b32 v6, v4
	s_and_saveexec_b32 s13, vcc_lo
	s_cbranch_execz .LBB348_27
; %bb.26:
	s_waitcnt lgkmcnt(0)
	v_mul_lo_u32 v4, v8, s22
	s_delay_alu instid0(VALU_DEP_1) | instskip(NEXT) | instid1(VALU_DEP_1)
	v_ashrrev_i32_e32 v5, 31, v4
	v_lshlrev_b64 v[4:5], 4, v[4:5]
	s_delay_alu instid0(VALU_DEP_1) | instskip(NEXT) | instid1(VALU_DEP_1)
	v_add_co_u32 v4, s0, s18, v4
	v_add_co_ci_u32_e64 v5, s0, s19, v5, s0
	flat_load_b128 v[4:7], v[4:5]
.LBB348_27:
	s_or_b32 exec_lo, exec_lo, s13
	s_delay_alu instid0(SALU_CYCLE_1)
	s_mov_b32 s13, exec_lo
	v_cmpx_gt_i32_e64 s12, v9
	s_cbranch_execz .LBB348_29
; %bb.28:
	s_waitcnt lgkmcnt(0)
	v_mul_lo_u32 v8, v8, s2
	s_delay_alu instid0(VALU_DEP_1) | instskip(NEXT) | instid1(VALU_DEP_1)
	v_cndmask_b32_e32 v8, 0, v8, vcc_lo
	v_add_nc_u32_e32 v8, v8, v9
	s_delay_alu instid0(VALU_DEP_1) | instskip(NEXT) | instid1(VALU_DEP_1)
	v_ashrrev_i32_e32 v9, 31, v8
	v_lshlrev_b64 v[8:9], 4, v[8:9]
	s_delay_alu instid0(VALU_DEP_1) | instskip(NEXT) | instid1(VALU_DEP_2)
	v_add_co_u32 v8, vcc_lo, s16, v8
	v_add_co_ci_u32_e32 v9, vcc_lo, s17, v9, vcc_lo
	flat_load_b128 v[11:14], v[8:9]
	s_waitcnt vmcnt(0) lgkmcnt(0)
	v_mul_f64 v[8:9], v[6:7], v[13:14]
	v_mul_f64 v[13:14], v[4:5], v[13:14]
	s_delay_alu instid0(VALU_DEP_2) | instskip(NEXT) | instid1(VALU_DEP_2)
	v_fma_f64 v[4:5], v[4:5], v[11:12], -v[8:9]
	v_fma_f64 v[6:7], v[6:7], v[11:12], v[13:14]
	s_delay_alu instid0(VALU_DEP_2) | instskip(NEXT) | instid1(VALU_DEP_2)
	v_add_f64 v[0:1], v[0:1], v[4:5]
	v_add_f64 v[2:3], v[2:3], v[6:7]
.LBB348_29:
	s_or_b32 exec_lo, exec_lo, s13
.LBB348_30:
	v_lshlrev_b32_e32 v11, 4, v10
	s_mov_b32 s0, exec_lo
                                        ; implicit-def: $vgpr8_vgpr9
	ds_store_b128 v11, v[0:3]
	s_waitcnt vmcnt(0) lgkmcnt(0)
	s_barrier
	buffer_gl0_inv
                                        ; implicit-def: $vgpr2_vgpr3
	v_cmpx_gt_u32_e32 64, v10
	s_cbranch_execz .LBB348_36
; %bb.31:
	ds_load_b128 v[0:3], v11
	ds_load_b128 v[4:7], v11 offset:1024
	v_or_b32_e32 v10, s1, v10
	s_mov_b32 s2, s21
	s_mov_b32 s1, exec_lo
	s_waitcnt lgkmcnt(0)
	v_add_f64 v[8:9], v[0:1], v[4:5]
	v_add_f64 v[12:13], v[2:3], v[6:7]
	ds_load_b128 v[0:3], v11 offset:2048
	ds_load_b128 v[4:7], v11 offset:3072
	s_waitcnt lgkmcnt(1)
	v_add_f64 v[0:1], v[8:9], v[0:1]
	v_add_f64 v[2:3], v[12:13], v[2:3]
	s_waitcnt lgkmcnt(0)
	s_delay_alu instid0(VALU_DEP_2) | instskip(NEXT) | instid1(VALU_DEP_2)
	v_add_f64 v[8:9], v[0:1], v[4:5]
	v_add_f64 v[12:13], v[2:3], v[6:7]
	ds_load_b128 v[0:3], v11 offset:4096
	ds_load_b128 v[4:7], v11 offset:5120
	s_waitcnt lgkmcnt(1)
	v_add_f64 v[0:1], v[8:9], v[0:1]
	v_add_f64 v[2:3], v[12:13], v[2:3]
	s_waitcnt lgkmcnt(0)
	s_delay_alu instid0(VALU_DEP_2) | instskip(NEXT) | instid1(VALU_DEP_2)
	;; [unrolled: 9-line block ×6, first 2 shown]
	v_add_f64 v[8:9], v[0:1], v[4:5]
	v_add_f64 v[12:13], v[2:3], v[6:7]
	ds_load_b128 v[0:3], v11 offset:14336
	ds_load_b128 v[4:7], v11 offset:15360
	s_waitcnt lgkmcnt(1)
	v_add_f64 v[0:1], v[8:9], v[0:1]
	v_add_f64 v[2:3], v[12:13], v[2:3]
                                        ; implicit-def: $vgpr8_vgpr9
	s_waitcnt lgkmcnt(0)
	s_delay_alu instid0(VALU_DEP_2) | instskip(NEXT) | instid1(VALU_DEP_2)
	v_add_f64 v[4:5], v[0:1], v[4:5]
	v_add_f64 v[6:7], v[2:3], v[6:7]
                                        ; implicit-def: $vgpr2_vgpr3
	ds_store_b128 v11, v[4:7]
	v_cmpx_gt_i32_e64 s12, v10
	s_cbranch_execz .LBB348_35
; %bb.32:
	v_mul_f64 v[0:1], s[10:11], v[6:7]
	v_mul_f64 v[2:3], s[8:9], v[6:7]
	v_cmp_neq_f64_e64 s2, s[4:5], 0
	v_cmp_neq_f64_e64 s12, s[6:7], 0
	v_mul_lo_u32 v8, v10, s20
	s_delay_alu instid0(VALU_DEP_1) | instskip(SKIP_3) | instid1(SALU_CYCLE_1)
	v_ashrrev_i32_e32 v9, 31, v8
	v_fma_f64 v[0:1], s[8:9], v[4:5], -v[0:1]
	v_fma_f64 v[2:3], s[10:11], v[4:5], v[2:3]
	s_or_b32 s2, s2, s12
	s_and_not1_b32 vcc_lo, exec_lo, s2
	s_cbranch_vccnz .LBB348_34
; %bb.33:
	v_lshlrev_b64 v[4:5], 4, v[8:9]
	s_delay_alu instid0(VALU_DEP_1) | instskip(NEXT) | instid1(VALU_DEP_2)
	v_add_co_u32 v4, vcc_lo, s3, v4
	v_add_co_ci_u32_e32 v5, vcc_lo, s15, v5, vcc_lo
	global_load_b128 v[4:7], v[4:5], off
	s_waitcnt vmcnt(0)
	v_mul_f64 v[10:11], s[6:7], v[6:7]
	v_mul_f64 v[6:7], s[4:5], v[6:7]
	s_delay_alu instid0(VALU_DEP_2) | instskip(NEXT) | instid1(VALU_DEP_2)
	v_fma_f64 v[10:11], s[4:5], v[4:5], -v[10:11]
	v_fma_f64 v[4:5], s[6:7], v[4:5], v[6:7]
	s_delay_alu instid0(VALU_DEP_2) | instskip(NEXT) | instid1(VALU_DEP_2)
	v_add_f64 v[0:1], v[0:1], v[10:11]
	v_add_f64 v[2:3], v[2:3], v[4:5]
.LBB348_34:
	s_or_b32 s2, s21, exec_lo
.LBB348_35:
	s_or_b32 exec_lo, exec_lo, s1
	s_delay_alu instid0(SALU_CYCLE_1) | instskip(SKIP_1) | instid1(SALU_CYCLE_1)
	s_and_not1_b32 s1, s21, exec_lo
	s_and_b32 s2, s2, exec_lo
	s_or_b32 s21, s1, s2
.LBB348_36:
	s_or_b32 exec_lo, exec_lo, s0
.LBB348_37:
	s_and_saveexec_b32 s0, s21
	s_cbranch_execz .LBB348_39
; %bb.38:
	v_lshlrev_b64 v[4:5], 4, v[8:9]
	s_delay_alu instid0(VALU_DEP_1) | instskip(NEXT) | instid1(VALU_DEP_2)
	v_add_co_u32 v4, vcc_lo, s3, v4
	v_add_co_ci_u32_e32 v5, vcc_lo, s15, v5, vcc_lo
	global_store_b128 v[4:5], v[0:3], off
.LBB348_39:
	s_nop 0
	s_sendmsg sendmsg(MSG_DEALLOC_VGPRS)
	s_endpgm
	.section	.rodata,"a",@progbits
	.p2align	6, 0x0
	.amdhsa_kernel _ZL20rocblas_gemvn_kernelILi64ELi16EiPK19rocblas_complex_numIdES1_KPS1_EviiT3_lPKT2_lT1_lS9_lSA_lS6_lPT4_lSA_li
		.amdhsa_group_segment_fixed_size 16384
		.amdhsa_private_segment_fixed_size 0
		.amdhsa_kernarg_size 416
		.amdhsa_user_sgpr_count 14
		.amdhsa_user_sgpr_dispatch_ptr 0
		.amdhsa_user_sgpr_queue_ptr 0
		.amdhsa_user_sgpr_kernarg_segment_ptr 1
		.amdhsa_user_sgpr_dispatch_id 0
		.amdhsa_user_sgpr_private_segment_size 0
		.amdhsa_wavefront_size32 1
		.amdhsa_uses_dynamic_stack 0
		.amdhsa_enable_private_segment 0
		.amdhsa_system_sgpr_workgroup_id_x 1
		.amdhsa_system_sgpr_workgroup_id_y 0
		.amdhsa_system_sgpr_workgroup_id_z 1
		.amdhsa_system_sgpr_workgroup_info 0
		.amdhsa_system_vgpr_workitem_id 1
		.amdhsa_next_free_vgpr 21
		.amdhsa_next_free_sgpr 28
		.amdhsa_reserve_vcc 1
		.amdhsa_float_round_mode_32 0
		.amdhsa_float_round_mode_16_64 0
		.amdhsa_float_denorm_mode_32 3
		.amdhsa_float_denorm_mode_16_64 3
		.amdhsa_dx10_clamp 1
		.amdhsa_ieee_mode 1
		.amdhsa_fp16_overflow 0
		.amdhsa_workgroup_processor_mode 1
		.amdhsa_memory_ordered 1
		.amdhsa_forward_progress 0
		.amdhsa_shared_vgpr_count 0
		.amdhsa_exception_fp_ieee_invalid_op 0
		.amdhsa_exception_fp_denorm_src 0
		.amdhsa_exception_fp_ieee_div_zero 0
		.amdhsa_exception_fp_ieee_overflow 0
		.amdhsa_exception_fp_ieee_underflow 0
		.amdhsa_exception_fp_ieee_inexact 0
		.amdhsa_exception_int_div_zero 0
	.end_amdhsa_kernel
	.section	.text._ZL20rocblas_gemvn_kernelILi64ELi16EiPK19rocblas_complex_numIdES1_KPS1_EviiT3_lPKT2_lT1_lS9_lSA_lS6_lPT4_lSA_li,"axG",@progbits,_ZL20rocblas_gemvn_kernelILi64ELi16EiPK19rocblas_complex_numIdES1_KPS1_EviiT3_lPKT2_lT1_lS9_lSA_lS6_lPT4_lSA_li,comdat
.Lfunc_end348:
	.size	_ZL20rocblas_gemvn_kernelILi64ELi16EiPK19rocblas_complex_numIdES1_KPS1_EviiT3_lPKT2_lT1_lS9_lSA_lS6_lPT4_lSA_li, .Lfunc_end348-_ZL20rocblas_gemvn_kernelILi64ELi16EiPK19rocblas_complex_numIdES1_KPS1_EviiT3_lPKT2_lT1_lS9_lSA_lS6_lPT4_lSA_li
                                        ; -- End function
	.section	.AMDGPU.csdata,"",@progbits
; Kernel info:
; codeLenInByte = 2112
; NumSgprs: 30
; NumVgprs: 21
; ScratchSize: 0
; MemoryBound: 1
; FloatMode: 240
; IeeeMode: 1
; LDSByteSize: 16384 bytes/workgroup (compile time only)
; SGPRBlocks: 3
; VGPRBlocks: 2
; NumSGPRsForWavesPerEU: 30
; NumVGPRsForWavesPerEU: 21
; Occupancy: 16
; WaveLimiterHint : 1
; COMPUTE_PGM_RSRC2:SCRATCH_EN: 0
; COMPUTE_PGM_RSRC2:USER_SGPR: 14
; COMPUTE_PGM_RSRC2:TRAP_HANDLER: 0
; COMPUTE_PGM_RSRC2:TGID_X_EN: 1
; COMPUTE_PGM_RSRC2:TGID_Y_EN: 0
; COMPUTE_PGM_RSRC2:TGID_Z_EN: 1
; COMPUTE_PGM_RSRC2:TIDIG_COMP_CNT: 1
	.section	.text._ZL20rocblas_gemvn_kernelILi64ELi16ElPK19rocblas_complex_numIdES1_KPS1_EviiT3_lPKT2_lT1_lS9_lSA_lS6_lPT4_lSA_li,"axG",@progbits,_ZL20rocblas_gemvn_kernelILi64ELi16ElPK19rocblas_complex_numIdES1_KPS1_EviiT3_lPKT2_lT1_lS9_lSA_lS6_lPT4_lSA_li,comdat
	.globl	_ZL20rocblas_gemvn_kernelILi64ELi16ElPK19rocblas_complex_numIdES1_KPS1_EviiT3_lPKT2_lT1_lS9_lSA_lS6_lPT4_lSA_li ; -- Begin function _ZL20rocblas_gemvn_kernelILi64ELi16ElPK19rocblas_complex_numIdES1_KPS1_EviiT3_lPKT2_lT1_lS9_lSA_lS6_lPT4_lSA_li
	.p2align	8
	.type	_ZL20rocblas_gemvn_kernelILi64ELi16ElPK19rocblas_complex_numIdES1_KPS1_EviiT3_lPKT2_lT1_lS9_lSA_lS6_lPT4_lSA_li,@function
_ZL20rocblas_gemvn_kernelILi64ELi16ElPK19rocblas_complex_numIdES1_KPS1_EviiT3_lPKT2_lT1_lS9_lSA_lS6_lPT4_lSA_li: ; @_ZL20rocblas_gemvn_kernelILi64ELi16ElPK19rocblas_complex_numIdES1_KPS1_EviiT3_lPKT2_lT1_lS9_lSA_lS6_lPT4_lSA_li
; %bb.0:
	s_load_b64 s[4:5], s[0:1], 0xac
	s_mov_b32 s2, s15
	s_waitcnt lgkmcnt(0)
	s_lshr_b32 s3, s4, 16
	s_and_b32 s15, s4, 0xffff
	s_and_b32 s4, s5, 0xffff
	s_mul_i32 s3, s3, s15
	s_delay_alu instid0(SALU_CYCLE_1) | instskip(NEXT) | instid1(SALU_CYCLE_1)
	s_mul_i32 s3, s3, s4
	s_cmpk_lg_i32 s3, 0x400
	s_cbranch_scc1 .LBB349_39
; %bb.1:
	s_clause 0x3
	s_load_b128 s[8:11], s[0:1], 0x8
	s_load_b128 s[16:19], s[0:1], 0x20
	s_load_b64 s[20:21], s[0:1], 0x30
	s_load_b128 s[4:7], s[0:1], 0x60
	s_mov_b32 s24, -1
	s_waitcnt lgkmcnt(0)
	v_cmp_neq_f64_e64 s3, s[8:9], 0
	v_cmp_neq_f64_e64 s12, s[10:11], 0
	s_delay_alu instid0(VALU_DEP_1) | instskip(NEXT) | instid1(SALU_CYCLE_1)
	s_or_b32 s12, s3, s12
                                        ; implicit-def: $sgpr3
	s_and_b32 vcc_lo, exec_lo, s12
	s_cbranch_vccnz .LBB349_4
; %bb.2:
	v_cmp_eq_f64_e64 s3, s[4:5], 1.0
	v_cmp_eq_f64_e64 s13, s[6:7], 0
	s_mov_b32 s24, 0
	s_delay_alu instid0(VALU_DEP_1) | instskip(NEXT) | instid1(SALU_CYCLE_1)
	s_and_b32 s3, s3, s13
	s_and_not1_b32 vcc_lo, exec_lo, s3
	s_cbranch_vccz .LBB349_4
; %bb.3:
	s_mov_b32 s3, 0
	s_mov_b32 s13, -1
	s_mov_b64 s[22:23], 0
	s_and_b32 vcc_lo, exec_lo, s24
	s_cbranch_vccnz .LBB349_5
	s_branch .LBB349_6
.LBB349_4:
	s_mov_b32 s13, 0
                                        ; implicit-def: $sgpr22_sgpr23
	s_and_b32 vcc_lo, exec_lo, s24
	s_cbranch_vccz .LBB349_6
.LBB349_5:
	s_mov_b32 s3, 0
	s_mov_b32 s13, -1
	s_lshl_b64 s[22:23], s[2:3], 3
	s_delay_alu instid0(SALU_CYCLE_1)
	s_add_u32 s16, s16, s22
	s_addc_u32 s17, s17, s23
	s_lshl_b64 s[18:19], s[18:19], 4
	s_load_b64 s[16:17], s[16:17], 0x0
	s_waitcnt lgkmcnt(0)
	s_add_u32 s22, s16, s18
	s_addc_u32 s23, s17, s19
.LBB349_6:
	s_and_not1_b32 vcc_lo, exec_lo, s13
	s_cbranch_vccnz .LBB349_39
; %bb.7:
	s_clause 0x1
	s_load_b128 s[16:19], s[0:1], 0x40
	s_load_b64 s[24:25], s[0:1], 0x50
	v_cndmask_b32_e64 v1, 0, 1, s12
	s_xor_b32 s28, s12, -1
	s_mov_b64 s[26:27], 0
	s_delay_alu instid0(VALU_DEP_1)
	v_cmp_ne_u32_e32 vcc_lo, 1, v1
	s_cbranch_vccnz .LBB349_9
; %bb.8:
	s_lshl_b64 s[12:13], s[2:3], 3
	s_waitcnt lgkmcnt(0)
	s_add_u32 s12, s16, s12
	s_addc_u32 s13, s17, s13
	s_lshl_b64 s[16:17], s[18:19], 4
	s_load_b64 s[12:13], s[12:13], 0x0
	s_waitcnt lgkmcnt(0)
	s_add_u32 s26, s12, s16
	s_addc_u32 s27, s13, s17
.LBB349_9:
	s_waitcnt lgkmcnt(0)
	s_load_b128 s[16:19], s[0:1], 0x78
	s_lshl_b64 s[2:3], s[2:3], 3
	v_and_b32_e32 v1, 0x3ff, v0
	v_bfe_u32 v0, v0, 10, 10
	s_delay_alu instid0(VALU_DEP_1)
	v_mad_u32_u24 v10, v0, s15, v1
	s_waitcnt lgkmcnt(0)
	s_add_u32 s2, s16, s2
	s_addc_u32 s3, s17, s3
	s_lshl_b64 s[18:19], s[18:19], 4
	s_load_b64 s[16:17], s[2:3], 0x0
	s_clause 0x1
	s_load_b64 s[12:13], s[0:1], 0x0
	s_load_b64 s[2:3], s[0:1], 0x88
	v_cmp_gt_u32_e64 s0, 64, v10
	s_waitcnt lgkmcnt(0)
	s_add_u32 s18, s16, s18
	s_addc_u32 s19, s17, s19
	s_and_not1_b32 vcc_lo, exec_lo, s28
	s_cbranch_vccnz .LBB349_16
; %bb.10:
	s_mov_b32 s1, 0
	s_mov_b32 s28, 0
                                        ; implicit-def: $vgpr2_vgpr3
                                        ; implicit-def: $vgpr8_vgpr9
	s_and_saveexec_b32 s15, s0
	s_cbranch_execz .LBB349_17
; %bb.11:
	v_lshl_or_b32 v0, s14, 6, v10
	v_mov_b32_e32 v1, 0
	s_ashr_i32 s17, s12, 31
	s_mov_b32 s16, s12
                                        ; implicit-def: $vgpr2_vgpr3
                                        ; implicit-def: $vgpr8_vgpr9
	s_delay_alu instid0(VALU_DEP_1) | instid1(SALU_CYCLE_1)
	v_cmp_gt_i64_e32 vcc_lo, s[16:17], v[0:1]
	s_mov_b32 s16, 0
	s_and_saveexec_b32 s0, vcc_lo
	s_cbranch_execz .LBB349_15
; %bb.12:
	v_cmp_neq_f64_e64 s16, s[4:5], 0
	v_cmp_neq_f64_e64 s17, s[6:7], 0
	v_mad_u64_u32 v[8:9], null, v0, s2, 0
	s_delay_alu instid0(VALU_DEP_1) | instskip(NEXT) | instid1(VALU_DEP_1)
	v_mov_b32_e32 v1, v9
	v_mad_u64_u32 v[4:5], null, v0, s3, v[1:2]
	v_mov_b32_e32 v2, 0
	v_mov_b32_e32 v3, 0
	s_delay_alu instid0(VALU_DEP_2) | instskip(NEXT) | instid1(VALU_DEP_2)
	v_dual_mov_b32 v0, v2 :: v_dual_mov_b32 v9, v4
	v_mov_b32_e32 v1, v3
	s_or_b32 s16, s16, s17
	s_delay_alu instid0(SALU_CYCLE_1)
	s_and_not1_b32 vcc_lo, exec_lo, s16
	s_cbranch_vccnz .LBB349_14
; %bb.13:
	v_lshlrev_b64 v[0:1], 4, v[8:9]
	s_delay_alu instid0(VALU_DEP_1) | instskip(NEXT) | instid1(VALU_DEP_2)
	v_add_co_u32 v0, vcc_lo, s18, v0
	v_add_co_ci_u32_e32 v1, vcc_lo, s19, v1, vcc_lo
	global_load_b128 v[2:5], v[0:1], off
	s_waitcnt vmcnt(0)
	v_mul_f64 v[0:1], s[6:7], v[4:5]
	v_mul_f64 v[4:5], s[4:5], v[4:5]
	s_delay_alu instid0(VALU_DEP_2) | instskip(NEXT) | instid1(VALU_DEP_2)
	v_fma_f64 v[0:1], s[4:5], v[2:3], -v[0:1]
	v_fma_f64 v[2:3], s[6:7], v[2:3], v[4:5]
.LBB349_14:
	s_mov_b32 s16, exec_lo
.LBB349_15:
	s_or_b32 exec_lo, exec_lo, s0
	s_delay_alu instid0(SALU_CYCLE_1) | instskip(SKIP_1) | instid1(SALU_CYCLE_1)
	s_and_b32 s28, s16, exec_lo
	s_or_b32 exec_lo, exec_lo, s15
	s_and_b32 vcc_lo, exec_lo, s1
	s_cbranch_vccnz .LBB349_18
	s_branch .LBB349_37
.LBB349_16:
	s_mov_b32 s28, 0
                                        ; implicit-def: $vgpr2_vgpr3
                                        ; implicit-def: $vgpr8_vgpr9
	s_cbranch_execnz .LBB349_18
	s_branch .LBB349_37
.LBB349_17:
	s_or_b32 exec_lo, exec_lo, s15
	s_delay_alu instid0(SALU_CYCLE_1)
	s_and_b32 vcc_lo, exec_lo, s1
	s_cbranch_vccz .LBB349_37
.LBB349_18:
	v_mov_b32_e32 v2, 0
	v_dual_mov_b32 v3, 0 :: v_dual_and_b32 v4, 63, v10
	s_ashr_i32 s0, s13, 31
	s_lshl_b32 s29, s14, 6
	s_lshr_b32 s0, s0, 28
	v_lshrrev_b32_e32 v9, 6, v10
	v_or_b32_e32 v8, s29, v4
	v_dual_mov_b32 v0, v2 :: v_dual_mov_b32 v1, v3
	s_add_i32 s0, s13, s0
	s_mov_b32 s31, exec_lo
	s_and_b32 s30, s0, -16
	s_delay_alu instid0(SALU_CYCLE_1)
	v_cmpx_gt_i32_e64 s30, v9
	s_cbranch_execz .LBB349_24
; %bb.19:
	v_lshrrev_b32_e32 v13, 6, v10
	v_cmp_gt_i32_e32 vcc_lo, s12, v8
	s_lshl_b64 s[14:15], s[24:25], 8
	s_lshl_b64 s[16:17], s[20:21], 8
	s_mov_b32 s33, 0
	v_mad_u64_u32 v[5:6], null, s24, v13, 0
	v_mad_u64_u32 v[0:1], null, s20, v13, 0
	s_delay_alu instid0(VALU_DEP_2) | instskip(NEXT) | instid1(VALU_DEP_1)
	v_dual_mov_b32 v2, v6 :: v_dual_add_nc_u32 v3, s29, v4
	v_ashrrev_i32_e32 v4, 31, v3
	s_delay_alu instid0(VALU_DEP_2) | instskip(SKIP_1) | instid1(VALU_DEP_3)
	v_mad_u64_u32 v[6:7], null, s21, v13, v[1:2]
	v_mad_u64_u32 v[11:12], null, s25, v13, v[2:3]
	v_lshlrev_b64 v[12:13], 4, v[3:4]
	v_mov_b32_e32 v2, 0
	v_mov_b32_e32 v3, 0
	s_delay_alu instid0(VALU_DEP_4) | instskip(NEXT) | instid1(VALU_DEP_1)
	v_dual_mov_b32 v1, v6 :: v_dual_mov_b32 v6, v11
	v_lshlrev_b64 v[0:1], 4, v[0:1]
	s_delay_alu instid0(VALU_DEP_2) | instskip(NEXT) | instid1(VALU_DEP_2)
	v_lshlrev_b64 v[4:5], 4, v[5:6]
	v_add_co_u32 v0, s0, v0, v12
	s_delay_alu instid0(VALU_DEP_1) | instskip(NEXT) | instid1(VALU_DEP_3)
	v_add_co_ci_u32_e64 v1, s0, v1, v13, s0
	v_add_co_u32 v4, s0, s26, v4
	s_delay_alu instid0(VALU_DEP_1) | instskip(NEXT) | instid1(VALU_DEP_4)
	v_add_co_ci_u32_e64 v5, s0, s27, v5, s0
	v_add_co_u32 v6, s0, s22, v0
	s_delay_alu instid0(VALU_DEP_1)
	v_add_co_ci_u32_e64 v7, s0, s23, v1, s0
	v_dual_mov_b32 v0, v2 :: v_dual_mov_b32 v1, v3
	s_set_inst_prefetch_distance 0x1
	s_branch .LBB349_21
	.p2align	6
.LBB349_20:                             ;   in Loop: Header=BB349_21 Depth=1
	s_or_b32 exec_lo, exec_lo, s0
	v_add_nc_u32_e32 v9, 16, v9
	v_add_co_u32 v4, s0, v4, s14
	s_delay_alu instid0(VALU_DEP_1) | instskip(NEXT) | instid1(VALU_DEP_3)
	v_add_co_ci_u32_e64 v5, s0, s15, v5, s0
	v_cmp_le_i32_e64 s0, s30, v9
	v_add_co_u32 v6, s1, v6, s16
	s_delay_alu instid0(VALU_DEP_1) | instskip(NEXT) | instid1(VALU_DEP_3)
	v_add_co_ci_u32_e64 v7, s1, s17, v7, s1
	s_or_b32 s33, s0, s33
	s_delay_alu instid0(SALU_CYCLE_1)
	s_and_not1_b32 exec_lo, exec_lo, s33
	s_cbranch_execz .LBB349_23
.LBB349_21:                             ; =>This Inner Loop Header: Depth=1
	s_and_saveexec_b32 s0, vcc_lo
	s_cbranch_execz .LBB349_20
; %bb.22:                               ;   in Loop: Header=BB349_21 Depth=1
	flat_load_b128 v[11:14], v[4:5]
	flat_load_b128 v[15:18], v[6:7]
	s_waitcnt vmcnt(0) lgkmcnt(0)
	v_mul_f64 v[19:20], v[13:14], v[17:18]
	v_mul_f64 v[17:18], v[11:12], v[17:18]
	s_delay_alu instid0(VALU_DEP_2) | instskip(NEXT) | instid1(VALU_DEP_2)
	v_fma_f64 v[11:12], v[11:12], v[15:16], -v[19:20]
	v_fma_f64 v[13:14], v[13:14], v[15:16], v[17:18]
	s_delay_alu instid0(VALU_DEP_2) | instskip(NEXT) | instid1(VALU_DEP_2)
	v_add_f64 v[0:1], v[0:1], v[11:12]
	v_add_f64 v[2:3], v[2:3], v[13:14]
	s_branch .LBB349_20
.LBB349_23:
	s_set_inst_prefetch_distance 0x2
	s_or_b32 exec_lo, exec_lo, s33
.LBB349_24:
	s_delay_alu instid0(SALU_CYCLE_1) | instskip(SKIP_1) | instid1(SALU_CYCLE_1)
	s_or_b32 exec_lo, exec_lo, s31
	s_sub_i32 s0, s13, s30
	s_cmp_lt_i32 s0, 1
	s_cbranch_scc1 .LBB349_30
; %bb.25:
	v_mov_b32_e32 v4, 0
	v_mov_b32_e32 v5, 0
	v_cmp_gt_i32_e32 vcc_lo, s13, v9
	s_delay_alu instid0(VALU_DEP_2)
	v_dual_mov_b32 v7, v5 :: v_dual_mov_b32 v6, v4
	s_and_saveexec_b32 s1, vcc_lo
	s_cbranch_execz .LBB349_27
; %bb.26:
	v_mad_u64_u32 v[4:5], null, v9, s24, 0
	s_delay_alu instid0(VALU_DEP_1) | instskip(NEXT) | instid1(VALU_DEP_1)
	v_mad_u64_u32 v[6:7], null, v9, s25, v[5:6]
	v_mov_b32_e32 v5, v6
	s_delay_alu instid0(VALU_DEP_1) | instskip(NEXT) | instid1(VALU_DEP_1)
	v_lshlrev_b64 v[4:5], 4, v[4:5]
	v_add_co_u32 v4, s0, s26, v4
	s_delay_alu instid0(VALU_DEP_1)
	v_add_co_ci_u32_e64 v5, s0, s27, v5, s0
	flat_load_b128 v[4:7], v[4:5]
.LBB349_27:
	s_or_b32 exec_lo, exec_lo, s1
	s_delay_alu instid0(SALU_CYCLE_1)
	s_mov_b32 s1, exec_lo
	v_cmpx_gt_i32_e64 s12, v8
	s_cbranch_execz .LBB349_29
; %bb.28:
	v_mad_u64_u32 v[11:12], null, v9, s20, 0
	s_delay_alu instid0(VALU_DEP_1) | instskip(NEXT) | instid1(VALU_DEP_2)
	v_mad_u64_u32 v[13:14], null, v9, s21, v[12:13]
	v_cndmask_b32_e32 v11, 0, v11, vcc_lo
	v_ashrrev_i32_e32 v9, 31, v8
	s_delay_alu instid0(VALU_DEP_3) | instskip(NEXT) | instid1(VALU_DEP_2)
	v_cndmask_b32_e32 v12, 0, v13, vcc_lo
	v_lshlrev_b64 v[8:9], 4, v[8:9]
	s_delay_alu instid0(VALU_DEP_2) | instskip(NEXT) | instid1(VALU_DEP_1)
	v_lshlrev_b64 v[11:12], 4, v[11:12]
	v_add_co_u32 v11, vcc_lo, s22, v11
	s_delay_alu instid0(VALU_DEP_2) | instskip(NEXT) | instid1(VALU_DEP_2)
	v_add_co_ci_u32_e32 v12, vcc_lo, s23, v12, vcc_lo
	v_add_co_u32 v8, vcc_lo, v11, v8
	s_delay_alu instid0(VALU_DEP_2) | instskip(SKIP_4) | instid1(VALU_DEP_2)
	v_add_co_ci_u32_e32 v9, vcc_lo, v12, v9, vcc_lo
	flat_load_b128 v[11:14], v[8:9]
	s_waitcnt vmcnt(0) lgkmcnt(0)
	v_mul_f64 v[8:9], v[6:7], v[13:14]
	v_mul_f64 v[13:14], v[4:5], v[13:14]
	v_fma_f64 v[4:5], v[4:5], v[11:12], -v[8:9]
	s_delay_alu instid0(VALU_DEP_2) | instskip(NEXT) | instid1(VALU_DEP_2)
	v_fma_f64 v[6:7], v[6:7], v[11:12], v[13:14]
	v_add_f64 v[0:1], v[0:1], v[4:5]
	s_delay_alu instid0(VALU_DEP_2)
	v_add_f64 v[2:3], v[2:3], v[6:7]
.LBB349_29:
	s_or_b32 exec_lo, exec_lo, s1
.LBB349_30:
	v_lshlrev_b32_e32 v11, 4, v10
	s_mov_b32 s0, exec_lo
                                        ; implicit-def: $vgpr8_vgpr9
	ds_store_b128 v11, v[0:3]
	s_waitcnt vmcnt(0) lgkmcnt(0)
	s_barrier
	buffer_gl0_inv
                                        ; implicit-def: $vgpr2_vgpr3
	v_cmpx_gt_u32_e32 64, v10
	s_cbranch_execz .LBB349_36
; %bb.31:
	ds_load_b128 v[0:3], v11
	ds_load_b128 v[4:7], v11 offset:1024
	v_or_b32_e32 v10, s29, v10
	s_delay_alu instid0(VALU_DEP_1)
	v_cmp_gt_i32_e32 vcc_lo, s12, v10
	s_mov_b32 s12, s28
	s_waitcnt lgkmcnt(0)
	v_add_f64 v[8:9], v[0:1], v[4:5]
	v_add_f64 v[12:13], v[2:3], v[6:7]
	ds_load_b128 v[0:3], v11 offset:2048
	ds_load_b128 v[4:7], v11 offset:3072
	s_waitcnt lgkmcnt(1)
	v_add_f64 v[0:1], v[8:9], v[0:1]
	v_add_f64 v[2:3], v[12:13], v[2:3]
	s_waitcnt lgkmcnt(0)
	s_delay_alu instid0(VALU_DEP_2) | instskip(NEXT) | instid1(VALU_DEP_2)
	v_add_f64 v[8:9], v[0:1], v[4:5]
	v_add_f64 v[12:13], v[2:3], v[6:7]
	ds_load_b128 v[0:3], v11 offset:4096
	ds_load_b128 v[4:7], v11 offset:5120
	s_waitcnt lgkmcnt(1)
	v_add_f64 v[0:1], v[8:9], v[0:1]
	v_add_f64 v[2:3], v[12:13], v[2:3]
	s_waitcnt lgkmcnt(0)
	s_delay_alu instid0(VALU_DEP_2) | instskip(NEXT) | instid1(VALU_DEP_2)
	;; [unrolled: 9-line block ×6, first 2 shown]
	v_add_f64 v[8:9], v[0:1], v[4:5]
	v_add_f64 v[12:13], v[2:3], v[6:7]
	ds_load_b128 v[0:3], v11 offset:14336
	ds_load_b128 v[4:7], v11 offset:15360
	s_waitcnt lgkmcnt(1)
	v_add_f64 v[0:1], v[8:9], v[0:1]
	v_add_f64 v[2:3], v[12:13], v[2:3]
                                        ; implicit-def: $vgpr8_vgpr9
	s_waitcnt lgkmcnt(0)
	s_delay_alu instid0(VALU_DEP_2) | instskip(NEXT) | instid1(VALU_DEP_2)
	v_add_f64 v[4:5], v[0:1], v[4:5]
	v_add_f64 v[6:7], v[2:3], v[6:7]
                                        ; implicit-def: $vgpr2_vgpr3
	ds_store_b128 v11, v[4:7]
	s_and_saveexec_b32 s1, vcc_lo
	s_cbranch_execz .LBB349_35
; %bb.32:
	v_mul_f64 v[0:1], s[10:11], v[6:7]
	v_mul_f64 v[2:3], s[8:9], v[6:7]
	v_cmp_neq_f64_e64 s12, s[4:5], 0
	v_cmp_neq_f64_e64 s13, s[6:7], 0
	v_mad_u64_u32 v[8:9], null, v10, s2, 0
	v_fma_f64 v[0:1], s[8:9], v[4:5], -v[0:1]
	v_fma_f64 v[2:3], s[10:11], v[4:5], v[2:3]
	v_ashrrev_i32_e32 v4, 31, v10
	v_mul_lo_u32 v5, v10, s3
	s_delay_alu instid0(VALU_DEP_2) | instskip(SKIP_1) | instid1(SALU_CYCLE_1)
	v_mul_lo_u32 v4, v4, s2
	s_or_b32 s2, s12, s13
	s_and_not1_b32 vcc_lo, exec_lo, s2
	s_delay_alu instid0(VALU_DEP_1)
	v_add3_u32 v9, v9, v5, v4
	s_cbranch_vccnz .LBB349_34
; %bb.33:
	s_delay_alu instid0(VALU_DEP_1) | instskip(NEXT) | instid1(VALU_DEP_1)
	v_lshlrev_b64 v[4:5], 4, v[8:9]
	v_add_co_u32 v4, vcc_lo, s18, v4
	s_delay_alu instid0(VALU_DEP_2) | instskip(SKIP_4) | instid1(VALU_DEP_2)
	v_add_co_ci_u32_e32 v5, vcc_lo, s19, v5, vcc_lo
	global_load_b128 v[4:7], v[4:5], off
	s_waitcnt vmcnt(0)
	v_mul_f64 v[10:11], s[6:7], v[6:7]
	v_mul_f64 v[6:7], s[4:5], v[6:7]
	v_fma_f64 v[10:11], s[4:5], v[4:5], -v[10:11]
	s_delay_alu instid0(VALU_DEP_2) | instskip(NEXT) | instid1(VALU_DEP_2)
	v_fma_f64 v[4:5], s[6:7], v[4:5], v[6:7]
	v_add_f64 v[0:1], v[0:1], v[10:11]
	s_delay_alu instid0(VALU_DEP_2)
	v_add_f64 v[2:3], v[2:3], v[4:5]
.LBB349_34:
	s_or_b32 s12, s28, exec_lo
.LBB349_35:
	s_or_b32 exec_lo, exec_lo, s1
	s_delay_alu instid0(SALU_CYCLE_1) | instskip(SKIP_1) | instid1(SALU_CYCLE_1)
	s_and_not1_b32 s1, s28, exec_lo
	s_and_b32 s2, s12, exec_lo
	s_or_b32 s28, s1, s2
.LBB349_36:
	s_or_b32 exec_lo, exec_lo, s0
.LBB349_37:
	s_and_saveexec_b32 s0, s28
	s_cbranch_execz .LBB349_39
; %bb.38:
	v_lshlrev_b64 v[4:5], 4, v[8:9]
	s_delay_alu instid0(VALU_DEP_1) | instskip(NEXT) | instid1(VALU_DEP_2)
	v_add_co_u32 v4, vcc_lo, s18, v4
	v_add_co_ci_u32_e32 v5, vcc_lo, s19, v5, vcc_lo
	global_store_b128 v[4:5], v[0:3], off
.LBB349_39:
	s_nop 0
	s_sendmsg sendmsg(MSG_DEALLOC_VGPRS)
	s_endpgm
	.section	.rodata,"a",@progbits
	.p2align	6, 0x0
	.amdhsa_kernel _ZL20rocblas_gemvn_kernelILi64ELi16ElPK19rocblas_complex_numIdES1_KPS1_EviiT3_lPKT2_lT1_lS9_lSA_lS6_lPT4_lSA_li
		.amdhsa_group_segment_fixed_size 16384
		.amdhsa_private_segment_fixed_size 0
		.amdhsa_kernarg_size 416
		.amdhsa_user_sgpr_count 14
		.amdhsa_user_sgpr_dispatch_ptr 0
		.amdhsa_user_sgpr_queue_ptr 0
		.amdhsa_user_sgpr_kernarg_segment_ptr 1
		.amdhsa_user_sgpr_dispatch_id 0
		.amdhsa_user_sgpr_private_segment_size 0
		.amdhsa_wavefront_size32 1
		.amdhsa_uses_dynamic_stack 0
		.amdhsa_enable_private_segment 0
		.amdhsa_system_sgpr_workgroup_id_x 1
		.amdhsa_system_sgpr_workgroup_id_y 0
		.amdhsa_system_sgpr_workgroup_id_z 1
		.amdhsa_system_sgpr_workgroup_info 0
		.amdhsa_system_vgpr_workitem_id 1
		.amdhsa_next_free_vgpr 21
		.amdhsa_next_free_sgpr 34
		.amdhsa_reserve_vcc 1
		.amdhsa_float_round_mode_32 0
		.amdhsa_float_round_mode_16_64 0
		.amdhsa_float_denorm_mode_32 3
		.amdhsa_float_denorm_mode_16_64 3
		.amdhsa_dx10_clamp 1
		.amdhsa_ieee_mode 1
		.amdhsa_fp16_overflow 0
		.amdhsa_workgroup_processor_mode 1
		.amdhsa_memory_ordered 1
		.amdhsa_forward_progress 0
		.amdhsa_shared_vgpr_count 0
		.amdhsa_exception_fp_ieee_invalid_op 0
		.amdhsa_exception_fp_denorm_src 0
		.amdhsa_exception_fp_ieee_div_zero 0
		.amdhsa_exception_fp_ieee_overflow 0
		.amdhsa_exception_fp_ieee_underflow 0
		.amdhsa_exception_fp_ieee_inexact 0
		.amdhsa_exception_int_div_zero 0
	.end_amdhsa_kernel
	.section	.text._ZL20rocblas_gemvn_kernelILi64ELi16ElPK19rocblas_complex_numIdES1_KPS1_EviiT3_lPKT2_lT1_lS9_lSA_lS6_lPT4_lSA_li,"axG",@progbits,_ZL20rocblas_gemvn_kernelILi64ELi16ElPK19rocblas_complex_numIdES1_KPS1_EviiT3_lPKT2_lT1_lS9_lSA_lS6_lPT4_lSA_li,comdat
.Lfunc_end349:
	.size	_ZL20rocblas_gemvn_kernelILi64ELi16ElPK19rocblas_complex_numIdES1_KPS1_EviiT3_lPKT2_lT1_lS9_lSA_lS6_lPT4_lSA_li, .Lfunc_end349-_ZL20rocblas_gemvn_kernelILi64ELi16ElPK19rocblas_complex_numIdES1_KPS1_EviiT3_lPKT2_lT1_lS9_lSA_lS6_lPT4_lSA_li
                                        ; -- End function
	.section	.AMDGPU.csdata,"",@progbits
; Kernel info:
; codeLenInByte = 2272
; NumSgprs: 36
; NumVgprs: 21
; ScratchSize: 0
; MemoryBound: 1
; FloatMode: 240
; IeeeMode: 1
; LDSByteSize: 16384 bytes/workgroup (compile time only)
; SGPRBlocks: 4
; VGPRBlocks: 2
; NumSGPRsForWavesPerEU: 36
; NumVGPRsForWavesPerEU: 21
; Occupancy: 16
; WaveLimiterHint : 1
; COMPUTE_PGM_RSRC2:SCRATCH_EN: 0
; COMPUTE_PGM_RSRC2:USER_SGPR: 14
; COMPUTE_PGM_RSRC2:TRAP_HANDLER: 0
; COMPUTE_PGM_RSRC2:TGID_X_EN: 1
; COMPUTE_PGM_RSRC2:TGID_Y_EN: 0
; COMPUTE_PGM_RSRC2:TGID_Z_EN: 1
; COMPUTE_PGM_RSRC2:TIDIG_COMP_CNT: 1
	.section	.text._ZL22rocblas_gemvtsm_kernelILb0ELi256EPK19rocblas_complex_numIdES3_KPS1_EviiT2_lPKT1_lilS9_lilS6_lPT3_lil,"axG",@progbits,_ZL22rocblas_gemvtsm_kernelILb0ELi256EPK19rocblas_complex_numIdES3_KPS1_EviiT2_lPKT1_lilS9_lilS6_lPT3_lil,comdat
	.globl	_ZL22rocblas_gemvtsm_kernelILb0ELi256EPK19rocblas_complex_numIdES3_KPS1_EviiT2_lPKT1_lilS9_lilS6_lPT3_lil ; -- Begin function _ZL22rocblas_gemvtsm_kernelILb0ELi256EPK19rocblas_complex_numIdES3_KPS1_EviiT2_lPKT1_lilS9_lilS6_lPT3_lil
	.p2align	8
	.type	_ZL22rocblas_gemvtsm_kernelILb0ELi256EPK19rocblas_complex_numIdES3_KPS1_EviiT2_lPKT1_lilS9_lilS6_lPT3_lil,@function
_ZL22rocblas_gemvtsm_kernelILb0ELi256EPK19rocblas_complex_numIdES3_KPS1_EviiT2_lPKT1_lilS9_lilS6_lPT3_lil: ; @_ZL22rocblas_gemvtsm_kernelILb0ELi256EPK19rocblas_complex_numIdES3_KPS1_EviiT2_lPKT1_lilS9_lilS6_lPT3_lil
; %bb.0:
	s_mov_b32 s2, s15
	s_load_b256 s[8:15], s[0:1], 0x8
	s_mov_b64 s[20:21], 0
	s_mov_b32 s24, -1
	s_waitcnt lgkmcnt(0)
	s_mul_i32 s3, s2, s11
	s_mul_hi_u32 s5, s2, s10
	s_mul_i32 s4, s2, s10
	s_add_i32 s5, s5, s3
	s_delay_alu instid0(SALU_CYCLE_1) | instskip(NEXT) | instid1(SALU_CYCLE_1)
	s_lshl_b64 s[4:5], s[4:5], 4
	s_add_u32 s4, s8, s4
	s_addc_u32 s5, s9, s5
	s_load_b128 s[16:19], s[4:5], 0x0
	s_load_b256 s[4:11], s[0:1], 0x58
	s_waitcnt lgkmcnt(0)
	v_cmp_neq_f64_e64 s22, s[16:17], 0
	v_cmp_neq_f64_e64 s23, s[18:19], 0
	s_mul_i32 s3, s2, s7
	s_mul_hi_u32 s7, s2, s6
	s_mul_i32 s6, s2, s6
	s_add_i32 s7, s7, s3
	s_mov_b32 s3, 0
	s_lshl_b64 s[6:7], s[6:7], 4
	s_delay_alu instid0(SALU_CYCLE_1) | instskip(SKIP_2) | instid1(VALU_DEP_1)
	s_add_u32 s4, s4, s6
	s_addc_u32 s5, s5, s7
	s_load_b128 s[4:7], s[4:5], 0x0
	s_or_b32 s22, s22, s23
	s_mov_b32 s23, s3
	s_and_b32 vcc_lo, exec_lo, s22
	s_cbranch_vccz .LBB350_3
; %bb.1:
	s_and_not1_b32 vcc_lo, exec_lo, s24
	s_cbranch_vccz .LBB350_4
.LBB350_2:
	s_and_not1_b32 vcc_lo, exec_lo, s23
	s_cbranch_vccz .LBB350_5
	s_branch .LBB350_40
.LBB350_3:
	s_waitcnt lgkmcnt(0)
	v_cmp_neq_f64_e64 s23, s[4:5], 1.0
	v_cmp_neq_f64_e64 s24, s[6:7], 0
	s_delay_alu instid0(VALU_DEP_1)
	s_or_b32 s23, s23, s24
	s_cbranch_execnz .LBB350_2
.LBB350_4:
	s_lshl_b64 s[20:21], s[2:3], 3
	s_delay_alu instid0(SALU_CYCLE_1)
	s_add_u32 s12, s12, s20
	s_addc_u32 s13, s13, s21
	s_lshl_b64 s[14:15], s[14:15], 4
	s_load_b64 s[12:13], s[12:13], 0x0
	s_waitcnt lgkmcnt(0)
	s_add_u32 s20, s12, s14
	s_addc_u32 s21, s13, s15
.LBB350_5:
	v_cndmask_b32_e64 v1, 0, 1, s22
	s_xor_b32 s22, s22, -1
	s_mov_b64 s[14:15], 0
	s_delay_alu instid0(VALU_DEP_1)
	v_cmp_ne_u32_e32 vcc_lo, 1, v1
	s_cbranch_vccnz .LBB350_7
; %bb.6:
	s_load_b128 s[12:15], s[0:1], 0x38
	s_lshl_b64 s[24:25], s[2:3], 3
	s_waitcnt lgkmcnt(0)
	s_add_u32 s12, s12, s24
	s_addc_u32 s13, s13, s25
	s_lshl_b64 s[14:15], s[14:15], 4
	s_load_b64 s[12:13], s[12:13], 0x0
	s_waitcnt lgkmcnt(0)
	s_add_u32 s14, s12, s14
	s_addc_u32 s15, s13, s15
.LBB350_7:
	s_lshl_b64 s[2:3], s[2:3], 3
	s_delay_alu instid0(SALU_CYCLE_1)
	s_add_u32 s12, s8, s2
	s_addc_u32 s13, s9, s3
	s_clause 0x1
	s_load_b64 s[2:3], s[0:1], 0x0
	s_load_b32 s8, s[0:1], 0x78
	s_load_b64 s[12:13], s[12:13], 0x0
	s_and_not1_b32 vcc_lo, exec_lo, s22
	s_mov_b32 s9, -1
	s_cbranch_vccnz .LBB350_22
; %bb.8:
	s_waitcnt lgkmcnt(0)
	v_cmp_neq_f64_e64 s9, s[4:5], 0
	v_cmp_neq_f64_e64 s22, s[6:7], 0
	s_delay_alu instid0(VALU_DEP_1)
	s_or_b32 s9, s9, s22
	s_cmp_gt_i32 s3, 0
	s_cselect_b32 s24, -1, 0
	s_and_b32 vcc_lo, exec_lo, s9
	s_mov_b32 s9, -1
	s_cbranch_vccnz .LBB350_15
; %bb.9:
	s_and_not1_b32 vcc_lo, exec_lo, s24
	s_cbranch_vccnz .LBB350_14
; %bb.10:
	v_mad_i64_i32 v[1:2], null, s8, v0, 0
	s_lshl_b64 s[22:23], s[10:11], 4
	s_ashr_i32 s9, s8, 31
	s_add_u32 s22, s12, s22
	s_addc_u32 s23, s13, s23
	s_delay_alu instid0(VALU_DEP_1) | instskip(NEXT) | instid1(VALU_DEP_1)
	v_lshlrev_b64 v[1:2], 4, v[1:2]
	v_add_co_u32 v1, vcc_lo, s22, v1
	s_delay_alu instid0(VALU_DEP_2) | instskip(SKIP_1) | instid1(VALU_DEP_2)
	v_add_co_ci_u32_e32 v2, vcc_lo, s23, v2, vcc_lo
	s_lshl_b64 s[22:23], s[8:9], 12
	v_add_co_u32 v5, vcc_lo, v1, 8
	s_delay_alu instid0(VALU_DEP_2)
	v_add_co_ci_u32_e32 v6, vcc_lo, 0, v2, vcc_lo
	v_mov_b32_e32 v1, 0
	s_mov_b32 s9, 0
	s_branch .LBB350_12
	.p2align	6
.LBB350_11:                             ;   in Loop: Header=BB350_12 Depth=1
	s_or_b32 exec_lo, exec_lo, s25
	v_add_co_u32 v5, vcc_lo, v5, s22
	v_add_co_ci_u32_e32 v6, vcc_lo, s23, v6, vcc_lo
	s_addk_i32 s9, 0x100
	s_delay_alu instid0(SALU_CYCLE_1)
	s_cmp_ge_i32 s9, s3
	s_cbranch_scc1 .LBB350_14
.LBB350_12:                             ; =>This Inner Loop Header: Depth=1
	v_add_nc_u32_e32 v2, s9, v0
	s_mov_b32 s25, exec_lo
	s_delay_alu instid0(VALU_DEP_1)
	v_cmpx_gt_i32_e64 s3, v2
	s_cbranch_execz .LBB350_11
; %bb.13:                               ;   in Loop: Header=BB350_12 Depth=1
	v_mov_b32_e32 v2, v1
	v_mov_b32_e32 v3, v1
	;; [unrolled: 1-line block ×3, first 2 shown]
	global_store_b128 v[5:6], v[1:4], off offset:-8
	s_branch .LBB350_11
.LBB350_14:
	s_mov_b32 s9, 0
.LBB350_15:
	s_delay_alu instid0(SALU_CYCLE_1)
	s_and_not1_b32 vcc_lo, exec_lo, s9
	s_cbranch_vccnz .LBB350_21
; %bb.16:
	s_and_not1_b32 vcc_lo, exec_lo, s24
	s_cbranch_vccnz .LBB350_21
; %bb.17:
	v_mad_i64_i32 v[1:2], null, s8, v0, 0
	s_lshl_b64 s[22:23], s[10:11], 4
	s_ashr_i32 s9, s8, 31
	s_add_u32 s22, s12, s22
	s_addc_u32 s23, s13, s23
	s_delay_alu instid0(VALU_DEP_1) | instskip(NEXT) | instid1(VALU_DEP_1)
	v_lshlrev_b64 v[1:2], 4, v[1:2]
	v_add_co_u32 v1, vcc_lo, s22, v1
	s_delay_alu instid0(VALU_DEP_2) | instskip(SKIP_1) | instid1(VALU_DEP_2)
	v_add_co_ci_u32_e32 v2, vcc_lo, s23, v2, vcc_lo
	s_lshl_b64 s[22:23], s[8:9], 12
	v_add_co_u32 v1, vcc_lo, v1, 8
	s_delay_alu instid0(VALU_DEP_2)
	v_add_co_ci_u32_e32 v2, vcc_lo, 0, v2, vcc_lo
	s_mov_b32 s9, 0
	s_set_inst_prefetch_distance 0x1
	s_branch .LBB350_19
	.p2align	6
.LBB350_18:                             ;   in Loop: Header=BB350_19 Depth=1
	s_or_b32 exec_lo, exec_lo, s24
	v_add_co_u32 v1, vcc_lo, v1, s22
	v_add_co_ci_u32_e32 v2, vcc_lo, s23, v2, vcc_lo
	s_addk_i32 s9, 0x100
	s_delay_alu instid0(SALU_CYCLE_1)
	s_cmp_ge_i32 s9, s3
	s_cbranch_scc1 .LBB350_21
.LBB350_19:                             ; =>This Inner Loop Header: Depth=1
	v_add_nc_u32_e32 v3, s9, v0
	s_mov_b32 s24, exec_lo
	s_delay_alu instid0(VALU_DEP_1)
	v_cmpx_gt_i32_e64 s3, v3
	s_cbranch_execz .LBB350_18
; %bb.20:                               ;   in Loop: Header=BB350_19 Depth=1
	global_load_b128 v[3:6], v[1:2], off offset:-8
	s_waitcnt vmcnt(0)
	v_mul_f64 v[7:8], s[6:7], v[5:6]
	v_mul_f64 v[9:10], s[4:5], v[5:6]
	s_delay_alu instid0(VALU_DEP_2) | instskip(NEXT) | instid1(VALU_DEP_2)
	v_fma_f64 v[5:6], s[4:5], v[3:4], -v[7:8]
	v_fma_f64 v[7:8], s[6:7], v[3:4], v[9:10]
	global_store_b128 v[1:2], v[5:8], off offset:-8
	s_branch .LBB350_18
.LBB350_21:
	s_set_inst_prefetch_distance 0x2
	s_mov_b32 s9, 0
.LBB350_22:
	s_delay_alu instid0(SALU_CYCLE_1)
	s_and_not1_b32 vcc_lo, exec_lo, s9
	s_cbranch_vccnz .LBB350_40
; %bb.23:
	s_mov_b32 s9, exec_lo
	s_waitcnt lgkmcnt(0)
	v_cmpx_gt_i32_e64 s2, v0
	s_cbranch_execz .LBB350_25
; %bb.24:
	s_load_b32 s22, s[0:1], 0x48
	s_waitcnt lgkmcnt(0)
	v_mad_i64_i32 v[1:2], null, s22, v0, 0
	s_delay_alu instid0(VALU_DEP_1) | instskip(NEXT) | instid1(VALU_DEP_1)
	v_lshlrev_b64 v[1:2], 4, v[1:2]
	v_add_co_u32 v1, vcc_lo, s14, v1
	s_delay_alu instid0(VALU_DEP_2) | instskip(SKIP_4) | instid1(VALU_DEP_2)
	v_add_co_ci_u32_e32 v2, vcc_lo, s15, v2, vcc_lo
	flat_load_b128 v[1:4], v[1:2]
	s_waitcnt vmcnt(0) lgkmcnt(0)
	v_mul_f64 v[5:6], s[18:19], v[3:4]
	v_mul_f64 v[7:8], s[16:17], v[3:4]
	v_fma_f64 v[3:4], s[16:17], v[1:2], -v[5:6]
	s_delay_alu instid0(VALU_DEP_2)
	v_fma_f64 v[5:6], s[18:19], v[1:2], v[7:8]
	v_lshlrev_b32_e32 v1, 4, v0
	ds_store_b128 v1, v[3:6]
.LBB350_25:
	s_or_b32 exec_lo, exec_lo, s9
	s_cmp_lt_i32 s3, 1
	s_waitcnt lgkmcnt(0)
	s_waitcnt_vscnt null, 0x0
	s_barrier
	buffer_gl0_inv
	s_cbranch_scc1 .LBB350_40
; %bb.26:
	v_cmp_neq_f64_e64 s16, s[4:5], 0
	v_cmp_neq_f64_e64 s17, s[6:7], 0
	s_load_b32 s22, s[0:1], 0x28
	s_lshl_b64 s[10:11], s[10:11], 4
	s_mov_b32 s1, 0
	s_add_u32 s9, s12, s10
	s_addc_u32 s14, s13, s11
	s_ashr_i32 s15, s8, 31
	s_waitcnt lgkmcnt(0)
	v_mad_i64_i32 v[1:2], null, s22, v0, 0
	s_ashr_i32 s23, s22, 31
	s_delay_alu instid0(VALU_DEP_1) | instskip(NEXT) | instid1(VALU_DEP_1)
	v_lshlrev_b64 v[1:2], 4, v[1:2]
	v_add_co_u32 v5, vcc_lo, s20, v1
	s_delay_alu instid0(VALU_DEP_2)
	v_add_co_ci_u32_e32 v6, vcc_lo, s21, v2, vcc_lo
	s_or_b32 s16, s16, s17
	s_cmp_gt_i32 s2, 0
	s_mov_b32 s21, 0
	s_cselect_b32 s17, -1, 0
	s_and_b32 s18, s2, 7
	s_cmp_gt_u32 s2, 7
	s_cselect_b32 s19, -1, 0
	s_and_b32 s2, s2, 0x7ffffff8
	s_cmp_lg_u32 s18, 0
	s_cselect_b32 s20, -1, 0
	s_lshl_b64 s[10:11], s[22:23], 12
	s_branch .LBB350_29
.LBB350_27:                             ;   in Loop: Header=BB350_29 Depth=1
	s_delay_alu instid0(VALU_DEP_2)
	v_add_co_u32 v7, vcc_lo, s9, v7
	v_add_co_ci_u32_e32 v8, vcc_lo, s14, v8, vcc_lo
	global_store_b128 v[7:8], v[1:4], off
.LBB350_28:                             ;   in Loop: Header=BB350_29 Depth=1
	s_or_b32 exec_lo, exec_lo, s22
	v_add_co_u32 v5, vcc_lo, v5, s10
	v_add_co_ci_u32_e32 v6, vcc_lo, s11, v6, vcc_lo
	s_addk_i32 s21, 0x100
	s_delay_alu instid0(SALU_CYCLE_1)
	s_cmp_ge_i32 s21, s3
	s_cbranch_scc1 .LBB350_40
.LBB350_29:                             ; =>This Loop Header: Depth=1
                                        ;     Child Loop BB350_35 Depth 2
                                        ;     Child Loop BB350_39 Depth 2
	v_add_nc_u32_e32 v1, s21, v0
	s_mov_b32 s22, exec_lo
	s_delay_alu instid0(VALU_DEP_1)
	v_cmpx_gt_i32_e64 s3, v1
	s_cbranch_execz .LBB350_28
; %bb.30:                               ;   in Loop: Header=BB350_29 Depth=1
	v_mad_u64_u32 v[3:4], null, v1, s8, 0
	s_and_not1_b32 vcc_lo, exec_lo, s16
	s_delay_alu instid0(VALU_DEP_1) | instskip(NEXT) | instid1(VALU_DEP_1)
	v_mov_b32_e32 v2, v4
	v_mad_u64_u32 v[7:8], null, v1, s15, v[2:3]
	v_mov_b32_e32 v1, 0
	v_mov_b32_e32 v2, 0
	s_delay_alu instid0(VALU_DEP_3) | instskip(NEXT) | instid1(VALU_DEP_1)
	v_mov_b32_e32 v4, v7
	v_lshlrev_b64 v[7:8], 4, v[3:4]
	s_delay_alu instid0(VALU_DEP_3)
	v_dual_mov_b32 v4, v2 :: v_dual_mov_b32 v3, v1
	s_cbranch_vccnz .LBB350_32
; %bb.31:                               ;   in Loop: Header=BB350_29 Depth=1
	s_delay_alu instid0(VALU_DEP_2) | instskip(NEXT) | instid1(VALU_DEP_3)
	v_add_co_u32 v1, vcc_lo, s9, v7
	v_add_co_ci_u32_e32 v2, vcc_lo, s14, v8, vcc_lo
	global_load_b128 v[9:12], v[1:2], off
	s_waitcnt vmcnt(0)
	v_mul_f64 v[1:2], s[6:7], v[11:12]
	v_mul_f64 v[3:4], s[4:5], v[11:12]
	s_delay_alu instid0(VALU_DEP_2) | instskip(NEXT) | instid1(VALU_DEP_2)
	v_fma_f64 v[1:2], s[4:5], v[9:10], -v[1:2]
	v_fma_f64 v[3:4], s[6:7], v[9:10], v[3:4]
.LBB350_32:                             ;   in Loop: Header=BB350_29 Depth=1
	s_and_not1_b32 vcc_lo, exec_lo, s17
	s_cbranch_vccnz .LBB350_27
; %bb.33:                               ;   in Loop: Header=BB350_29 Depth=1
	s_and_not1_b32 vcc_lo, exec_lo, s19
	s_cbranch_vccnz .LBB350_37
; %bb.34:                               ;   in Loop: Header=BB350_29 Depth=1
	v_dual_mov_b32 v10, v6 :: v_dual_mov_b32 v9, v5
	s_mov_b32 s0, 0
	s_mov_b32 s12, 0
.LBB350_35:                             ;   Parent Loop BB350_29 Depth=1
                                        ; =>  This Inner Loop Header: Depth=2
	s_clause 0x7
	flat_load_b128 v[11:14], v[9:10]
	flat_load_b128 v[15:18], v[9:10] offset:16
	flat_load_b128 v[19:22], v[9:10] offset:32
	;; [unrolled: 1-line block ×7, first 2 shown]
	v_mov_b32_e32 v59, s0
	v_add_co_u32 v9, vcc_lo, 0x80, v9
	v_add_co_ci_u32_e32 v10, vcc_lo, 0, v10, vcc_lo
	ds_load_b128 v[43:46], v59
	ds_load_b128 v[47:50], v59 offset:16
	s_add_i32 s12, s12, 8
	s_addk_i32 s0, 0x80
	s_cmp_eq_u32 s2, s12
	s_waitcnt vmcnt(7) lgkmcnt(1)
	v_mul_f64 v[51:52], v[13:14], v[45:46]
	v_mul_f64 v[45:46], v[11:12], v[45:46]
	s_waitcnt vmcnt(6) lgkmcnt(0)
	v_mul_f64 v[53:54], v[17:18], v[49:50]
	v_mul_f64 v[49:50], v[15:16], v[49:50]
	s_delay_alu instid0(VALU_DEP_4) | instskip(NEXT) | instid1(VALU_DEP_4)
	v_fma_f64 v[51:52], v[11:12], v[43:44], -v[51:52]
	v_fma_f64 v[55:56], v[13:14], v[43:44], v[45:46]
	ds_load_b128 v[11:14], v59 offset:32
	ds_load_b128 v[43:46], v59 offset:48
	v_fma_f64 v[15:16], v[15:16], v[47:48], -v[53:54]
	v_fma_f64 v[17:18], v[17:18], v[47:48], v[49:50]
	s_waitcnt vmcnt(5) lgkmcnt(1)
	v_mul_f64 v[57:58], v[21:22], v[13:14]
	v_mul_f64 v[13:14], v[19:20], v[13:14]
	s_waitcnt vmcnt(4) lgkmcnt(0)
	v_mul_f64 v[47:48], v[25:26], v[45:46]
	v_mul_f64 v[45:46], v[23:24], v[45:46]
	v_add_f64 v[1:2], v[1:2], v[51:52]
	v_add_f64 v[3:4], v[3:4], v[55:56]
	v_fma_f64 v[19:20], v[19:20], v[11:12], -v[57:58]
	v_fma_f64 v[21:22], v[21:22], v[11:12], v[13:14]
	v_fma_f64 v[23:24], v[23:24], v[43:44], -v[47:48]
	v_fma_f64 v[25:26], v[25:26], v[43:44], v[45:46]
	v_add_f64 v[15:16], v[1:2], v[15:16]
	v_add_f64 v[17:18], v[3:4], v[17:18]
	ds_load_b128 v[1:4], v59 offset:64
	ds_load_b128 v[11:14], v59 offset:80
	s_waitcnt vmcnt(3) lgkmcnt(1)
	v_mul_f64 v[49:50], v[29:30], v[3:4]
	v_mul_f64 v[3:4], v[27:28], v[3:4]
	v_add_f64 v[15:16], v[15:16], v[19:20]
	v_add_f64 v[17:18], v[17:18], v[21:22]
	s_waitcnt vmcnt(2) lgkmcnt(0)
	v_mul_f64 v[19:20], v[33:34], v[13:14]
	v_mul_f64 v[21:22], v[31:32], v[13:14]
	v_fma_f64 v[27:28], v[27:28], v[1:2], -v[49:50]
	v_fma_f64 v[29:30], v[29:30], v[1:2], v[3:4]
	v_add_f64 v[23:24], v[15:16], v[23:24]
	v_add_f64 v[17:18], v[17:18], v[25:26]
	ds_load_b128 v[1:4], v59 offset:96
	ds_load_b128 v[13:16], v59 offset:112
	v_fma_f64 v[19:20], v[31:32], v[11:12], -v[19:20]
	v_fma_f64 v[11:12], v[33:34], v[11:12], v[21:22]
	s_waitcnt vmcnt(1) lgkmcnt(1)
	v_mul_f64 v[25:26], v[37:38], v[3:4]
	v_mul_f64 v[3:4], v[35:36], v[3:4]
	v_add_f64 v[21:22], v[23:24], v[27:28]
	v_add_f64 v[17:18], v[17:18], v[29:30]
	s_waitcnt vmcnt(0) lgkmcnt(0)
	v_mul_f64 v[23:24], v[41:42], v[15:16]
	v_mul_f64 v[15:16], v[39:40], v[15:16]
	v_fma_f64 v[25:26], v[35:36], v[1:2], -v[25:26]
	v_fma_f64 v[1:2], v[37:38], v[1:2], v[3:4]
	v_add_f64 v[3:4], v[21:22], v[19:20]
	v_add_f64 v[11:12], v[17:18], v[11:12]
	v_fma_f64 v[17:18], v[39:40], v[13:14], -v[23:24]
	v_fma_f64 v[13:14], v[41:42], v[13:14], v[15:16]
	s_delay_alu instid0(VALU_DEP_4) | instskip(NEXT) | instid1(VALU_DEP_4)
	v_add_f64 v[3:4], v[3:4], v[25:26]
	v_add_f64 v[11:12], v[11:12], v[1:2]
	s_delay_alu instid0(VALU_DEP_2) | instskip(NEXT) | instid1(VALU_DEP_2)
	v_add_f64 v[1:2], v[3:4], v[17:18]
	v_add_f64 v[3:4], v[11:12], v[13:14]
	s_cbranch_scc0 .LBB350_35
; %bb.36:                               ;   in Loop: Header=BB350_29 Depth=1
	s_mov_b32 s0, s2
	s_and_not1_b32 vcc_lo, exec_lo, s20
	s_cbranch_vccz .LBB350_38
	s_branch .LBB350_27
.LBB350_37:                             ;   in Loop: Header=BB350_29 Depth=1
	s_mov_b32 s0, 0
	s_and_not1_b32 vcc_lo, exec_lo, s20
	s_cbranch_vccnz .LBB350_27
.LBB350_38:                             ;   in Loop: Header=BB350_29 Depth=1
	s_lshl_b32 s23, s0, 4
	s_lshl_b64 s[12:13], s[0:1], 4
	s_mov_b32 s0, s18
	.p2align	6
.LBB350_39:                             ;   Parent Loop BB350_29 Depth=1
                                        ; =>  This Inner Loop Header: Depth=2
	v_add_co_u32 v9, vcc_lo, v5, s12
	v_add_co_ci_u32_e32 v10, vcc_lo, s13, v6, vcc_lo
	v_mov_b32_e32 v13, s23
	s_add_i32 s23, s23, 16
	s_add_u32 s12, s12, 16
	flat_load_b128 v[9:12], v[9:10]
	s_addc_u32 s13, s13, 0
	ds_load_b128 v[13:16], v13
	s_add_i32 s0, s0, -1
	s_delay_alu instid0(SALU_CYCLE_1) | instskip(SKIP_3) | instid1(VALU_DEP_2)
	s_cmp_lg_u32 s0, 0
	s_waitcnt vmcnt(0) lgkmcnt(0)
	v_mul_f64 v[17:18], v[11:12], v[15:16]
	v_mul_f64 v[15:16], v[9:10], v[15:16]
	v_fma_f64 v[9:10], v[9:10], v[13:14], -v[17:18]
	s_delay_alu instid0(VALU_DEP_2) | instskip(NEXT) | instid1(VALU_DEP_2)
	v_fma_f64 v[11:12], v[11:12], v[13:14], v[15:16]
	v_add_f64 v[1:2], v[1:2], v[9:10]
	s_delay_alu instid0(VALU_DEP_2)
	v_add_f64 v[3:4], v[3:4], v[11:12]
	s_cbranch_scc1 .LBB350_39
	s_branch .LBB350_27
.LBB350_40:
	s_nop 0
	s_sendmsg sendmsg(MSG_DEALLOC_VGPRS)
	s_endpgm
	.section	.rodata,"a",@progbits
	.p2align	6, 0x0
	.amdhsa_kernel _ZL22rocblas_gemvtsm_kernelILb0ELi256EPK19rocblas_complex_numIdES3_KPS1_EviiT2_lPKT1_lilS9_lilS6_lPT3_lil
		.amdhsa_group_segment_fixed_size 1024
		.amdhsa_private_segment_fixed_size 0
		.amdhsa_kernarg_size 136
		.amdhsa_user_sgpr_count 15
		.amdhsa_user_sgpr_dispatch_ptr 0
		.amdhsa_user_sgpr_queue_ptr 0
		.amdhsa_user_sgpr_kernarg_segment_ptr 1
		.amdhsa_user_sgpr_dispatch_id 0
		.amdhsa_user_sgpr_private_segment_size 0
		.amdhsa_wavefront_size32 1
		.amdhsa_uses_dynamic_stack 0
		.amdhsa_enable_private_segment 0
		.amdhsa_system_sgpr_workgroup_id_x 1
		.amdhsa_system_sgpr_workgroup_id_y 0
		.amdhsa_system_sgpr_workgroup_id_z 0
		.amdhsa_system_sgpr_workgroup_info 0
		.amdhsa_system_vgpr_workitem_id 0
		.amdhsa_next_free_vgpr 60
		.amdhsa_next_free_sgpr 26
		.amdhsa_reserve_vcc 1
		.amdhsa_float_round_mode_32 0
		.amdhsa_float_round_mode_16_64 0
		.amdhsa_float_denorm_mode_32 3
		.amdhsa_float_denorm_mode_16_64 3
		.amdhsa_dx10_clamp 1
		.amdhsa_ieee_mode 1
		.amdhsa_fp16_overflow 0
		.amdhsa_workgroup_processor_mode 1
		.amdhsa_memory_ordered 1
		.amdhsa_forward_progress 0
		.amdhsa_shared_vgpr_count 0
		.amdhsa_exception_fp_ieee_invalid_op 0
		.amdhsa_exception_fp_denorm_src 0
		.amdhsa_exception_fp_ieee_div_zero 0
		.amdhsa_exception_fp_ieee_overflow 0
		.amdhsa_exception_fp_ieee_underflow 0
		.amdhsa_exception_fp_ieee_inexact 0
		.amdhsa_exception_int_div_zero 0
	.end_amdhsa_kernel
	.section	.text._ZL22rocblas_gemvtsm_kernelILb0ELi256EPK19rocblas_complex_numIdES3_KPS1_EviiT2_lPKT1_lilS9_lilS6_lPT3_lil,"axG",@progbits,_ZL22rocblas_gemvtsm_kernelILb0ELi256EPK19rocblas_complex_numIdES3_KPS1_EviiT2_lPKT1_lilS9_lilS6_lPT3_lil,comdat
.Lfunc_end350:
	.size	_ZL22rocblas_gemvtsm_kernelILb0ELi256EPK19rocblas_complex_numIdES3_KPS1_EviiT2_lPKT1_lilS9_lilS6_lPT3_lil, .Lfunc_end350-_ZL22rocblas_gemvtsm_kernelILb0ELi256EPK19rocblas_complex_numIdES3_KPS1_EviiT2_lPKT1_lilS9_lilS6_lPT3_lil
                                        ; -- End function
	.section	.AMDGPU.csdata,"",@progbits
; Kernel info:
; codeLenInByte = 2156
; NumSgprs: 28
; NumVgprs: 60
; ScratchSize: 0
; MemoryBound: 0
; FloatMode: 240
; IeeeMode: 1
; LDSByteSize: 1024 bytes/workgroup (compile time only)
; SGPRBlocks: 3
; VGPRBlocks: 7
; NumSGPRsForWavesPerEU: 28
; NumVGPRsForWavesPerEU: 60
; Occupancy: 16
; WaveLimiterHint : 1
; COMPUTE_PGM_RSRC2:SCRATCH_EN: 0
; COMPUTE_PGM_RSRC2:USER_SGPR: 15
; COMPUTE_PGM_RSRC2:TRAP_HANDLER: 0
; COMPUTE_PGM_RSRC2:TGID_X_EN: 1
; COMPUTE_PGM_RSRC2:TGID_Y_EN: 0
; COMPUTE_PGM_RSRC2:TGID_Z_EN: 0
; COMPUTE_PGM_RSRC2:TIDIG_COMP_CNT: 0
	.section	.text._ZL22rocblas_gemvtsm_kernelILb0ELi256EPK19rocblas_complex_numIdES1_KPS1_EviiT2_lPKT1_lilS9_lilS6_lPT3_lil,"axG",@progbits,_ZL22rocblas_gemvtsm_kernelILb0ELi256EPK19rocblas_complex_numIdES1_KPS1_EviiT2_lPKT1_lilS9_lilS6_lPT3_lil,comdat
	.globl	_ZL22rocblas_gemvtsm_kernelILb0ELi256EPK19rocblas_complex_numIdES1_KPS1_EviiT2_lPKT1_lilS9_lilS6_lPT3_lil ; -- Begin function _ZL22rocblas_gemvtsm_kernelILb0ELi256EPK19rocblas_complex_numIdES1_KPS1_EviiT2_lPKT1_lilS9_lilS6_lPT3_lil
	.p2align	8
	.type	_ZL22rocblas_gemvtsm_kernelILb0ELi256EPK19rocblas_complex_numIdES1_KPS1_EviiT2_lPKT1_lilS9_lilS6_lPT3_lil,@function
_ZL22rocblas_gemvtsm_kernelILb0ELi256EPK19rocblas_complex_numIdES1_KPS1_EviiT2_lPKT1_lilS9_lilS6_lPT3_lil: ; @_ZL22rocblas_gemvtsm_kernelILb0ELi256EPK19rocblas_complex_numIdES1_KPS1_EviiT2_lPKT1_lilS9_lilS6_lPT3_lil
; %bb.0:
	s_clause 0x1
	s_load_b128 s[8:11], s[0:1], 0x8
	s_load_b128 s[4:7], s[0:1], 0x60
	s_mov_b32 s2, s15
	s_waitcnt lgkmcnt(0)
	v_cmp_neq_f64_e64 s3, s[8:9], 0
	v_cmp_neq_f64_e64 s12, s[10:11], 0
	s_delay_alu instid0(VALU_DEP_1)
	s_or_b32 s12, s3, s12
	s_mov_b32 s3, -1
	s_and_b32 vcc_lo, exec_lo, s12
	s_cbranch_vccnz .LBB351_2
; %bb.1:
	v_cmp_neq_f64_e64 s3, s[4:5], 1.0
	v_cmp_neq_f64_e64 s13, s[6:7], 0
	s_delay_alu instid0(VALU_DEP_1)
	s_or_b32 s3, s3, s13
.LBB351_2:
	s_delay_alu instid0(SALU_CYCLE_1)
	s_and_not1_b32 vcc_lo, exec_lo, s3
	s_cbranch_vccnz .LBB351_42
; %bb.3:
	s_xor_b32 s3, s12, -1
	s_delay_alu instid0(SALU_CYCLE_1)
	v_cndmask_b32_e64 v1, 0, 1, s3
	s_and_not1_b32 vcc_lo, exec_lo, s3
	s_cbranch_vccnz .LBB351_5
; %bb.4:
	s_mov_b32 s3, 0
	s_mov_b64 s[16:17], 0
	s_cbranch_execz .LBB351_6
	s_branch .LBB351_7
.LBB351_5:
	s_mov_b32 s3, -1
                                        ; implicit-def: $sgpr16_sgpr17
.LBB351_6:
	s_load_b128 s[16:19], s[0:1], 0x20
	s_mov_b32 s3, 0
	s_delay_alu instid0(SALU_CYCLE_1)
	s_lshl_b64 s[14:15], s[2:3], 3
	s_waitcnt lgkmcnt(0)
	s_add_u32 s14, s16, s14
	s_addc_u32 s15, s17, s15
	s_lshl_b64 s[16:17], s[18:19], 4
	s_load_b64 s[14:15], s[14:15], 0x0
	s_waitcnt lgkmcnt(0)
	s_add_u32 s16, s14, s16
	s_addc_u32 s17, s15, s17
.LBB351_7:
	s_and_not1_b32 vcc_lo, exec_lo, s12
	s_mov_b64 s[20:21], 0
	s_cbranch_vccnz .LBB351_9
; %bb.8:
	s_load_b128 s[12:15], s[0:1], 0x40
	s_lshl_b64 s[18:19], s[2:3], 3
	s_waitcnt lgkmcnt(0)
	s_add_u32 s12, s12, s18
	s_addc_u32 s13, s13, s19
	s_lshl_b64 s[14:15], s[14:15], 4
	s_load_b64 s[12:13], s[12:13], 0x0
	s_waitcnt lgkmcnt(0)
	s_add_u32 s20, s12, s14
	s_addc_u32 s21, s13, s15
.LBB351_9:
	s_load_b128 s[12:15], s[0:1], 0x78
	s_lshl_b64 s[18:19], s[2:3], 3
	s_load_b64 s[2:3], s[0:1], 0x0
	v_cmp_ne_u32_e32 vcc_lo, 1, v1
	s_waitcnt lgkmcnt(0)
	s_add_u32 s18, s12, s18
	s_addc_u32 s19, s13, s19
	s_load_b32 s12, s[0:1], 0x88
	s_load_b64 s[18:19], s[18:19], 0x0
	s_mov_b32 s13, -1
	s_cbranch_vccnz .LBB351_24
; %bb.10:
	v_cmp_neq_f64_e64 s13, s[4:5], 0
	v_cmp_neq_f64_e64 s22, s[6:7], 0
	s_delay_alu instid0(VALU_DEP_1)
	s_or_b32 s13, s13, s22
	s_cmp_gt_i32 s3, 0
	s_cselect_b32 s24, -1, 0
	s_and_b32 vcc_lo, exec_lo, s13
	s_mov_b32 s13, -1
	s_cbranch_vccnz .LBB351_17
; %bb.11:
	s_and_not1_b32 vcc_lo, exec_lo, s24
	s_cbranch_vccnz .LBB351_16
; %bb.12:
	s_waitcnt lgkmcnt(0)
	v_mad_i64_i32 v[1:2], null, s12, v0, 0
	s_lshl_b64 s[22:23], s[14:15], 4
	s_ashr_i32 s13, s12, 31
	s_add_u32 s22, s18, s22
	s_addc_u32 s23, s19, s23
	s_delay_alu instid0(VALU_DEP_1) | instskip(NEXT) | instid1(VALU_DEP_1)
	v_lshlrev_b64 v[1:2], 4, v[1:2]
	v_add_co_u32 v1, vcc_lo, s22, v1
	s_delay_alu instid0(VALU_DEP_2) | instskip(SKIP_1) | instid1(VALU_DEP_2)
	v_add_co_ci_u32_e32 v2, vcc_lo, s23, v2, vcc_lo
	s_lshl_b64 s[22:23], s[12:13], 12
	v_add_co_u32 v5, vcc_lo, v1, 8
	s_delay_alu instid0(VALU_DEP_2)
	v_add_co_ci_u32_e32 v6, vcc_lo, 0, v2, vcc_lo
	v_mov_b32_e32 v1, 0
	s_mov_b32 s13, 0
	s_branch .LBB351_14
	.p2align	6
.LBB351_13:                             ;   in Loop: Header=BB351_14 Depth=1
	s_or_b32 exec_lo, exec_lo, s25
	v_add_co_u32 v5, vcc_lo, v5, s22
	v_add_co_ci_u32_e32 v6, vcc_lo, s23, v6, vcc_lo
	s_addk_i32 s13, 0x100
	s_delay_alu instid0(SALU_CYCLE_1)
	s_cmp_ge_i32 s13, s3
	s_cbranch_scc1 .LBB351_16
.LBB351_14:                             ; =>This Inner Loop Header: Depth=1
	v_add_nc_u32_e32 v2, s13, v0
	s_mov_b32 s25, exec_lo
	s_delay_alu instid0(VALU_DEP_1)
	v_cmpx_gt_i32_e64 s3, v2
	s_cbranch_execz .LBB351_13
; %bb.15:                               ;   in Loop: Header=BB351_14 Depth=1
	v_mov_b32_e32 v2, v1
	v_mov_b32_e32 v3, v1
	;; [unrolled: 1-line block ×3, first 2 shown]
	global_store_b128 v[5:6], v[1:4], off offset:-8
	s_branch .LBB351_13
.LBB351_16:
	s_mov_b32 s13, 0
.LBB351_17:
	s_delay_alu instid0(SALU_CYCLE_1)
	s_and_not1_b32 vcc_lo, exec_lo, s13
	s_cbranch_vccnz .LBB351_23
; %bb.18:
	s_and_not1_b32 vcc_lo, exec_lo, s24
	s_cbranch_vccnz .LBB351_23
; %bb.19:
	s_waitcnt lgkmcnt(0)
	v_mad_i64_i32 v[1:2], null, s12, v0, 0
	s_lshl_b64 s[22:23], s[14:15], 4
	s_ashr_i32 s13, s12, 31
	s_add_u32 s22, s18, s22
	s_addc_u32 s23, s19, s23
	s_delay_alu instid0(VALU_DEP_1) | instskip(NEXT) | instid1(VALU_DEP_1)
	v_lshlrev_b64 v[1:2], 4, v[1:2]
	v_add_co_u32 v1, vcc_lo, s22, v1
	s_delay_alu instid0(VALU_DEP_2) | instskip(SKIP_1) | instid1(VALU_DEP_2)
	v_add_co_ci_u32_e32 v2, vcc_lo, s23, v2, vcc_lo
	s_lshl_b64 s[22:23], s[12:13], 12
	v_add_co_u32 v1, vcc_lo, v1, 8
	s_delay_alu instid0(VALU_DEP_2)
	v_add_co_ci_u32_e32 v2, vcc_lo, 0, v2, vcc_lo
	s_mov_b32 s13, 0
	s_set_inst_prefetch_distance 0x1
	s_branch .LBB351_21
	.p2align	6
.LBB351_20:                             ;   in Loop: Header=BB351_21 Depth=1
	s_or_b32 exec_lo, exec_lo, s24
	v_add_co_u32 v1, vcc_lo, v1, s22
	v_add_co_ci_u32_e32 v2, vcc_lo, s23, v2, vcc_lo
	s_addk_i32 s13, 0x100
	s_delay_alu instid0(SALU_CYCLE_1)
	s_cmp_ge_i32 s13, s3
	s_cbranch_scc1 .LBB351_23
.LBB351_21:                             ; =>This Inner Loop Header: Depth=1
	v_add_nc_u32_e32 v3, s13, v0
	s_mov_b32 s24, exec_lo
	s_delay_alu instid0(VALU_DEP_1)
	v_cmpx_gt_i32_e64 s3, v3
	s_cbranch_execz .LBB351_20
; %bb.22:                               ;   in Loop: Header=BB351_21 Depth=1
	global_load_b128 v[3:6], v[1:2], off offset:-8
	s_waitcnt vmcnt(0)
	v_mul_f64 v[7:8], s[6:7], v[5:6]
	v_mul_f64 v[9:10], s[4:5], v[5:6]
	s_delay_alu instid0(VALU_DEP_2) | instskip(NEXT) | instid1(VALU_DEP_2)
	v_fma_f64 v[5:6], s[4:5], v[3:4], -v[7:8]
	v_fma_f64 v[7:8], s[6:7], v[3:4], v[9:10]
	global_store_b128 v[1:2], v[5:8], off offset:-8
	s_branch .LBB351_20
.LBB351_23:
	s_set_inst_prefetch_distance 0x2
	s_mov_b32 s13, 0
.LBB351_24:
	s_delay_alu instid0(SALU_CYCLE_1)
	s_and_not1_b32 vcc_lo, exec_lo, s13
	s_cbranch_vccnz .LBB351_42
; %bb.25:
	s_mov_b32 s13, exec_lo
	v_cmpx_gt_i32_e64 s2, v0
	s_cbranch_execz .LBB351_27
; %bb.26:
	s_load_b32 s22, s[0:1], 0x50
	s_waitcnt lgkmcnt(0)
	v_mad_i64_i32 v[1:2], null, s22, v0, 0
	s_delay_alu instid0(VALU_DEP_1) | instskip(NEXT) | instid1(VALU_DEP_1)
	v_lshlrev_b64 v[1:2], 4, v[1:2]
	v_add_co_u32 v1, vcc_lo, s20, v1
	s_delay_alu instid0(VALU_DEP_2) | instskip(SKIP_4) | instid1(VALU_DEP_2)
	v_add_co_ci_u32_e32 v2, vcc_lo, s21, v2, vcc_lo
	flat_load_b128 v[1:4], v[1:2]
	s_waitcnt vmcnt(0) lgkmcnt(0)
	v_mul_f64 v[5:6], s[10:11], v[3:4]
	v_mul_f64 v[7:8], s[8:9], v[3:4]
	v_fma_f64 v[3:4], s[8:9], v[1:2], -v[5:6]
	s_delay_alu instid0(VALU_DEP_2)
	v_fma_f64 v[5:6], s[10:11], v[1:2], v[7:8]
	v_lshlrev_b32_e32 v1, 4, v0
	ds_store_b128 v1, v[3:6]
.LBB351_27:
	s_or_b32 exec_lo, exec_lo, s13
	s_cmp_lt_i32 s3, 1
	s_waitcnt lgkmcnt(0)
	s_waitcnt_vscnt null, 0x0
	s_barrier
	buffer_gl0_inv
	s_cbranch_scc1 .LBB351_42
; %bb.28:
	v_cmp_neq_f64_e64 s20, s[4:5], 0
	v_cmp_neq_f64_e64 s21, s[6:7], 0
	s_load_b32 s8, s[0:1], 0x30
	s_lshl_b64 s[10:11], s[14:15], 4
	s_mov_b32 s1, 0
	s_add_u32 s13, s18, s10
	s_addc_u32 s14, s19, s11
	s_ashr_i32 s15, s12, 31
	s_waitcnt lgkmcnt(0)
	v_mad_i64_i32 v[1:2], null, s8, v0, 0
	s_ashr_i32 s9, s8, 31
	s_delay_alu instid0(VALU_DEP_1) | instskip(NEXT) | instid1(VALU_DEP_1)
	v_lshlrev_b64 v[1:2], 4, v[1:2]
	v_add_co_u32 v5, vcc_lo, s16, v1
	s_delay_alu instid0(VALU_DEP_2)
	v_add_co_ci_u32_e32 v6, vcc_lo, s17, v2, vcc_lo
	s_or_b32 s16, s20, s21
	s_cmp_gt_i32 s2, 0
	s_mov_b32 s21, 0
	s_cselect_b32 s17, -1, 0
	s_and_b32 s18, s2, 7
	s_cmp_gt_u32 s2, 7
	s_cselect_b32 s19, -1, 0
	s_and_b32 s2, s2, 0x7ffffff8
	s_cmp_lg_u32 s18, 0
	s_cselect_b32 s20, -1, 0
	s_lshl_b64 s[8:9], s[8:9], 12
	s_branch .LBB351_31
.LBB351_29:                             ;   in Loop: Header=BB351_31 Depth=1
	s_delay_alu instid0(VALU_DEP_2)
	v_add_co_u32 v7, vcc_lo, s13, v7
	v_add_co_ci_u32_e32 v8, vcc_lo, s14, v8, vcc_lo
	global_store_b128 v[7:8], v[1:4], off
.LBB351_30:                             ;   in Loop: Header=BB351_31 Depth=1
	s_or_b32 exec_lo, exec_lo, s22
	v_add_co_u32 v5, vcc_lo, v5, s8
	v_add_co_ci_u32_e32 v6, vcc_lo, s9, v6, vcc_lo
	s_addk_i32 s21, 0x100
	s_delay_alu instid0(SALU_CYCLE_1)
	s_cmp_ge_i32 s21, s3
	s_cbranch_scc1 .LBB351_42
.LBB351_31:                             ; =>This Loop Header: Depth=1
                                        ;     Child Loop BB351_37 Depth 2
                                        ;     Child Loop BB351_41 Depth 2
	v_add_nc_u32_e32 v1, s21, v0
	s_mov_b32 s22, exec_lo
	s_delay_alu instid0(VALU_DEP_1)
	v_cmpx_gt_i32_e64 s3, v1
	s_cbranch_execz .LBB351_30
; %bb.32:                               ;   in Loop: Header=BB351_31 Depth=1
	v_mad_u64_u32 v[3:4], null, v1, s12, 0
	s_and_not1_b32 vcc_lo, exec_lo, s16
	s_delay_alu instid0(VALU_DEP_1) | instskip(NEXT) | instid1(VALU_DEP_1)
	v_mov_b32_e32 v2, v4
	v_mad_u64_u32 v[7:8], null, v1, s15, v[2:3]
	v_mov_b32_e32 v1, 0
	v_mov_b32_e32 v2, 0
	s_delay_alu instid0(VALU_DEP_3) | instskip(NEXT) | instid1(VALU_DEP_1)
	v_mov_b32_e32 v4, v7
	v_lshlrev_b64 v[7:8], 4, v[3:4]
	s_delay_alu instid0(VALU_DEP_3)
	v_dual_mov_b32 v4, v2 :: v_dual_mov_b32 v3, v1
	s_cbranch_vccnz .LBB351_34
; %bb.33:                               ;   in Loop: Header=BB351_31 Depth=1
	s_delay_alu instid0(VALU_DEP_2) | instskip(NEXT) | instid1(VALU_DEP_3)
	v_add_co_u32 v1, vcc_lo, s13, v7
	v_add_co_ci_u32_e32 v2, vcc_lo, s14, v8, vcc_lo
	global_load_b128 v[9:12], v[1:2], off
	s_waitcnt vmcnt(0)
	v_mul_f64 v[1:2], s[6:7], v[11:12]
	v_mul_f64 v[3:4], s[4:5], v[11:12]
	s_delay_alu instid0(VALU_DEP_2) | instskip(NEXT) | instid1(VALU_DEP_2)
	v_fma_f64 v[1:2], s[4:5], v[9:10], -v[1:2]
	v_fma_f64 v[3:4], s[6:7], v[9:10], v[3:4]
.LBB351_34:                             ;   in Loop: Header=BB351_31 Depth=1
	s_and_not1_b32 vcc_lo, exec_lo, s17
	s_cbranch_vccnz .LBB351_29
; %bb.35:                               ;   in Loop: Header=BB351_31 Depth=1
	s_and_not1_b32 vcc_lo, exec_lo, s19
	s_cbranch_vccnz .LBB351_39
; %bb.36:                               ;   in Loop: Header=BB351_31 Depth=1
	v_dual_mov_b32 v10, v6 :: v_dual_mov_b32 v9, v5
	s_mov_b32 s0, 0
	s_mov_b32 s10, 0
.LBB351_37:                             ;   Parent Loop BB351_31 Depth=1
                                        ; =>  This Inner Loop Header: Depth=2
	s_clause 0x7
	flat_load_b128 v[11:14], v[9:10]
	flat_load_b128 v[15:18], v[9:10] offset:16
	flat_load_b128 v[19:22], v[9:10] offset:32
	;; [unrolled: 1-line block ×7, first 2 shown]
	v_mov_b32_e32 v59, s0
	v_add_co_u32 v9, vcc_lo, 0x80, v9
	v_add_co_ci_u32_e32 v10, vcc_lo, 0, v10, vcc_lo
	ds_load_b128 v[43:46], v59
	ds_load_b128 v[47:50], v59 offset:16
	s_add_i32 s10, s10, 8
	s_addk_i32 s0, 0x80
	s_cmp_eq_u32 s2, s10
	s_waitcnt vmcnt(7) lgkmcnt(1)
	v_mul_f64 v[51:52], v[13:14], v[45:46]
	v_mul_f64 v[45:46], v[11:12], v[45:46]
	s_waitcnt vmcnt(6) lgkmcnt(0)
	v_mul_f64 v[53:54], v[17:18], v[49:50]
	v_mul_f64 v[49:50], v[15:16], v[49:50]
	s_delay_alu instid0(VALU_DEP_4) | instskip(NEXT) | instid1(VALU_DEP_4)
	v_fma_f64 v[51:52], v[11:12], v[43:44], -v[51:52]
	v_fma_f64 v[55:56], v[13:14], v[43:44], v[45:46]
	ds_load_b128 v[11:14], v59 offset:32
	ds_load_b128 v[43:46], v59 offset:48
	v_fma_f64 v[15:16], v[15:16], v[47:48], -v[53:54]
	v_fma_f64 v[17:18], v[17:18], v[47:48], v[49:50]
	s_waitcnt vmcnt(5) lgkmcnt(1)
	v_mul_f64 v[57:58], v[21:22], v[13:14]
	v_mul_f64 v[13:14], v[19:20], v[13:14]
	s_waitcnt vmcnt(4) lgkmcnt(0)
	v_mul_f64 v[47:48], v[25:26], v[45:46]
	v_mul_f64 v[45:46], v[23:24], v[45:46]
	v_add_f64 v[1:2], v[1:2], v[51:52]
	v_add_f64 v[3:4], v[3:4], v[55:56]
	v_fma_f64 v[19:20], v[19:20], v[11:12], -v[57:58]
	v_fma_f64 v[21:22], v[21:22], v[11:12], v[13:14]
	v_fma_f64 v[23:24], v[23:24], v[43:44], -v[47:48]
	v_fma_f64 v[25:26], v[25:26], v[43:44], v[45:46]
	v_add_f64 v[15:16], v[1:2], v[15:16]
	v_add_f64 v[17:18], v[3:4], v[17:18]
	ds_load_b128 v[1:4], v59 offset:64
	ds_load_b128 v[11:14], v59 offset:80
	s_waitcnt vmcnt(3) lgkmcnt(1)
	v_mul_f64 v[49:50], v[29:30], v[3:4]
	v_mul_f64 v[3:4], v[27:28], v[3:4]
	v_add_f64 v[15:16], v[15:16], v[19:20]
	v_add_f64 v[17:18], v[17:18], v[21:22]
	s_waitcnt vmcnt(2) lgkmcnt(0)
	v_mul_f64 v[19:20], v[33:34], v[13:14]
	v_mul_f64 v[21:22], v[31:32], v[13:14]
	v_fma_f64 v[27:28], v[27:28], v[1:2], -v[49:50]
	v_fma_f64 v[29:30], v[29:30], v[1:2], v[3:4]
	v_add_f64 v[23:24], v[15:16], v[23:24]
	v_add_f64 v[17:18], v[17:18], v[25:26]
	ds_load_b128 v[1:4], v59 offset:96
	ds_load_b128 v[13:16], v59 offset:112
	v_fma_f64 v[19:20], v[31:32], v[11:12], -v[19:20]
	v_fma_f64 v[11:12], v[33:34], v[11:12], v[21:22]
	s_waitcnt vmcnt(1) lgkmcnt(1)
	v_mul_f64 v[25:26], v[37:38], v[3:4]
	v_mul_f64 v[3:4], v[35:36], v[3:4]
	v_add_f64 v[21:22], v[23:24], v[27:28]
	v_add_f64 v[17:18], v[17:18], v[29:30]
	s_waitcnt vmcnt(0) lgkmcnt(0)
	v_mul_f64 v[23:24], v[41:42], v[15:16]
	v_mul_f64 v[15:16], v[39:40], v[15:16]
	v_fma_f64 v[25:26], v[35:36], v[1:2], -v[25:26]
	v_fma_f64 v[1:2], v[37:38], v[1:2], v[3:4]
	v_add_f64 v[3:4], v[21:22], v[19:20]
	v_add_f64 v[11:12], v[17:18], v[11:12]
	v_fma_f64 v[17:18], v[39:40], v[13:14], -v[23:24]
	v_fma_f64 v[13:14], v[41:42], v[13:14], v[15:16]
	s_delay_alu instid0(VALU_DEP_4) | instskip(NEXT) | instid1(VALU_DEP_4)
	v_add_f64 v[3:4], v[3:4], v[25:26]
	v_add_f64 v[11:12], v[11:12], v[1:2]
	s_delay_alu instid0(VALU_DEP_2) | instskip(NEXT) | instid1(VALU_DEP_2)
	v_add_f64 v[1:2], v[3:4], v[17:18]
	v_add_f64 v[3:4], v[11:12], v[13:14]
	s_cbranch_scc0 .LBB351_37
; %bb.38:                               ;   in Loop: Header=BB351_31 Depth=1
	s_mov_b32 s0, s2
	s_and_not1_b32 vcc_lo, exec_lo, s20
	s_cbranch_vccz .LBB351_40
	s_branch .LBB351_29
.LBB351_39:                             ;   in Loop: Header=BB351_31 Depth=1
	s_mov_b32 s0, 0
	s_and_not1_b32 vcc_lo, exec_lo, s20
	s_cbranch_vccnz .LBB351_29
.LBB351_40:                             ;   in Loop: Header=BB351_31 Depth=1
	s_lshl_b32 s23, s0, 4
	s_lshl_b64 s[10:11], s[0:1], 4
	s_mov_b32 s0, s18
	.p2align	6
.LBB351_41:                             ;   Parent Loop BB351_31 Depth=1
                                        ; =>  This Inner Loop Header: Depth=2
	v_add_co_u32 v9, vcc_lo, v5, s10
	v_add_co_ci_u32_e32 v10, vcc_lo, s11, v6, vcc_lo
	v_mov_b32_e32 v13, s23
	s_add_i32 s23, s23, 16
	s_add_u32 s10, s10, 16
	flat_load_b128 v[9:12], v[9:10]
	s_addc_u32 s11, s11, 0
	ds_load_b128 v[13:16], v13
	s_add_i32 s0, s0, -1
	s_delay_alu instid0(SALU_CYCLE_1) | instskip(SKIP_3) | instid1(VALU_DEP_2)
	s_cmp_lg_u32 s0, 0
	s_waitcnt vmcnt(0) lgkmcnt(0)
	v_mul_f64 v[17:18], v[11:12], v[15:16]
	v_mul_f64 v[15:16], v[9:10], v[15:16]
	v_fma_f64 v[9:10], v[9:10], v[13:14], -v[17:18]
	s_delay_alu instid0(VALU_DEP_2) | instskip(NEXT) | instid1(VALU_DEP_2)
	v_fma_f64 v[11:12], v[11:12], v[13:14], v[15:16]
	v_add_f64 v[1:2], v[1:2], v[9:10]
	s_delay_alu instid0(VALU_DEP_2)
	v_add_f64 v[3:4], v[3:4], v[11:12]
	s_cbranch_scc1 .LBB351_41
	s_branch .LBB351_29
.LBB351_42:
	s_nop 0
	s_sendmsg sendmsg(MSG_DEALLOC_VGPRS)
	s_endpgm
	.section	.rodata,"a",@progbits
	.p2align	6, 0x0
	.amdhsa_kernel _ZL22rocblas_gemvtsm_kernelILb0ELi256EPK19rocblas_complex_numIdES1_KPS1_EviiT2_lPKT1_lilS9_lilS6_lPT3_lil
		.amdhsa_group_segment_fixed_size 1024
		.amdhsa_private_segment_fixed_size 0
		.amdhsa_kernarg_size 152
		.amdhsa_user_sgpr_count 15
		.amdhsa_user_sgpr_dispatch_ptr 0
		.amdhsa_user_sgpr_queue_ptr 0
		.amdhsa_user_sgpr_kernarg_segment_ptr 1
		.amdhsa_user_sgpr_dispatch_id 0
		.amdhsa_user_sgpr_private_segment_size 0
		.amdhsa_wavefront_size32 1
		.amdhsa_uses_dynamic_stack 0
		.amdhsa_enable_private_segment 0
		.amdhsa_system_sgpr_workgroup_id_x 1
		.amdhsa_system_sgpr_workgroup_id_y 0
		.amdhsa_system_sgpr_workgroup_id_z 0
		.amdhsa_system_sgpr_workgroup_info 0
		.amdhsa_system_vgpr_workitem_id 0
		.amdhsa_next_free_vgpr 60
		.amdhsa_next_free_sgpr 26
		.amdhsa_reserve_vcc 1
		.amdhsa_float_round_mode_32 0
		.amdhsa_float_round_mode_16_64 0
		.amdhsa_float_denorm_mode_32 3
		.amdhsa_float_denorm_mode_16_64 3
		.amdhsa_dx10_clamp 1
		.amdhsa_ieee_mode 1
		.amdhsa_fp16_overflow 0
		.amdhsa_workgroup_processor_mode 1
		.amdhsa_memory_ordered 1
		.amdhsa_forward_progress 0
		.amdhsa_shared_vgpr_count 0
		.amdhsa_exception_fp_ieee_invalid_op 0
		.amdhsa_exception_fp_denorm_src 0
		.amdhsa_exception_fp_ieee_div_zero 0
		.amdhsa_exception_fp_ieee_overflow 0
		.amdhsa_exception_fp_ieee_underflow 0
		.amdhsa_exception_fp_ieee_inexact 0
		.amdhsa_exception_int_div_zero 0
	.end_amdhsa_kernel
	.section	.text._ZL22rocblas_gemvtsm_kernelILb0ELi256EPK19rocblas_complex_numIdES1_KPS1_EviiT2_lPKT1_lilS9_lilS6_lPT3_lil,"axG",@progbits,_ZL22rocblas_gemvtsm_kernelILb0ELi256EPK19rocblas_complex_numIdES1_KPS1_EviiT2_lPKT1_lilS9_lilS6_lPT3_lil,comdat
.Lfunc_end351:
	.size	_ZL22rocblas_gemvtsm_kernelILb0ELi256EPK19rocblas_complex_numIdES1_KPS1_EviiT2_lPKT1_lilS9_lilS6_lPT3_lil, .Lfunc_end351-_ZL22rocblas_gemvtsm_kernelILb0ELi256EPK19rocblas_complex_numIdES1_KPS1_EviiT2_lPKT1_lilS9_lilS6_lPT3_lil
                                        ; -- End function
	.section	.AMDGPU.csdata,"",@progbits
; Kernel info:
; codeLenInByte = 2100
; NumSgprs: 28
; NumVgprs: 60
; ScratchSize: 0
; MemoryBound: 0
; FloatMode: 240
; IeeeMode: 1
; LDSByteSize: 1024 bytes/workgroup (compile time only)
; SGPRBlocks: 3
; VGPRBlocks: 7
; NumSGPRsForWavesPerEU: 28
; NumVGPRsForWavesPerEU: 60
; Occupancy: 16
; WaveLimiterHint : 1
; COMPUTE_PGM_RSRC2:SCRATCH_EN: 0
; COMPUTE_PGM_RSRC2:USER_SGPR: 15
; COMPUTE_PGM_RSRC2:TRAP_HANDLER: 0
; COMPUTE_PGM_RSRC2:TGID_X_EN: 1
; COMPUTE_PGM_RSRC2:TGID_Y_EN: 0
; COMPUTE_PGM_RSRC2:TGID_Z_EN: 0
; COMPUTE_PGM_RSRC2:TIDIG_COMP_CNT: 0
	.section	.text._ZL23rocblas_gemvt_sn_kernelILb0ELi256ELi4EiPK19rocblas_complex_numIdES3_S1_EviiT4_lPKT3_lilS7_lilPT5_i,"axG",@progbits,_ZL23rocblas_gemvt_sn_kernelILb0ELi256ELi4EiPK19rocblas_complex_numIdES3_S1_EviiT4_lPKT3_lilS7_lilPT5_i,comdat
	.globl	_ZL23rocblas_gemvt_sn_kernelILb0ELi256ELi4EiPK19rocblas_complex_numIdES3_S1_EviiT4_lPKT3_lilS7_lilPT5_i ; -- Begin function _ZL23rocblas_gemvt_sn_kernelILb0ELi256ELi4EiPK19rocblas_complex_numIdES3_S1_EviiT4_lPKT3_lilS7_lilPT5_i
	.p2align	8
	.type	_ZL23rocblas_gemvt_sn_kernelILb0ELi256ELi4EiPK19rocblas_complex_numIdES3_S1_EviiT4_lPKT3_lilS7_lilPT5_i,@function
_ZL23rocblas_gemvt_sn_kernelILb0ELi256ELi4EiPK19rocblas_complex_numIdES3_S1_EviiT4_lPKT3_lilS7_lilPT5_i: ; @_ZL23rocblas_gemvt_sn_kernelILb0ELi256ELi4EiPK19rocblas_complex_numIdES3_S1_EviiT4_lPKT3_lilS7_lilPT5_i
; %bb.0:
	s_load_b256 s[4:11], s[0:1], 0x8
	s_mov_b32 s12, s15
	s_mov_b32 s13, 0
	s_waitcnt lgkmcnt(0)
	s_mul_i32 s3, s15, s7
	s_mul_hi_u32 s7, s15, s6
	s_mul_i32 s2, s15, s6
	s_add_i32 s3, s7, s3
	s_mov_b64 s[6:7], 0
	s_lshl_b64 s[2:3], s[2:3], 4
	s_delay_alu instid0(SALU_CYCLE_1)
	s_add_u32 s2, s4, s2
	s_addc_u32 s3, s5, s3
	s_mov_b64 s[4:5], 0
	s_load_b128 s[16:19], s[2:3], 0x0
	s_waitcnt lgkmcnt(0)
	v_cmp_neq_f64_e64 s2, s[16:17], 0
	v_cmp_neq_f64_e64 s3, s[18:19], 0
	s_delay_alu instid0(VALU_DEP_1) | instskip(NEXT) | instid1(SALU_CYCLE_1)
	s_or_b32 s2, s2, s3
	s_xor_b32 s3, s2, -1
	s_delay_alu instid0(SALU_CYCLE_1)
	s_and_b32 vcc_lo, exec_lo, s3
	s_cbranch_vccnz .LBB352_2
; %bb.1:
	s_lshl_b64 s[4:5], s[12:13], 3
	s_delay_alu instid0(SALU_CYCLE_1)
	s_add_u32 s4, s8, s4
	s_addc_u32 s5, s9, s5
	s_lshl_b64 s[8:9], s[10:11], 4
	s_load_b64 s[4:5], s[4:5], 0x0
	s_waitcnt lgkmcnt(0)
	s_add_u32 s4, s4, s8
	s_addc_u32 s5, s5, s9
.LBB352_2:
	s_and_not1_b32 vcc_lo, exec_lo, s2
	s_cbranch_vccnz .LBB352_4
; %bb.3:
	s_load_b128 s[8:11], s[0:1], 0x38
	s_lshl_b64 s[6:7], s[12:13], 3
	s_waitcnt lgkmcnt(0)
	s_add_u32 s6, s8, s6
	s_addc_u32 s7, s9, s7
	s_lshl_b64 s[8:9], s[10:11], 4
	s_load_b64 s[6:7], s[6:7], 0x0
	s_waitcnt lgkmcnt(0)
	s_add_u32 s6, s6, s8
	s_addc_u32 s7, s7, s9
.LBB352_4:
	s_clause 0x2
	s_load_b64 s[8:9], s[0:1], 0x0
	s_load_b32 s10, s[0:1], 0x68
	s_load_b64 s[20:21], s[0:1], 0x58
	s_and_not1_b32 vcc_lo, exec_lo, s3
	v_cmp_eq_u32_e64 s2, 0, v0
	s_mov_b32 s11, 0
	s_waitcnt lgkmcnt(0)
	s_ashr_i32 s24, s9, 31
	s_mul_hi_u32 s3, s9, s12
	s_mul_i32 s13, s24, s12
	s_mul_i32 s12, s9, s12
	s_add_i32 s3, s3, s13
	s_mul_hi_u32 s13, s12, s10
	s_mul_i32 s3, s3, s10
	s_mul_i32 s12, s12, s10
	s_add_i32 s13, s13, s3
	s_mov_b32 s3, -1
	s_cbranch_vccnz .LBB352_9
; %bb.5:
	s_cmp_gt_i32 s9, 0
	s_cselect_b32 s3, -1, 0
	s_delay_alu instid0(SALU_CYCLE_1) | instskip(NEXT) | instid1(SALU_CYCLE_1)
	s_and_b32 s2, s2, s3
	s_and_saveexec_b32 s25, s2
	s_cbranch_execz .LBB352_8
; %bb.6:
	s_mov_b32 s15, 0
	v_mov_b32_e32 v1, 0
	s_lshl_b64 s[2:3], s[12:13], 4
	s_lshl_b64 s[22:23], s[14:15], 4
	s_delay_alu instid0(SALU_CYCLE_1)
	s_add_u32 s2, s2, s22
	s_addc_u32 s3, s3, s23
	s_add_u32 s2, s2, s20
	v_mov_b32_e32 v2, v1
	v_mov_b32_e32 v3, v1
	;; [unrolled: 1-line block ×3, first 2 shown]
	s_addc_u32 s3, s3, s21
	s_add_u32 s2, s2, 8
	s_addc_u32 s3, s3, 0
	s_lshl_b64 s[22:23], s[10:11], 4
	s_mov_b32 s11, s9
.LBB352_7:                              ; =>This Inner Loop Header: Depth=1
	s_delay_alu instid0(SALU_CYCLE_1)
	s_add_i32 s11, s11, -1
	global_store_b128 v1, v[1:4], s[2:3] offset:-8
	s_add_u32 s2, s2, s22
	s_addc_u32 s3, s3, s23
	s_cmp_eq_u32 s11, 0
	s_cbranch_scc0 .LBB352_7
.LBB352_8:
	s_or_b32 exec_lo, exec_lo, s25
	s_mov_b32 s3, 0
.LBB352_9:
	s_delay_alu instid0(SALU_CYCLE_1)
	s_and_not1_b32 vcc_lo, exec_lo, s3
	s_cbranch_vccnz .LBB352_80
; %bb.10:
	s_lshl_b64 s[2:3], s[12:13], 4
	s_clause 0x1
	s_load_b32 s11, s[0:1], 0x28
	s_load_b32 s28, s[0:1], 0x48
	s_add_u32 s33, s20, s2
	s_addc_u32 s31, s21, s3
	s_lshl_b32 s2, s14, 10
	s_ashr_i32 s0, s8, 31
	v_lshl_or_b32 v1, v0, 2, s2
	s_lshr_b32 s0, s0, 30
	s_lshr_b32 s1, s24, 30
	s_add_i32 s0, s8, s0
	s_add_i32 s1, s9, s1
	v_ashrrev_i32_e32 v2, 31, v1
	s_and_b32 s0, s0, -4
	s_and_b32 s15, s1, -4
	s_sub_i32 s29, s8, s0
	v_add_nc_u32_e32 v42, 4, v1
	v_lshlrev_b64 v[2:3], 4, v[1:2]
	v_add_nc_u32_e32 v43, s29, v1
	v_and_b32_e32 v40, 31, v0
	v_cmp_gt_u32_e64 s0, 32, v0
	v_mbcnt_lo_u32_b32 v41, -1, 0
	s_waitcnt lgkmcnt(0)
	v_mul_lo_u32 v21, v1, s28
	v_add_co_u32 v33, vcc_lo, s4, v2
	v_add_co_ci_u32_e32 v34, vcc_lo, s5, v3, vcc_lo
	v_cmp_gt_u32_e64 s1, 8, v0
	v_lshrrev_b32_e32 v39, 1, v0
	v_add_nc_u32_e64 v35, 0, 16
	v_add_nc_u32_e64 v36, 0, 32
	;; [unrolled: 1-line block ×3, first 2 shown]
	v_or_b32_e64 v38, 0, 8
	s_cmp_lt_i32 s15, 1
	s_cbranch_scc1 .LBB352_57
; %bb.11:
	v_cmp_gt_u32_e32 vcc_lo, 16, v41
	v_mul_lo_u32 v22, v1, s28
	v_cmp_ge_i32_e64 s2, s8, v42
	v_cmp_ge_i32_e64 s3, s8, v43
	v_cmp_eq_u32_e64 s4, 0, v40
	v_cndmask_b32_e64 v2, 0, 1, vcc_lo
	v_cmp_gt_u32_e32 vcc_lo, 24, v41
	v_lshlrev_b32_e32 v49, 4, v40
	v_and_b32_e32 v50, 0x70, v39
	v_ashrrev_i32_e32 v23, 31, v22
	v_lshlrev_b32_e32 v2, 4, v2
	v_cndmask_b32_e64 v3, 0, 1, vcc_lo
	v_cmp_gt_u32_e32 vcc_lo, 28, v41
	v_cmp_eq_u32_e64 s5, 0, v0
	v_or_b32_e64 v51, 0, 8
	v_add_lshl_u32 v44, v2, v41, 2
	v_lshlrev_b32_e32 v2, 3, v3
	v_cndmask_b32_e64 v4, 0, 1, vcc_lo
	v_cmp_gt_u32_e32 vcc_lo, 30, v41
	s_cmp_gt_i32 s29, 0
	s_mov_b32 s13, 0
	v_add_lshl_u32 v45, v2, v41, 2
	v_lshlrev_b32_e32 v3, 2, v4
	v_cndmask_b32_e64 v5, 0, 1, vcc_lo
	v_cmp_ne_u32_e32 vcc_lo, 31, v41
	s_cselect_b32 s34, -1, 0
	s_lshl_b32 s35, s11, 2
	v_add_lshl_u32 v46, v3, v41, 2
	v_lshlrev_b32_e32 v1, 1, v5
	v_add_co_ci_u32_e32 v4, vcc_lo, 0, v41, vcc_lo
	v_lshlrev_b64 v[5:6], 4, v[22:23]
	s_lshl_b32 s36, s11, 1
	s_delay_alu instid0(VALU_DEP_3) | instskip(SKIP_4) | instid1(VALU_DEP_3)
	v_add_lshl_u32 v47, v1, v41, 2
	v_add_nc_u32_e32 v1, s28, v22
	v_lshlrev_b32_e32 v48, 2, v4
	s_mul_i32 s37, s11, 3
	v_add_co_u32 v23, vcc_lo, s6, v5
	v_add_nc_u32_e32 v3, s28, v1
	v_ashrrev_i32_e32 v2, 31, v1
	v_add_co_ci_u32_e32 v24, vcc_lo, s7, v6, vcc_lo
	s_mov_b32 s20, s13
	s_delay_alu instid0(VALU_DEP_3) | instskip(NEXT) | instid1(VALU_DEP_3)
	v_add_nc_u32_e32 v7, s28, v3
	v_lshlrev_b64 v[1:2], 4, v[1:2]
	v_ashrrev_i32_e32 v4, 31, v3
	s_mov_b32 s38, s11
	s_mov_b32 s30, 0
	v_ashrrev_i32_e32 v8, 31, v7
	s_delay_alu instid0(VALU_DEP_2) | instskip(SKIP_2) | instid1(VALU_DEP_4)
	v_lshlrev_b64 v[3:4], 4, v[3:4]
	v_add_co_u32 v25, vcc_lo, s6, v1
	v_add_co_ci_u32_e32 v26, vcc_lo, s7, v2, vcc_lo
	v_lshlrev_b64 v[1:2], 4, v[7:8]
	s_delay_alu instid0(VALU_DEP_4) | instskip(SKIP_1) | instid1(VALU_DEP_3)
	v_add_co_u32 v27, vcc_lo, s6, v3
	v_add_co_ci_u32_e32 v28, vcc_lo, s7, v4, vcc_lo
	v_add_co_u32 v29, vcc_lo, s6, v1
	v_mov_b32_e32 v1, 0
	v_add_co_ci_u32_e32 v30, vcc_lo, s7, v2, vcc_lo
	s_branch .LBB352_13
.LBB352_12:                             ;   in Loop: Header=BB352_13 Depth=1
	s_or_b32 exec_lo, exec_lo, s21
	s_add_i32 s30, s30, 4
	s_add_i32 s38, s38, s35
	;; [unrolled: 1-line block ×5, first 2 shown]
	s_cmp_ge_i32 s30, s15
	s_cbranch_scc1 .LBB352_58
.LBB352_13:                             ; =>This Loop Header: Depth=1
                                        ;     Child Loop BB352_44 Depth 2
                                        ;     Child Loop BB352_46 Depth 2
                                        ; implicit-def: $vgpr17_vgpr18
                                        ; implicit-def: $vgpr19_vgpr20
                                        ; implicit-def: $vgpr13_vgpr14
                                        ; implicit-def: $vgpr15_vgpr16
                                        ; implicit-def: $vgpr9_vgpr10
                                        ; implicit-def: $vgpr11_vgpr12
                                        ; implicit-def: $vgpr7_vgpr8
                                        ; implicit-def: $vgpr5_vgpr6
	s_and_saveexec_b32 s12, s2
	s_delay_alu instid0(SALU_CYCLE_1)
	s_xor_b32 s12, exec_lo, s12
	s_cbranch_execnz .LBB352_40
; %bb.14:                               ;   in Loop: Header=BB352_13 Depth=1
	s_and_not1_saveexec_b32 s12, s12
	s_cbranch_execnz .LBB352_41
.LBB352_15:                             ;   in Loop: Header=BB352_13 Depth=1
	s_or_b32 exec_lo, exec_lo, s12
	s_and_saveexec_b32 s12, s0
	s_cbranch_execz .LBB352_17
.LBB352_16:                             ;   in Loop: Header=BB352_13 Depth=1
	v_mov_b32_e32 v2, v1
	v_mov_b32_e32 v3, v1
	;; [unrolled: 1-line block ×3, first 2 shown]
	ds_store_b128 v49, v[1:4]
.LBB352_17:                             ;   in Loop: Header=BB352_13 Depth=1
	s_or_b32 exec_lo, exec_lo, s12
	ds_bpermute_b32 v2, v44, v7
	ds_bpermute_b32 v3, v44, v8
	;; [unrolled: 1-line block ×4, first 2 shown]
	s_waitcnt lgkmcnt(0)
	s_waitcnt_vscnt null, 0x0
	s_barrier
	buffer_gl0_inv
	v_add_f64 v[2:3], v[7:8], v[2:3]
	v_add_f64 v[4:5], v[5:6], v[31:32]
	ds_bpermute_b32 v6, v45, v2
	ds_bpermute_b32 v7, v45, v3
	ds_bpermute_b32 v31, v45, v4
	ds_bpermute_b32 v32, v45, v5
	s_waitcnt lgkmcnt(2)
	v_add_f64 v[2:3], v[2:3], v[6:7]
	s_waitcnt lgkmcnt(0)
	v_add_f64 v[4:5], v[4:5], v[31:32]
	ds_bpermute_b32 v6, v46, v2
	ds_bpermute_b32 v7, v46, v3
	ds_bpermute_b32 v31, v46, v4
	ds_bpermute_b32 v32, v46, v5
	s_waitcnt lgkmcnt(2)
	v_add_f64 v[2:3], v[2:3], v[6:7]
	s_waitcnt lgkmcnt(0)
	;; [unrolled: 8-line block ×3, first 2 shown]
	v_add_f64 v[6:7], v[4:5], v[31:32]
	ds_bpermute_b32 v4, v48, v2
	ds_bpermute_b32 v5, v48, v3
	ds_bpermute_b32 v31, v48, v6
	ds_bpermute_b32 v32, v48, v7
	s_and_saveexec_b32 s12, s4
	s_cbranch_execz .LBB352_19
; %bb.18:                               ;   in Loop: Header=BB352_13 Depth=1
	s_waitcnt lgkmcnt(0)
	v_add_f64 v[6:7], v[6:7], v[31:32]
	v_add_f64 v[4:5], v[2:3], v[4:5]
	ds_store_b128 v50, v[4:7]
.LBB352_19:                             ;   in Loop: Header=BB352_13 Depth=1
	s_or_b32 exec_lo, exec_lo, s12
	v_mov_b32_e32 v7, 0
	v_mov_b32_e32 v8, 0
	s_waitcnt lgkmcnt(2)
	s_delay_alu instid0(VALU_DEP_2)
	v_mov_b32_e32 v5, v7
	s_waitcnt lgkmcnt(0)
	s_barrier
	buffer_gl0_inv
	v_mov_b32_e32 v6, v8
	s_and_saveexec_b32 s12, s1
	s_cbranch_execnz .LBB352_48
; %bb.20:                               ;   in Loop: Header=BB352_13 Depth=1
	s_or_b32 exec_lo, exec_lo, s12
	s_and_saveexec_b32 s12, s0
	s_cbranch_execnz .LBB352_49
.LBB352_21:                             ;   in Loop: Header=BB352_13 Depth=1
	s_or_b32 exec_lo, exec_lo, s12
	s_and_saveexec_b32 s12, s0
	s_cbranch_execz .LBB352_23
.LBB352_22:                             ;   in Loop: Header=BB352_13 Depth=1
	v_mov_b32_e32 v2, v1
	v_mov_b32_e32 v3, v1
	;; [unrolled: 1-line block ×3, first 2 shown]
	ds_store_b128 v49, v[1:4]
.LBB352_23:                             ;   in Loop: Header=BB352_13 Depth=1
	s_or_b32 exec_lo, exec_lo, s12
	ds_bpermute_b32 v2, v44, v9
	ds_bpermute_b32 v3, v44, v10
	;; [unrolled: 1-line block ×4, first 2 shown]
	s_waitcnt lgkmcnt(0)
	s_barrier
	buffer_gl0_inv
	v_add_f64 v[2:3], v[9:10], v[2:3]
	v_add_f64 v[9:10], v[11:12], v[31:32]
	ds_bpermute_b32 v11, v45, v2
	ds_bpermute_b32 v12, v45, v3
	ds_bpermute_b32 v31, v45, v9
	ds_bpermute_b32 v32, v45, v10
	s_waitcnt lgkmcnt(2)
	v_add_f64 v[2:3], v[2:3], v[11:12]
	s_waitcnt lgkmcnt(0)
	v_add_f64 v[9:10], v[9:10], v[31:32]
	ds_bpermute_b32 v11, v46, v2
	ds_bpermute_b32 v12, v46, v3
	ds_bpermute_b32 v31, v46, v9
	ds_bpermute_b32 v32, v46, v10
	s_waitcnt lgkmcnt(2)
	v_add_f64 v[2:3], v[2:3], v[11:12]
	s_waitcnt lgkmcnt(0)
	v_add_f64 v[9:10], v[9:10], v[31:32]
	ds_bpermute_b32 v11, v47, v2
	ds_bpermute_b32 v12, v47, v3
	ds_bpermute_b32 v31, v47, v9
	ds_bpermute_b32 v32, v47, v10
	s_waitcnt lgkmcnt(2)
	v_add_f64 v[2:3], v[2:3], v[11:12]
	s_waitcnt lgkmcnt(0)
	v_add_f64 v[11:12], v[9:10], v[31:32]
	ds_bpermute_b32 v9, v48, v2
	ds_bpermute_b32 v10, v48, v3
	;; [unrolled: 1-line block ×4, first 2 shown]
	s_and_saveexec_b32 s12, s4
	s_cbranch_execz .LBB352_25
; %bb.24:                               ;   in Loop: Header=BB352_13 Depth=1
	s_waitcnt lgkmcnt(0)
	v_add_f64 v[11:12], v[11:12], v[31:32]
	v_add_f64 v[9:10], v[2:3], v[9:10]
	ds_store_b128 v50, v[9:12]
.LBB352_25:                             ;   in Loop: Header=BB352_13 Depth=1
	s_or_b32 exec_lo, exec_lo, s12
	v_mov_b32_e32 v11, 0
	v_mov_b32_e32 v12, 0
	s_waitcnt lgkmcnt(2)
	s_delay_alu instid0(VALU_DEP_2)
	v_mov_b32_e32 v9, v11
	s_waitcnt lgkmcnt(0)
	s_barrier
	buffer_gl0_inv
	v_mov_b32_e32 v10, v12
	s_and_saveexec_b32 s12, s1
	s_cbranch_execnz .LBB352_50
; %bb.26:                               ;   in Loop: Header=BB352_13 Depth=1
	s_or_b32 exec_lo, exec_lo, s12
	s_and_saveexec_b32 s12, s0
	s_cbranch_execnz .LBB352_51
.LBB352_27:                             ;   in Loop: Header=BB352_13 Depth=1
	s_or_b32 exec_lo, exec_lo, s12
	s_and_saveexec_b32 s12, s0
	s_cbranch_execz .LBB352_29
.LBB352_28:                             ;   in Loop: Header=BB352_13 Depth=1
	v_mov_b32_e32 v2, v1
	v_mov_b32_e32 v3, v1
	;; [unrolled: 1-line block ×3, first 2 shown]
	ds_store_b128 v49, v[1:4]
.LBB352_29:                             ;   in Loop: Header=BB352_13 Depth=1
	s_or_b32 exec_lo, exec_lo, s12
	ds_bpermute_b32 v2, v44, v13
	ds_bpermute_b32 v3, v44, v14
	;; [unrolled: 1-line block ×4, first 2 shown]
	s_waitcnt lgkmcnt(0)
	s_barrier
	buffer_gl0_inv
	v_add_f64 v[2:3], v[13:14], v[2:3]
	v_add_f64 v[13:14], v[15:16], v[31:32]
	ds_bpermute_b32 v15, v45, v2
	ds_bpermute_b32 v16, v45, v3
	ds_bpermute_b32 v31, v45, v13
	ds_bpermute_b32 v32, v45, v14
	s_waitcnt lgkmcnt(2)
	v_add_f64 v[2:3], v[2:3], v[15:16]
	s_waitcnt lgkmcnt(0)
	v_add_f64 v[13:14], v[13:14], v[31:32]
	ds_bpermute_b32 v15, v46, v2
	ds_bpermute_b32 v16, v46, v3
	ds_bpermute_b32 v31, v46, v13
	ds_bpermute_b32 v32, v46, v14
	s_waitcnt lgkmcnt(2)
	v_add_f64 v[2:3], v[2:3], v[15:16]
	s_waitcnt lgkmcnt(0)
	;; [unrolled: 8-line block ×3, first 2 shown]
	v_add_f64 v[15:16], v[13:14], v[31:32]
	ds_bpermute_b32 v13, v48, v2
	ds_bpermute_b32 v14, v48, v3
	;; [unrolled: 1-line block ×4, first 2 shown]
	s_and_saveexec_b32 s12, s4
	s_cbranch_execz .LBB352_31
; %bb.30:                               ;   in Loop: Header=BB352_13 Depth=1
	s_waitcnt lgkmcnt(0)
	v_add_f64 v[15:16], v[15:16], v[31:32]
	v_add_f64 v[13:14], v[2:3], v[13:14]
	ds_store_b128 v50, v[13:16]
.LBB352_31:                             ;   in Loop: Header=BB352_13 Depth=1
	s_or_b32 exec_lo, exec_lo, s12
	v_mov_b32_e32 v15, 0
	v_mov_b32_e32 v16, 0
	s_waitcnt lgkmcnt(2)
	s_delay_alu instid0(VALU_DEP_2)
	v_mov_b32_e32 v13, v15
	s_waitcnt lgkmcnt(0)
	s_barrier
	buffer_gl0_inv
	v_mov_b32_e32 v14, v16
	s_and_saveexec_b32 s12, s1
	s_cbranch_execnz .LBB352_52
; %bb.32:                               ;   in Loop: Header=BB352_13 Depth=1
	s_or_b32 exec_lo, exec_lo, s12
	s_and_saveexec_b32 s12, s0
	s_cbranch_execnz .LBB352_53
.LBB352_33:                             ;   in Loop: Header=BB352_13 Depth=1
	s_or_b32 exec_lo, exec_lo, s12
	s_and_saveexec_b32 s12, s0
	s_cbranch_execz .LBB352_35
.LBB352_34:                             ;   in Loop: Header=BB352_13 Depth=1
	v_mov_b32_e32 v2, v1
	v_mov_b32_e32 v3, v1
	;; [unrolled: 1-line block ×3, first 2 shown]
	ds_store_b128 v49, v[1:4]
.LBB352_35:                             ;   in Loop: Header=BB352_13 Depth=1
	s_or_b32 exec_lo, exec_lo, s12
	ds_bpermute_b32 v2, v44, v17
	ds_bpermute_b32 v3, v44, v18
	ds_bpermute_b32 v31, v44, v19
	ds_bpermute_b32 v32, v44, v20
	s_waitcnt lgkmcnt(0)
	s_barrier
	buffer_gl0_inv
	v_add_f64 v[2:3], v[17:18], v[2:3]
	v_add_f64 v[17:18], v[19:20], v[31:32]
	ds_bpermute_b32 v19, v45, v2
	ds_bpermute_b32 v20, v45, v3
	ds_bpermute_b32 v31, v45, v17
	ds_bpermute_b32 v32, v45, v18
	s_waitcnt lgkmcnt(2)
	v_add_f64 v[2:3], v[2:3], v[19:20]
	s_waitcnt lgkmcnt(0)
	v_add_f64 v[17:18], v[17:18], v[31:32]
	ds_bpermute_b32 v19, v46, v2
	ds_bpermute_b32 v20, v46, v3
	ds_bpermute_b32 v31, v46, v17
	ds_bpermute_b32 v32, v46, v18
	s_waitcnt lgkmcnt(2)
	v_add_f64 v[2:3], v[2:3], v[19:20]
	s_waitcnt lgkmcnt(0)
	;; [unrolled: 8-line block ×3, first 2 shown]
	v_add_f64 v[19:20], v[17:18], v[31:32]
	ds_bpermute_b32 v17, v48, v2
	ds_bpermute_b32 v18, v48, v3
	ds_bpermute_b32 v31, v48, v19
	ds_bpermute_b32 v32, v48, v20
	s_and_saveexec_b32 s12, s4
	s_cbranch_execz .LBB352_37
; %bb.36:                               ;   in Loop: Header=BB352_13 Depth=1
	s_waitcnt lgkmcnt(0)
	v_add_f64 v[19:20], v[19:20], v[31:32]
	v_add_f64 v[17:18], v[2:3], v[17:18]
	ds_store_b128 v50, v[17:20]
.LBB352_37:                             ;   in Loop: Header=BB352_13 Depth=1
	s_or_b32 exec_lo, exec_lo, s12
	v_mov_b32_e32 v19, 0
	v_mov_b32_e32 v20, 0
	s_waitcnt lgkmcnt(2)
	s_delay_alu instid0(VALU_DEP_2)
	v_mov_b32_e32 v17, v19
	s_waitcnt lgkmcnt(0)
	s_barrier
	buffer_gl0_inv
	v_mov_b32_e32 v18, v20
	s_and_saveexec_b32 s12, s1
	s_cbranch_execnz .LBB352_54
; %bb.38:                               ;   in Loop: Header=BB352_13 Depth=1
	s_or_b32 exec_lo, exec_lo, s12
	s_and_saveexec_b32 s12, s0
	s_cbranch_execnz .LBB352_55
.LBB352_39:                             ;   in Loop: Header=BB352_13 Depth=1
	s_or_b32 exec_lo, exec_lo, s12
	s_and_saveexec_b32 s21, s5
	s_cbranch_execz .LBB352_12
	s_branch .LBB352_56
.LBB352_40:                             ;   in Loop: Header=BB352_13 Depth=1
	s_clause 0x1
	flat_load_b128 v[2:5], v[23:24]
	flat_load_b128 v[6:9], v[25:26]
	s_mul_i32 s22, s30, s11
	s_delay_alu instid0(SALU_CYCLE_1) | instskip(NEXT) | instid1(SALU_CYCLE_1)
	s_ashr_i32 s23, s22, 31
	s_lshl_b64 s[24:25], s[22:23], 4
	s_add_i32 s22, s22, s11
	v_add_co_u32 v10, vcc_lo, v33, s24
	v_add_co_ci_u32_e32 v11, vcc_lo, s25, v34, vcc_lo
	s_ashr_i32 s23, s22, 31
	s_delay_alu instid0(SALU_CYCLE_1) | instskip(SKIP_4) | instid1(SALU_CYCLE_1)
	s_lshl_b64 s[24:25], s[22:23], 4
	s_add_i32 s22, s22, s11
	v_add_co_u32 v31, vcc_lo, v33, s24
	v_add_co_ci_u32_e32 v32, vcc_lo, s25, v34, vcc_lo
	s_ashr_i32 s23, s22, 31
	s_lshl_b64 s[24:25], s[22:23], 4
	s_add_i32 s22, s22, s11
	v_add_co_u32 v52, vcc_lo, v33, s24
	v_add_co_ci_u32_e32 v53, vcc_lo, s25, v34, vcc_lo
	s_ashr_i32 s23, s22, 31
	s_delay_alu instid0(SALU_CYCLE_1) | instskip(NEXT) | instid1(SALU_CYCLE_1)
	s_lshl_b64 s[22:23], s[22:23], 4
	v_add_co_u32 v58, vcc_lo, v33, s22
	v_add_co_ci_u32_e32 v59, vcc_lo, s23, v34, vcc_lo
	s_waitcnt vmcnt(1) lgkmcnt(1)
	scratch_store_b128 off, v[2:5], off
	s_waitcnt vmcnt(0) lgkmcnt(0)
	scratch_store_b128 v35, v[6:9], off
	flat_load_b128 v[6:9], v[27:28]
	s_waitcnt vmcnt(0) lgkmcnt(0)
	scratch_store_b128 v36, v[6:9], off
	flat_load_b128 v[6:9], v[29:30]
	;; [unrolled: 3-line block ×3, first 2 shown]
	s_waitcnt vmcnt(0) lgkmcnt(0)
	v_mul_f64 v[12:13], v[4:5], v[8:9]
	v_mul_f64 v[8:9], v[2:3], v[8:9]
	s_delay_alu instid0(VALU_DEP_2) | instskip(NEXT) | instid1(VALU_DEP_2)
	v_fma_f64 v[12:13], v[2:3], v[6:7], -v[12:13]
	v_fma_f64 v[6:7], v[4:5], v[6:7], v[8:9]
	s_delay_alu instid0(VALU_DEP_2) | instskip(NEXT) | instid1(VALU_DEP_2)
	v_add_f64 v[12:13], v[12:13], 0
	v_add_f64 v[14:15], v[6:7], 0
	flat_load_b128 v[6:9], v[31:32]
	s_waitcnt vmcnt(0) lgkmcnt(0)
	v_mul_f64 v[16:17], v[4:5], v[8:9]
	v_mul_f64 v[8:9], v[2:3], v[8:9]
	s_delay_alu instid0(VALU_DEP_2) | instskip(NEXT) | instid1(VALU_DEP_2)
	v_fma_f64 v[16:17], v[2:3], v[6:7], -v[16:17]
	v_fma_f64 v[6:7], v[4:5], v[6:7], v[8:9]
	s_delay_alu instid0(VALU_DEP_2) | instskip(NEXT) | instid1(VALU_DEP_2)
	v_add_f64 v[16:17], v[16:17], 0
	v_add_f64 v[18:19], v[6:7], 0
	flat_load_b128 v[6:9], v[52:53]
	s_waitcnt vmcnt(0) lgkmcnt(0)
	v_mul_f64 v[54:55], v[4:5], v[8:9]
	v_mul_f64 v[8:9], v[2:3], v[8:9]
	s_delay_alu instid0(VALU_DEP_2) | instskip(NEXT) | instid1(VALU_DEP_2)
	v_fma_f64 v[54:55], v[2:3], v[6:7], -v[54:55]
	v_fma_f64 v[6:7], v[4:5], v[6:7], v[8:9]
	s_delay_alu instid0(VALU_DEP_2) | instskip(NEXT) | instid1(VALU_DEP_2)
	v_add_f64 v[54:55], v[54:55], 0
	v_add_f64 v[56:57], v[6:7], 0
	flat_load_b128 v[6:9], v[58:59]
	s_waitcnt vmcnt(0) lgkmcnt(0)
	v_mul_f64 v[60:61], v[4:5], v[8:9]
	s_delay_alu instid0(VALU_DEP_1) | instskip(SKIP_1) | instid1(VALU_DEP_2)
	v_fma_f64 v[60:61], v[2:3], v[6:7], -v[60:61]
	v_mul_f64 v[2:3], v[2:3], v[8:9]
	v_add_f64 v[60:61], v[60:61], 0
	s_delay_alu instid0(VALU_DEP_2) | instskip(NEXT) | instid1(VALU_DEP_1)
	v_fma_f64 v[2:3], v[4:5], v[6:7], v[2:3]
	v_add_f64 v[62:63], v[2:3], 0
	scratch_load_b128 v[2:5], off, off offset:16
	flat_load_b128 v[6:9], v[10:11] offset:16
	s_waitcnt vmcnt(0) lgkmcnt(0)
	v_mul_f64 v[64:65], v[4:5], v[8:9]
	v_mul_f64 v[8:9], v[2:3], v[8:9]
	s_delay_alu instid0(VALU_DEP_2) | instskip(NEXT) | instid1(VALU_DEP_2)
	v_fma_f64 v[64:65], v[2:3], v[6:7], -v[64:65]
	v_fma_f64 v[6:7], v[4:5], v[6:7], v[8:9]
	s_delay_alu instid0(VALU_DEP_2) | instskip(NEXT) | instid1(VALU_DEP_2)
	v_add_f64 v[12:13], v[12:13], v[64:65]
	v_add_f64 v[14:15], v[14:15], v[6:7]
	flat_load_b128 v[6:9], v[31:32] offset:16
	s_waitcnt vmcnt(0) lgkmcnt(0)
	v_mul_f64 v[64:65], v[4:5], v[8:9]
	v_mul_f64 v[8:9], v[2:3], v[8:9]
	s_delay_alu instid0(VALU_DEP_2) | instskip(NEXT) | instid1(VALU_DEP_2)
	v_fma_f64 v[64:65], v[2:3], v[6:7], -v[64:65]
	v_fma_f64 v[6:7], v[4:5], v[6:7], v[8:9]
	s_delay_alu instid0(VALU_DEP_2) | instskip(NEXT) | instid1(VALU_DEP_2)
	v_add_f64 v[16:17], v[16:17], v[64:65]
	v_add_f64 v[18:19], v[18:19], v[6:7]
	;; [unrolled: 10-line block ×3, first 2 shown]
	flat_load_b128 v[6:9], v[58:59] offset:16
	s_waitcnt vmcnt(0) lgkmcnt(0)
	v_mul_f64 v[64:65], v[4:5], v[8:9]
	s_delay_alu instid0(VALU_DEP_1) | instskip(SKIP_1) | instid1(VALU_DEP_2)
	v_fma_f64 v[64:65], v[2:3], v[6:7], -v[64:65]
	v_mul_f64 v[2:3], v[2:3], v[8:9]
	v_add_f64 v[60:61], v[60:61], v[64:65]
	s_delay_alu instid0(VALU_DEP_2) | instskip(NEXT) | instid1(VALU_DEP_1)
	v_fma_f64 v[2:3], v[4:5], v[6:7], v[2:3]
	v_add_f64 v[62:63], v[62:63], v[2:3]
	scratch_load_b128 v[2:5], off, off offset:32
	flat_load_b128 v[6:9], v[10:11] offset:32
	s_waitcnt vmcnt(0) lgkmcnt(0)
	v_mul_f64 v[64:65], v[4:5], v[8:9]
	v_mul_f64 v[8:9], v[2:3], v[8:9]
	s_delay_alu instid0(VALU_DEP_2) | instskip(NEXT) | instid1(VALU_DEP_2)
	v_fma_f64 v[64:65], v[2:3], v[6:7], -v[64:65]
	v_fma_f64 v[6:7], v[4:5], v[6:7], v[8:9]
	s_delay_alu instid0(VALU_DEP_2) | instskip(NEXT) | instid1(VALU_DEP_2)
	v_add_f64 v[12:13], v[12:13], v[64:65]
	v_add_f64 v[14:15], v[14:15], v[6:7]
	flat_load_b128 v[6:9], v[31:32] offset:32
	s_waitcnt vmcnt(0) lgkmcnt(0)
	v_mul_f64 v[64:65], v[4:5], v[8:9]
	v_mul_f64 v[8:9], v[2:3], v[8:9]
	s_delay_alu instid0(VALU_DEP_2) | instskip(NEXT) | instid1(VALU_DEP_2)
	v_fma_f64 v[64:65], v[2:3], v[6:7], -v[64:65]
	v_fma_f64 v[6:7], v[4:5], v[6:7], v[8:9]
	s_delay_alu instid0(VALU_DEP_2) | instskip(NEXT) | instid1(VALU_DEP_2)
	v_add_f64 v[64:65], v[16:17], v[64:65]
	v_add_f64 v[66:67], v[18:19], v[6:7]
	;; [unrolled: 10-line block ×3, first 2 shown]
	flat_load_b128 v[6:9], v[58:59] offset:32
	s_waitcnt vmcnt(0) lgkmcnt(0)
	v_mul_f64 v[16:17], v[4:5], v[8:9]
	s_delay_alu instid0(VALU_DEP_1) | instskip(SKIP_1) | instid1(VALU_DEP_2)
	v_fma_f64 v[16:17], v[2:3], v[6:7], -v[16:17]
	v_mul_f64 v[2:3], v[2:3], v[8:9]
	v_add_f64 v[60:61], v[60:61], v[16:17]
	s_delay_alu instid0(VALU_DEP_2) | instskip(NEXT) | instid1(VALU_DEP_1)
	v_fma_f64 v[2:3], v[4:5], v[6:7], v[2:3]
	v_add_f64 v[62:63], v[62:63], v[2:3]
	scratch_load_b128 v[17:20], off, off offset:48
	flat_load_b128 v[2:5], v[10:11] offset:48
	s_waitcnt vmcnt(0) lgkmcnt(0)
	v_mul_f64 v[6:7], v[19:20], v[4:5]
	v_mul_f64 v[4:5], v[17:18], v[4:5]
	s_delay_alu instid0(VALU_DEP_2) | instskip(NEXT) | instid1(VALU_DEP_2)
	v_fma_f64 v[6:7], v[17:18], v[2:3], -v[6:7]
	v_fma_f64 v[2:3], v[19:20], v[2:3], v[4:5]
	s_delay_alu instid0(VALU_DEP_2)
	v_add_f64 v[7:8], v[12:13], v[6:7]
	flat_load_b128 v[9:12], v[31:32] offset:48
	v_add_f64 v[5:6], v[14:15], v[2:3]
	flat_load_b128 v[13:16], v[52:53] offset:48
	s_waitcnt vmcnt(1) lgkmcnt(1)
	v_mul_f64 v[2:3], v[19:20], v[11:12]
	v_mul_f64 v[11:12], v[17:18], v[11:12]
	s_delay_alu instid0(VALU_DEP_2) | instskip(NEXT) | instid1(VALU_DEP_2)
	v_fma_f64 v[2:3], v[17:18], v[9:10], -v[2:3]
	v_fma_f64 v[11:12], v[19:20], v[9:10], v[11:12]
	s_delay_alu instid0(VALU_DEP_2) | instskip(SKIP_3) | instid1(VALU_DEP_4)
	v_add_f64 v[9:10], v[64:65], v[2:3]
	s_waitcnt vmcnt(0) lgkmcnt(0)
	v_mul_f64 v[2:3], v[19:20], v[15:16]
	v_mul_f64 v[15:16], v[17:18], v[15:16]
	v_add_f64 v[11:12], v[66:67], v[11:12]
	s_delay_alu instid0(VALU_DEP_3) | instskip(NEXT) | instid1(VALU_DEP_3)
	v_fma_f64 v[2:3], v[17:18], v[13:14], -v[2:3]
	v_fma_f64 v[15:16], v[19:20], v[13:14], v[15:16]
	s_delay_alu instid0(VALU_DEP_2) | instskip(SKIP_4) | instid1(VALU_DEP_1)
	v_add_f64 v[13:14], v[54:55], v[2:3]
	flat_load_b128 v[52:55], v[58:59] offset:48
	v_add_f64 v[15:16], v[56:57], v[15:16]
	s_waitcnt vmcnt(0) lgkmcnt(0)
	v_mul_f64 v[2:3], v[19:20], v[54:55]
	v_fma_f64 v[2:3], v[17:18], v[52:53], -v[2:3]
	v_mul_f64 v[17:18], v[17:18], v[54:55]
	s_delay_alu instid0(VALU_DEP_1) | instskip(NEXT) | instid1(VALU_DEP_3)
	v_fma_f64 v[19:20], v[19:20], v[52:53], v[17:18]
	v_add_f64 v[17:18], v[60:61], v[2:3]
	s_delay_alu instid0(VALU_DEP_2)
	v_add_f64 v[19:20], v[62:63], v[19:20]
	s_and_not1_saveexec_b32 s12, s12
	s_cbranch_execz .LBB352_15
.LBB352_41:                             ;   in Loop: Header=BB352_13 Depth=1
	s_waitcnt lgkmcnt(0)
	v_mov_b32_e32 v17, 0
	v_mov_b32_e32 v18, 0
	s_delay_alu instid0(VALU_DEP_2) | instskip(SKIP_2) | instid1(VALU_DEP_4)
	v_mov_b32_e32 v13, v17
	v_mov_b32_e32 v15, v17
	;; [unrolled: 1-line block ×3, first 2 shown]
	v_dual_mov_b32 v11, v17 :: v_dual_mov_b32 v12, v18
	v_dual_mov_b32 v20, v18 :: v_dual_mov_b32 v19, v17
	v_mov_b32_e32 v14, v18
	v_mov_b32_e32 v16, v18
	v_dual_mov_b32 v10, v18 :: v_dual_mov_b32 v7, v17
	v_dual_mov_b32 v8, v18 :: v_dual_mov_b32 v5, v17
	v_mov_b32_e32 v6, v18
	s_and_saveexec_b32 s39, s3
	s_cbranch_execz .LBB352_47
; %bb.42:                               ;   in Loop: Header=BB352_13 Depth=1
	v_mov_b32_e32 v17, 0
	v_mov_b32_e32 v18, 0
	s_delay_alu instid0(VALU_DEP_2) | instskip(SKIP_2) | instid1(VALU_DEP_4)
	v_mov_b32_e32 v13, v17
	v_mov_b32_e32 v15, v17
	;; [unrolled: 1-line block ×3, first 2 shown]
	v_dual_mov_b32 v11, v17 :: v_dual_mov_b32 v12, v18
	v_dual_mov_b32 v20, v18 :: v_dual_mov_b32 v19, v17
	v_mov_b32_e32 v14, v18
	v_mov_b32_e32 v16, v18
	v_dual_mov_b32 v10, v18 :: v_dual_mov_b32 v7, v17
	v_dual_mov_b32 v8, v18 :: v_dual_mov_b32 v5, v17
	v_mov_b32_e32 v6, v18
	s_and_not1_b32 vcc_lo, exec_lo, s34
	s_cbranch_vccnz .LBB352_47
; %bb.43:                               ;   in Loop: Header=BB352_13 Depth=1
	v_mov_b32_e32 v4, 0
	v_mov_b32_e32 v2, v22
	s_mov_b32 s21, s29
.LBB352_44:                             ;   Parent Loop BB352_13 Depth=1
                                        ; =>  This Inner Loop Header: Depth=2
	s_delay_alu instid0(VALU_DEP_1) | instskip(SKIP_1) | instid1(SALU_CYCLE_1)
	v_ashrrev_i32_e32 v3, 31, v2
	s_add_i32 s21, s21, -1
	s_cmp_eq_u32 s21, 0
	s_delay_alu instid0(VALU_DEP_1) | instskip(SKIP_1) | instid1(VALU_DEP_2)
	v_lshlrev_b64 v[5:6], 4, v[2:3]
	v_add_nc_u32_e32 v2, s28, v2
	v_add_co_u32 v5, vcc_lo, s6, v5
	s_delay_alu instid0(VALU_DEP_3)
	v_add_co_ci_u32_e32 v6, vcc_lo, s7, v6, vcc_lo
	flat_load_b128 v[5:8], v[5:6]
	s_waitcnt vmcnt(0) lgkmcnt(0)
	scratch_store_b128 v4, v[5:8], off
	v_add_nc_u32_e32 v4, 16, v4
	s_cbranch_scc0 .LBB352_44
; %bb.45:                               ;   in Loop: Header=BB352_13 Depth=1
	s_ashr_i32 s21, s20, 31
	v_dual_mov_b32 v5, 0 :: v_dual_mov_b32 v4, v51
	v_mov_b32_e32 v6, 0
	s_lshl_b64 s[22:23], s[20:21], 4
	s_mov_b32 s24, s36
	v_add_co_u32 v2, vcc_lo, v33, s22
	v_add_co_ci_u32_e32 v3, vcc_lo, s23, v34, vcc_lo
	v_dual_mov_b32 v8, v6 :: v_dual_mov_b32 v7, v5
	v_dual_mov_b32 v12, v6 :: v_dual_mov_b32 v11, v5
	;; [unrolled: 1-line block ×7, first 2 shown]
	s_mov_b32 s22, s37
	s_mov_b32 s26, s38
	;; [unrolled: 1-line block ×3, first 2 shown]
.LBB352_46:                             ;   Parent Loop BB352_13 Depth=1
                                        ; =>  This Inner Loop Header: Depth=2
	s_ashr_i32 s27, s26, 31
	s_ashr_i32 s25, s24, 31
	s_lshl_b64 s[40:41], s[26:27], 4
	s_lshl_b64 s[42:43], s[24:25], 4
	v_add_co_u32 v31, vcc_lo, v33, s40
	s_ashr_i32 s23, s22, 31
	v_add_co_ci_u32_e32 v32, vcc_lo, s41, v34, vcc_lo
	v_add_co_u32 v64, vcc_lo, v33, s42
	s_lshl_b64 s[44:45], s[22:23], 4
	v_add_co_ci_u32_e32 v65, vcc_lo, s43, v34, vcc_lo
	v_add_co_u32 v68, vcc_lo, v33, s44
	v_add_co_ci_u32_e32 v69, vcc_lo, s45, v34, vcc_lo
	scratch_load_b128 v[52:55], v4, off offset:-8
	flat_load_b128 v[56:59], v[2:3]
	s_clause 0x2
	flat_load_b128 v[60:63], v[31:32]
	flat_load_b128 v[64:67], v[64:65]
	flat_load_b128 v[68:71], v[68:69]
	v_add_co_u32 v2, vcc_lo, v2, 16
	v_add_nc_u32_e32 v4, 16, v4
	v_add_co_ci_u32_e32 v3, vcc_lo, 0, v3, vcc_lo
	s_add_i32 s21, s21, -1
	s_add_i32 s26, s26, 1
	s_add_i32 s24, s24, 1
	;; [unrolled: 1-line block ×3, first 2 shown]
	s_cmp_lg_u32 s21, 0
	s_waitcnt vmcnt(2) lgkmcnt(2)
	v_mul_f64 v[72:73], v[54:55], v[62:63]
	v_mul_f64 v[31:32], v[54:55], v[58:59]
	;; [unrolled: 1-line block ×4, first 2 shown]
	s_waitcnt vmcnt(1) lgkmcnt(1)
	v_mul_f64 v[74:75], v[54:55], v[66:67]
	v_mul_f64 v[66:67], v[52:53], v[66:67]
	s_waitcnt vmcnt(0) lgkmcnt(0)
	v_mul_f64 v[76:77], v[54:55], v[70:71]
	v_mul_f64 v[70:71], v[52:53], v[70:71]
	v_fma_f64 v[31:32], v[52:53], v[56:57], -v[31:32]
	v_fma_f64 v[56:57], v[54:55], v[56:57], v[58:59]
	v_fma_f64 v[58:59], v[52:53], v[60:61], -v[72:73]
	v_fma_f64 v[60:61], v[54:55], v[60:61], v[62:63]
	v_fma_f64 v[62:63], v[52:53], v[64:65], -v[74:75]
	v_fma_f64 v[64:65], v[54:55], v[64:65], v[66:67]
	v_fma_f64 v[52:53], v[52:53], v[68:69], -v[76:77]
	v_fma_f64 v[54:55], v[54:55], v[68:69], v[70:71]
	v_add_f64 v[7:8], v[7:8], v[31:32]
	v_add_f64 v[5:6], v[5:6], v[56:57]
	;; [unrolled: 1-line block ×8, first 2 shown]
	s_cbranch_scc1 .LBB352_46
.LBB352_47:                             ;   in Loop: Header=BB352_13 Depth=1
	s_or_b32 exec_lo, exec_lo, s39
	s_delay_alu instid0(SALU_CYCLE_1)
	s_or_b32 exec_lo, exec_lo, s12
	s_and_saveexec_b32 s12, s0
	s_cbranch_execnz .LBB352_16
	s_branch .LBB352_17
.LBB352_48:                             ;   in Loop: Header=BB352_13 Depth=1
	ds_load_b128 v[5:8], v49
	s_or_b32 exec_lo, exec_lo, s12
	s_and_saveexec_b32 s12, s0
	s_cbranch_execz .LBB352_21
.LBB352_49:                             ;   in Loop: Header=BB352_13 Depth=1
	s_waitcnt lgkmcnt(0)
	ds_bpermute_b32 v2, v46, v5
	ds_bpermute_b32 v3, v46, v6
	ds_bpermute_b32 v31, v46, v7
	ds_bpermute_b32 v32, v46, v8
	s_waitcnt lgkmcnt(2)
	v_add_f64 v[2:3], v[5:6], v[2:3]
	s_waitcnt lgkmcnt(0)
	v_add_f64 v[4:5], v[7:8], v[31:32]
	ds_bpermute_b32 v6, v47, v2
	ds_bpermute_b32 v7, v47, v3
	ds_bpermute_b32 v31, v47, v4
	ds_bpermute_b32 v32, v47, v5
	s_waitcnt lgkmcnt(2)
	v_add_f64 v[2:3], v[2:3], v[6:7]
	s_waitcnt lgkmcnt(0)
	v_add_f64 v[7:8], v[4:5], v[31:32]
	;; [unrolled: 8-line block ×3, first 2 shown]
	s_or_b32 exec_lo, exec_lo, s12
	s_and_saveexec_b32 s12, s0
	s_cbranch_execnz .LBB352_22
	s_branch .LBB352_23
.LBB352_50:                             ;   in Loop: Header=BB352_13 Depth=1
	ds_load_b128 v[9:12], v49
	s_or_b32 exec_lo, exec_lo, s12
	s_and_saveexec_b32 s12, s0
	s_cbranch_execz .LBB352_27
.LBB352_51:                             ;   in Loop: Header=BB352_13 Depth=1
	s_waitcnt lgkmcnt(0)
	ds_bpermute_b32 v2, v46, v9
	ds_bpermute_b32 v3, v46, v10
	ds_bpermute_b32 v31, v46, v11
	ds_bpermute_b32 v32, v46, v12
	s_waitcnt lgkmcnt(2)
	v_add_f64 v[2:3], v[9:10], v[2:3]
	s_waitcnt lgkmcnt(0)
	v_add_f64 v[9:10], v[11:12], v[31:32]
	ds_bpermute_b32 v11, v47, v2
	ds_bpermute_b32 v12, v47, v3
	ds_bpermute_b32 v31, v47, v9
	ds_bpermute_b32 v32, v47, v10
	s_waitcnt lgkmcnt(2)
	v_add_f64 v[2:3], v[2:3], v[11:12]
	s_waitcnt lgkmcnt(0)
	v_add_f64 v[11:12], v[9:10], v[31:32]
	;; [unrolled: 8-line block ×3, first 2 shown]
	s_or_b32 exec_lo, exec_lo, s12
	s_and_saveexec_b32 s12, s0
	s_cbranch_execnz .LBB352_28
	s_branch .LBB352_29
.LBB352_52:                             ;   in Loop: Header=BB352_13 Depth=1
	ds_load_b128 v[13:16], v49
	s_or_b32 exec_lo, exec_lo, s12
	s_and_saveexec_b32 s12, s0
	s_cbranch_execz .LBB352_33
.LBB352_53:                             ;   in Loop: Header=BB352_13 Depth=1
	s_waitcnt lgkmcnt(0)
	ds_bpermute_b32 v2, v46, v13
	ds_bpermute_b32 v3, v46, v14
	ds_bpermute_b32 v31, v46, v15
	ds_bpermute_b32 v32, v46, v16
	s_waitcnt lgkmcnt(2)
	v_add_f64 v[2:3], v[13:14], v[2:3]
	s_waitcnt lgkmcnt(0)
	v_add_f64 v[13:14], v[15:16], v[31:32]
	ds_bpermute_b32 v15, v47, v2
	ds_bpermute_b32 v16, v47, v3
	ds_bpermute_b32 v31, v47, v13
	ds_bpermute_b32 v32, v47, v14
	s_waitcnt lgkmcnt(2)
	v_add_f64 v[2:3], v[2:3], v[15:16]
	s_waitcnt lgkmcnt(0)
	v_add_f64 v[15:16], v[13:14], v[31:32]
	;; [unrolled: 8-line block ×3, first 2 shown]
	s_or_b32 exec_lo, exec_lo, s12
	s_and_saveexec_b32 s12, s0
	s_cbranch_execnz .LBB352_34
	s_branch .LBB352_35
.LBB352_54:                             ;   in Loop: Header=BB352_13 Depth=1
	ds_load_b128 v[17:20], v49
	s_or_b32 exec_lo, exec_lo, s12
	s_and_saveexec_b32 s12, s0
	s_cbranch_execz .LBB352_39
.LBB352_55:                             ;   in Loop: Header=BB352_13 Depth=1
	s_waitcnt lgkmcnt(0)
	ds_bpermute_b32 v2, v46, v17
	ds_bpermute_b32 v3, v46, v18
	ds_bpermute_b32 v31, v46, v19
	ds_bpermute_b32 v32, v46, v20
	s_waitcnt lgkmcnt(2)
	v_add_f64 v[2:3], v[17:18], v[2:3]
	s_waitcnt lgkmcnt(0)
	v_add_f64 v[17:18], v[19:20], v[31:32]
	ds_bpermute_b32 v19, v47, v2
	ds_bpermute_b32 v20, v47, v3
	ds_bpermute_b32 v31, v47, v17
	ds_bpermute_b32 v32, v47, v18
	s_waitcnt lgkmcnt(2)
	v_add_f64 v[2:3], v[2:3], v[19:20]
	s_waitcnt lgkmcnt(0)
	v_add_f64 v[19:20], v[17:18], v[31:32]
	;; [unrolled: 8-line block ×3, first 2 shown]
	s_or_b32 exec_lo, exec_lo, s12
	s_and_saveexec_b32 s21, s5
	s_cbranch_execz .LBB352_12
.LBB352_56:                             ;   in Loop: Header=BB352_13 Depth=1
	v_mul_f64 v[2:3], s[18:19], v[7:8]
	v_mul_f64 v[7:8], s[16:17], v[7:8]
	;; [unrolled: 1-line block ×6, first 2 shown]
	s_waitcnt lgkmcnt(0)
	v_mul_f64 v[54:55], s[18:19], v[19:20]
	v_mul_f64 v[19:20], s[16:17], v[19:20]
	s_mul_i32 s12, s30, s10
	s_delay_alu instid0(SALU_CYCLE_1) | instskip(NEXT) | instid1(SALU_CYCLE_1)
	s_add_i32 s12, s12, s14
	s_lshl_b64 s[22:23], s[12:13], 4
	s_delay_alu instid0(SALU_CYCLE_1) | instskip(SKIP_2) | instid1(SALU_CYCLE_1)
	s_add_u32 s22, s33, s22
	s_addc_u32 s23, s31, s23
	s_add_i32 s12, s12, s10
	s_lshl_b64 s[24:25], s[12:13], 4
	s_delay_alu instid0(SALU_CYCLE_1) | instskip(SKIP_2) | instid1(SALU_CYCLE_1)
	s_add_u32 s24, s33, s24
	s_addc_u32 s25, s31, s25
	;; [unrolled: 5-line block ×3, first 2 shown]
	s_add_i32 s12, s12, s10
	s_lshl_b64 s[40:41], s[12:13], 4
	s_delay_alu instid0(SALU_CYCLE_1)
	s_add_u32 s40, s33, s40
	s_addc_u32 s41, s31, s41
	v_fma_f64 v[2:3], s[16:17], v[5:6], -v[2:3]
	v_fma_f64 v[4:5], s[18:19], v[5:6], v[7:8]
	v_fma_f64 v[6:7], s[16:17], v[9:10], -v[31:32]
	v_fma_f64 v[8:9], s[18:19], v[9:10], v[11:12]
	;; [unrolled: 2-line block ×4, first 2 shown]
	s_clause 0x3
	global_store_b128 v1, v[2:5], s[22:23]
	global_store_b128 v1, v[6:9], s[24:25]
	;; [unrolled: 1-line block ×4, first 2 shown]
	s_branch .LBB352_12
.LBB352_57:
	s_mov_b32 s30, 0
.LBB352_58:
	s_delay_alu instid0(SALU_CYCLE_1)
	s_cmp_ge_i32 s30, s9
	s_cbranch_scc1 .LBB352_80
; %bb.59:
	v_cmp_gt_u32_e64 s1, 16, v41
	v_ashrrev_i32_e32 v22, 31, v21
	v_cmp_gt_u32_e64 s0, 32, v0
	v_cmp_gt_u32_e64 s2, 8, v0
	v_cmp_eq_u32_e64 s3, 0, v0
	v_cndmask_b32_e64 v1, 0, 1, s1
	v_cmp_gt_u32_e64 s1, 24, v41
	v_cmp_ge_i32_e64 s4, s8, v43
	s_cmp_gt_i32 s29, 0
	s_mov_b32 s15, 0
	v_lshlrev_b32_e32 v1, 4, v1
	v_cndmask_b32_e64 v2, 0, 1, s1
	v_cmp_gt_u32_e64 s1, 28, v41
	v_cmp_ge_i32_e32 vcc_lo, s8, v42
	s_cselect_b32 s20, -1, 0
	s_waitcnt lgkmcnt(0)
	v_add_lshl_u32 v18, v1, v41, 2
	v_lshlrev_b32_e32 v2, 3, v2
	v_cndmask_b32_e64 v3, 0, 1, s1
	v_cmp_gt_u32_e64 s1, 30, v41
	v_add_nc_u32_e32 v1, s28, v21
	v_lshlrev_b32_e32 v17, 4, v40
	v_add_lshl_u32 v19, v2, v41, 2
	v_lshlrev_b32_e32 v3, 2, v3
	v_cndmask_b32_e64 v4, 0, 1, s1
	v_cmp_ne_u32_e64 s1, 31, v41
	v_ashrrev_i32_e32 v2, 31, v1
	v_add_nc_u32_e32 v0, s28, v1
	v_add_lshl_u32 v20, v3, v41, 2
	v_lshlrev_b32_e32 v4, 1, v4
	v_add_co_ci_u32_e64 v5, s1, 0, v41, s1
	v_lshlrev_b64 v[7:8], 4, v[1:2]
	v_add_nc_u32_e32 v2, s28, v0
	s_delay_alu instid0(VALU_DEP_4)
	v_add_lshl_u32 v23, v4, v41, 2
	v_lshlrev_b64 v[3:4], 4, v[21:22]
	v_ashrrev_i32_e32 v1, 31, v0
	v_lshlrev_b32_e32 v24, 2, v5
	v_cmp_eq_u32_e64 s1, 0, v40
	v_and_b32_e32 v25, 0x70, v39
	s_lshl_b64 s[12:13], s[14:15], 4
	v_add_co_u32 v5, s5, s6, v3
	v_ashrrev_i32_e32 v3, 31, v2
	v_lshlrev_b64 v[0:1], 4, v[0:1]
	v_add_co_ci_u32_e64 v6, s5, s7, v4, s5
	v_add_co_u32 v7, s5, s6, v7
	s_delay_alu instid0(VALU_DEP_4)
	v_lshlrev_b64 v[2:3], 4, v[2:3]
	v_add_co_ci_u32_e64 v8, s5, s7, v8, s5
	v_add_co_u32 v9, s5, s6, v0
	v_mov_b32_e32 v0, 0
	v_add_co_ci_u32_e64 v10, s5, s7, v1, s5
	v_add_co_u32 v11, s5, s6, v2
	s_delay_alu instid0(VALU_DEP_1)
	v_add_co_ci_u32_e64 v12, s5, s7, v3, s5
	s_add_u32 s8, s33, s12
	s_addc_u32 s5, s31, s13
	s_and_b32 s14, s20, s4
	s_mul_i32 s12, s30, s11
	s_branch .LBB352_61
.LBB352_60:                             ;   in Loop: Header=BB352_61 Depth=1
	s_or_b32 exec_lo, exec_lo, s4
	s_add_i32 s30, s30, 1
	s_add_i32 s12, s12, s11
	s_cmp_lt_i32 s30, s9
	s_cbranch_scc0 .LBB352_80
.LBB352_61:                             ; =>This Loop Header: Depth=1
                                        ;     Child Loop BB352_73 Depth 2
                                        ;     Child Loop BB352_75 Depth 2
                                        ; implicit-def: $vgpr13_vgpr14
                                        ; implicit-def: $vgpr15_vgpr16
	s_and_saveexec_b32 s4, vcc_lo
	s_delay_alu instid0(SALU_CYCLE_1)
	s_xor_b32 s13, exec_lo, s4
	s_cbranch_execnz .LBB352_70
; %bb.62:                               ;   in Loop: Header=BB352_61 Depth=1
	s_and_not1_saveexec_b32 s15, s13
	s_cbranch_execnz .LBB352_71
.LBB352_63:                             ;   in Loop: Header=BB352_61 Depth=1
	s_or_b32 exec_lo, exec_lo, s15
	s_and_saveexec_b32 s4, s0
	s_cbranch_execz .LBB352_65
.LBB352_64:                             ;   in Loop: Header=BB352_61 Depth=1
	s_waitcnt lgkmcnt(0)
	v_mov_b32_e32 v1, v0
	v_mov_b32_e32 v2, v0
	;; [unrolled: 1-line block ×3, first 2 shown]
	ds_store_b128 v17, v[0:3]
.LBB352_65:                             ;   in Loop: Header=BB352_61 Depth=1
	s_or_b32 exec_lo, exec_lo, s4
	s_waitcnt lgkmcnt(0)
	ds_bpermute_b32 v1, v18, v13
	ds_bpermute_b32 v2, v18, v14
	;; [unrolled: 1-line block ×4, first 2 shown]
	s_waitcnt lgkmcnt(0)
	s_waitcnt_vscnt null, 0x0
	s_barrier
	buffer_gl0_inv
	v_add_f64 v[1:2], v[13:14], v[1:2]
	v_add_f64 v[3:4], v[15:16], v[3:4]
	ds_bpermute_b32 v13, v19, v1
	ds_bpermute_b32 v14, v19, v2
	ds_bpermute_b32 v15, v19, v3
	ds_bpermute_b32 v16, v19, v4
	s_waitcnt lgkmcnt(2)
	v_add_f64 v[1:2], v[1:2], v[13:14]
	s_waitcnt lgkmcnt(0)
	v_add_f64 v[3:4], v[3:4], v[15:16]
	ds_bpermute_b32 v13, v20, v1
	ds_bpermute_b32 v14, v20, v2
	ds_bpermute_b32 v15, v20, v3
	ds_bpermute_b32 v16, v20, v4
	s_waitcnt lgkmcnt(2)
	v_add_f64 v[1:2], v[1:2], v[13:14]
	s_waitcnt lgkmcnt(0)
	v_add_f64 v[3:4], v[3:4], v[15:16]
	ds_bpermute_b32 v13, v23, v1
	ds_bpermute_b32 v14, v23, v2
	ds_bpermute_b32 v15, v23, v3
	ds_bpermute_b32 v16, v23, v4
	s_waitcnt lgkmcnt(2)
	v_add_f64 v[1:2], v[1:2], v[13:14]
	s_waitcnt lgkmcnt(0)
	v_add_f64 v[13:14], v[3:4], v[15:16]
	ds_bpermute_b32 v3, v24, v1
	ds_bpermute_b32 v4, v24, v2
	;; [unrolled: 1-line block ×4, first 2 shown]
	s_and_saveexec_b32 s4, s1
	s_cbranch_execz .LBB352_67
; %bb.66:                               ;   in Loop: Header=BB352_61 Depth=1
	s_waitcnt lgkmcnt(0)
	v_add_f64 v[15:16], v[13:14], v[15:16]
	v_add_f64 v[13:14], v[1:2], v[3:4]
	ds_store_b128 v25, v[13:16]
.LBB352_67:                             ;   in Loop: Header=BB352_61 Depth=1
	s_or_b32 exec_lo, exec_lo, s4
	s_waitcnt lgkmcnt(2)
	v_mov_b32_e32 v3, 0
	v_mov_b32_e32 v4, 0
	s_delay_alu instid0(VALU_DEP_2)
	v_mov_b32_e32 v1, v3
	s_waitcnt lgkmcnt(0)
	s_barrier
	buffer_gl0_inv
	v_mov_b32_e32 v2, v4
	s_and_saveexec_b32 s4, s2
	s_cbranch_execnz .LBB352_77
; %bb.68:                               ;   in Loop: Header=BB352_61 Depth=1
	s_or_b32 exec_lo, exec_lo, s4
	s_and_saveexec_b32 s4, s0
	s_cbranch_execnz .LBB352_78
.LBB352_69:                             ;   in Loop: Header=BB352_61 Depth=1
	s_or_b32 exec_lo, exec_lo, s4
	s_and_saveexec_b32 s4, s3
	s_cbranch_execz .LBB352_60
	s_branch .LBB352_79
.LBB352_70:                             ;   in Loop: Header=BB352_61 Depth=1
	s_waitcnt lgkmcnt(0)
	s_clause 0x2
	flat_load_b128 v[1:4], v[7:8]
	flat_load_b128 v[13:16], v[9:10]
	;; [unrolled: 1-line block ×3, first 2 shown]
	s_mul_i32 s20, s30, s11
	s_delay_alu instid0(SALU_CYCLE_1) | instskip(NEXT) | instid1(SALU_CYCLE_1)
	s_ashr_i32 s21, s20, 31
	s_lshl_b64 s[20:21], s[20:21], 4
	s_delay_alu instid0(SALU_CYCLE_1) | instskip(NEXT) | instid1(VALU_DEP_1)
	v_add_co_u32 v30, s4, v33, s20
	v_add_co_ci_u32_e64 v31, s4, s21, v34, s4
	flat_load_b128 v[39:42], v[5:6]
	s_clause 0x1
	flat_load_b128 v[43:46], v[30:31]
	flat_load_b128 v[47:50], v[30:31] offset:16
	s_waitcnt vmcnt(5) lgkmcnt(5)
	scratch_store_b128 v35, v[1:4], off
	s_waitcnt vmcnt(4) lgkmcnt(4)
	scratch_store_b128 v36, v[13:16], off
	s_clause 0x1
	scratch_load_b128 v[1:4], off, off offset:16
	scratch_load_b128 v[13:16], off, off offset:32
	s_clause 0x1
	flat_load_b128 v[51:54], v[30:31] offset:32
	flat_load_b128 v[55:58], v[30:31] offset:48
	s_waitcnt vmcnt(7) lgkmcnt(5)
	scratch_store_b128 v37, v[26:29], off
	scratch_load_b128 v[26:29], off, off offset:48
	s_waitcnt vmcnt(7) lgkmcnt(4)
	scratch_store_b128 off, v[39:42], off
	s_waitcnt vmcnt(6) lgkmcnt(3)
	v_mul_f64 v[30:31], v[45:46], v[41:42]
	v_mul_f64 v[59:60], v[43:44], v[41:42]
	s_delay_alu instid0(VALU_DEP_2) | instskip(NEXT) | instid1(VALU_DEP_2)
	v_fma_f64 v[30:31], v[43:44], v[39:40], -v[30:31]
	v_fma_f64 v[43:44], v[45:46], v[39:40], v[59:60]
	s_delay_alu instid0(VALU_DEP_2) | instskip(NEXT) | instid1(VALU_DEP_2)
	v_add_f64 v[30:31], v[30:31], 0
	v_add_f64 v[43:44], v[43:44], 0
	s_waitcnt vmcnt(4) lgkmcnt(2)
	v_mul_f64 v[45:46], v[49:50], v[3:4]
	v_mul_f64 v[3:4], v[47:48], v[3:4]
	s_waitcnt vmcnt(2) lgkmcnt(1)
	v_mul_f64 v[59:60], v[53:54], v[15:16]
	v_mul_f64 v[15:16], v[51:52], v[15:16]
	s_delay_alu instid0(VALU_DEP_4) | instskip(NEXT) | instid1(VALU_DEP_4)
	v_fma_f64 v[45:46], v[47:48], v[1:2], -v[45:46]
	v_fma_f64 v[1:2], v[49:50], v[1:2], v[3:4]
	s_waitcnt vmcnt(0) lgkmcnt(0)
	v_mul_f64 v[3:4], v[57:58], v[28:29]
	v_mul_f64 v[28:29], v[55:56], v[28:29]
	v_fma_f64 v[47:48], v[51:52], v[13:14], -v[59:60]
	v_fma_f64 v[13:14], v[53:54], v[13:14], v[15:16]
	v_add_f64 v[15:16], v[30:31], v[45:46]
	v_add_f64 v[1:2], v[43:44], v[1:2]
	v_fma_f64 v[3:4], v[55:56], v[26:27], -v[3:4]
	v_fma_f64 v[26:27], v[57:58], v[26:27], v[28:29]
	s_delay_alu instid0(VALU_DEP_4) | instskip(NEXT) | instid1(VALU_DEP_4)
	v_add_f64 v[15:16], v[15:16], v[47:48]
	v_add_f64 v[1:2], v[1:2], v[13:14]
	s_delay_alu instid0(VALU_DEP_2) | instskip(NEXT) | instid1(VALU_DEP_2)
	v_add_f64 v[13:14], v[15:16], v[3:4]
	v_add_f64 v[15:16], v[1:2], v[26:27]
	s_and_not1_saveexec_b32 s15, s13
	s_cbranch_execz .LBB352_63
.LBB352_71:                             ;   in Loop: Header=BB352_61 Depth=1
	v_mov_b32_e32 v13, 0
	v_mov_b32_e32 v14, 0
	s_delay_alu instid0(VALU_DEP_1)
	v_dual_mov_b32 v16, v14 :: v_dual_mov_b32 v15, v13
	s_and_saveexec_b32 s20, s14
	s_cbranch_execz .LBB352_76
; %bb.72:                               ;   in Loop: Header=BB352_61 Depth=1
	s_waitcnt lgkmcnt(0)
	v_mov_b32_e32 v3, 0
	v_mov_b32_e32 v1, v21
	s_mov_b32 s13, s29
.LBB352_73:                             ;   Parent Loop BB352_61 Depth=1
                                        ; =>  This Inner Loop Header: Depth=2
	s_delay_alu instid0(VALU_DEP_1) | instskip(SKIP_1) | instid1(SALU_CYCLE_1)
	v_ashrrev_i32_e32 v2, 31, v1
	s_add_i32 s13, s13, -1
	s_cmp_eq_u32 s13, 0
	s_delay_alu instid0(VALU_DEP_1) | instskip(SKIP_1) | instid1(VALU_DEP_2)
	v_lshlrev_b64 v[13:14], 4, v[1:2]
	v_add_nc_u32_e32 v1, s28, v1
	v_add_co_u32 v13, s4, s6, v13
	s_delay_alu instid0(VALU_DEP_1)
	v_add_co_ci_u32_e64 v14, s4, s7, v14, s4
	flat_load_b128 v[13:16], v[13:14]
	s_waitcnt vmcnt(0) lgkmcnt(0)
	scratch_store_b128 v3, v[13:16], off
	v_add_nc_u32_e32 v3, 16, v3
	s_cbranch_scc0 .LBB352_73
; %bb.74:                               ;   in Loop: Header=BB352_61 Depth=1
	s_ashr_i32 s13, s12, 31
	v_mov_b32_e32 v13, 0
	v_dual_mov_b32 v14, 0 :: v_dual_mov_b32 v3, v38
	s_lshl_b64 s[22:23], s[12:13], 4
	s_mov_b32 s13, s29
	v_add_co_u32 v1, s4, v33, s22
	s_delay_alu instid0(VALU_DEP_1)
	v_add_co_ci_u32_e64 v2, s4, s23, v34, s4
	v_dual_mov_b32 v16, v14 :: v_dual_mov_b32 v15, v13
	.p2align	6
.LBB352_75:                             ;   Parent Loop BB352_61 Depth=1
                                        ; =>  This Inner Loop Header: Depth=2
	flat_load_b128 v[26:29], v[1:2]
	scratch_load_b128 v[39:42], v3, off offset:-8
	v_add_co_u32 v1, s4, v1, 16
	v_add_nc_u32_e32 v3, 16, v3
	v_add_co_ci_u32_e64 v2, s4, 0, v2, s4
	s_add_i32 s13, s13, -1
	s_delay_alu instid0(SALU_CYCLE_1) | instskip(SKIP_3) | instid1(VALU_DEP_2)
	s_cmp_lg_u32 s13, 0
	s_waitcnt vmcnt(0) lgkmcnt(0)
	v_mul_f64 v[30:31], v[28:29], v[41:42]
	v_mul_f64 v[41:42], v[26:27], v[41:42]
	v_fma_f64 v[26:27], v[26:27], v[39:40], -v[30:31]
	s_delay_alu instid0(VALU_DEP_2) | instskip(NEXT) | instid1(VALU_DEP_2)
	v_fma_f64 v[28:29], v[28:29], v[39:40], v[41:42]
	v_add_f64 v[13:14], v[13:14], v[26:27]
	s_delay_alu instid0(VALU_DEP_2)
	v_add_f64 v[15:16], v[15:16], v[28:29]
	s_cbranch_scc1 .LBB352_75
.LBB352_76:                             ;   in Loop: Header=BB352_61 Depth=1
	s_or_b32 exec_lo, exec_lo, s20
	s_delay_alu instid0(SALU_CYCLE_1)
	s_or_b32 exec_lo, exec_lo, s15
	s_and_saveexec_b32 s4, s0
	s_cbranch_execnz .LBB352_64
	s_branch .LBB352_65
.LBB352_77:                             ;   in Loop: Header=BB352_61 Depth=1
	ds_load_b128 v[1:4], v17
	s_or_b32 exec_lo, exec_lo, s4
	s_and_saveexec_b32 s4, s0
	s_cbranch_execz .LBB352_69
.LBB352_78:                             ;   in Loop: Header=BB352_61 Depth=1
	s_waitcnt lgkmcnt(0)
	ds_bpermute_b32 v13, v20, v1
	ds_bpermute_b32 v14, v20, v2
	ds_bpermute_b32 v15, v20, v3
	ds_bpermute_b32 v16, v20, v4
	s_waitcnt lgkmcnt(2)
	v_add_f64 v[1:2], v[1:2], v[13:14]
	s_waitcnt lgkmcnt(0)
	v_add_f64 v[3:4], v[3:4], v[15:16]
	ds_bpermute_b32 v13, v23, v1
	ds_bpermute_b32 v14, v23, v2
	ds_bpermute_b32 v15, v23, v3
	ds_bpermute_b32 v16, v23, v4
	s_waitcnt lgkmcnt(2)
	v_add_f64 v[1:2], v[1:2], v[13:14]
	s_waitcnt lgkmcnt(0)
	v_add_f64 v[3:4], v[3:4], v[15:16]
	;; [unrolled: 8-line block ×3, first 2 shown]
	s_or_b32 exec_lo, exec_lo, s4
	s_and_saveexec_b32 s4, s3
	s_cbranch_execz .LBB352_60
.LBB352_79:                             ;   in Loop: Header=BB352_61 Depth=1
	s_waitcnt lgkmcnt(0)
	s_delay_alu instid0(VALU_DEP_1) | instskip(SKIP_3) | instid1(SALU_CYCLE_1)
	v_mul_f64 v[13:14], s[18:19], v[3:4]
	v_mul_f64 v[3:4], s[16:17], v[3:4]
	s_mul_hi_u32 s21, s30, s10
	s_mul_i32 s20, s30, s10
	s_lshl_b64 s[20:21], s[20:21], 4
	s_delay_alu instid0(SALU_CYCLE_1) | instskip(SKIP_1) | instid1(VALU_DEP_2)
	s_add_u32 s20, s8, s20
	s_addc_u32 s21, s5, s21
	v_fma_f64 v[13:14], s[16:17], v[1:2], -v[13:14]
	s_delay_alu instid0(VALU_DEP_2)
	v_fma_f64 v[15:16], s[18:19], v[1:2], v[3:4]
	global_store_b128 v0, v[13:16], s[20:21]
	s_branch .LBB352_60
.LBB352_80:
	s_nop 0
	s_sendmsg sendmsg(MSG_DEALLOC_VGPRS)
	s_endpgm
	.section	.rodata,"a",@progbits
	.p2align	6, 0x0
	.amdhsa_kernel _ZL23rocblas_gemvt_sn_kernelILb0ELi256ELi4EiPK19rocblas_complex_numIdES3_S1_EviiT4_lPKT3_lilS7_lilPT5_i
		.amdhsa_group_segment_fixed_size 512
		.amdhsa_private_segment_fixed_size 80
		.amdhsa_kernarg_size 360
		.amdhsa_user_sgpr_count 14
		.amdhsa_user_sgpr_dispatch_ptr 0
		.amdhsa_user_sgpr_queue_ptr 0
		.amdhsa_user_sgpr_kernarg_segment_ptr 1
		.amdhsa_user_sgpr_dispatch_id 0
		.amdhsa_user_sgpr_private_segment_size 0
		.amdhsa_wavefront_size32 1
		.amdhsa_uses_dynamic_stack 0
		.amdhsa_enable_private_segment 1
		.amdhsa_system_sgpr_workgroup_id_x 1
		.amdhsa_system_sgpr_workgroup_id_y 0
		.amdhsa_system_sgpr_workgroup_id_z 1
		.amdhsa_system_sgpr_workgroup_info 0
		.amdhsa_system_vgpr_workitem_id 0
		.amdhsa_next_free_vgpr 78
		.amdhsa_next_free_sgpr 46
		.amdhsa_reserve_vcc 1
		.amdhsa_float_round_mode_32 0
		.amdhsa_float_round_mode_16_64 0
		.amdhsa_float_denorm_mode_32 3
		.amdhsa_float_denorm_mode_16_64 3
		.amdhsa_dx10_clamp 1
		.amdhsa_ieee_mode 1
		.amdhsa_fp16_overflow 0
		.amdhsa_workgroup_processor_mode 1
		.amdhsa_memory_ordered 1
		.amdhsa_forward_progress 0
		.amdhsa_shared_vgpr_count 0
		.amdhsa_exception_fp_ieee_invalid_op 0
		.amdhsa_exception_fp_denorm_src 0
		.amdhsa_exception_fp_ieee_div_zero 0
		.amdhsa_exception_fp_ieee_overflow 0
		.amdhsa_exception_fp_ieee_underflow 0
		.amdhsa_exception_fp_ieee_inexact 0
		.amdhsa_exception_int_div_zero 0
	.end_amdhsa_kernel
	.section	.text._ZL23rocblas_gemvt_sn_kernelILb0ELi256ELi4EiPK19rocblas_complex_numIdES3_S1_EviiT4_lPKT3_lilS7_lilPT5_i,"axG",@progbits,_ZL23rocblas_gemvt_sn_kernelILb0ELi256ELi4EiPK19rocblas_complex_numIdES3_S1_EviiT4_lPKT3_lilS7_lilPT5_i,comdat
.Lfunc_end352:
	.size	_ZL23rocblas_gemvt_sn_kernelILb0ELi256ELi4EiPK19rocblas_complex_numIdES3_S1_EviiT4_lPKT3_lilS7_lilPT5_i, .Lfunc_end352-_ZL23rocblas_gemvt_sn_kernelILb0ELi256ELi4EiPK19rocblas_complex_numIdES3_S1_EviiT4_lPKT3_lilS7_lilPT5_i
                                        ; -- End function
	.section	.AMDGPU.csdata,"",@progbits
; Kernel info:
; codeLenInByte = 7656
; NumSgprs: 48
; NumVgprs: 78
; ScratchSize: 80
; MemoryBound: 0
; FloatMode: 240
; IeeeMode: 1
; LDSByteSize: 512 bytes/workgroup (compile time only)
; SGPRBlocks: 5
; VGPRBlocks: 9
; NumSGPRsForWavesPerEU: 48
; NumVGPRsForWavesPerEU: 78
; Occupancy: 16
; WaveLimiterHint : 0
; COMPUTE_PGM_RSRC2:SCRATCH_EN: 1
; COMPUTE_PGM_RSRC2:USER_SGPR: 14
; COMPUTE_PGM_RSRC2:TRAP_HANDLER: 0
; COMPUTE_PGM_RSRC2:TGID_X_EN: 1
; COMPUTE_PGM_RSRC2:TGID_Y_EN: 0
; COMPUTE_PGM_RSRC2:TGID_Z_EN: 1
; COMPUTE_PGM_RSRC2:TIDIG_COMP_CNT: 0
	.section	.text._ZL23rocblas_gemvt_sn_kernelILb0ELi256ELi4ElPK19rocblas_complex_numIdES3_S1_EviiT4_lPKT3_lilS7_lilPT5_i,"axG",@progbits,_ZL23rocblas_gemvt_sn_kernelILb0ELi256ELi4ElPK19rocblas_complex_numIdES3_S1_EviiT4_lPKT3_lilS7_lilPT5_i,comdat
	.globl	_ZL23rocblas_gemvt_sn_kernelILb0ELi256ELi4ElPK19rocblas_complex_numIdES3_S1_EviiT4_lPKT3_lilS7_lilPT5_i ; -- Begin function _ZL23rocblas_gemvt_sn_kernelILb0ELi256ELi4ElPK19rocblas_complex_numIdES3_S1_EviiT4_lPKT3_lilS7_lilPT5_i
	.p2align	8
	.type	_ZL23rocblas_gemvt_sn_kernelILb0ELi256ELi4ElPK19rocblas_complex_numIdES3_S1_EviiT4_lPKT3_lilS7_lilPT5_i,@function
_ZL23rocblas_gemvt_sn_kernelILb0ELi256ELi4ElPK19rocblas_complex_numIdES3_S1_EviiT4_lPKT3_lilS7_lilPT5_i: ; @_ZL23rocblas_gemvt_sn_kernelILb0ELi256ELi4ElPK19rocblas_complex_numIdES3_S1_EviiT4_lPKT3_lilS7_lilPT5_i
; %bb.0:
	s_load_b256 s[4:11], s[0:1], 0x8
	s_mov_b32 s22, s15
	s_mov_b32 s23, 0
	s_mov_b64 s[20:21], 0
	s_mov_b64 s[12:13], 0
	s_waitcnt lgkmcnt(0)
	s_mul_i32 s3, s15, s7
	s_mul_hi_u32 s7, s15, s6
	s_mul_i32 s2, s15, s6
	s_add_i32 s3, s7, s3
	s_delay_alu instid0(SALU_CYCLE_1) | instskip(NEXT) | instid1(SALU_CYCLE_1)
	s_lshl_b64 s[2:3], s[2:3], 4
	s_add_u32 s2, s4, s2
	s_addc_u32 s3, s5, s3
	s_load_b128 s[16:19], s[2:3], 0x0
	s_waitcnt lgkmcnt(0)
	v_cmp_neq_f64_e64 s2, s[16:17], 0
	v_cmp_neq_f64_e64 s3, s[18:19], 0
	s_delay_alu instid0(VALU_DEP_1) | instskip(NEXT) | instid1(SALU_CYCLE_1)
	s_or_b32 s2, s2, s3
	s_xor_b32 s3, s2, -1
	s_delay_alu instid0(SALU_CYCLE_1)
	s_and_b32 vcc_lo, exec_lo, s3
	s_cbranch_vccnz .LBB353_2
; %bb.1:
	s_lshl_b64 s[4:5], s[22:23], 3
	s_delay_alu instid0(SALU_CYCLE_1)
	s_add_u32 s4, s8, s4
	s_addc_u32 s5, s9, s5
	s_lshl_b64 s[6:7], s[10:11], 4
	s_load_b64 s[4:5], s[4:5], 0x0
	s_waitcnt lgkmcnt(0)
	s_add_u32 s12, s4, s6
	s_addc_u32 s13, s5, s7
.LBB353_2:
	s_and_not1_b32 vcc_lo, exec_lo, s2
	s_cbranch_vccnz .LBB353_4
; %bb.3:
	s_load_b128 s[4:7], s[0:1], 0x38
	s_lshl_b64 s[8:9], s[22:23], 3
	s_waitcnt lgkmcnt(0)
	s_add_u32 s4, s4, s8
	s_addc_u32 s5, s5, s9
	s_lshl_b64 s[6:7], s[6:7], 4
	s_load_b64 s[4:5], s[4:5], 0x0
	s_waitcnt lgkmcnt(0)
	s_add_u32 s20, s4, s6
	s_addc_u32 s21, s5, s7
.LBB353_4:
	s_clause 0x2
	s_load_b64 s[6:7], s[0:1], 0x0
	s_load_b32 s8, s[0:1], 0x68
	s_load_b64 s[4:5], s[0:1], 0x58
	s_and_not1_b32 vcc_lo, exec_lo, s3
	v_cmp_eq_u32_e64 s2, 0, v0
	s_mov_b32 s9, 0
	s_waitcnt lgkmcnt(0)
	s_ashr_i32 s26, s7, 31
	s_mul_hi_u32 s3, s7, s22
	s_mul_i32 s10, s26, s22
	s_mul_i32 s11, s7, s22
	s_add_i32 s3, s3, s10
	s_mul_hi_u32 s10, s11, s8
	s_mul_i32 s3, s3, s8
	s_mul_i32 s24, s11, s8
	s_add_i32 s25, s10, s3
	s_mov_b32 s3, -1
	s_cbranch_vccnz .LBB353_9
; %bb.5:
	s_cmp_gt_i32 s7, 0
	s_cselect_b32 s3, -1, 0
	s_delay_alu instid0(SALU_CYCLE_1) | instskip(NEXT) | instid1(SALU_CYCLE_1)
	s_and_b32 s2, s2, s3
	s_and_saveexec_b32 s22, s2
	s_cbranch_execz .LBB353_8
; %bb.6:
	s_mov_b32 s15, 0
	v_mov_b32_e32 v1, 0
	s_lshl_b64 s[2:3], s[24:25], 4
	s_lshl_b64 s[10:11], s[14:15], 4
	s_delay_alu instid0(SALU_CYCLE_1)
	s_add_u32 s2, s2, s10
	s_addc_u32 s3, s3, s11
	s_add_u32 s2, s2, s4
	v_mov_b32_e32 v2, v1
	v_mov_b32_e32 v3, v1
	;; [unrolled: 1-line block ×3, first 2 shown]
	s_addc_u32 s3, s3, s5
	s_add_u32 s2, s2, 8
	s_addc_u32 s3, s3, 0
	s_lshl_b64 s[10:11], s[8:9], 4
	s_mov_b32 s9, s7
.LBB353_7:                              ; =>This Inner Loop Header: Depth=1
	s_delay_alu instid0(SALU_CYCLE_1)
	s_add_i32 s9, s9, -1
	global_store_b128 v1, v[1:4], s[2:3] offset:-8
	s_add_u32 s2, s2, s10
	s_addc_u32 s3, s3, s11
	s_cmp_eq_u32 s9, 0
	s_cbranch_scc0 .LBB353_7
.LBB353_8:
	s_or_b32 exec_lo, exec_lo, s22
	s_mov_b32 s3, 0
.LBB353_9:
	s_delay_alu instid0(SALU_CYCLE_1)
	s_and_not1_b32 vcc_lo, exec_lo, s3
	s_cbranch_vccnz .LBB353_80
; %bb.10:
	s_clause 0x1
	s_load_b32 s10, s[0:1], 0x28
	s_load_b32 s22, s[0:1], 0x48
	s_lshl_b64 s[2:3], s[24:25], 4
	v_and_b32_e32 v44, 31, v0
	v_cmp_gt_u32_e64 s0, 32, v0
	v_mbcnt_lo_u32_b32 v46, -1, 0
	v_cmp_gt_u32_e64 s1, 8, v0
	v_lshrrev_b32_e32 v45, 1, v0
	v_add_nc_u32_e64 v38, 0, 16
	v_add_nc_u32_e64 v39, 0, 32
	;; [unrolled: 1-line block ×3, first 2 shown]
	v_or_b32_e64 v41, 0, 8
	s_waitcnt lgkmcnt(0)
	s_ashr_i32 s11, s10, 31
	s_ashr_i32 s23, s22, 31
	s_add_u32 s30, s4, s2
	s_addc_u32 s31, s5, s3
	s_lshl_b32 s2, s14, 10
	s_ashr_i32 s3, s6, 31
	v_lshl_or_b32 v25, v0, 2, s2
	s_lshr_b32 s2, s26, 30
	s_lshr_b32 s3, s3, 30
	s_add_i32 s2, s7, s2
	s_add_i32 s3, s6, s3
	v_ashrrev_i32_e32 v26, 31, v25
	s_and_b32 s33, s2, -4
	s_and_b32 s2, s3, -4
	v_add_nc_u32_e32 v48, 4, v25
	s_sub_i32 s9, s6, s2
	v_lshlrev_b64 v[23:24], 4, v[25:26]
	v_or_b32_e32 v47, 1, v25
	v_or_b32_e32 v43, 2, v25
	;; [unrolled: 1-line block ×3, first 2 shown]
	v_add_nc_u32_e32 v49, s9, v25
	s_cmp_lt_i32 s33, 1
	v_add_co_u32 v21, vcc_lo, s12, v23
	v_add_co_ci_u32_e32 v22, vcc_lo, s13, v24, vcc_lo
	s_cbranch_scc1 .LBB353_57
; %bb.11:
	v_cmp_gt_u32_e32 vcc_lo, 16, v46
	v_mad_i64_i32 v[7:8], null, s22, v42, 0
	s_mov_b32 s15, 0
	s_cmp_gt_i32 s9, 0
	v_cndmask_b32_e64 v1, 0, 1, vcc_lo
	v_cmp_gt_u32_e32 vcc_lo, 24, v46
	v_cmp_ge_i32_e64 s2, s6, v48
	v_cmp_ge_i32_e64 s3, s6, v49
	s_cselect_b32 s34, -1, 0
	v_lshlrev_b32_e32 v1, 4, v1
	v_cndmask_b32_e64 v2, 0, 1, vcc_lo
	v_cmp_gt_u32_e32 vcc_lo, 28, v46
	v_cmp_eq_u32_e64 s4, 0, v44
	v_lshlrev_b32_e32 v55, 4, v44
	v_and_b32_e32 v56, 0x70, v45
	v_lshlrev_b32_e32 v2, 3, v2
	v_cndmask_b32_e64 v3, 0, 1, vcc_lo
	v_cmp_gt_u32_e32 vcc_lo, 30, v46
	s_lshl_b64 s[24:25], s[14:15], 4
	v_cmp_eq_u32_e64 s5, 0, v0
	v_add_lshl_u32 v51, v2, v46, 2
	v_lshlrev_b32_e32 v3, 2, v3
	v_cndmask_b32_e64 v4, 0, 1, vcc_lo
	v_cmp_ne_u32_e32 vcc_lo, 31, v46
	v_dual_mov_b32 v35, v22 :: v_dual_mov_b32 v34, v21
	v_add_lshl_u32 v50, v1, v46, 2
	s_delay_alu instid0(VALU_DEP_4) | instskip(SKIP_3) | instid1(VALU_DEP_4)
	v_lshlrev_b32_e32 v4, 1, v4
	v_mad_i64_i32 v[1:2], null, s22, v25, 0
	v_add_co_ci_u32_e32 v5, vcc_lo, 0, v46, vcc_lo
	v_add_lshl_u32 v52, v3, v46, 2
	v_add_lshl_u32 v53, v4, v46, 2
	v_mad_i64_i32 v[3:4], null, s22, v47, 0
	s_delay_alu instid0(VALU_DEP_4)
	v_lshlrev_b32_e32 v54, 2, v5
	v_lshlrev_b64 v[1:2], 4, v[1:2]
	v_mad_i64_i32 v[5:6], null, s22, v43, 0
	v_or_b32_e64 v57, 0, 8
	s_add_u32 s35, s30, s24
	v_lshlrev_b64 v[3:4], 4, v[3:4]
	s_delay_alu instid0(VALU_DEP_4) | instskip(SKIP_2) | instid1(VALU_DEP_4)
	v_add_co_u32 v26, vcc_lo, s20, v1
	v_add_co_ci_u32_e32 v27, vcc_lo, s21, v2, vcc_lo
	v_lshlrev_b64 v[1:2], 4, v[5:6]
	v_add_co_u32 v28, vcc_lo, s20, v3
	v_add_co_ci_u32_e32 v29, vcc_lo, s21, v4, vcc_lo
	v_lshlrev_b64 v[3:4], 4, v[7:8]
	s_delay_alu instid0(VALU_DEP_4) | instskip(SKIP_2) | instid1(VALU_DEP_4)
	v_add_co_u32 v30, vcc_lo, s20, v1
	v_add_co_ci_u32_e32 v31, vcc_lo, s21, v2, vcc_lo
	v_mov_b32_e32 v1, 0
	v_add_co_u32 v32, vcc_lo, s20, v3
	v_add_co_ci_u32_e32 v33, vcc_lo, s21, v4, vcc_lo
	s_addc_u32 s36, s31, s25
	s_lshl_b64 s[24:25], s[22:23], 4
	s_lshl_b64 s[26:27], s[10:11], 6
	;; [unrolled: 1-line block ×3, first 2 shown]
	s_branch .LBB353_13
.LBB353_12:                             ;   in Loop: Header=BB353_13 Depth=1
	s_or_b32 exec_lo, exec_lo, s37
	v_add_co_u32 v34, vcc_lo, v34, s26
	v_add_co_ci_u32_e32 v35, vcc_lo, s27, v35, vcc_lo
	s_add_i32 s15, s15, 4
	s_delay_alu instid0(SALU_CYCLE_1)
	s_cmp_ge_i32 s15, s33
	s_cbranch_scc1 .LBB353_58
.LBB353_13:                             ; =>This Loop Header: Depth=1
                                        ;     Child Loop BB353_44 Depth 2
                                        ;     Child Loop BB353_46 Depth 2
                                        ; implicit-def: $vgpr17_vgpr18
                                        ; implicit-def: $vgpr19_vgpr20
                                        ; implicit-def: $vgpr13_vgpr14
                                        ; implicit-def: $vgpr15_vgpr16
                                        ; implicit-def: $vgpr9_vgpr10
                                        ; implicit-def: $vgpr11_vgpr12
                                        ; implicit-def: $vgpr7_vgpr8
                                        ; implicit-def: $vgpr5_vgpr6
	s_and_saveexec_b32 s37, s2
	s_delay_alu instid0(SALU_CYCLE_1)
	s_xor_b32 s37, exec_lo, s37
	s_cbranch_execnz .LBB353_40
; %bb.14:                               ;   in Loop: Header=BB353_13 Depth=1
	s_and_not1_saveexec_b32 s37, s37
	s_cbranch_execnz .LBB353_41
.LBB353_15:                             ;   in Loop: Header=BB353_13 Depth=1
	s_or_b32 exec_lo, exec_lo, s37
	s_and_saveexec_b32 s37, s0
	s_cbranch_execz .LBB353_17
.LBB353_16:                             ;   in Loop: Header=BB353_13 Depth=1
	v_mov_b32_e32 v2, v1
	v_mov_b32_e32 v3, v1
	;; [unrolled: 1-line block ×3, first 2 shown]
	ds_store_b128 v55, v[1:4]
.LBB353_17:                             ;   in Loop: Header=BB353_13 Depth=1
	s_or_b32 exec_lo, exec_lo, s37
	ds_bpermute_b32 v2, v50, v7
	ds_bpermute_b32 v3, v50, v8
	;; [unrolled: 1-line block ×4, first 2 shown]
	s_waitcnt lgkmcnt(0)
	s_waitcnt_vscnt null, 0x0
	s_barrier
	buffer_gl0_inv
	v_add_f64 v[2:3], v[7:8], v[2:3]
	v_add_f64 v[4:5], v[5:6], v[36:37]
	ds_bpermute_b32 v6, v51, v2
	ds_bpermute_b32 v7, v51, v3
	ds_bpermute_b32 v36, v51, v4
	ds_bpermute_b32 v37, v51, v5
	s_waitcnt lgkmcnt(2)
	v_add_f64 v[2:3], v[2:3], v[6:7]
	s_waitcnt lgkmcnt(0)
	v_add_f64 v[4:5], v[4:5], v[36:37]
	ds_bpermute_b32 v6, v52, v2
	ds_bpermute_b32 v7, v52, v3
	ds_bpermute_b32 v36, v52, v4
	ds_bpermute_b32 v37, v52, v5
	s_waitcnt lgkmcnt(2)
	v_add_f64 v[2:3], v[2:3], v[6:7]
	s_waitcnt lgkmcnt(0)
	;; [unrolled: 8-line block ×3, first 2 shown]
	v_add_f64 v[6:7], v[4:5], v[36:37]
	ds_bpermute_b32 v4, v54, v2
	ds_bpermute_b32 v5, v54, v3
	;; [unrolled: 1-line block ×4, first 2 shown]
	s_and_saveexec_b32 s37, s4
	s_cbranch_execz .LBB353_19
; %bb.18:                               ;   in Loop: Header=BB353_13 Depth=1
	s_waitcnt lgkmcnt(0)
	v_add_f64 v[6:7], v[6:7], v[36:37]
	v_add_f64 v[4:5], v[2:3], v[4:5]
	ds_store_b128 v56, v[4:7]
.LBB353_19:                             ;   in Loop: Header=BB353_13 Depth=1
	s_or_b32 exec_lo, exec_lo, s37
	v_mov_b32_e32 v7, 0
	v_mov_b32_e32 v8, 0
	s_waitcnt lgkmcnt(2)
	s_delay_alu instid0(VALU_DEP_2)
	v_mov_b32_e32 v5, v7
	s_waitcnt lgkmcnt(0)
	s_barrier
	buffer_gl0_inv
	v_mov_b32_e32 v6, v8
	s_and_saveexec_b32 s37, s1
	s_cbranch_execnz .LBB353_48
; %bb.20:                               ;   in Loop: Header=BB353_13 Depth=1
	s_or_b32 exec_lo, exec_lo, s37
	s_and_saveexec_b32 s37, s0
	s_cbranch_execnz .LBB353_49
.LBB353_21:                             ;   in Loop: Header=BB353_13 Depth=1
	s_or_b32 exec_lo, exec_lo, s37
	s_and_saveexec_b32 s37, s0
	s_cbranch_execz .LBB353_23
.LBB353_22:                             ;   in Loop: Header=BB353_13 Depth=1
	v_mov_b32_e32 v2, v1
	v_mov_b32_e32 v3, v1
	;; [unrolled: 1-line block ×3, first 2 shown]
	ds_store_b128 v55, v[1:4]
.LBB353_23:                             ;   in Loop: Header=BB353_13 Depth=1
	s_or_b32 exec_lo, exec_lo, s37
	ds_bpermute_b32 v2, v50, v9
	ds_bpermute_b32 v3, v50, v10
	;; [unrolled: 1-line block ×4, first 2 shown]
	s_waitcnt lgkmcnt(0)
	s_barrier
	buffer_gl0_inv
	v_add_f64 v[2:3], v[9:10], v[2:3]
	v_add_f64 v[9:10], v[11:12], v[36:37]
	ds_bpermute_b32 v11, v51, v2
	ds_bpermute_b32 v12, v51, v3
	ds_bpermute_b32 v36, v51, v9
	ds_bpermute_b32 v37, v51, v10
	s_waitcnt lgkmcnt(2)
	v_add_f64 v[2:3], v[2:3], v[11:12]
	s_waitcnt lgkmcnt(0)
	v_add_f64 v[9:10], v[9:10], v[36:37]
	ds_bpermute_b32 v11, v52, v2
	ds_bpermute_b32 v12, v52, v3
	ds_bpermute_b32 v36, v52, v9
	ds_bpermute_b32 v37, v52, v10
	s_waitcnt lgkmcnt(2)
	v_add_f64 v[2:3], v[2:3], v[11:12]
	s_waitcnt lgkmcnt(0)
	v_add_f64 v[9:10], v[9:10], v[36:37]
	ds_bpermute_b32 v11, v53, v2
	ds_bpermute_b32 v12, v53, v3
	ds_bpermute_b32 v36, v53, v9
	ds_bpermute_b32 v37, v53, v10
	s_waitcnt lgkmcnt(2)
	v_add_f64 v[2:3], v[2:3], v[11:12]
	s_waitcnt lgkmcnt(0)
	v_add_f64 v[11:12], v[9:10], v[36:37]
	ds_bpermute_b32 v9, v54, v2
	ds_bpermute_b32 v10, v54, v3
	;; [unrolled: 1-line block ×4, first 2 shown]
	s_and_saveexec_b32 s37, s4
	s_cbranch_execz .LBB353_25
; %bb.24:                               ;   in Loop: Header=BB353_13 Depth=1
	s_waitcnt lgkmcnt(0)
	v_add_f64 v[11:12], v[11:12], v[36:37]
	v_add_f64 v[9:10], v[2:3], v[9:10]
	ds_store_b128 v56, v[9:12]
.LBB353_25:                             ;   in Loop: Header=BB353_13 Depth=1
	s_or_b32 exec_lo, exec_lo, s37
	v_mov_b32_e32 v11, 0
	v_mov_b32_e32 v12, 0
	s_waitcnt lgkmcnt(2)
	s_delay_alu instid0(VALU_DEP_2)
	v_mov_b32_e32 v9, v11
	s_waitcnt lgkmcnt(0)
	s_barrier
	buffer_gl0_inv
	v_mov_b32_e32 v10, v12
	s_and_saveexec_b32 s37, s1
	s_cbranch_execnz .LBB353_50
; %bb.26:                               ;   in Loop: Header=BB353_13 Depth=1
	s_or_b32 exec_lo, exec_lo, s37
	s_and_saveexec_b32 s37, s0
	s_cbranch_execnz .LBB353_51
.LBB353_27:                             ;   in Loop: Header=BB353_13 Depth=1
	s_or_b32 exec_lo, exec_lo, s37
	s_and_saveexec_b32 s37, s0
	s_cbranch_execz .LBB353_29
.LBB353_28:                             ;   in Loop: Header=BB353_13 Depth=1
	v_mov_b32_e32 v2, v1
	v_mov_b32_e32 v3, v1
	;; [unrolled: 1-line block ×3, first 2 shown]
	ds_store_b128 v55, v[1:4]
.LBB353_29:                             ;   in Loop: Header=BB353_13 Depth=1
	s_or_b32 exec_lo, exec_lo, s37
	ds_bpermute_b32 v2, v50, v13
	ds_bpermute_b32 v3, v50, v14
	;; [unrolled: 1-line block ×4, first 2 shown]
	s_waitcnt lgkmcnt(0)
	s_barrier
	buffer_gl0_inv
	v_add_f64 v[2:3], v[13:14], v[2:3]
	v_add_f64 v[13:14], v[15:16], v[36:37]
	ds_bpermute_b32 v15, v51, v2
	ds_bpermute_b32 v16, v51, v3
	ds_bpermute_b32 v36, v51, v13
	ds_bpermute_b32 v37, v51, v14
	s_waitcnt lgkmcnt(2)
	v_add_f64 v[2:3], v[2:3], v[15:16]
	s_waitcnt lgkmcnt(0)
	v_add_f64 v[13:14], v[13:14], v[36:37]
	ds_bpermute_b32 v15, v52, v2
	ds_bpermute_b32 v16, v52, v3
	ds_bpermute_b32 v36, v52, v13
	ds_bpermute_b32 v37, v52, v14
	s_waitcnt lgkmcnt(2)
	v_add_f64 v[2:3], v[2:3], v[15:16]
	s_waitcnt lgkmcnt(0)
	;; [unrolled: 8-line block ×3, first 2 shown]
	v_add_f64 v[15:16], v[13:14], v[36:37]
	ds_bpermute_b32 v13, v54, v2
	ds_bpermute_b32 v14, v54, v3
	ds_bpermute_b32 v36, v54, v15
	ds_bpermute_b32 v37, v54, v16
	s_and_saveexec_b32 s37, s4
	s_cbranch_execz .LBB353_31
; %bb.30:                               ;   in Loop: Header=BB353_13 Depth=1
	s_waitcnt lgkmcnt(0)
	v_add_f64 v[15:16], v[15:16], v[36:37]
	v_add_f64 v[13:14], v[2:3], v[13:14]
	ds_store_b128 v56, v[13:16]
.LBB353_31:                             ;   in Loop: Header=BB353_13 Depth=1
	s_or_b32 exec_lo, exec_lo, s37
	v_mov_b32_e32 v15, 0
	v_mov_b32_e32 v16, 0
	s_waitcnt lgkmcnt(2)
	s_delay_alu instid0(VALU_DEP_2)
	v_mov_b32_e32 v13, v15
	s_waitcnt lgkmcnt(0)
	s_barrier
	buffer_gl0_inv
	v_mov_b32_e32 v14, v16
	s_and_saveexec_b32 s37, s1
	s_cbranch_execnz .LBB353_52
; %bb.32:                               ;   in Loop: Header=BB353_13 Depth=1
	s_or_b32 exec_lo, exec_lo, s37
	s_and_saveexec_b32 s37, s0
	s_cbranch_execnz .LBB353_53
.LBB353_33:                             ;   in Loop: Header=BB353_13 Depth=1
	s_or_b32 exec_lo, exec_lo, s37
	s_and_saveexec_b32 s37, s0
	s_cbranch_execz .LBB353_35
.LBB353_34:                             ;   in Loop: Header=BB353_13 Depth=1
	v_mov_b32_e32 v2, v1
	v_mov_b32_e32 v3, v1
	;; [unrolled: 1-line block ×3, first 2 shown]
	ds_store_b128 v55, v[1:4]
.LBB353_35:                             ;   in Loop: Header=BB353_13 Depth=1
	s_or_b32 exec_lo, exec_lo, s37
	ds_bpermute_b32 v2, v50, v17
	ds_bpermute_b32 v3, v50, v18
	;; [unrolled: 1-line block ×4, first 2 shown]
	s_waitcnt lgkmcnt(0)
	s_barrier
	buffer_gl0_inv
	v_add_f64 v[2:3], v[17:18], v[2:3]
	v_add_f64 v[17:18], v[19:20], v[36:37]
	ds_bpermute_b32 v19, v51, v2
	ds_bpermute_b32 v20, v51, v3
	ds_bpermute_b32 v36, v51, v17
	ds_bpermute_b32 v37, v51, v18
	s_waitcnt lgkmcnt(2)
	v_add_f64 v[2:3], v[2:3], v[19:20]
	s_waitcnt lgkmcnt(0)
	v_add_f64 v[17:18], v[17:18], v[36:37]
	ds_bpermute_b32 v19, v52, v2
	ds_bpermute_b32 v20, v52, v3
	ds_bpermute_b32 v36, v52, v17
	ds_bpermute_b32 v37, v52, v18
	s_waitcnt lgkmcnt(2)
	v_add_f64 v[2:3], v[2:3], v[19:20]
	s_waitcnt lgkmcnt(0)
	;; [unrolled: 8-line block ×3, first 2 shown]
	v_add_f64 v[19:20], v[17:18], v[36:37]
	ds_bpermute_b32 v17, v54, v2
	ds_bpermute_b32 v18, v54, v3
	;; [unrolled: 1-line block ×4, first 2 shown]
	s_and_saveexec_b32 s37, s4
	s_cbranch_execz .LBB353_37
; %bb.36:                               ;   in Loop: Header=BB353_13 Depth=1
	s_waitcnt lgkmcnt(0)
	v_add_f64 v[19:20], v[19:20], v[36:37]
	v_add_f64 v[17:18], v[2:3], v[17:18]
	ds_store_b128 v56, v[17:20]
.LBB353_37:                             ;   in Loop: Header=BB353_13 Depth=1
	s_or_b32 exec_lo, exec_lo, s37
	v_mov_b32_e32 v19, 0
	v_mov_b32_e32 v20, 0
	s_waitcnt lgkmcnt(2)
	s_delay_alu instid0(VALU_DEP_2)
	v_mov_b32_e32 v17, v19
	s_waitcnt lgkmcnt(0)
	s_barrier
	buffer_gl0_inv
	v_mov_b32_e32 v18, v20
	s_and_saveexec_b32 s37, s1
	s_cbranch_execnz .LBB353_54
; %bb.38:                               ;   in Loop: Header=BB353_13 Depth=1
	s_or_b32 exec_lo, exec_lo, s37
	s_and_saveexec_b32 s37, s0
	s_cbranch_execnz .LBB353_55
.LBB353_39:                             ;   in Loop: Header=BB353_13 Depth=1
	s_or_b32 exec_lo, exec_lo, s37
	s_and_saveexec_b32 s37, s5
	s_cbranch_execz .LBB353_12
	s_branch .LBB353_56
.LBB353_40:                             ;   in Loop: Header=BB353_13 Depth=1
	s_clause 0x1
	flat_load_b128 v[2:5], v[26:27]
	flat_load_b128 v[6:9], v[28:29]
	s_mul_i32 s38, s15, s11
	s_mul_hi_u32 s39, s15, s10
	s_delay_alu instid0(SALU_CYCLE_1) | instskip(SKIP_1) | instid1(SALU_CYCLE_1)
	s_add_i32 s39, s39, s38
	s_mul_i32 s38, s15, s10
	s_lshl_b64 s[38:39], s[38:39], 4
	s_delay_alu instid0(SALU_CYCLE_1) | instskip(SKIP_2) | instid1(SALU_CYCLE_1)
	v_add_co_u32 v10, vcc_lo, v21, s38
	v_add_co_ci_u32_e32 v11, vcc_lo, s39, v22, vcc_lo
	s_or_b32 s38, s15, 1
	s_mul_i32 s39, s38, s11
	s_mul_hi_u32 s40, s38, s10
	s_mul_i32 s38, s38, s10
	s_add_i32 s39, s40, s39
	s_delay_alu instid0(SALU_CYCLE_1) | instskip(NEXT) | instid1(SALU_CYCLE_1)
	s_lshl_b64 s[38:39], s[38:39], 4
	v_add_co_u32 v36, vcc_lo, v21, s38
	v_add_co_ci_u32_e32 v37, vcc_lo, s39, v22, vcc_lo
	s_or_b32 s38, s15, 2
	s_delay_alu instid0(SALU_CYCLE_1) | instskip(SKIP_3) | instid1(SALU_CYCLE_1)
	s_mul_i32 s39, s38, s11
	s_mul_hi_u32 s40, s38, s10
	s_mul_i32 s38, s38, s10
	s_add_i32 s39, s40, s39
	s_lshl_b64 s[38:39], s[38:39], 4
	s_delay_alu instid0(SALU_CYCLE_1) | instskip(SKIP_2) | instid1(SALU_CYCLE_1)
	v_add_co_u32 v58, vcc_lo, v21, s38
	v_add_co_ci_u32_e32 v59, vcc_lo, s39, v22, vcc_lo
	s_or_b32 s38, s15, 3
	s_mul_i32 s39, s38, s11
	s_mul_hi_u32 s40, s38, s10
	s_mul_i32 s38, s38, s10
	s_add_i32 s39, s40, s39
	s_delay_alu instid0(SALU_CYCLE_1) | instskip(NEXT) | instid1(SALU_CYCLE_1)
	s_lshl_b64 s[38:39], s[38:39], 4
	v_add_co_u32 v64, vcc_lo, v21, s38
	v_add_co_ci_u32_e32 v65, vcc_lo, s39, v22, vcc_lo
	s_waitcnt vmcnt(1) lgkmcnt(1)
	scratch_store_b128 off, v[2:5], off
	s_waitcnt vmcnt(0) lgkmcnt(0)
	scratch_store_b128 v38, v[6:9], off
	flat_load_b128 v[6:9], v[30:31]
	s_waitcnt vmcnt(0) lgkmcnt(0)
	scratch_store_b128 v39, v[6:9], off
	flat_load_b128 v[6:9], v[32:33]
	;; [unrolled: 3-line block ×3, first 2 shown]
	s_waitcnt vmcnt(0) lgkmcnt(0)
	v_mul_f64 v[12:13], v[4:5], v[8:9]
	v_mul_f64 v[8:9], v[2:3], v[8:9]
	s_delay_alu instid0(VALU_DEP_2) | instskip(NEXT) | instid1(VALU_DEP_2)
	v_fma_f64 v[12:13], v[2:3], v[6:7], -v[12:13]
	v_fma_f64 v[6:7], v[4:5], v[6:7], v[8:9]
	s_delay_alu instid0(VALU_DEP_2) | instskip(NEXT) | instid1(VALU_DEP_2)
	v_add_f64 v[12:13], v[12:13], 0
	v_add_f64 v[14:15], v[6:7], 0
	flat_load_b128 v[6:9], v[36:37]
	s_waitcnt vmcnt(0) lgkmcnt(0)
	v_mul_f64 v[16:17], v[4:5], v[8:9]
	v_mul_f64 v[8:9], v[2:3], v[8:9]
	s_delay_alu instid0(VALU_DEP_2) | instskip(NEXT) | instid1(VALU_DEP_2)
	v_fma_f64 v[16:17], v[2:3], v[6:7], -v[16:17]
	v_fma_f64 v[6:7], v[4:5], v[6:7], v[8:9]
	s_delay_alu instid0(VALU_DEP_2) | instskip(NEXT) | instid1(VALU_DEP_2)
	v_add_f64 v[16:17], v[16:17], 0
	v_add_f64 v[18:19], v[6:7], 0
	flat_load_b128 v[6:9], v[58:59]
	;; [unrolled: 10-line block ×3, first 2 shown]
	s_waitcnt vmcnt(0) lgkmcnt(0)
	v_mul_f64 v[66:67], v[4:5], v[8:9]
	s_delay_alu instid0(VALU_DEP_1) | instskip(SKIP_1) | instid1(VALU_DEP_2)
	v_fma_f64 v[66:67], v[2:3], v[6:7], -v[66:67]
	v_mul_f64 v[2:3], v[2:3], v[8:9]
	v_add_f64 v[66:67], v[66:67], 0
	s_delay_alu instid0(VALU_DEP_2) | instskip(NEXT) | instid1(VALU_DEP_1)
	v_fma_f64 v[2:3], v[4:5], v[6:7], v[2:3]
	v_add_f64 v[68:69], v[2:3], 0
	scratch_load_b128 v[2:5], off, off offset:16
	flat_load_b128 v[6:9], v[10:11] offset:16
	s_waitcnt vmcnt(0) lgkmcnt(0)
	v_mul_f64 v[70:71], v[4:5], v[8:9]
	v_mul_f64 v[8:9], v[2:3], v[8:9]
	s_delay_alu instid0(VALU_DEP_2) | instskip(NEXT) | instid1(VALU_DEP_2)
	v_fma_f64 v[70:71], v[2:3], v[6:7], -v[70:71]
	v_fma_f64 v[6:7], v[4:5], v[6:7], v[8:9]
	s_delay_alu instid0(VALU_DEP_2) | instskip(NEXT) | instid1(VALU_DEP_2)
	v_add_f64 v[12:13], v[12:13], v[70:71]
	v_add_f64 v[14:15], v[14:15], v[6:7]
	flat_load_b128 v[6:9], v[36:37] offset:16
	s_waitcnt vmcnt(0) lgkmcnt(0)
	v_mul_f64 v[70:71], v[4:5], v[8:9]
	v_mul_f64 v[8:9], v[2:3], v[8:9]
	s_delay_alu instid0(VALU_DEP_2) | instskip(NEXT) | instid1(VALU_DEP_2)
	v_fma_f64 v[70:71], v[2:3], v[6:7], -v[70:71]
	v_fma_f64 v[6:7], v[4:5], v[6:7], v[8:9]
	s_delay_alu instid0(VALU_DEP_2) | instskip(NEXT) | instid1(VALU_DEP_2)
	v_add_f64 v[16:17], v[16:17], v[70:71]
	v_add_f64 v[18:19], v[18:19], v[6:7]
	flat_load_b128 v[6:9], v[58:59] offset:16
	s_waitcnt vmcnt(0) lgkmcnt(0)
	v_mul_f64 v[70:71], v[4:5], v[8:9]
	v_mul_f64 v[8:9], v[2:3], v[8:9]
	s_delay_alu instid0(VALU_DEP_2) | instskip(NEXT) | instid1(VALU_DEP_2)
	v_fma_f64 v[70:71], v[2:3], v[6:7], -v[70:71]
	v_fma_f64 v[6:7], v[4:5], v[6:7], v[8:9]
	s_delay_alu instid0(VALU_DEP_2) | instskip(NEXT) | instid1(VALU_DEP_2)
	v_add_f64 v[60:61], v[60:61], v[70:71]
	v_add_f64 v[62:63], v[62:63], v[6:7]
	flat_load_b128 v[6:9], v[64:65] offset:16
	s_waitcnt vmcnt(0) lgkmcnt(0)
	v_mul_f64 v[70:71], v[4:5], v[8:9]
	s_delay_alu instid0(VALU_DEP_1) | instskip(SKIP_1) | instid1(VALU_DEP_2)
	v_fma_f64 v[70:71], v[2:3], v[6:7], -v[70:71]
	v_mul_f64 v[2:3], v[2:3], v[8:9]
	v_add_f64 v[66:67], v[66:67], v[70:71]
	s_delay_alu instid0(VALU_DEP_2) | instskip(NEXT) | instid1(VALU_DEP_1)
	v_fma_f64 v[2:3], v[4:5], v[6:7], v[2:3]
	v_add_f64 v[68:69], v[68:69], v[2:3]
	scratch_load_b128 v[2:5], off, off offset:32
	flat_load_b128 v[6:9], v[10:11] offset:32
	s_waitcnt vmcnt(0) lgkmcnt(0)
	v_mul_f64 v[70:71], v[4:5], v[8:9]
	v_mul_f64 v[8:9], v[2:3], v[8:9]
	s_delay_alu instid0(VALU_DEP_2) | instskip(NEXT) | instid1(VALU_DEP_2)
	v_fma_f64 v[70:71], v[2:3], v[6:7], -v[70:71]
	v_fma_f64 v[6:7], v[4:5], v[6:7], v[8:9]
	s_delay_alu instid0(VALU_DEP_2) | instskip(NEXT) | instid1(VALU_DEP_2)
	v_add_f64 v[12:13], v[12:13], v[70:71]
	v_add_f64 v[14:15], v[14:15], v[6:7]
	flat_load_b128 v[6:9], v[36:37] offset:32
	s_waitcnt vmcnt(0) lgkmcnt(0)
	v_mul_f64 v[70:71], v[4:5], v[8:9]
	v_mul_f64 v[8:9], v[2:3], v[8:9]
	s_delay_alu instid0(VALU_DEP_2) | instskip(NEXT) | instid1(VALU_DEP_2)
	v_fma_f64 v[70:71], v[2:3], v[6:7], -v[70:71]
	v_fma_f64 v[6:7], v[4:5], v[6:7], v[8:9]
	s_delay_alu instid0(VALU_DEP_2) | instskip(NEXT) | instid1(VALU_DEP_2)
	v_add_f64 v[70:71], v[16:17], v[70:71]
	v_add_f64 v[72:73], v[18:19], v[6:7]
	;; [unrolled: 10-line block ×3, first 2 shown]
	flat_load_b128 v[6:9], v[64:65] offset:32
	s_waitcnt vmcnt(0) lgkmcnt(0)
	v_mul_f64 v[16:17], v[4:5], v[8:9]
	s_delay_alu instid0(VALU_DEP_1) | instskip(SKIP_1) | instid1(VALU_DEP_2)
	v_fma_f64 v[16:17], v[2:3], v[6:7], -v[16:17]
	v_mul_f64 v[2:3], v[2:3], v[8:9]
	v_add_f64 v[66:67], v[66:67], v[16:17]
	s_delay_alu instid0(VALU_DEP_2) | instskip(NEXT) | instid1(VALU_DEP_1)
	v_fma_f64 v[2:3], v[4:5], v[6:7], v[2:3]
	v_add_f64 v[68:69], v[68:69], v[2:3]
	scratch_load_b128 v[17:20], off, off offset:48
	flat_load_b128 v[2:5], v[10:11] offset:48
	s_waitcnt vmcnt(0) lgkmcnt(0)
	v_mul_f64 v[6:7], v[19:20], v[4:5]
	v_mul_f64 v[4:5], v[17:18], v[4:5]
	s_delay_alu instid0(VALU_DEP_2) | instskip(NEXT) | instid1(VALU_DEP_2)
	v_fma_f64 v[6:7], v[17:18], v[2:3], -v[6:7]
	v_fma_f64 v[2:3], v[19:20], v[2:3], v[4:5]
	s_delay_alu instid0(VALU_DEP_2)
	v_add_f64 v[7:8], v[12:13], v[6:7]
	flat_load_b128 v[9:12], v[36:37] offset:48
	v_add_f64 v[5:6], v[14:15], v[2:3]
	flat_load_b128 v[13:16], v[58:59] offset:48
	s_waitcnt vmcnt(1) lgkmcnt(1)
	v_mul_f64 v[2:3], v[19:20], v[11:12]
	v_mul_f64 v[11:12], v[17:18], v[11:12]
	s_delay_alu instid0(VALU_DEP_2) | instskip(NEXT) | instid1(VALU_DEP_2)
	v_fma_f64 v[2:3], v[17:18], v[9:10], -v[2:3]
	v_fma_f64 v[11:12], v[19:20], v[9:10], v[11:12]
	s_delay_alu instid0(VALU_DEP_2) | instskip(SKIP_3) | instid1(VALU_DEP_4)
	v_add_f64 v[9:10], v[70:71], v[2:3]
	s_waitcnt vmcnt(0) lgkmcnt(0)
	v_mul_f64 v[2:3], v[19:20], v[15:16]
	v_mul_f64 v[15:16], v[17:18], v[15:16]
	v_add_f64 v[11:12], v[72:73], v[11:12]
	s_delay_alu instid0(VALU_DEP_3) | instskip(NEXT) | instid1(VALU_DEP_3)
	v_fma_f64 v[2:3], v[17:18], v[13:14], -v[2:3]
	v_fma_f64 v[15:16], v[19:20], v[13:14], v[15:16]
	s_delay_alu instid0(VALU_DEP_2) | instskip(SKIP_4) | instid1(VALU_DEP_1)
	v_add_f64 v[13:14], v[60:61], v[2:3]
	flat_load_b128 v[58:61], v[64:65] offset:48
	v_add_f64 v[15:16], v[62:63], v[15:16]
	s_waitcnt vmcnt(0) lgkmcnt(0)
	v_mul_f64 v[2:3], v[19:20], v[60:61]
	v_fma_f64 v[2:3], v[17:18], v[58:59], -v[2:3]
	v_mul_f64 v[17:18], v[17:18], v[60:61]
	s_delay_alu instid0(VALU_DEP_1) | instskip(NEXT) | instid1(VALU_DEP_3)
	v_fma_f64 v[19:20], v[19:20], v[58:59], v[17:18]
	v_add_f64 v[17:18], v[66:67], v[2:3]
	s_delay_alu instid0(VALU_DEP_2)
	v_add_f64 v[19:20], v[68:69], v[19:20]
	s_and_not1_saveexec_b32 s37, s37
	s_cbranch_execz .LBB353_15
.LBB353_41:                             ;   in Loop: Header=BB353_13 Depth=1
	s_waitcnt lgkmcnt(0)
	v_mov_b32_e32 v17, 0
	v_mov_b32_e32 v18, 0
	s_delay_alu instid0(VALU_DEP_2) | instskip(SKIP_2) | instid1(VALU_DEP_4)
	v_mov_b32_e32 v13, v17
	v_mov_b32_e32 v15, v17
	;; [unrolled: 1-line block ×3, first 2 shown]
	v_dual_mov_b32 v11, v17 :: v_dual_mov_b32 v12, v18
	v_dual_mov_b32 v20, v18 :: v_dual_mov_b32 v19, v17
	v_mov_b32_e32 v14, v18
	v_mov_b32_e32 v16, v18
	v_dual_mov_b32 v10, v18 :: v_dual_mov_b32 v7, v17
	v_dual_mov_b32 v8, v18 :: v_dual_mov_b32 v5, v17
	v_mov_b32_e32 v6, v18
	s_and_saveexec_b32 s38, s3
	s_cbranch_execz .LBB353_47
; %bb.42:                               ;   in Loop: Header=BB353_13 Depth=1
	v_mov_b32_e32 v17, 0
	v_mov_b32_e32 v18, 0
	s_delay_alu instid0(VALU_DEP_2) | instskip(SKIP_2) | instid1(VALU_DEP_4)
	v_mov_b32_e32 v13, v17
	v_mov_b32_e32 v15, v17
	;; [unrolled: 1-line block ×3, first 2 shown]
	v_dual_mov_b32 v11, v17 :: v_dual_mov_b32 v12, v18
	v_dual_mov_b32 v20, v18 :: v_dual_mov_b32 v19, v17
	v_mov_b32_e32 v14, v18
	v_mov_b32_e32 v16, v18
	v_dual_mov_b32 v10, v18 :: v_dual_mov_b32 v7, v17
	v_dual_mov_b32 v8, v18 :: v_dual_mov_b32 v5, v17
	v_mov_b32_e32 v6, v18
	s_and_not1_b32 vcc_lo, exec_lo, s34
	s_cbranch_vccnz .LBB353_47
; %bb.43:                               ;   in Loop: Header=BB353_13 Depth=1
	v_mov_b32_e32 v2, v26
	v_dual_mov_b32 v4, 0 :: v_dual_mov_b32 v3, v27
	s_mov_b32 s39, s9
.LBB353_44:                             ;   Parent Loop BB353_13 Depth=1
                                        ; =>  This Inner Loop Header: Depth=2
	flat_load_b128 v[5:8], v[2:3]
	v_add_co_u32 v2, vcc_lo, v2, s24
	v_add_co_ci_u32_e32 v3, vcc_lo, s25, v3, vcc_lo
	s_add_i32 s39, s39, -1
	s_delay_alu instid0(SALU_CYCLE_1)
	s_cmp_eq_u32 s39, 0
	s_waitcnt vmcnt(0) lgkmcnt(0)
	scratch_store_b128 v4, v[5:8], off
	v_add_nc_u32_e32 v4, 16, v4
	s_cbranch_scc0 .LBB353_44
; %bb.45:                               ;   in Loop: Header=BB353_13 Depth=1
	v_dual_mov_b32 v5, 0 :: v_dual_mov_b32 v2, v34
	v_dual_mov_b32 v6, 0 :: v_dual_mov_b32 v3, v35
	v_mov_b32_e32 v4, v57
	s_mov_b32 s39, s9
	s_delay_alu instid0(VALU_DEP_2)
	v_dual_mov_b32 v8, v6 :: v_dual_mov_b32 v7, v5
	v_dual_mov_b32 v12, v6 :: v_dual_mov_b32 v11, v5
	v_dual_mov_b32 v10, v6 :: v_dual_mov_b32 v9, v5
	v_dual_mov_b32 v16, v6 :: v_dual_mov_b32 v15, v5
	v_dual_mov_b32 v14, v6 :: v_dual_mov_b32 v13, v5
	v_dual_mov_b32 v20, v6 :: v_dual_mov_b32 v19, v5
	v_dual_mov_b32 v18, v6 :: v_dual_mov_b32 v17, v5
.LBB353_46:                             ;   Parent Loop BB353_13 Depth=1
                                        ; =>  This Inner Loop Header: Depth=2
	v_add_co_u32 v36, vcc_lo, v2, s28
	v_add_co_ci_u32_e32 v37, vcc_lo, s29, v3, vcc_lo
	scratch_load_b128 v[58:61], v4, off offset:-8
	v_add_co_u32 v70, vcc_lo, v36, s28
	v_add_co_ci_u32_e32 v71, vcc_lo, s29, v37, vcc_lo
	flat_load_b128 v[62:65], v[2:3]
	v_add_co_u32 v74, vcc_lo, v70, s28
	v_add_co_ci_u32_e32 v75, vcc_lo, s29, v71, vcc_lo
	v_add_co_u32 v2, vcc_lo, v2, 16
	s_clause 0x2
	flat_load_b128 v[66:69], v[36:37]
	flat_load_b128 v[70:73], v[70:71]
	;; [unrolled: 1-line block ×3, first 2 shown]
	v_add_nc_u32_e32 v4, 16, v4
	v_add_co_ci_u32_e32 v3, vcc_lo, 0, v3, vcc_lo
	s_add_i32 s39, s39, -1
	s_delay_alu instid0(SALU_CYCLE_1)
	s_cmp_lg_u32 s39, 0
	s_waitcnt vmcnt(3) lgkmcnt(3)
	v_mul_f64 v[36:37], v[60:61], v[64:65]
	v_mul_f64 v[64:65], v[58:59], v[64:65]
	s_waitcnt vmcnt(2) lgkmcnt(2)
	v_mul_f64 v[78:79], v[60:61], v[68:69]
	v_mul_f64 v[68:69], v[58:59], v[68:69]
	;; [unrolled: 3-line block ×4, first 2 shown]
	v_fma_f64 v[36:37], v[58:59], v[62:63], -v[36:37]
	v_fma_f64 v[62:63], v[60:61], v[62:63], v[64:65]
	v_fma_f64 v[64:65], v[58:59], v[66:67], -v[78:79]
	v_fma_f64 v[66:67], v[60:61], v[66:67], v[68:69]
	;; [unrolled: 2-line block ×4, first 2 shown]
	v_add_f64 v[7:8], v[7:8], v[36:37]
	v_add_f64 v[5:6], v[5:6], v[62:63]
	;; [unrolled: 1-line block ×8, first 2 shown]
	s_cbranch_scc1 .LBB353_46
.LBB353_47:                             ;   in Loop: Header=BB353_13 Depth=1
	s_or_b32 exec_lo, exec_lo, s38
	s_delay_alu instid0(SALU_CYCLE_1)
	s_or_b32 exec_lo, exec_lo, s37
	s_and_saveexec_b32 s37, s0
	s_cbranch_execnz .LBB353_16
	s_branch .LBB353_17
.LBB353_48:                             ;   in Loop: Header=BB353_13 Depth=1
	ds_load_b128 v[5:8], v55
	s_or_b32 exec_lo, exec_lo, s37
	s_and_saveexec_b32 s37, s0
	s_cbranch_execz .LBB353_21
.LBB353_49:                             ;   in Loop: Header=BB353_13 Depth=1
	s_waitcnt lgkmcnt(0)
	ds_bpermute_b32 v2, v52, v5
	ds_bpermute_b32 v3, v52, v6
	ds_bpermute_b32 v36, v52, v7
	ds_bpermute_b32 v37, v52, v8
	s_waitcnt lgkmcnt(2)
	v_add_f64 v[2:3], v[5:6], v[2:3]
	s_waitcnt lgkmcnt(0)
	v_add_f64 v[4:5], v[7:8], v[36:37]
	ds_bpermute_b32 v6, v53, v2
	ds_bpermute_b32 v7, v53, v3
	ds_bpermute_b32 v36, v53, v4
	ds_bpermute_b32 v37, v53, v5
	s_waitcnt lgkmcnt(2)
	v_add_f64 v[2:3], v[2:3], v[6:7]
	s_waitcnt lgkmcnt(0)
	v_add_f64 v[7:8], v[4:5], v[36:37]
	;; [unrolled: 8-line block ×3, first 2 shown]
	s_or_b32 exec_lo, exec_lo, s37
	s_and_saveexec_b32 s37, s0
	s_cbranch_execnz .LBB353_22
	s_branch .LBB353_23
.LBB353_50:                             ;   in Loop: Header=BB353_13 Depth=1
	ds_load_b128 v[9:12], v55
	s_or_b32 exec_lo, exec_lo, s37
	s_and_saveexec_b32 s37, s0
	s_cbranch_execz .LBB353_27
.LBB353_51:                             ;   in Loop: Header=BB353_13 Depth=1
	s_waitcnt lgkmcnt(0)
	ds_bpermute_b32 v2, v52, v9
	ds_bpermute_b32 v3, v52, v10
	ds_bpermute_b32 v36, v52, v11
	ds_bpermute_b32 v37, v52, v12
	s_waitcnt lgkmcnt(2)
	v_add_f64 v[2:3], v[9:10], v[2:3]
	s_waitcnt lgkmcnt(0)
	v_add_f64 v[9:10], v[11:12], v[36:37]
	ds_bpermute_b32 v11, v53, v2
	ds_bpermute_b32 v12, v53, v3
	ds_bpermute_b32 v36, v53, v9
	ds_bpermute_b32 v37, v53, v10
	s_waitcnt lgkmcnt(2)
	v_add_f64 v[2:3], v[2:3], v[11:12]
	s_waitcnt lgkmcnt(0)
	v_add_f64 v[11:12], v[9:10], v[36:37]
	;; [unrolled: 8-line block ×3, first 2 shown]
	s_or_b32 exec_lo, exec_lo, s37
	s_and_saveexec_b32 s37, s0
	s_cbranch_execnz .LBB353_28
	s_branch .LBB353_29
.LBB353_52:                             ;   in Loop: Header=BB353_13 Depth=1
	ds_load_b128 v[13:16], v55
	s_or_b32 exec_lo, exec_lo, s37
	s_and_saveexec_b32 s37, s0
	s_cbranch_execz .LBB353_33
.LBB353_53:                             ;   in Loop: Header=BB353_13 Depth=1
	s_waitcnt lgkmcnt(0)
	ds_bpermute_b32 v2, v52, v13
	ds_bpermute_b32 v3, v52, v14
	ds_bpermute_b32 v36, v52, v15
	ds_bpermute_b32 v37, v52, v16
	s_waitcnt lgkmcnt(2)
	v_add_f64 v[2:3], v[13:14], v[2:3]
	s_waitcnt lgkmcnt(0)
	v_add_f64 v[13:14], v[15:16], v[36:37]
	ds_bpermute_b32 v15, v53, v2
	ds_bpermute_b32 v16, v53, v3
	ds_bpermute_b32 v36, v53, v13
	ds_bpermute_b32 v37, v53, v14
	s_waitcnt lgkmcnt(2)
	v_add_f64 v[2:3], v[2:3], v[15:16]
	s_waitcnt lgkmcnt(0)
	v_add_f64 v[15:16], v[13:14], v[36:37]
	;; [unrolled: 8-line block ×3, first 2 shown]
	s_or_b32 exec_lo, exec_lo, s37
	s_and_saveexec_b32 s37, s0
	s_cbranch_execnz .LBB353_34
	s_branch .LBB353_35
.LBB353_54:                             ;   in Loop: Header=BB353_13 Depth=1
	ds_load_b128 v[17:20], v55
	s_or_b32 exec_lo, exec_lo, s37
	s_and_saveexec_b32 s37, s0
	s_cbranch_execz .LBB353_39
.LBB353_55:                             ;   in Loop: Header=BB353_13 Depth=1
	s_waitcnt lgkmcnt(0)
	ds_bpermute_b32 v2, v52, v17
	ds_bpermute_b32 v3, v52, v18
	ds_bpermute_b32 v36, v52, v19
	ds_bpermute_b32 v37, v52, v20
	s_waitcnt lgkmcnt(2)
	v_add_f64 v[2:3], v[17:18], v[2:3]
	s_waitcnt lgkmcnt(0)
	v_add_f64 v[17:18], v[19:20], v[36:37]
	ds_bpermute_b32 v19, v53, v2
	ds_bpermute_b32 v20, v53, v3
	ds_bpermute_b32 v36, v53, v17
	ds_bpermute_b32 v37, v53, v18
	s_waitcnt lgkmcnt(2)
	v_add_f64 v[2:3], v[2:3], v[19:20]
	s_waitcnt lgkmcnt(0)
	v_add_f64 v[19:20], v[17:18], v[36:37]
	;; [unrolled: 8-line block ×3, first 2 shown]
	s_or_b32 exec_lo, exec_lo, s37
	s_and_saveexec_b32 s37, s5
	s_cbranch_execz .LBB353_12
.LBB353_56:                             ;   in Loop: Header=BB353_13 Depth=1
	v_mul_f64 v[2:3], s[18:19], v[7:8]
	v_mul_f64 v[7:8], s[16:17], v[7:8]
	v_mul_f64 v[36:37], s[18:19], v[11:12]
	v_mul_f64 v[11:12], s[16:17], v[11:12]
	v_mul_f64 v[58:59], s[18:19], v[15:16]
	v_mul_f64 v[15:16], s[16:17], v[15:16]
	s_waitcnt lgkmcnt(0)
	v_mul_f64 v[60:61], s[18:19], v[19:20]
	v_mul_f64 v[19:20], s[16:17], v[19:20]
	s_mul_hi_u32 s39, s15, s8
	s_mul_i32 s38, s15, s8
	s_delay_alu instid0(SALU_CYCLE_1) | instskip(NEXT) | instid1(SALU_CYCLE_1)
	s_lshl_b64 s[38:39], s[38:39], 4
	s_add_u32 s38, s35, s38
	s_addc_u32 s39, s36, s39
	s_or_b32 s40, s15, 1
	s_delay_alu instid0(SALU_CYCLE_1) | instskip(SKIP_1) | instid1(SALU_CYCLE_1)
	s_mul_hi_u32 s41, s40, s8
	s_mul_i32 s40, s40, s8
	s_lshl_b64 s[40:41], s[40:41], 4
	s_delay_alu instid0(SALU_CYCLE_1) | instskip(SKIP_2) | instid1(SALU_CYCLE_1)
	s_add_u32 s40, s35, s40
	s_addc_u32 s41, s36, s41
	s_or_b32 s42, s15, 2
	s_mul_hi_u32 s43, s42, s8
	s_mul_i32 s42, s42, s8
	s_delay_alu instid0(SALU_CYCLE_1) | instskip(NEXT) | instid1(SALU_CYCLE_1)
	s_lshl_b64 s[42:43], s[42:43], 4
	s_add_u32 s42, s35, s42
	s_addc_u32 s43, s36, s43
	s_or_b32 s44, s15, 3
	s_delay_alu instid0(SALU_CYCLE_1) | instskip(SKIP_1) | instid1(SALU_CYCLE_1)
	s_mul_hi_u32 s45, s44, s8
	s_mul_i32 s44, s44, s8
	s_lshl_b64 s[44:45], s[44:45], 4
	v_fma_f64 v[2:3], s[16:17], v[5:6], -v[2:3]
	v_fma_f64 v[4:5], s[18:19], v[5:6], v[7:8]
	v_fma_f64 v[6:7], s[16:17], v[9:10], -v[36:37]
	v_fma_f64 v[8:9], s[18:19], v[9:10], v[11:12]
	;; [unrolled: 2-line block ×4, first 2 shown]
	s_add_u32 s44, s35, s44
	s_addc_u32 s45, s36, s45
	s_clause 0x3
	global_store_b128 v1, v[2:5], s[38:39]
	global_store_b128 v1, v[6:9], s[40:41]
	global_store_b128 v1, v[10:13], s[42:43]
	global_store_b128 v1, v[14:17], s[44:45]
	s_branch .LBB353_12
.LBB353_57:
	s_mov_b32 s15, 0
.LBB353_58:
	s_delay_alu instid0(SALU_CYCLE_1)
	s_cmp_ge_i32 s15, s7
	s_cbranch_scc1 .LBB353_80
; %bb.59:
	v_cmp_gt_u32_e64 s1, 16, v46
	v_cmp_gt_u32_e64 s0, 32, v0
	;; [unrolled: 1-line block ×3, first 2 shown]
	v_cmp_eq_u32_e64 s3, 0, v0
	v_mad_i64_i32 v[7:8], null, s22, v43, 0
	v_cndmask_b32_e64 v1, 0, 1, s1
	v_cmp_gt_u32_e64 s1, 24, v46
	v_mad_i64_i32 v[9:10], null, s22, v42, 0
	s_cmp_gt_i32 s9, 0
	s_delay_alu instid0(VALU_DEP_3) | instskip(NEXT) | instid1(VALU_DEP_3)
	v_lshlrev_b32_e32 v1, 4, v1
	v_cndmask_b32_e64 v2, 0, 1, s1
	v_cmp_gt_u32_e64 s1, 28, v46
	s_mov_b32 s25, 0
	s_mov_b32 s24, s14
	s_waitcnt lgkmcnt(0)
	v_add_lshl_u32 v20, v1, v46, 2
	v_lshlrev_b32_e32 v2, 3, v2
	v_cndmask_b32_e64 v3, 0, 1, s1
	v_cmp_gt_u32_e64 s1, 30, v46
	s_cselect_b32 s26, -1, 0
	s_lshl_b64 s[24:25], s[24:25], 4
	v_add_lshl_u32 v26, v2, v46, 2
	v_lshlrev_b32_e32 v3, 2, v3
	v_cndmask_b32_e64 v4, 0, 1, s1
	v_mad_i64_i32 v[1:2], null, s22, v25, 0
	v_cmp_ne_u32_e64 s1, 31, v46
	s_delay_alu instid0(VALU_DEP_4) | instskip(NEXT) | instid1(VALU_DEP_4)
	v_add_lshl_u32 v27, v3, v46, 2
	v_lshlrev_b32_e32 v4, 1, v4
	v_cmp_ge_i32_e32 vcc_lo, s6, v48
	v_cmp_ge_i32_e64 s4, s6, v49
	v_add_co_ci_u32_e64 v5, s1, 0, v46, s1
	s_delay_alu instid0(VALU_DEP_4) | instskip(SKIP_2) | instid1(VALU_DEP_4)
	v_add_lshl_u32 v28, v4, v46, 2
	v_mad_i64_i32 v[3:4], null, s22, v47, 0
	v_lshlrev_b64 v[0:1], 4, v[1:2]
	v_lshlrev_b32_e32 v29, 2, v5
	s_add_u32 s6, s30, s24
	s_addc_u32 s14, s31, s25
	s_mul_i32 s24, s11, s15
	s_mul_hi_u32 s25, s10, s15
	s_delay_alu instid0(VALU_DEP_3) | instskip(SKIP_1) | instid1(VALU_DEP_1)
	v_lshlrev_b64 v[2:3], 4, v[3:4]
	v_add_co_u32 v5, s5, s20, v0
	v_add_co_ci_u32_e64 v6, s5, s21, v1, s5
	v_lshlrev_b64 v[0:1], 4, v[7:8]
	s_delay_alu instid0(VALU_DEP_4) | instskip(NEXT) | instid1(VALU_DEP_1)
	v_add_co_u32 v7, s5, s20, v2
	v_add_co_ci_u32_e64 v8, s5, s21, v3, s5
	v_lshlrev_b64 v[2:3], 4, v[9:10]
	s_delay_alu instid0(VALU_DEP_4) | instskip(NEXT) | instid1(VALU_DEP_1)
	v_add_co_u32 v9, s5, s20, v0
	v_add_co_ci_u32_e64 v10, s5, s21, v1, s5
	v_dual_mov_b32 v0, 0 :: v_dual_lshlrev_b32 v19, 4, v44
	s_delay_alu instid0(VALU_DEP_4) | instskip(NEXT) | instid1(VALU_DEP_1)
	v_add_co_u32 v11, s5, s20, v2
	v_add_co_ci_u32_e64 v12, s5, s21, v3, s5
	s_add_i32 s21, s25, s24
	s_mul_i32 s20, s10, s15
	s_and_b32 s5, s26, s4
	s_lshl_b64 s[24:25], s[20:21], 4
	s_lshl_b64 s[20:21], s[22:23], 4
	s_add_u32 s4, s12, s24
	s_addc_u32 s12, s13, s25
	v_add_co_u32 v13, s4, s4, v23
	v_cmp_eq_u32_e64 s1, 0, v44
	v_and_b32_e32 v30, 0x70, v45
	v_add_co_ci_u32_e64 v14, s4, s12, v24, s4
	s_lshl_b64 s[12:13], s[10:11], 4
	s_branch .LBB353_61
.LBB353_60:                             ;   in Loop: Header=BB353_61 Depth=1
	s_or_b32 exec_lo, exec_lo, s4
	v_add_co_u32 v13, s4, v13, s12
	s_delay_alu instid0(VALU_DEP_1) | instskip(SKIP_1) | instid1(SALU_CYCLE_1)
	v_add_co_ci_u32_e64 v14, s4, s13, v14, s4
	s_add_i32 s15, s15, 1
	s_cmp_lt_i32 s15, s7
	s_cbranch_scc0 .LBB353_80
.LBB353_61:                             ; =>This Loop Header: Depth=1
                                        ;     Child Loop BB353_73 Depth 2
                                        ;     Child Loop BB353_75 Depth 2
                                        ; implicit-def: $vgpr15_vgpr16
                                        ; implicit-def: $vgpr17_vgpr18
	s_and_saveexec_b32 s4, vcc_lo
	s_delay_alu instid0(SALU_CYCLE_1)
	s_xor_b32 s22, exec_lo, s4
	s_cbranch_execnz .LBB353_70
; %bb.62:                               ;   in Loop: Header=BB353_61 Depth=1
	s_and_not1_saveexec_b32 s22, s22
	s_cbranch_execnz .LBB353_71
.LBB353_63:                             ;   in Loop: Header=BB353_61 Depth=1
	s_or_b32 exec_lo, exec_lo, s22
	s_and_saveexec_b32 s4, s0
	s_cbranch_execz .LBB353_65
.LBB353_64:                             ;   in Loop: Header=BB353_61 Depth=1
	s_waitcnt lgkmcnt(0)
	v_mov_b32_e32 v1, v0
	v_mov_b32_e32 v2, v0
	;; [unrolled: 1-line block ×3, first 2 shown]
	ds_store_b128 v19, v[0:3]
.LBB353_65:                             ;   in Loop: Header=BB353_61 Depth=1
	s_or_b32 exec_lo, exec_lo, s4
	s_waitcnt lgkmcnt(0)
	ds_bpermute_b32 v1, v20, v15
	ds_bpermute_b32 v2, v20, v16
	;; [unrolled: 1-line block ×4, first 2 shown]
	s_waitcnt lgkmcnt(0)
	s_waitcnt_vscnt null, 0x0
	s_barrier
	buffer_gl0_inv
	v_add_f64 v[1:2], v[15:16], v[1:2]
	v_add_f64 v[3:4], v[17:18], v[3:4]
	ds_bpermute_b32 v15, v26, v1
	ds_bpermute_b32 v16, v26, v2
	ds_bpermute_b32 v17, v26, v3
	ds_bpermute_b32 v18, v26, v4
	s_waitcnt lgkmcnt(2)
	v_add_f64 v[1:2], v[1:2], v[15:16]
	s_waitcnt lgkmcnt(0)
	v_add_f64 v[3:4], v[3:4], v[17:18]
	ds_bpermute_b32 v15, v27, v1
	ds_bpermute_b32 v16, v27, v2
	ds_bpermute_b32 v17, v27, v3
	ds_bpermute_b32 v18, v27, v4
	s_waitcnt lgkmcnt(2)
	v_add_f64 v[1:2], v[1:2], v[15:16]
	s_waitcnt lgkmcnt(0)
	;; [unrolled: 8-line block ×3, first 2 shown]
	v_add_f64 v[15:16], v[3:4], v[17:18]
	ds_bpermute_b32 v3, v29, v1
	ds_bpermute_b32 v4, v29, v2
	;; [unrolled: 1-line block ×4, first 2 shown]
	s_and_saveexec_b32 s4, s1
	s_cbranch_execz .LBB353_67
; %bb.66:                               ;   in Loop: Header=BB353_61 Depth=1
	s_waitcnt lgkmcnt(0)
	v_add_f64 v[17:18], v[15:16], v[17:18]
	v_add_f64 v[15:16], v[1:2], v[3:4]
	ds_store_b128 v30, v[15:18]
.LBB353_67:                             ;   in Loop: Header=BB353_61 Depth=1
	s_or_b32 exec_lo, exec_lo, s4
	s_waitcnt lgkmcnt(2)
	v_mov_b32_e32 v3, 0
	v_mov_b32_e32 v4, 0
	s_delay_alu instid0(VALU_DEP_2)
	v_mov_b32_e32 v1, v3
	s_waitcnt lgkmcnt(0)
	s_barrier
	buffer_gl0_inv
	v_mov_b32_e32 v2, v4
	s_and_saveexec_b32 s4, s2
	s_cbranch_execnz .LBB353_77
; %bb.68:                               ;   in Loop: Header=BB353_61 Depth=1
	s_or_b32 exec_lo, exec_lo, s4
	s_and_saveexec_b32 s4, s0
	s_cbranch_execnz .LBB353_78
.LBB353_69:                             ;   in Loop: Header=BB353_61 Depth=1
	s_or_b32 exec_lo, exec_lo, s4
	s_and_saveexec_b32 s4, s3
	s_cbranch_execz .LBB353_60
	s_branch .LBB353_79
.LBB353_70:                             ;   in Loop: Header=BB353_61 Depth=1
	s_waitcnt lgkmcnt(0)
	s_clause 0x2
	flat_load_b128 v[1:4], v[7:8]
	flat_load_b128 v[15:18], v[9:10]
	;; [unrolled: 1-line block ×3, first 2 shown]
	s_mul_i32 s4, s15, s11
	s_mul_hi_u32 s23, s15, s10
	s_mul_i32 s24, s15, s10
	s_add_i32 s25, s23, s4
	s_delay_alu instid0(SALU_CYCLE_1) | instskip(NEXT) | instid1(SALU_CYCLE_1)
	s_lshl_b64 s[24:25], s[24:25], 4
	v_add_co_u32 v23, s4, v21, s24
	s_delay_alu instid0(VALU_DEP_1)
	v_add_co_ci_u32_e64 v24, s4, s25, v22, s4
	flat_load_b128 v[42:45], v[5:6]
	s_clause 0x1
	flat_load_b128 v[46:49], v[23:24]
	flat_load_b128 v[50:53], v[23:24] offset:16
	s_waitcnt vmcnt(5) lgkmcnt(5)
	scratch_store_b128 v38, v[1:4], off
	s_waitcnt vmcnt(4) lgkmcnt(4)
	scratch_store_b128 v39, v[15:18], off
	s_clause 0x1
	scratch_load_b128 v[1:4], off, off offset:16
	scratch_load_b128 v[15:18], off, off offset:32
	s_clause 0x1
	flat_load_b128 v[54:57], v[23:24] offset:32
	flat_load_b128 v[58:61], v[23:24] offset:48
	s_waitcnt vmcnt(7) lgkmcnt(5)
	scratch_store_b128 v40, v[31:34], off
	scratch_load_b128 v[31:34], off, off offset:48
	s_waitcnt vmcnt(7) lgkmcnt(4)
	scratch_store_b128 off, v[42:45], off
	s_waitcnt vmcnt(6) lgkmcnt(3)
	v_mul_f64 v[23:24], v[48:49], v[44:45]
	v_mul_f64 v[35:36], v[46:47], v[44:45]
	s_delay_alu instid0(VALU_DEP_2) | instskip(NEXT) | instid1(VALU_DEP_2)
	v_fma_f64 v[23:24], v[46:47], v[42:43], -v[23:24]
	v_fma_f64 v[35:36], v[48:49], v[42:43], v[35:36]
	s_delay_alu instid0(VALU_DEP_2) | instskip(NEXT) | instid1(VALU_DEP_2)
	v_add_f64 v[23:24], v[23:24], 0
	v_add_f64 v[35:36], v[35:36], 0
	s_waitcnt vmcnt(4) lgkmcnt(2)
	v_mul_f64 v[46:47], v[52:53], v[3:4]
	v_mul_f64 v[3:4], v[50:51], v[3:4]
	s_waitcnt vmcnt(2) lgkmcnt(1)
	v_mul_f64 v[48:49], v[56:57], v[17:18]
	v_mul_f64 v[17:18], v[54:55], v[17:18]
	s_delay_alu instid0(VALU_DEP_4) | instskip(NEXT) | instid1(VALU_DEP_4)
	v_fma_f64 v[46:47], v[50:51], v[1:2], -v[46:47]
	v_fma_f64 v[1:2], v[52:53], v[1:2], v[3:4]
	s_waitcnt vmcnt(0) lgkmcnt(0)
	v_mul_f64 v[3:4], v[60:61], v[33:34]
	v_mul_f64 v[33:34], v[58:59], v[33:34]
	v_fma_f64 v[48:49], v[54:55], v[15:16], -v[48:49]
	v_fma_f64 v[15:16], v[56:57], v[15:16], v[17:18]
	v_add_f64 v[17:18], v[23:24], v[46:47]
	v_add_f64 v[1:2], v[35:36], v[1:2]
	v_fma_f64 v[3:4], v[58:59], v[31:32], -v[3:4]
	v_fma_f64 v[23:24], v[60:61], v[31:32], v[33:34]
	s_delay_alu instid0(VALU_DEP_4) | instskip(NEXT) | instid1(VALU_DEP_4)
	v_add_f64 v[17:18], v[17:18], v[48:49]
	v_add_f64 v[1:2], v[1:2], v[15:16]
	s_delay_alu instid0(VALU_DEP_2) | instskip(NEXT) | instid1(VALU_DEP_2)
	v_add_f64 v[15:16], v[17:18], v[3:4]
	v_add_f64 v[17:18], v[1:2], v[23:24]
	s_and_not1_saveexec_b32 s22, s22
	s_cbranch_execz .LBB353_63
.LBB353_71:                             ;   in Loop: Header=BB353_61 Depth=1
	v_mov_b32_e32 v15, 0
	v_mov_b32_e32 v16, 0
	s_delay_alu instid0(VALU_DEP_1)
	v_dual_mov_b32 v18, v16 :: v_dual_mov_b32 v17, v15
	s_and_saveexec_b32 s23, s5
	s_cbranch_execz .LBB353_76
; %bb.72:                               ;   in Loop: Header=BB353_61 Depth=1
	s_waitcnt lgkmcnt(0)
	v_mov_b32_e32 v1, v5
	v_dual_mov_b32 v3, 0 :: v_dual_mov_b32 v2, v6
	s_mov_b32 s24, s9
.LBB353_73:                             ;   Parent Loop BB353_61 Depth=1
                                        ; =>  This Inner Loop Header: Depth=2
	flat_load_b128 v[15:18], v[1:2]
	v_add_co_u32 v1, s4, v1, s20
	s_delay_alu instid0(VALU_DEP_1) | instskip(SKIP_1) | instid1(SALU_CYCLE_1)
	v_add_co_ci_u32_e64 v2, s4, s21, v2, s4
	s_add_i32 s24, s24, -1
	s_cmp_eq_u32 s24, 0
	s_waitcnt vmcnt(0) lgkmcnt(0)
	scratch_store_b128 v3, v[15:18], off
	v_add_nc_u32_e32 v3, 16, v3
	s_cbranch_scc0 .LBB353_73
; %bb.74:                               ;   in Loop: Header=BB353_61 Depth=1
	v_mov_b32_e32 v15, 0
	v_dual_mov_b32 v16, 0 :: v_dual_mov_b32 v1, v13
	v_dual_mov_b32 v3, v41 :: v_dual_mov_b32 v2, v14
	s_mov_b32 s24, s9
	s_delay_alu instid0(VALU_DEP_2)
	v_dual_mov_b32 v18, v16 :: v_dual_mov_b32 v17, v15
	.p2align	6
.LBB353_75:                             ;   Parent Loop BB353_61 Depth=1
                                        ; =>  This Inner Loop Header: Depth=2
	flat_load_b128 v[31:34], v[1:2]
	scratch_load_b128 v[42:45], v3, off offset:-8
	v_add_co_u32 v1, s4, v1, 16
	v_add_nc_u32_e32 v3, 16, v3
	v_add_co_ci_u32_e64 v2, s4, 0, v2, s4
	s_add_i32 s24, s24, -1
	s_delay_alu instid0(SALU_CYCLE_1) | instskip(SKIP_3) | instid1(VALU_DEP_2)
	s_cmp_lg_u32 s24, 0
	s_waitcnt vmcnt(0) lgkmcnt(0)
	v_mul_f64 v[23:24], v[33:34], v[44:45]
	v_mul_f64 v[35:36], v[31:32], v[44:45]
	v_fma_f64 v[23:24], v[31:32], v[42:43], -v[23:24]
	s_delay_alu instid0(VALU_DEP_2) | instskip(NEXT) | instid1(VALU_DEP_2)
	v_fma_f64 v[31:32], v[33:34], v[42:43], v[35:36]
	v_add_f64 v[15:16], v[15:16], v[23:24]
	s_delay_alu instid0(VALU_DEP_2)
	v_add_f64 v[17:18], v[17:18], v[31:32]
	s_cbranch_scc1 .LBB353_75
.LBB353_76:                             ;   in Loop: Header=BB353_61 Depth=1
	s_or_b32 exec_lo, exec_lo, s23
	s_delay_alu instid0(SALU_CYCLE_1)
	s_or_b32 exec_lo, exec_lo, s22
	s_and_saveexec_b32 s4, s0
	s_cbranch_execnz .LBB353_64
	s_branch .LBB353_65
.LBB353_77:                             ;   in Loop: Header=BB353_61 Depth=1
	ds_load_b128 v[1:4], v19
	s_or_b32 exec_lo, exec_lo, s4
	s_and_saveexec_b32 s4, s0
	s_cbranch_execz .LBB353_69
.LBB353_78:                             ;   in Loop: Header=BB353_61 Depth=1
	s_waitcnt lgkmcnt(0)
	ds_bpermute_b32 v15, v27, v1
	ds_bpermute_b32 v16, v27, v2
	ds_bpermute_b32 v17, v27, v3
	ds_bpermute_b32 v18, v27, v4
	s_waitcnt lgkmcnt(2)
	v_add_f64 v[1:2], v[1:2], v[15:16]
	s_waitcnt lgkmcnt(0)
	v_add_f64 v[3:4], v[3:4], v[17:18]
	ds_bpermute_b32 v15, v28, v1
	ds_bpermute_b32 v16, v28, v2
	ds_bpermute_b32 v17, v28, v3
	ds_bpermute_b32 v18, v28, v4
	s_waitcnt lgkmcnt(2)
	v_add_f64 v[1:2], v[1:2], v[15:16]
	s_waitcnt lgkmcnt(0)
	v_add_f64 v[3:4], v[3:4], v[17:18]
	;; [unrolled: 8-line block ×3, first 2 shown]
	s_or_b32 exec_lo, exec_lo, s4
	s_and_saveexec_b32 s4, s3
	s_cbranch_execz .LBB353_60
.LBB353_79:                             ;   in Loop: Header=BB353_61 Depth=1
	s_waitcnt lgkmcnt(0)
	s_delay_alu instid0(VALU_DEP_1) | instskip(SKIP_3) | instid1(SALU_CYCLE_1)
	v_mul_f64 v[15:16], s[18:19], v[3:4]
	v_mul_f64 v[3:4], s[16:17], v[3:4]
	s_mul_hi_u32 s23, s15, s8
	s_mul_i32 s22, s15, s8
	s_lshl_b64 s[22:23], s[22:23], 4
	s_delay_alu instid0(SALU_CYCLE_1) | instskip(SKIP_1) | instid1(VALU_DEP_2)
	s_add_u32 s22, s6, s22
	s_addc_u32 s23, s14, s23
	v_fma_f64 v[15:16], s[16:17], v[1:2], -v[15:16]
	s_delay_alu instid0(VALU_DEP_2)
	v_fma_f64 v[17:18], s[18:19], v[1:2], v[3:4]
	global_store_b128 v0, v[15:18], s[22:23]
	s_branch .LBB353_60
.LBB353_80:
	s_nop 0
	s_sendmsg sendmsg(MSG_DEALLOC_VGPRS)
	s_endpgm
	.section	.rodata,"a",@progbits
	.p2align	6, 0x0
	.amdhsa_kernel _ZL23rocblas_gemvt_sn_kernelILb0ELi256ELi4ElPK19rocblas_complex_numIdES3_S1_EviiT4_lPKT3_lilS7_lilPT5_i
		.amdhsa_group_segment_fixed_size 512
		.amdhsa_private_segment_fixed_size 80
		.amdhsa_kernarg_size 360
		.amdhsa_user_sgpr_count 14
		.amdhsa_user_sgpr_dispatch_ptr 0
		.amdhsa_user_sgpr_queue_ptr 0
		.amdhsa_user_sgpr_kernarg_segment_ptr 1
		.amdhsa_user_sgpr_dispatch_id 0
		.amdhsa_user_sgpr_private_segment_size 0
		.amdhsa_wavefront_size32 1
		.amdhsa_uses_dynamic_stack 0
		.amdhsa_enable_private_segment 1
		.amdhsa_system_sgpr_workgroup_id_x 1
		.amdhsa_system_sgpr_workgroup_id_y 0
		.amdhsa_system_sgpr_workgroup_id_z 1
		.amdhsa_system_sgpr_workgroup_info 0
		.amdhsa_system_vgpr_workitem_id 0
		.amdhsa_next_free_vgpr 84
		.amdhsa_next_free_sgpr 46
		.amdhsa_reserve_vcc 1
		.amdhsa_float_round_mode_32 0
		.amdhsa_float_round_mode_16_64 0
		.amdhsa_float_denorm_mode_32 3
		.amdhsa_float_denorm_mode_16_64 3
		.amdhsa_dx10_clamp 1
		.amdhsa_ieee_mode 1
		.amdhsa_fp16_overflow 0
		.amdhsa_workgroup_processor_mode 1
		.amdhsa_memory_ordered 1
		.amdhsa_forward_progress 0
		.amdhsa_shared_vgpr_count 0
		.amdhsa_exception_fp_ieee_invalid_op 0
		.amdhsa_exception_fp_denorm_src 0
		.amdhsa_exception_fp_ieee_div_zero 0
		.amdhsa_exception_fp_ieee_overflow 0
		.amdhsa_exception_fp_ieee_underflow 0
		.amdhsa_exception_fp_ieee_inexact 0
		.amdhsa_exception_int_div_zero 0
	.end_amdhsa_kernel
	.section	.text._ZL23rocblas_gemvt_sn_kernelILb0ELi256ELi4ElPK19rocblas_complex_numIdES3_S1_EviiT4_lPKT3_lilS7_lilPT5_i,"axG",@progbits,_ZL23rocblas_gemvt_sn_kernelILb0ELi256ELi4ElPK19rocblas_complex_numIdES3_S1_EviiT4_lPKT3_lilS7_lilPT5_i,comdat
.Lfunc_end353:
	.size	_ZL23rocblas_gemvt_sn_kernelILb0ELi256ELi4ElPK19rocblas_complex_numIdES3_S1_EviiT4_lPKT3_lilS7_lilPT5_i, .Lfunc_end353-_ZL23rocblas_gemvt_sn_kernelILb0ELi256ELi4ElPK19rocblas_complex_numIdES3_S1_EviiT4_lPKT3_lilS7_lilPT5_i
                                        ; -- End function
	.section	.AMDGPU.csdata,"",@progbits
; Kernel info:
; codeLenInByte = 7744
; NumSgprs: 48
; NumVgprs: 84
; ScratchSize: 80
; MemoryBound: 0
; FloatMode: 240
; IeeeMode: 1
; LDSByteSize: 512 bytes/workgroup (compile time only)
; SGPRBlocks: 5
; VGPRBlocks: 10
; NumSGPRsForWavesPerEU: 48
; NumVGPRsForWavesPerEU: 84
; Occupancy: 16
; WaveLimiterHint : 0
; COMPUTE_PGM_RSRC2:SCRATCH_EN: 1
; COMPUTE_PGM_RSRC2:USER_SGPR: 14
; COMPUTE_PGM_RSRC2:TRAP_HANDLER: 0
; COMPUTE_PGM_RSRC2:TGID_X_EN: 1
; COMPUTE_PGM_RSRC2:TGID_Y_EN: 0
; COMPUTE_PGM_RSRC2:TGID_Z_EN: 1
; COMPUTE_PGM_RSRC2:TIDIG_COMP_CNT: 0
	.section	.text._ZL23rocblas_gemvt_sn_reduceILi256ELi8E19rocblas_complex_numIdEPKS1_KPS1_EviT2_lPT3_lilPT1_i,"axG",@progbits,_ZL23rocblas_gemvt_sn_reduceILi256ELi8E19rocblas_complex_numIdEPKS1_KPS1_EviT2_lPT3_lilPT1_i,comdat
	.globl	_ZL23rocblas_gemvt_sn_reduceILi256ELi8E19rocblas_complex_numIdEPKS1_KPS1_EviT2_lPT3_lilPT1_i ; -- Begin function _ZL23rocblas_gemvt_sn_reduceILi256ELi8E19rocblas_complex_numIdEPKS1_KPS1_EviT2_lPT3_lilPT1_i
	.p2align	8
	.type	_ZL23rocblas_gemvt_sn_reduceILi256ELi8E19rocblas_complex_numIdEPKS1_KPS1_EviT2_lPT3_lilPT1_i,@function
_ZL23rocblas_gemvt_sn_reduceILi256ELi8E19rocblas_complex_numIdEPKS1_KPS1_EviT2_lPT3_lilPT1_i: ; @_ZL23rocblas_gemvt_sn_reduceILi256ELi8E19rocblas_complex_numIdEPKS1_KPS1_EviT2_lPT3_lilPT1_i
; %bb.0:
	s_mov_b32 s2, s15
	s_clause 0x1
	s_load_b32 s15, s[0:1], 0x0
	s_load_b256 s[4:11], s[0:1], 0x8
	s_mov_b32 s3, 0
	s_load_b32 s16, s[0:1], 0x4c
	s_lshl_b64 s[12:13], s[2:3], 3
	v_mov_b32_e32 v1, 0
	v_dual_mov_b32 v2, 0 :: v_dual_lshlrev_b32 v7, 3, v0
	s_mov_b32 s21, exec_lo
	s_delay_alu instid0(VALU_DEP_1)
	v_dual_mov_b32 v4, v2 :: v_dual_mov_b32 v3, v1
	s_waitcnt lgkmcnt(0)
	s_ashr_i32 s17, s15, 31
	s_mul_i32 s7, s2, s7
	s_mul_hi_u32 s18, s2, s6
	s_add_u32 s8, s8, s12
	s_addc_u32 s9, s9, s13
	s_add_i32 s7, s18, s7
	s_mul_i32 s6, s2, s6
	s_load_b64 s[12:13], s[0:1], 0x38
	s_lshl_b64 s[6:7], s[6:7], 4
	s_mul_i32 s2, s16, s2
	s_add_u32 s4, s4, s6
	s_addc_u32 s5, s5, s7
	s_load_b64 s[8:9], s[8:9], 0x0
	s_load_b128 s[4:7], s[4:5], 0x0
	s_add_u32 s18, s0, 0x48
	s_addc_u32 s19, s1, 0
	s_lshr_b32 s16, s17, 29
	s_add_i32 s2, s2, s14
	s_add_i32 s16, s15, s16
	s_mul_i32 s17, s2, s17
	s_and_b32 s20, s16, -8
	s_mul_hi_u32 s16, s2, s15
	s_delay_alu instid0(SALU_CYCLE_1)
	s_add_i32 s17, s16, s17
	s_mul_i32 s16, s2, s15
	v_cmpx_gt_i32_e64 s20, v7
	s_cbranch_execz .LBB354_4
; %bb.1:
	s_load_b32 s2, s[18:19], 0xc
	v_lshlrev_b32_e32 v3, 7, v0
	s_lshl_b64 s[22:23], s[16:17], 4
	v_mov_b32_e32 v1, 0
	v_mov_b32_e32 v2, 0
	s_waitcnt lgkmcnt(0)
	s_and_b32 s2, s2, 0xffff
	s_delay_alu instid0(SALU_CYCLE_1) | instskip(SKIP_3) | instid1(VALU_DEP_1)
	s_lshl_b32 s18, s2, 3
	s_add_u32 s19, s12, s22
	s_addc_u32 s22, s13, s23
	v_add_co_u32 v3, s19, s19, v3
	v_add_co_ci_u32_e64 v4, null, s22, 0, s19
	s_lshl_b32 s19, s2, 7
	s_delay_alu instid0(VALU_DEP_2) | instskip(NEXT) | instid1(VALU_DEP_2)
	v_add_co_u32 v5, vcc_lo, 0x78, v3
	v_add_co_ci_u32_e32 v6, vcc_lo, 0, v4, vcc_lo
	v_dual_mov_b32 v4, v2 :: v_dual_mov_b32 v3, v1
.LBB354_2:                              ; =>This Inner Loop Header: Depth=1
	s_clause 0x7
	global_load_b128 v[8:11], v[5:6], off offset:-120
	global_load_b128 v[12:15], v[5:6], off offset:-104
	;; [unrolled: 1-line block ×8, first 2 shown]
	v_add_nc_u32_e32 v7, s18, v7
	v_add_co_u32 v5, s2, v5, s19
	s_delay_alu instid0(VALU_DEP_1) | instskip(NEXT) | instid1(VALU_DEP_3)
	v_add_co_ci_u32_e64 v6, s2, 0, v6, s2
	v_cmp_le_i32_e32 vcc_lo, s20, v7
	s_or_b32 s3, vcc_lo, s3
	s_waitcnt vmcnt(7)
	v_add_f64 v[3:4], v[3:4], v[8:9]
	v_add_f64 v[1:2], v[1:2], v[10:11]
	s_waitcnt vmcnt(6)
	s_delay_alu instid0(VALU_DEP_2) | instskip(NEXT) | instid1(VALU_DEP_2)
	v_add_f64 v[3:4], v[3:4], v[12:13]
	v_add_f64 v[1:2], v[1:2], v[14:15]
	s_waitcnt vmcnt(5)
	s_delay_alu instid0(VALU_DEP_2) | instskip(NEXT) | instid1(VALU_DEP_2)
	;; [unrolled: 4-line block ×7, first 2 shown]
	v_add_f64 v[3:4], v[3:4], v[36:37]
	v_add_f64 v[1:2], v[1:2], v[38:39]
	s_and_not1_b32 exec_lo, exec_lo, s3
	s_cbranch_execnz .LBB354_2
; %bb.3:
	s_or_b32 exec_lo, exec_lo, s3
.LBB354_4:
	s_delay_alu instid0(SALU_CYCLE_1) | instskip(SKIP_1) | instid1(SALU_CYCLE_1)
	s_or_b32 exec_lo, exec_lo, s21
	s_sub_i32 s2, s15, s20
	v_cmp_gt_u32_e32 vcc_lo, s2, v0
	s_and_saveexec_b32 s2, vcc_lo
	s_cbranch_execz .LBB354_6
; %bb.5:
	v_xad_u32 v5, v0, -1, s15
	v_mov_b32_e32 v6, 0
	s_lshl_b64 s[16:17], s[16:17], 4
	s_waitcnt lgkmcnt(0)
	s_add_u32 s3, s12, s16
	s_addc_u32 s12, s13, s17
	v_lshlrev_b64 v[5:6], 4, v[5:6]
	s_delay_alu instid0(VALU_DEP_1) | instskip(NEXT) | instid1(VALU_DEP_2)
	v_add_co_u32 v5, vcc_lo, s3, v5
	v_add_co_ci_u32_e32 v6, vcc_lo, s12, v6, vcc_lo
	global_load_b128 v[5:8], v[5:6], off
	s_waitcnt vmcnt(0)
	v_add_f64 v[3:4], v[3:4], v[5:6]
	v_add_f64 v[1:2], v[1:2], v[7:8]
.LBB354_6:
	s_or_b32 exec_lo, exec_lo, s2
	v_and_b32_e32 v13, 31, v0
	v_cmp_gt_u32_e32 vcc_lo, 32, v0
	s_delay_alu instid0(VALU_DEP_2)
	v_lshlrev_b32_e32 v9, 4, v13
	s_and_saveexec_b32 s2, vcc_lo
	s_cbranch_execz .LBB354_8
; %bb.7:
	v_mov_b32_e32 v5, 0
	s_delay_alu instid0(VALU_DEP_1)
	v_mov_b32_e32 v6, v5
	v_mov_b32_e32 v7, v5
	v_mov_b32_e32 v8, v5
	ds_store_b128 v9, v[5:8]
.LBB354_8:
	s_or_b32 exec_lo, exec_lo, s2
	v_mbcnt_lo_u32_b32 v12, -1, 0
	s_mov_b32 s3, exec_lo
	s_waitcnt lgkmcnt(0)
	s_barrier
	buffer_gl0_inv
	v_cmp_gt_u32_e64 s2, 16, v12
	s_delay_alu instid0(VALU_DEP_1) | instskip(SKIP_1) | instid1(VALU_DEP_2)
	v_cndmask_b32_e64 v5, 0, 1, s2
	v_cmp_gt_u32_e64 s2, 24, v12
	v_lshlrev_b32_e32 v5, 4, v5
	s_delay_alu instid0(VALU_DEP_1)
	v_add_lshl_u32 v8, v5, v12, 2
	ds_bpermute_b32 v5, v8, v3
	ds_bpermute_b32 v6, v8, v4
	ds_bpermute_b32 v7, v8, v1
	ds_bpermute_b32 v8, v8, v2
	s_waitcnt lgkmcnt(2)
	v_add_f64 v[3:4], v[3:4], v[5:6]
	v_cndmask_b32_e64 v5, 0, 1, s2
	s_waitcnt lgkmcnt(0)
	v_add_f64 v[1:2], v[1:2], v[7:8]
	v_cmp_gt_u32_e64 s2, 28, v12
	s_delay_alu instid0(VALU_DEP_3) | instskip(NEXT) | instid1(VALU_DEP_1)
	v_lshlrev_b32_e32 v5, 3, v5
	v_add_lshl_u32 v8, v5, v12, 2
	ds_bpermute_b32 v5, v8, v3
	ds_bpermute_b32 v6, v8, v4
	;; [unrolled: 1-line block ×4, first 2 shown]
	s_waitcnt lgkmcnt(2)
	v_add_f64 v[3:4], v[3:4], v[5:6]
	v_cndmask_b32_e64 v5, 0, 1, s2
	s_waitcnt lgkmcnt(0)
	v_add_f64 v[1:2], v[1:2], v[7:8]
	v_cmp_gt_u32_e64 s2, 30, v12
	s_delay_alu instid0(VALU_DEP_3) | instskip(NEXT) | instid1(VALU_DEP_1)
	v_lshlrev_b32_e32 v5, 2, v5
	v_add_lshl_u32 v10, v5, v12, 2
	ds_bpermute_b32 v5, v10, v3
	ds_bpermute_b32 v6, v10, v4
	;; [unrolled: 1-line block ×4, first 2 shown]
	s_waitcnt lgkmcnt(2)
	v_add_f64 v[3:4], v[3:4], v[5:6]
	s_waitcnt lgkmcnt(0)
	v_add_f64 v[5:6], v[1:2], v[7:8]
	v_cndmask_b32_e64 v1, 0, 1, s2
	v_cmp_ne_u32_e64 s2, 31, v12
	s_delay_alu instid0(VALU_DEP_2) | instskip(NEXT) | instid1(VALU_DEP_1)
	v_lshlrev_b32_e32 v1, 1, v1
	v_add_lshl_u32 v11, v1, v12, 2
	ds_bpermute_b32 v1, v11, v3
	ds_bpermute_b32 v2, v11, v4
	;; [unrolled: 1-line block ×4, first 2 shown]
	s_waitcnt lgkmcnt(2)
	v_add_f64 v[1:2], v[3:4], v[1:2]
	v_add_co_ci_u32_e64 v3, s2, 0, v12, s2
	s_waitcnt lgkmcnt(0)
	v_add_f64 v[5:6], v[5:6], v[7:8]
	s_delay_alu instid0(VALU_DEP_2)
	v_lshlrev_b32_e32 v12, 2, v3
	ds_bpermute_b32 v3, v12, v1
	ds_bpermute_b32 v4, v12, v2
	;; [unrolled: 1-line block ×4, first 2 shown]
	v_cmpx_eq_u32_e32 0, v13
	s_cbranch_execz .LBB354_10
; %bb.9:
	s_waitcnt lgkmcnt(0)
	v_add_f64 v[5:6], v[5:6], v[7:8]
	v_add_f64 v[3:4], v[1:2], v[3:4]
	v_lshrrev_b32_e32 v1, 1, v0
	s_delay_alu instid0(VALU_DEP_1)
	v_and_b32_e32 v1, 0x70, v1
	ds_store_b128 v1, v[3:6]
.LBB354_10:
	s_or_b32 exec_lo, exec_lo, s3
	s_waitcnt lgkmcnt(2)
	v_mov_b32_e32 v3, 0
	v_mov_b32_e32 v4, 0
	s_delay_alu instid0(VALU_DEP_2)
	v_mov_b32_e32 v1, v3
	s_mov_b32 s3, exec_lo
	s_waitcnt lgkmcnt(0)
	s_barrier
	v_mov_b32_e32 v2, v4
	buffer_gl0_inv
	v_cmpx_gt_u32_e32 8, v0
	s_cbranch_execz .LBB354_12
; %bb.11:
	ds_load_b128 v[1:4], v9
.LBB354_12:
	s_or_b32 exec_lo, exec_lo, s3
	s_and_saveexec_b32 s2, vcc_lo
	s_cbranch_execz .LBB354_14
; %bb.13:
	s_waitcnt lgkmcnt(0)
	ds_bpermute_b32 v5, v10, v1
	ds_bpermute_b32 v6, v10, v2
	ds_bpermute_b32 v7, v10, v3
	ds_bpermute_b32 v8, v10, v4
	s_waitcnt lgkmcnt(2)
	v_add_f64 v[1:2], v[1:2], v[5:6]
	s_waitcnt lgkmcnt(0)
	v_add_f64 v[3:4], v[3:4], v[7:8]
	ds_bpermute_b32 v5, v11, v1
	ds_bpermute_b32 v6, v11, v2
	ds_bpermute_b32 v7, v11, v3
	ds_bpermute_b32 v8, v11, v4
	s_waitcnt lgkmcnt(2)
	v_add_f64 v[1:2], v[1:2], v[5:6]
	s_waitcnt lgkmcnt(0)
	v_add_f64 v[3:4], v[3:4], v[7:8]
	;; [unrolled: 8-line block ×3, first 2 shown]
.LBB354_14:
	s_or_b32 exec_lo, exec_lo, s2
	s_delay_alu instid0(SALU_CYCLE_1)
	s_mov_b32 s2, exec_lo
	v_cmpx_eq_u32_e32 0, v0
	s_cbranch_execz .LBB354_18
; %bb.15:
	v_cmp_neq_f64_e64 s12, s[4:5], 0
	v_cmp_neq_f64_e64 s13, s[6:7], 0
	s_load_b32 s15, s[0:1], 0x28
	s_lshl_b64 s[0:1], s[10:11], 4
	s_waitcnt lgkmcnt(0)
	s_ashr_i32 s10, s15, 31
	s_add_u32 s2, s8, s0
	s_addc_u32 s3, s9, s1
	s_mul_hi_u32 s1, s15, s14
	s_mul_i32 s10, s10, s14
	s_delay_alu instid0(SALU_CYCLE_1) | instskip(NEXT) | instid1(VALU_DEP_1)
	s_add_i32 s1, s1, s10
	s_or_b32 s0, s12, s13
	s_delay_alu instid0(SALU_CYCLE_1)
	s_and_not1_b32 vcc_lo, exec_lo, s0
	s_mul_i32 s0, s15, s14
	s_cbranch_vccnz .LBB354_17
; %bb.16:
	s_lshl_b64 s[8:9], s[0:1], 4
	s_delay_alu instid0(SALU_CYCLE_1)
	s_add_u32 s8, s2, s8
	s_addc_u32 s9, s3, s9
	s_load_b128 s[8:11], s[8:9], 0x0
	s_waitcnt lgkmcnt(0)
	v_mul_f64 v[5:6], s[6:7], s[10:11]
	v_mul_f64 v[7:8], s[4:5], s[10:11]
	s_delay_alu instid0(VALU_DEP_2) | instskip(NEXT) | instid1(VALU_DEP_2)
	v_fma_f64 v[5:6], s[4:5], s[8:9], -v[5:6]
	v_fma_f64 v[7:8], s[6:7], s[8:9], v[7:8]
	s_delay_alu instid0(VALU_DEP_2) | instskip(NEXT) | instid1(VALU_DEP_2)
	v_add_f64 v[1:2], v[1:2], v[5:6]
	v_add_f64 v[3:4], v[3:4], v[7:8]
.LBB354_17:
	s_lshl_b64 s[0:1], s[0:1], 4
	v_mov_b32_e32 v0, 0
	s_add_u32 s0, s2, s0
	s_addc_u32 s1, s3, s1
	global_store_b128 v0, v[1:4], s[0:1]
.LBB354_18:
	s_nop 0
	s_sendmsg sendmsg(MSG_DEALLOC_VGPRS)
	s_endpgm
	.section	.rodata,"a",@progbits
	.p2align	6, 0x0
	.amdhsa_kernel _ZL23rocblas_gemvt_sn_reduceILi256ELi8E19rocblas_complex_numIdEPKS1_KPS1_EviT2_lPT3_lilPT1_i
		.amdhsa_group_segment_fixed_size 512
		.amdhsa_private_segment_fixed_size 0
		.amdhsa_kernarg_size 328
		.amdhsa_user_sgpr_count 13
		.amdhsa_user_sgpr_dispatch_ptr 0
		.amdhsa_user_sgpr_queue_ptr 0
		.amdhsa_user_sgpr_kernarg_segment_ptr 1
		.amdhsa_user_sgpr_dispatch_id 0
		.amdhsa_user_sgpr_private_segment_size 0
		.amdhsa_wavefront_size32 1
		.amdhsa_uses_dynamic_stack 0
		.amdhsa_enable_private_segment 0
		.amdhsa_system_sgpr_workgroup_id_x 1
		.amdhsa_system_sgpr_workgroup_id_y 1
		.amdhsa_system_sgpr_workgroup_id_z 1
		.amdhsa_system_sgpr_workgroup_info 0
		.amdhsa_system_vgpr_workitem_id 0
		.amdhsa_next_free_vgpr 40
		.amdhsa_next_free_sgpr 24
		.amdhsa_reserve_vcc 1
		.amdhsa_float_round_mode_32 0
		.amdhsa_float_round_mode_16_64 0
		.amdhsa_float_denorm_mode_32 3
		.amdhsa_float_denorm_mode_16_64 3
		.amdhsa_dx10_clamp 1
		.amdhsa_ieee_mode 1
		.amdhsa_fp16_overflow 0
		.amdhsa_workgroup_processor_mode 1
		.amdhsa_memory_ordered 1
		.amdhsa_forward_progress 0
		.amdhsa_shared_vgpr_count 0
		.amdhsa_exception_fp_ieee_invalid_op 0
		.amdhsa_exception_fp_denorm_src 0
		.amdhsa_exception_fp_ieee_div_zero 0
		.amdhsa_exception_fp_ieee_overflow 0
		.amdhsa_exception_fp_ieee_underflow 0
		.amdhsa_exception_fp_ieee_inexact 0
		.amdhsa_exception_int_div_zero 0
	.end_amdhsa_kernel
	.section	.text._ZL23rocblas_gemvt_sn_reduceILi256ELi8E19rocblas_complex_numIdEPKS1_KPS1_EviT2_lPT3_lilPT1_i,"axG",@progbits,_ZL23rocblas_gemvt_sn_reduceILi256ELi8E19rocblas_complex_numIdEPKS1_KPS1_EviT2_lPT3_lilPT1_i,comdat
.Lfunc_end354:
	.size	_ZL23rocblas_gemvt_sn_reduceILi256ELi8E19rocblas_complex_numIdEPKS1_KPS1_EviT2_lPT3_lilPT1_i, .Lfunc_end354-_ZL23rocblas_gemvt_sn_reduceILi256ELi8E19rocblas_complex_numIdEPKS1_KPS1_EviT2_lPT3_lilPT1_i
                                        ; -- End function
	.section	.AMDGPU.csdata,"",@progbits
; Kernel info:
; codeLenInByte = 1724
; NumSgprs: 26
; NumVgprs: 40
; ScratchSize: 0
; MemoryBound: 1
; FloatMode: 240
; IeeeMode: 1
; LDSByteSize: 512 bytes/workgroup (compile time only)
; SGPRBlocks: 3
; VGPRBlocks: 4
; NumSGPRsForWavesPerEU: 26
; NumVGPRsForWavesPerEU: 40
; Occupancy: 16
; WaveLimiterHint : 1
; COMPUTE_PGM_RSRC2:SCRATCH_EN: 0
; COMPUTE_PGM_RSRC2:USER_SGPR: 13
; COMPUTE_PGM_RSRC2:TRAP_HANDLER: 0
; COMPUTE_PGM_RSRC2:TGID_X_EN: 1
; COMPUTE_PGM_RSRC2:TGID_Y_EN: 1
; COMPUTE_PGM_RSRC2:TGID_Z_EN: 1
; COMPUTE_PGM_RSRC2:TIDIG_COMP_CNT: 0
	.section	.text._ZL23rocblas_gemvt_sn_kernelILb0ELi256ELi4EiPK19rocblas_complex_numIdES1_S1_EviiT4_lPKT3_lilS7_lilPT5_i,"axG",@progbits,_ZL23rocblas_gemvt_sn_kernelILb0ELi256ELi4EiPK19rocblas_complex_numIdES1_S1_EviiT4_lPKT3_lilS7_lilPT5_i,comdat
	.globl	_ZL23rocblas_gemvt_sn_kernelILb0ELi256ELi4EiPK19rocblas_complex_numIdES1_S1_EviiT4_lPKT3_lilS7_lilPT5_i ; -- Begin function _ZL23rocblas_gemvt_sn_kernelILb0ELi256ELi4EiPK19rocblas_complex_numIdES1_S1_EviiT4_lPKT3_lilS7_lilPT5_i
	.p2align	8
	.type	_ZL23rocblas_gemvt_sn_kernelILb0ELi256ELi4EiPK19rocblas_complex_numIdES1_S1_EviiT4_lPKT3_lilS7_lilPT5_i,@function
_ZL23rocblas_gemvt_sn_kernelILb0ELi256ELi4EiPK19rocblas_complex_numIdES1_S1_EviiT4_lPKT3_lilS7_lilPT5_i: ; @_ZL23rocblas_gemvt_sn_kernelILb0ELi256ELi4EiPK19rocblas_complex_numIdES1_S1_EviiT4_lPKT3_lilS7_lilPT5_i
; %bb.0:
	s_load_b128 s[8:11], s[0:1], 0x8
	s_mov_b32 s18, s15
	s_mov_b64 s[4:5], 0
	s_mov_b32 s19, -1
	s_waitcnt lgkmcnt(0)
	v_cmp_neq_f64_e64 s2, s[8:9], 0
	v_cmp_neq_f64_e64 s3, s[10:11], 0
	s_delay_alu instid0(VALU_DEP_1) | instskip(NEXT) | instid1(SALU_CYCLE_1)
	s_or_b32 s2, s2, s3
	s_and_b32 vcc_lo, exec_lo, s2
	s_cbranch_vccnz .LBB355_2
; %bb.1:
	s_mov_b32 s19, 0
	s_cbranch_execz .LBB355_3
	s_branch .LBB355_4
.LBB355_2:
                                        ; implicit-def: $sgpr4_sgpr5
	s_and_not1_b32 vcc_lo, exec_lo, s19
	s_cbranch_vccnz .LBB355_4
.LBB355_3:
	s_load_b128 s[4:7], s[0:1], 0x20
	s_mov_b32 s19, 0
	s_delay_alu instid0(SALU_CYCLE_1)
	s_lshl_b64 s[12:13], s[18:19], 3
	s_waitcnt lgkmcnt(0)
	s_add_u32 s4, s4, s12
	s_addc_u32 s5, s5, s13
	s_lshl_b64 s[6:7], s[6:7], 4
	s_load_b64 s[4:5], s[4:5], 0x0
	s_waitcnt lgkmcnt(0)
	s_add_u32 s4, s4, s6
	s_addc_u32 s5, s5, s7
.LBB355_4:
	v_cndmask_b32_e64 v1, 0, 1, s2
	s_xor_b32 s3, s2, -1
	s_mov_b64 s[6:7], 0
	s_delay_alu instid0(VALU_DEP_1)
	v_cmp_ne_u32_e32 vcc_lo, 1, v1
	s_cbranch_vccnz .LBB355_6
; %bb.5:
	s_load_b128 s[20:23], s[0:1], 0x40
	s_lshl_b64 s[6:7], s[18:19], 3
	s_waitcnt lgkmcnt(0)
	s_add_u32 s6, s20, s6
	s_addc_u32 s7, s21, s7
	s_lshl_b64 s[12:13], s[22:23], 4
	s_load_b64 s[6:7], s[6:7], 0x0
	s_waitcnt lgkmcnt(0)
	s_add_u32 s6, s6, s12
	s_addc_u32 s7, s7, s13
.LBB355_6:
	s_clause 0x2
	s_load_b64 s[12:13], s[0:1], 0x0
	s_load_b32 s16, s[0:1], 0x70
	s_load_b64 s[20:21], s[0:1], 0x60
	s_and_not1_b32 vcc_lo, exec_lo, s3
	v_cmp_eq_u32_e64 s2, 0, v0
	s_mov_b32 s17, 0
	s_waitcnt lgkmcnt(0)
	s_ashr_i32 s24, s13, 31
	s_mul_hi_u32 s3, s18, s13
	s_mul_i32 s15, s18, s24
	s_mul_i32 s19, s19, s13
	s_add_i32 s3, s3, s15
	s_mul_i32 s15, s18, s13
	s_add_i32 s3, s3, s19
	s_mul_hi_u32 s19, s15, s16
	s_mul_i32 s3, s3, s16
	s_mul_i32 s18, s15, s16
	s_add_i32 s19, s19, s3
	s_mov_b32 s3, -1
	s_cbranch_vccnz .LBB355_11
; %bb.7:
	s_cmp_gt_i32 s13, 0
	s_cselect_b32 s3, -1, 0
	s_delay_alu instid0(SALU_CYCLE_1) | instskip(NEXT) | instid1(SALU_CYCLE_1)
	s_and_b32 s2, s2, s3
	s_and_saveexec_b32 s25, s2
	s_cbranch_execz .LBB355_10
; %bb.8:
	s_mov_b32 s15, 0
	v_mov_b32_e32 v1, 0
	s_lshl_b64 s[2:3], s[18:19], 4
	s_lshl_b64 s[22:23], s[14:15], 4
	s_mov_b32 s15, s13
	s_add_u32 s2, s2, s22
	s_addc_u32 s3, s3, s23
	s_add_u32 s2, s2, s20
	v_mov_b32_e32 v2, v1
	v_mov_b32_e32 v3, v1
	;; [unrolled: 1-line block ×3, first 2 shown]
	s_addc_u32 s3, s3, s21
	s_add_u32 s2, s2, 8
	s_addc_u32 s3, s3, 0
	s_lshl_b64 s[22:23], s[16:17], 4
.LBB355_9:                              ; =>This Inner Loop Header: Depth=1
	s_add_i32 s15, s15, -1
	global_store_b128 v1, v[1:4], s[2:3] offset:-8
	s_add_u32 s2, s2, s22
	s_addc_u32 s3, s3, s23
	s_cmp_eq_u32 s15, 0
	s_cbranch_scc0 .LBB355_9
.LBB355_10:
	s_or_b32 exec_lo, exec_lo, s25
	s_mov_b32 s3, 0
.LBB355_11:
	s_delay_alu instid0(SALU_CYCLE_1)
	s_and_not1_b32 vcc_lo, exec_lo, s3
	s_cbranch_vccnz .LBB355_82
; %bb.12:
	s_lshl_b64 s[2:3], s[18:19], 4
	s_clause 0x1
	s_load_b32 s17, s[0:1], 0x30
	s_load_b32 s28, s[0:1], 0x50
	s_add_u32 s33, s20, s2
	s_addc_u32 s31, s21, s3
	s_lshl_b32 s2, s14, 10
	s_ashr_i32 s0, s12, 31
	v_lshl_or_b32 v1, v0, 2, s2
	s_lshr_b32 s0, s0, 30
	s_lshr_b32 s1, s24, 30
	s_add_i32 s0, s12, s0
	s_add_i32 s1, s13, s1
	v_ashrrev_i32_e32 v2, 31, v1
	s_and_b32 s0, s0, -4
	s_and_b32 s15, s1, -4
	s_sub_i32 s29, s12, s0
	v_add_nc_u32_e32 v42, 4, v1
	v_lshlrev_b64 v[2:3], 4, v[1:2]
	v_add_nc_u32_e32 v43, s29, v1
	v_and_b32_e32 v40, 31, v0
	v_cmp_gt_u32_e64 s0, 32, v0
	v_mbcnt_lo_u32_b32 v41, -1, 0
	s_waitcnt lgkmcnt(0)
	v_mul_lo_u32 v21, v1, s28
	v_add_co_u32 v33, vcc_lo, s4, v2
	v_add_co_ci_u32_e32 v34, vcc_lo, s5, v3, vcc_lo
	v_cmp_gt_u32_e64 s1, 8, v0
	v_lshrrev_b32_e32 v39, 1, v0
	v_add_nc_u32_e64 v35, 0, 16
	v_add_nc_u32_e64 v36, 0, 32
	v_add_nc_u32_e64 v37, 0, 48
	v_or_b32_e64 v38, 0, 8
	s_cmp_lt_i32 s15, 1
	s_cbranch_scc1 .LBB355_59
; %bb.13:
	v_cmp_gt_u32_e32 vcc_lo, 16, v41
	v_mul_lo_u32 v22, v1, s28
	v_cmp_ge_i32_e64 s2, s12, v42
	v_cmp_ge_i32_e64 s3, s12, v43
	v_cmp_eq_u32_e64 s4, 0, v40
	v_cndmask_b32_e64 v2, 0, 1, vcc_lo
	v_cmp_gt_u32_e32 vcc_lo, 24, v41
	v_lshlrev_b32_e32 v49, 4, v40
	v_and_b32_e32 v50, 0x70, v39
	v_ashrrev_i32_e32 v23, 31, v22
	v_lshlrev_b32_e32 v2, 4, v2
	v_cndmask_b32_e64 v3, 0, 1, vcc_lo
	v_cmp_gt_u32_e32 vcc_lo, 28, v41
	v_cmp_eq_u32_e64 s5, 0, v0
	v_or_b32_e64 v51, 0, 8
	v_add_lshl_u32 v44, v2, v41, 2
	v_lshlrev_b32_e32 v2, 3, v3
	v_cndmask_b32_e64 v4, 0, 1, vcc_lo
	v_cmp_gt_u32_e32 vcc_lo, 30, v41
	s_cmp_gt_i32 s29, 0
	s_mov_b32 s19, 0
	v_add_lshl_u32 v45, v2, v41, 2
	v_lshlrev_b32_e32 v3, 2, v4
	v_cndmask_b32_e64 v5, 0, 1, vcc_lo
	v_cmp_ne_u32_e32 vcc_lo, 31, v41
	s_cselect_b32 s34, -1, 0
	s_lshl_b32 s35, s17, 2
	v_add_lshl_u32 v46, v3, v41, 2
	v_lshlrev_b32_e32 v1, 1, v5
	v_add_co_ci_u32_e32 v4, vcc_lo, 0, v41, vcc_lo
	v_lshlrev_b64 v[5:6], 4, v[22:23]
	s_lshl_b32 s36, s17, 1
	s_delay_alu instid0(VALU_DEP_3) | instskip(SKIP_4) | instid1(VALU_DEP_3)
	v_add_lshl_u32 v47, v1, v41, 2
	v_add_nc_u32_e32 v1, s28, v22
	v_lshlrev_b32_e32 v48, 2, v4
	s_mul_i32 s37, s17, 3
	v_add_co_u32 v23, vcc_lo, s6, v5
	v_add_nc_u32_e32 v3, s28, v1
	v_ashrrev_i32_e32 v2, 31, v1
	v_add_co_ci_u32_e32 v24, vcc_lo, s7, v6, vcc_lo
	s_mov_b32 s20, s19
	s_delay_alu instid0(VALU_DEP_3) | instskip(NEXT) | instid1(VALU_DEP_3)
	v_add_nc_u32_e32 v7, s28, v3
	v_lshlrev_b64 v[1:2], 4, v[1:2]
	v_ashrrev_i32_e32 v4, 31, v3
	s_mov_b32 s38, s17
	s_mov_b32 s30, 0
	v_ashrrev_i32_e32 v8, 31, v7
	s_delay_alu instid0(VALU_DEP_2) | instskip(SKIP_2) | instid1(VALU_DEP_4)
	v_lshlrev_b64 v[3:4], 4, v[3:4]
	v_add_co_u32 v25, vcc_lo, s6, v1
	v_add_co_ci_u32_e32 v26, vcc_lo, s7, v2, vcc_lo
	v_lshlrev_b64 v[1:2], 4, v[7:8]
	s_delay_alu instid0(VALU_DEP_4) | instskip(SKIP_1) | instid1(VALU_DEP_3)
	v_add_co_u32 v27, vcc_lo, s6, v3
	v_add_co_ci_u32_e32 v28, vcc_lo, s7, v4, vcc_lo
	v_add_co_u32 v29, vcc_lo, s6, v1
	v_mov_b32_e32 v1, 0
	v_add_co_ci_u32_e32 v30, vcc_lo, s7, v2, vcc_lo
	s_branch .LBB355_15
.LBB355_14:                             ;   in Loop: Header=BB355_15 Depth=1
	s_or_b32 exec_lo, exec_lo, s21
	s_add_i32 s30, s30, 4
	s_add_i32 s38, s38, s35
	;; [unrolled: 1-line block ×5, first 2 shown]
	s_cmp_ge_i32 s30, s15
	s_cbranch_scc1 .LBB355_60
.LBB355_15:                             ; =>This Loop Header: Depth=1
                                        ;     Child Loop BB355_46 Depth 2
                                        ;     Child Loop BB355_48 Depth 2
                                        ; implicit-def: $vgpr17_vgpr18
                                        ; implicit-def: $vgpr19_vgpr20
                                        ; implicit-def: $vgpr13_vgpr14
                                        ; implicit-def: $vgpr15_vgpr16
                                        ; implicit-def: $vgpr9_vgpr10
                                        ; implicit-def: $vgpr11_vgpr12
                                        ; implicit-def: $vgpr7_vgpr8
                                        ; implicit-def: $vgpr5_vgpr6
	s_and_saveexec_b32 s18, s2
	s_delay_alu instid0(SALU_CYCLE_1)
	s_xor_b32 s18, exec_lo, s18
	s_cbranch_execnz .LBB355_42
; %bb.16:                               ;   in Loop: Header=BB355_15 Depth=1
	s_and_not1_saveexec_b32 s18, s18
	s_cbranch_execnz .LBB355_43
.LBB355_17:                             ;   in Loop: Header=BB355_15 Depth=1
	s_or_b32 exec_lo, exec_lo, s18
	s_and_saveexec_b32 s18, s0
	s_cbranch_execz .LBB355_19
.LBB355_18:                             ;   in Loop: Header=BB355_15 Depth=1
	v_mov_b32_e32 v2, v1
	v_mov_b32_e32 v3, v1
	;; [unrolled: 1-line block ×3, first 2 shown]
	ds_store_b128 v49, v[1:4]
.LBB355_19:                             ;   in Loop: Header=BB355_15 Depth=1
	s_or_b32 exec_lo, exec_lo, s18
	ds_bpermute_b32 v2, v44, v7
	ds_bpermute_b32 v3, v44, v8
	ds_bpermute_b32 v31, v44, v5
	ds_bpermute_b32 v32, v44, v6
	s_waitcnt lgkmcnt(0)
	s_waitcnt_vscnt null, 0x0
	s_barrier
	buffer_gl0_inv
	v_add_f64 v[2:3], v[7:8], v[2:3]
	v_add_f64 v[4:5], v[5:6], v[31:32]
	ds_bpermute_b32 v6, v45, v2
	ds_bpermute_b32 v7, v45, v3
	ds_bpermute_b32 v31, v45, v4
	ds_bpermute_b32 v32, v45, v5
	s_waitcnt lgkmcnt(2)
	v_add_f64 v[2:3], v[2:3], v[6:7]
	s_waitcnt lgkmcnt(0)
	v_add_f64 v[4:5], v[4:5], v[31:32]
	ds_bpermute_b32 v6, v46, v2
	ds_bpermute_b32 v7, v46, v3
	ds_bpermute_b32 v31, v46, v4
	ds_bpermute_b32 v32, v46, v5
	s_waitcnt lgkmcnt(2)
	v_add_f64 v[2:3], v[2:3], v[6:7]
	s_waitcnt lgkmcnt(0)
	;; [unrolled: 8-line block ×3, first 2 shown]
	v_add_f64 v[6:7], v[4:5], v[31:32]
	ds_bpermute_b32 v4, v48, v2
	ds_bpermute_b32 v5, v48, v3
	;; [unrolled: 1-line block ×4, first 2 shown]
	s_and_saveexec_b32 s18, s4
	s_cbranch_execz .LBB355_21
; %bb.20:                               ;   in Loop: Header=BB355_15 Depth=1
	s_waitcnt lgkmcnt(0)
	v_add_f64 v[6:7], v[6:7], v[31:32]
	v_add_f64 v[4:5], v[2:3], v[4:5]
	ds_store_b128 v50, v[4:7]
.LBB355_21:                             ;   in Loop: Header=BB355_15 Depth=1
	s_or_b32 exec_lo, exec_lo, s18
	v_mov_b32_e32 v7, 0
	v_mov_b32_e32 v8, 0
	s_waitcnt lgkmcnt(2)
	s_delay_alu instid0(VALU_DEP_2)
	v_mov_b32_e32 v5, v7
	s_waitcnt lgkmcnt(0)
	s_barrier
	buffer_gl0_inv
	v_mov_b32_e32 v6, v8
	s_and_saveexec_b32 s18, s1
	s_cbranch_execnz .LBB355_50
; %bb.22:                               ;   in Loop: Header=BB355_15 Depth=1
	s_or_b32 exec_lo, exec_lo, s18
	s_and_saveexec_b32 s18, s0
	s_cbranch_execnz .LBB355_51
.LBB355_23:                             ;   in Loop: Header=BB355_15 Depth=1
	s_or_b32 exec_lo, exec_lo, s18
	s_and_saveexec_b32 s18, s0
	s_cbranch_execz .LBB355_25
.LBB355_24:                             ;   in Loop: Header=BB355_15 Depth=1
	v_mov_b32_e32 v2, v1
	v_mov_b32_e32 v3, v1
	;; [unrolled: 1-line block ×3, first 2 shown]
	ds_store_b128 v49, v[1:4]
.LBB355_25:                             ;   in Loop: Header=BB355_15 Depth=1
	s_or_b32 exec_lo, exec_lo, s18
	ds_bpermute_b32 v2, v44, v9
	ds_bpermute_b32 v3, v44, v10
	;; [unrolled: 1-line block ×4, first 2 shown]
	s_waitcnt lgkmcnt(0)
	s_barrier
	buffer_gl0_inv
	v_add_f64 v[2:3], v[9:10], v[2:3]
	v_add_f64 v[9:10], v[11:12], v[31:32]
	ds_bpermute_b32 v11, v45, v2
	ds_bpermute_b32 v12, v45, v3
	ds_bpermute_b32 v31, v45, v9
	ds_bpermute_b32 v32, v45, v10
	s_waitcnt lgkmcnt(2)
	v_add_f64 v[2:3], v[2:3], v[11:12]
	s_waitcnt lgkmcnt(0)
	v_add_f64 v[9:10], v[9:10], v[31:32]
	ds_bpermute_b32 v11, v46, v2
	ds_bpermute_b32 v12, v46, v3
	ds_bpermute_b32 v31, v46, v9
	ds_bpermute_b32 v32, v46, v10
	s_waitcnt lgkmcnt(2)
	v_add_f64 v[2:3], v[2:3], v[11:12]
	s_waitcnt lgkmcnt(0)
	;; [unrolled: 8-line block ×3, first 2 shown]
	v_add_f64 v[11:12], v[9:10], v[31:32]
	ds_bpermute_b32 v9, v48, v2
	ds_bpermute_b32 v10, v48, v3
	;; [unrolled: 1-line block ×4, first 2 shown]
	s_and_saveexec_b32 s18, s4
	s_cbranch_execz .LBB355_27
; %bb.26:                               ;   in Loop: Header=BB355_15 Depth=1
	s_waitcnt lgkmcnt(0)
	v_add_f64 v[11:12], v[11:12], v[31:32]
	v_add_f64 v[9:10], v[2:3], v[9:10]
	ds_store_b128 v50, v[9:12]
.LBB355_27:                             ;   in Loop: Header=BB355_15 Depth=1
	s_or_b32 exec_lo, exec_lo, s18
	v_mov_b32_e32 v11, 0
	v_mov_b32_e32 v12, 0
	s_waitcnt lgkmcnt(2)
	s_delay_alu instid0(VALU_DEP_2)
	v_mov_b32_e32 v9, v11
	s_waitcnt lgkmcnt(0)
	s_barrier
	buffer_gl0_inv
	v_mov_b32_e32 v10, v12
	s_and_saveexec_b32 s18, s1
	s_cbranch_execnz .LBB355_52
; %bb.28:                               ;   in Loop: Header=BB355_15 Depth=1
	s_or_b32 exec_lo, exec_lo, s18
	s_and_saveexec_b32 s18, s0
	s_cbranch_execnz .LBB355_53
.LBB355_29:                             ;   in Loop: Header=BB355_15 Depth=1
	s_or_b32 exec_lo, exec_lo, s18
	s_and_saveexec_b32 s18, s0
	s_cbranch_execz .LBB355_31
.LBB355_30:                             ;   in Loop: Header=BB355_15 Depth=1
	v_mov_b32_e32 v2, v1
	v_mov_b32_e32 v3, v1
	;; [unrolled: 1-line block ×3, first 2 shown]
	ds_store_b128 v49, v[1:4]
.LBB355_31:                             ;   in Loop: Header=BB355_15 Depth=1
	s_or_b32 exec_lo, exec_lo, s18
	ds_bpermute_b32 v2, v44, v13
	ds_bpermute_b32 v3, v44, v14
	;; [unrolled: 1-line block ×4, first 2 shown]
	s_waitcnt lgkmcnt(0)
	s_barrier
	buffer_gl0_inv
	v_add_f64 v[2:3], v[13:14], v[2:3]
	v_add_f64 v[13:14], v[15:16], v[31:32]
	ds_bpermute_b32 v15, v45, v2
	ds_bpermute_b32 v16, v45, v3
	ds_bpermute_b32 v31, v45, v13
	ds_bpermute_b32 v32, v45, v14
	s_waitcnt lgkmcnt(2)
	v_add_f64 v[2:3], v[2:3], v[15:16]
	s_waitcnt lgkmcnt(0)
	v_add_f64 v[13:14], v[13:14], v[31:32]
	ds_bpermute_b32 v15, v46, v2
	ds_bpermute_b32 v16, v46, v3
	ds_bpermute_b32 v31, v46, v13
	ds_bpermute_b32 v32, v46, v14
	s_waitcnt lgkmcnt(2)
	v_add_f64 v[2:3], v[2:3], v[15:16]
	s_waitcnt lgkmcnt(0)
	;; [unrolled: 8-line block ×3, first 2 shown]
	v_add_f64 v[15:16], v[13:14], v[31:32]
	ds_bpermute_b32 v13, v48, v2
	ds_bpermute_b32 v14, v48, v3
	;; [unrolled: 1-line block ×4, first 2 shown]
	s_and_saveexec_b32 s18, s4
	s_cbranch_execz .LBB355_33
; %bb.32:                               ;   in Loop: Header=BB355_15 Depth=1
	s_waitcnt lgkmcnt(0)
	v_add_f64 v[15:16], v[15:16], v[31:32]
	v_add_f64 v[13:14], v[2:3], v[13:14]
	ds_store_b128 v50, v[13:16]
.LBB355_33:                             ;   in Loop: Header=BB355_15 Depth=1
	s_or_b32 exec_lo, exec_lo, s18
	v_mov_b32_e32 v15, 0
	v_mov_b32_e32 v16, 0
	s_waitcnt lgkmcnt(2)
	s_delay_alu instid0(VALU_DEP_2)
	v_mov_b32_e32 v13, v15
	s_waitcnt lgkmcnt(0)
	s_barrier
	buffer_gl0_inv
	v_mov_b32_e32 v14, v16
	s_and_saveexec_b32 s18, s1
	s_cbranch_execnz .LBB355_54
; %bb.34:                               ;   in Loop: Header=BB355_15 Depth=1
	s_or_b32 exec_lo, exec_lo, s18
	s_and_saveexec_b32 s18, s0
	s_cbranch_execnz .LBB355_55
.LBB355_35:                             ;   in Loop: Header=BB355_15 Depth=1
	s_or_b32 exec_lo, exec_lo, s18
	s_and_saveexec_b32 s18, s0
	s_cbranch_execz .LBB355_37
.LBB355_36:                             ;   in Loop: Header=BB355_15 Depth=1
	v_mov_b32_e32 v2, v1
	v_mov_b32_e32 v3, v1
	v_mov_b32_e32 v4, v1
	ds_store_b128 v49, v[1:4]
.LBB355_37:                             ;   in Loop: Header=BB355_15 Depth=1
	s_or_b32 exec_lo, exec_lo, s18
	ds_bpermute_b32 v2, v44, v17
	ds_bpermute_b32 v3, v44, v18
	;; [unrolled: 1-line block ×4, first 2 shown]
	s_waitcnt lgkmcnt(0)
	s_barrier
	buffer_gl0_inv
	v_add_f64 v[2:3], v[17:18], v[2:3]
	v_add_f64 v[17:18], v[19:20], v[31:32]
	ds_bpermute_b32 v19, v45, v2
	ds_bpermute_b32 v20, v45, v3
	ds_bpermute_b32 v31, v45, v17
	ds_bpermute_b32 v32, v45, v18
	s_waitcnt lgkmcnt(2)
	v_add_f64 v[2:3], v[2:3], v[19:20]
	s_waitcnt lgkmcnt(0)
	v_add_f64 v[17:18], v[17:18], v[31:32]
	ds_bpermute_b32 v19, v46, v2
	ds_bpermute_b32 v20, v46, v3
	ds_bpermute_b32 v31, v46, v17
	ds_bpermute_b32 v32, v46, v18
	s_waitcnt lgkmcnt(2)
	v_add_f64 v[2:3], v[2:3], v[19:20]
	s_waitcnt lgkmcnt(0)
	;; [unrolled: 8-line block ×3, first 2 shown]
	v_add_f64 v[19:20], v[17:18], v[31:32]
	ds_bpermute_b32 v17, v48, v2
	ds_bpermute_b32 v18, v48, v3
	;; [unrolled: 1-line block ×4, first 2 shown]
	s_and_saveexec_b32 s18, s4
	s_cbranch_execz .LBB355_39
; %bb.38:                               ;   in Loop: Header=BB355_15 Depth=1
	s_waitcnt lgkmcnt(0)
	v_add_f64 v[19:20], v[19:20], v[31:32]
	v_add_f64 v[17:18], v[2:3], v[17:18]
	ds_store_b128 v50, v[17:20]
.LBB355_39:                             ;   in Loop: Header=BB355_15 Depth=1
	s_or_b32 exec_lo, exec_lo, s18
	v_mov_b32_e32 v19, 0
	v_mov_b32_e32 v20, 0
	s_waitcnt lgkmcnt(2)
	s_delay_alu instid0(VALU_DEP_2)
	v_mov_b32_e32 v17, v19
	s_waitcnt lgkmcnt(0)
	s_barrier
	buffer_gl0_inv
	v_mov_b32_e32 v18, v20
	s_and_saveexec_b32 s18, s1
	s_cbranch_execnz .LBB355_56
; %bb.40:                               ;   in Loop: Header=BB355_15 Depth=1
	s_or_b32 exec_lo, exec_lo, s18
	s_and_saveexec_b32 s18, s0
	s_cbranch_execnz .LBB355_57
.LBB355_41:                             ;   in Loop: Header=BB355_15 Depth=1
	s_or_b32 exec_lo, exec_lo, s18
	s_and_saveexec_b32 s21, s5
	s_cbranch_execz .LBB355_14
	s_branch .LBB355_58
.LBB355_42:                             ;   in Loop: Header=BB355_15 Depth=1
	s_clause 0x1
	flat_load_b128 v[2:5], v[23:24]
	flat_load_b128 v[6:9], v[25:26]
	s_mul_i32 s22, s30, s17
	s_delay_alu instid0(SALU_CYCLE_1) | instskip(NEXT) | instid1(SALU_CYCLE_1)
	s_ashr_i32 s23, s22, 31
	s_lshl_b64 s[24:25], s[22:23], 4
	s_add_i32 s22, s22, s17
	v_add_co_u32 v10, vcc_lo, v33, s24
	v_add_co_ci_u32_e32 v11, vcc_lo, s25, v34, vcc_lo
	s_ashr_i32 s23, s22, 31
	s_delay_alu instid0(SALU_CYCLE_1) | instskip(SKIP_4) | instid1(SALU_CYCLE_1)
	s_lshl_b64 s[24:25], s[22:23], 4
	s_add_i32 s22, s22, s17
	v_add_co_u32 v31, vcc_lo, v33, s24
	v_add_co_ci_u32_e32 v32, vcc_lo, s25, v34, vcc_lo
	s_ashr_i32 s23, s22, 31
	s_lshl_b64 s[24:25], s[22:23], 4
	s_add_i32 s22, s22, s17
	v_add_co_u32 v52, vcc_lo, v33, s24
	v_add_co_ci_u32_e32 v53, vcc_lo, s25, v34, vcc_lo
	s_ashr_i32 s23, s22, 31
	s_delay_alu instid0(SALU_CYCLE_1) | instskip(NEXT) | instid1(SALU_CYCLE_1)
	s_lshl_b64 s[22:23], s[22:23], 4
	v_add_co_u32 v58, vcc_lo, v33, s22
	v_add_co_ci_u32_e32 v59, vcc_lo, s23, v34, vcc_lo
	s_waitcnt vmcnt(1) lgkmcnt(1)
	scratch_store_b128 off, v[2:5], off
	s_waitcnt vmcnt(0) lgkmcnt(0)
	scratch_store_b128 v35, v[6:9], off
	flat_load_b128 v[6:9], v[27:28]
	s_waitcnt vmcnt(0) lgkmcnt(0)
	scratch_store_b128 v36, v[6:9], off
	flat_load_b128 v[6:9], v[29:30]
	;; [unrolled: 3-line block ×3, first 2 shown]
	s_waitcnt vmcnt(0) lgkmcnt(0)
	v_mul_f64 v[12:13], v[4:5], v[8:9]
	v_mul_f64 v[8:9], v[2:3], v[8:9]
	s_delay_alu instid0(VALU_DEP_2) | instskip(NEXT) | instid1(VALU_DEP_2)
	v_fma_f64 v[12:13], v[2:3], v[6:7], -v[12:13]
	v_fma_f64 v[6:7], v[4:5], v[6:7], v[8:9]
	s_delay_alu instid0(VALU_DEP_2) | instskip(NEXT) | instid1(VALU_DEP_2)
	v_add_f64 v[12:13], v[12:13], 0
	v_add_f64 v[14:15], v[6:7], 0
	flat_load_b128 v[6:9], v[31:32]
	s_waitcnt vmcnt(0) lgkmcnt(0)
	v_mul_f64 v[16:17], v[4:5], v[8:9]
	v_mul_f64 v[8:9], v[2:3], v[8:9]
	s_delay_alu instid0(VALU_DEP_2) | instskip(NEXT) | instid1(VALU_DEP_2)
	v_fma_f64 v[16:17], v[2:3], v[6:7], -v[16:17]
	v_fma_f64 v[6:7], v[4:5], v[6:7], v[8:9]
	s_delay_alu instid0(VALU_DEP_2) | instskip(NEXT) | instid1(VALU_DEP_2)
	v_add_f64 v[16:17], v[16:17], 0
	v_add_f64 v[18:19], v[6:7], 0
	flat_load_b128 v[6:9], v[52:53]
	;; [unrolled: 10-line block ×3, first 2 shown]
	s_waitcnt vmcnt(0) lgkmcnt(0)
	v_mul_f64 v[60:61], v[4:5], v[8:9]
	s_delay_alu instid0(VALU_DEP_1) | instskip(SKIP_1) | instid1(VALU_DEP_2)
	v_fma_f64 v[60:61], v[2:3], v[6:7], -v[60:61]
	v_mul_f64 v[2:3], v[2:3], v[8:9]
	v_add_f64 v[60:61], v[60:61], 0
	s_delay_alu instid0(VALU_DEP_2) | instskip(NEXT) | instid1(VALU_DEP_1)
	v_fma_f64 v[2:3], v[4:5], v[6:7], v[2:3]
	v_add_f64 v[62:63], v[2:3], 0
	scratch_load_b128 v[2:5], off, off offset:16
	flat_load_b128 v[6:9], v[10:11] offset:16
	s_waitcnt vmcnt(0) lgkmcnt(0)
	v_mul_f64 v[64:65], v[4:5], v[8:9]
	v_mul_f64 v[8:9], v[2:3], v[8:9]
	s_delay_alu instid0(VALU_DEP_2) | instskip(NEXT) | instid1(VALU_DEP_2)
	v_fma_f64 v[64:65], v[2:3], v[6:7], -v[64:65]
	v_fma_f64 v[6:7], v[4:5], v[6:7], v[8:9]
	s_delay_alu instid0(VALU_DEP_2) | instskip(NEXT) | instid1(VALU_DEP_2)
	v_add_f64 v[12:13], v[12:13], v[64:65]
	v_add_f64 v[14:15], v[14:15], v[6:7]
	flat_load_b128 v[6:9], v[31:32] offset:16
	s_waitcnt vmcnt(0) lgkmcnt(0)
	v_mul_f64 v[64:65], v[4:5], v[8:9]
	v_mul_f64 v[8:9], v[2:3], v[8:9]
	s_delay_alu instid0(VALU_DEP_2) | instskip(NEXT) | instid1(VALU_DEP_2)
	v_fma_f64 v[64:65], v[2:3], v[6:7], -v[64:65]
	v_fma_f64 v[6:7], v[4:5], v[6:7], v[8:9]
	s_delay_alu instid0(VALU_DEP_2) | instskip(NEXT) | instid1(VALU_DEP_2)
	v_add_f64 v[16:17], v[16:17], v[64:65]
	v_add_f64 v[18:19], v[18:19], v[6:7]
	flat_load_b128 v[6:9], v[52:53] offset:16
	s_waitcnt vmcnt(0) lgkmcnt(0)
	v_mul_f64 v[64:65], v[4:5], v[8:9]
	v_mul_f64 v[8:9], v[2:3], v[8:9]
	s_delay_alu instid0(VALU_DEP_2) | instskip(NEXT) | instid1(VALU_DEP_2)
	v_fma_f64 v[64:65], v[2:3], v[6:7], -v[64:65]
	v_fma_f64 v[6:7], v[4:5], v[6:7], v[8:9]
	s_delay_alu instid0(VALU_DEP_2) | instskip(NEXT) | instid1(VALU_DEP_2)
	v_add_f64 v[54:55], v[54:55], v[64:65]
	v_add_f64 v[56:57], v[56:57], v[6:7]
	flat_load_b128 v[6:9], v[58:59] offset:16
	s_waitcnt vmcnt(0) lgkmcnt(0)
	v_mul_f64 v[64:65], v[4:5], v[8:9]
	s_delay_alu instid0(VALU_DEP_1) | instskip(SKIP_1) | instid1(VALU_DEP_2)
	v_fma_f64 v[64:65], v[2:3], v[6:7], -v[64:65]
	v_mul_f64 v[2:3], v[2:3], v[8:9]
	v_add_f64 v[60:61], v[60:61], v[64:65]
	s_delay_alu instid0(VALU_DEP_2) | instskip(NEXT) | instid1(VALU_DEP_1)
	v_fma_f64 v[2:3], v[4:5], v[6:7], v[2:3]
	v_add_f64 v[62:63], v[62:63], v[2:3]
	scratch_load_b128 v[2:5], off, off offset:32
	flat_load_b128 v[6:9], v[10:11] offset:32
	s_waitcnt vmcnt(0) lgkmcnt(0)
	v_mul_f64 v[64:65], v[4:5], v[8:9]
	v_mul_f64 v[8:9], v[2:3], v[8:9]
	s_delay_alu instid0(VALU_DEP_2) | instskip(NEXT) | instid1(VALU_DEP_2)
	v_fma_f64 v[64:65], v[2:3], v[6:7], -v[64:65]
	v_fma_f64 v[6:7], v[4:5], v[6:7], v[8:9]
	s_delay_alu instid0(VALU_DEP_2) | instskip(NEXT) | instid1(VALU_DEP_2)
	v_add_f64 v[12:13], v[12:13], v[64:65]
	v_add_f64 v[14:15], v[14:15], v[6:7]
	flat_load_b128 v[6:9], v[31:32] offset:32
	s_waitcnt vmcnt(0) lgkmcnt(0)
	v_mul_f64 v[64:65], v[4:5], v[8:9]
	v_mul_f64 v[8:9], v[2:3], v[8:9]
	s_delay_alu instid0(VALU_DEP_2) | instskip(NEXT) | instid1(VALU_DEP_2)
	v_fma_f64 v[64:65], v[2:3], v[6:7], -v[64:65]
	v_fma_f64 v[6:7], v[4:5], v[6:7], v[8:9]
	s_delay_alu instid0(VALU_DEP_2) | instskip(NEXT) | instid1(VALU_DEP_2)
	v_add_f64 v[64:65], v[16:17], v[64:65]
	v_add_f64 v[66:67], v[18:19], v[6:7]
	;; [unrolled: 10-line block ×3, first 2 shown]
	flat_load_b128 v[6:9], v[58:59] offset:32
	s_waitcnt vmcnt(0) lgkmcnt(0)
	v_mul_f64 v[16:17], v[4:5], v[8:9]
	s_delay_alu instid0(VALU_DEP_1) | instskip(SKIP_1) | instid1(VALU_DEP_2)
	v_fma_f64 v[16:17], v[2:3], v[6:7], -v[16:17]
	v_mul_f64 v[2:3], v[2:3], v[8:9]
	v_add_f64 v[60:61], v[60:61], v[16:17]
	s_delay_alu instid0(VALU_DEP_2) | instskip(NEXT) | instid1(VALU_DEP_1)
	v_fma_f64 v[2:3], v[4:5], v[6:7], v[2:3]
	v_add_f64 v[62:63], v[62:63], v[2:3]
	scratch_load_b128 v[17:20], off, off offset:48
	flat_load_b128 v[2:5], v[10:11] offset:48
	s_waitcnt vmcnt(0) lgkmcnt(0)
	v_mul_f64 v[6:7], v[19:20], v[4:5]
	v_mul_f64 v[4:5], v[17:18], v[4:5]
	s_delay_alu instid0(VALU_DEP_2) | instskip(NEXT) | instid1(VALU_DEP_2)
	v_fma_f64 v[6:7], v[17:18], v[2:3], -v[6:7]
	v_fma_f64 v[2:3], v[19:20], v[2:3], v[4:5]
	s_delay_alu instid0(VALU_DEP_2)
	v_add_f64 v[7:8], v[12:13], v[6:7]
	flat_load_b128 v[9:12], v[31:32] offset:48
	v_add_f64 v[5:6], v[14:15], v[2:3]
	flat_load_b128 v[13:16], v[52:53] offset:48
	s_waitcnt vmcnt(1) lgkmcnt(1)
	v_mul_f64 v[2:3], v[19:20], v[11:12]
	v_mul_f64 v[11:12], v[17:18], v[11:12]
	s_delay_alu instid0(VALU_DEP_2) | instskip(NEXT) | instid1(VALU_DEP_2)
	v_fma_f64 v[2:3], v[17:18], v[9:10], -v[2:3]
	v_fma_f64 v[11:12], v[19:20], v[9:10], v[11:12]
	s_delay_alu instid0(VALU_DEP_2) | instskip(SKIP_3) | instid1(VALU_DEP_4)
	v_add_f64 v[9:10], v[64:65], v[2:3]
	s_waitcnt vmcnt(0) lgkmcnt(0)
	v_mul_f64 v[2:3], v[19:20], v[15:16]
	v_mul_f64 v[15:16], v[17:18], v[15:16]
	v_add_f64 v[11:12], v[66:67], v[11:12]
	s_delay_alu instid0(VALU_DEP_3) | instskip(NEXT) | instid1(VALU_DEP_3)
	v_fma_f64 v[2:3], v[17:18], v[13:14], -v[2:3]
	v_fma_f64 v[15:16], v[19:20], v[13:14], v[15:16]
	s_delay_alu instid0(VALU_DEP_2) | instskip(SKIP_4) | instid1(VALU_DEP_1)
	v_add_f64 v[13:14], v[54:55], v[2:3]
	flat_load_b128 v[52:55], v[58:59] offset:48
	v_add_f64 v[15:16], v[56:57], v[15:16]
	s_waitcnt vmcnt(0) lgkmcnt(0)
	v_mul_f64 v[2:3], v[19:20], v[54:55]
	v_fma_f64 v[2:3], v[17:18], v[52:53], -v[2:3]
	v_mul_f64 v[17:18], v[17:18], v[54:55]
	s_delay_alu instid0(VALU_DEP_1) | instskip(NEXT) | instid1(VALU_DEP_3)
	v_fma_f64 v[19:20], v[19:20], v[52:53], v[17:18]
	v_add_f64 v[17:18], v[60:61], v[2:3]
	s_delay_alu instid0(VALU_DEP_2)
	v_add_f64 v[19:20], v[62:63], v[19:20]
	s_and_not1_saveexec_b32 s18, s18
	s_cbranch_execz .LBB355_17
.LBB355_43:                             ;   in Loop: Header=BB355_15 Depth=1
	s_waitcnt lgkmcnt(0)
	v_mov_b32_e32 v17, 0
	v_mov_b32_e32 v18, 0
	s_delay_alu instid0(VALU_DEP_2) | instskip(SKIP_2) | instid1(VALU_DEP_4)
	v_mov_b32_e32 v13, v17
	v_mov_b32_e32 v15, v17
	;; [unrolled: 1-line block ×3, first 2 shown]
	v_dual_mov_b32 v11, v17 :: v_dual_mov_b32 v12, v18
	v_dual_mov_b32 v20, v18 :: v_dual_mov_b32 v19, v17
	v_mov_b32_e32 v14, v18
	v_mov_b32_e32 v16, v18
	v_dual_mov_b32 v10, v18 :: v_dual_mov_b32 v7, v17
	v_dual_mov_b32 v8, v18 :: v_dual_mov_b32 v5, v17
	v_mov_b32_e32 v6, v18
	s_and_saveexec_b32 s39, s3
	s_cbranch_execz .LBB355_49
; %bb.44:                               ;   in Loop: Header=BB355_15 Depth=1
	v_mov_b32_e32 v17, 0
	v_mov_b32_e32 v18, 0
	s_delay_alu instid0(VALU_DEP_2) | instskip(SKIP_2) | instid1(VALU_DEP_4)
	v_mov_b32_e32 v13, v17
	v_mov_b32_e32 v15, v17
	;; [unrolled: 1-line block ×3, first 2 shown]
	v_dual_mov_b32 v11, v17 :: v_dual_mov_b32 v12, v18
	v_dual_mov_b32 v20, v18 :: v_dual_mov_b32 v19, v17
	v_mov_b32_e32 v14, v18
	v_mov_b32_e32 v16, v18
	v_dual_mov_b32 v10, v18 :: v_dual_mov_b32 v7, v17
	v_dual_mov_b32 v8, v18 :: v_dual_mov_b32 v5, v17
	v_mov_b32_e32 v6, v18
	s_and_not1_b32 vcc_lo, exec_lo, s34
	s_cbranch_vccnz .LBB355_49
; %bb.45:                               ;   in Loop: Header=BB355_15 Depth=1
	v_mov_b32_e32 v4, 0
	v_mov_b32_e32 v2, v22
	s_mov_b32 s21, s29
.LBB355_46:                             ;   Parent Loop BB355_15 Depth=1
                                        ; =>  This Inner Loop Header: Depth=2
	s_delay_alu instid0(VALU_DEP_1) | instskip(SKIP_1) | instid1(SALU_CYCLE_1)
	v_ashrrev_i32_e32 v3, 31, v2
	s_add_i32 s21, s21, -1
	s_cmp_eq_u32 s21, 0
	s_delay_alu instid0(VALU_DEP_1) | instskip(SKIP_1) | instid1(VALU_DEP_2)
	v_lshlrev_b64 v[5:6], 4, v[2:3]
	v_add_nc_u32_e32 v2, s28, v2
	v_add_co_u32 v5, vcc_lo, s6, v5
	s_delay_alu instid0(VALU_DEP_3)
	v_add_co_ci_u32_e32 v6, vcc_lo, s7, v6, vcc_lo
	flat_load_b128 v[5:8], v[5:6]
	s_waitcnt vmcnt(0) lgkmcnt(0)
	scratch_store_b128 v4, v[5:8], off
	v_add_nc_u32_e32 v4, 16, v4
	s_cbranch_scc0 .LBB355_46
; %bb.47:                               ;   in Loop: Header=BB355_15 Depth=1
	s_ashr_i32 s21, s20, 31
	v_dual_mov_b32 v5, 0 :: v_dual_mov_b32 v4, v51
	v_mov_b32_e32 v6, 0
	s_lshl_b64 s[22:23], s[20:21], 4
	s_mov_b32 s24, s36
	v_add_co_u32 v2, vcc_lo, v33, s22
	v_add_co_ci_u32_e32 v3, vcc_lo, s23, v34, vcc_lo
	v_dual_mov_b32 v8, v6 :: v_dual_mov_b32 v7, v5
	v_dual_mov_b32 v12, v6 :: v_dual_mov_b32 v11, v5
	;; [unrolled: 1-line block ×7, first 2 shown]
	s_mov_b32 s22, s37
	s_mov_b32 s26, s38
	;; [unrolled: 1-line block ×3, first 2 shown]
.LBB355_48:                             ;   Parent Loop BB355_15 Depth=1
                                        ; =>  This Inner Loop Header: Depth=2
	s_ashr_i32 s27, s26, 31
	s_ashr_i32 s25, s24, 31
	s_lshl_b64 s[40:41], s[26:27], 4
	s_lshl_b64 s[42:43], s[24:25], 4
	v_add_co_u32 v31, vcc_lo, v33, s40
	s_ashr_i32 s23, s22, 31
	v_add_co_ci_u32_e32 v32, vcc_lo, s41, v34, vcc_lo
	v_add_co_u32 v64, vcc_lo, v33, s42
	s_lshl_b64 s[44:45], s[22:23], 4
	v_add_co_ci_u32_e32 v65, vcc_lo, s43, v34, vcc_lo
	v_add_co_u32 v68, vcc_lo, v33, s44
	v_add_co_ci_u32_e32 v69, vcc_lo, s45, v34, vcc_lo
	scratch_load_b128 v[52:55], v4, off offset:-8
	flat_load_b128 v[56:59], v[2:3]
	s_clause 0x2
	flat_load_b128 v[60:63], v[31:32]
	flat_load_b128 v[64:67], v[64:65]
	;; [unrolled: 1-line block ×3, first 2 shown]
	v_add_co_u32 v2, vcc_lo, v2, 16
	v_add_nc_u32_e32 v4, 16, v4
	v_add_co_ci_u32_e32 v3, vcc_lo, 0, v3, vcc_lo
	s_add_i32 s21, s21, -1
	s_add_i32 s26, s26, 1
	s_add_i32 s24, s24, 1
	;; [unrolled: 1-line block ×3, first 2 shown]
	s_cmp_lg_u32 s21, 0
	s_waitcnt vmcnt(2) lgkmcnt(2)
	v_mul_f64 v[72:73], v[54:55], v[62:63]
	v_mul_f64 v[31:32], v[54:55], v[58:59]
	;; [unrolled: 1-line block ×4, first 2 shown]
	s_waitcnt vmcnt(1) lgkmcnt(1)
	v_mul_f64 v[74:75], v[54:55], v[66:67]
	v_mul_f64 v[66:67], v[52:53], v[66:67]
	s_waitcnt vmcnt(0) lgkmcnt(0)
	v_mul_f64 v[76:77], v[54:55], v[70:71]
	v_mul_f64 v[70:71], v[52:53], v[70:71]
	v_fma_f64 v[31:32], v[52:53], v[56:57], -v[31:32]
	v_fma_f64 v[56:57], v[54:55], v[56:57], v[58:59]
	v_fma_f64 v[58:59], v[52:53], v[60:61], -v[72:73]
	v_fma_f64 v[60:61], v[54:55], v[60:61], v[62:63]
	;; [unrolled: 2-line block ×4, first 2 shown]
	v_add_f64 v[7:8], v[7:8], v[31:32]
	v_add_f64 v[5:6], v[5:6], v[56:57]
	;; [unrolled: 1-line block ×8, first 2 shown]
	s_cbranch_scc1 .LBB355_48
.LBB355_49:                             ;   in Loop: Header=BB355_15 Depth=1
	s_or_b32 exec_lo, exec_lo, s39
	s_delay_alu instid0(SALU_CYCLE_1)
	s_or_b32 exec_lo, exec_lo, s18
	s_and_saveexec_b32 s18, s0
	s_cbranch_execnz .LBB355_18
	s_branch .LBB355_19
.LBB355_50:                             ;   in Loop: Header=BB355_15 Depth=1
	ds_load_b128 v[5:8], v49
	s_or_b32 exec_lo, exec_lo, s18
	s_and_saveexec_b32 s18, s0
	s_cbranch_execz .LBB355_23
.LBB355_51:                             ;   in Loop: Header=BB355_15 Depth=1
	s_waitcnt lgkmcnt(0)
	ds_bpermute_b32 v2, v46, v5
	ds_bpermute_b32 v3, v46, v6
	ds_bpermute_b32 v31, v46, v7
	ds_bpermute_b32 v32, v46, v8
	s_waitcnt lgkmcnt(2)
	v_add_f64 v[2:3], v[5:6], v[2:3]
	s_waitcnt lgkmcnt(0)
	v_add_f64 v[4:5], v[7:8], v[31:32]
	ds_bpermute_b32 v6, v47, v2
	ds_bpermute_b32 v7, v47, v3
	ds_bpermute_b32 v31, v47, v4
	ds_bpermute_b32 v32, v47, v5
	s_waitcnt lgkmcnt(2)
	v_add_f64 v[2:3], v[2:3], v[6:7]
	s_waitcnt lgkmcnt(0)
	v_add_f64 v[7:8], v[4:5], v[31:32]
	;; [unrolled: 8-line block ×3, first 2 shown]
	s_or_b32 exec_lo, exec_lo, s18
	s_and_saveexec_b32 s18, s0
	s_cbranch_execnz .LBB355_24
	s_branch .LBB355_25
.LBB355_52:                             ;   in Loop: Header=BB355_15 Depth=1
	ds_load_b128 v[9:12], v49
	s_or_b32 exec_lo, exec_lo, s18
	s_and_saveexec_b32 s18, s0
	s_cbranch_execz .LBB355_29
.LBB355_53:                             ;   in Loop: Header=BB355_15 Depth=1
	s_waitcnt lgkmcnt(0)
	ds_bpermute_b32 v2, v46, v9
	ds_bpermute_b32 v3, v46, v10
	ds_bpermute_b32 v31, v46, v11
	ds_bpermute_b32 v32, v46, v12
	s_waitcnt lgkmcnt(2)
	v_add_f64 v[2:3], v[9:10], v[2:3]
	s_waitcnt lgkmcnt(0)
	v_add_f64 v[9:10], v[11:12], v[31:32]
	ds_bpermute_b32 v11, v47, v2
	ds_bpermute_b32 v12, v47, v3
	ds_bpermute_b32 v31, v47, v9
	ds_bpermute_b32 v32, v47, v10
	s_waitcnt lgkmcnt(2)
	v_add_f64 v[2:3], v[2:3], v[11:12]
	s_waitcnt lgkmcnt(0)
	v_add_f64 v[11:12], v[9:10], v[31:32]
	;; [unrolled: 8-line block ×3, first 2 shown]
	s_or_b32 exec_lo, exec_lo, s18
	s_and_saveexec_b32 s18, s0
	s_cbranch_execnz .LBB355_30
	s_branch .LBB355_31
.LBB355_54:                             ;   in Loop: Header=BB355_15 Depth=1
	ds_load_b128 v[13:16], v49
	s_or_b32 exec_lo, exec_lo, s18
	s_and_saveexec_b32 s18, s0
	s_cbranch_execz .LBB355_35
.LBB355_55:                             ;   in Loop: Header=BB355_15 Depth=1
	s_waitcnt lgkmcnt(0)
	ds_bpermute_b32 v2, v46, v13
	ds_bpermute_b32 v3, v46, v14
	ds_bpermute_b32 v31, v46, v15
	ds_bpermute_b32 v32, v46, v16
	s_waitcnt lgkmcnt(2)
	v_add_f64 v[2:3], v[13:14], v[2:3]
	s_waitcnt lgkmcnt(0)
	v_add_f64 v[13:14], v[15:16], v[31:32]
	ds_bpermute_b32 v15, v47, v2
	ds_bpermute_b32 v16, v47, v3
	ds_bpermute_b32 v31, v47, v13
	ds_bpermute_b32 v32, v47, v14
	s_waitcnt lgkmcnt(2)
	v_add_f64 v[2:3], v[2:3], v[15:16]
	s_waitcnt lgkmcnt(0)
	v_add_f64 v[15:16], v[13:14], v[31:32]
	;; [unrolled: 8-line block ×3, first 2 shown]
	s_or_b32 exec_lo, exec_lo, s18
	s_and_saveexec_b32 s18, s0
	s_cbranch_execnz .LBB355_36
	s_branch .LBB355_37
.LBB355_56:                             ;   in Loop: Header=BB355_15 Depth=1
	ds_load_b128 v[17:20], v49
	s_or_b32 exec_lo, exec_lo, s18
	s_and_saveexec_b32 s18, s0
	s_cbranch_execz .LBB355_41
.LBB355_57:                             ;   in Loop: Header=BB355_15 Depth=1
	s_waitcnt lgkmcnt(0)
	ds_bpermute_b32 v2, v46, v17
	ds_bpermute_b32 v3, v46, v18
	ds_bpermute_b32 v31, v46, v19
	ds_bpermute_b32 v32, v46, v20
	s_waitcnt lgkmcnt(2)
	v_add_f64 v[2:3], v[17:18], v[2:3]
	s_waitcnt lgkmcnt(0)
	v_add_f64 v[17:18], v[19:20], v[31:32]
	ds_bpermute_b32 v19, v47, v2
	ds_bpermute_b32 v20, v47, v3
	ds_bpermute_b32 v31, v47, v17
	ds_bpermute_b32 v32, v47, v18
	s_waitcnt lgkmcnt(2)
	v_add_f64 v[2:3], v[2:3], v[19:20]
	s_waitcnt lgkmcnt(0)
	v_add_f64 v[19:20], v[17:18], v[31:32]
	;; [unrolled: 8-line block ×3, first 2 shown]
	s_or_b32 exec_lo, exec_lo, s18
	s_and_saveexec_b32 s21, s5
	s_cbranch_execz .LBB355_14
.LBB355_58:                             ;   in Loop: Header=BB355_15 Depth=1
	v_mul_f64 v[2:3], s[10:11], v[7:8]
	v_mul_f64 v[7:8], s[8:9], v[7:8]
	;; [unrolled: 1-line block ×6, first 2 shown]
	s_waitcnt lgkmcnt(0)
	v_mul_f64 v[54:55], s[10:11], v[19:20]
	v_mul_f64 v[19:20], s[8:9], v[19:20]
	s_mul_i32 s18, s30, s16
	s_delay_alu instid0(SALU_CYCLE_1) | instskip(NEXT) | instid1(SALU_CYCLE_1)
	s_add_i32 s18, s18, s14
	s_lshl_b64 s[22:23], s[18:19], 4
	s_delay_alu instid0(SALU_CYCLE_1) | instskip(SKIP_2) | instid1(SALU_CYCLE_1)
	s_add_u32 s22, s33, s22
	s_addc_u32 s23, s31, s23
	s_add_i32 s18, s18, s16
	s_lshl_b64 s[24:25], s[18:19], 4
	s_delay_alu instid0(SALU_CYCLE_1) | instskip(SKIP_2) | instid1(SALU_CYCLE_1)
	s_add_u32 s24, s33, s24
	s_addc_u32 s25, s31, s25
	s_add_i32 s18, s18, s16
	s_lshl_b64 s[26:27], s[18:19], 4
	s_delay_alu instid0(SALU_CYCLE_1) | instskip(SKIP_2) | instid1(SALU_CYCLE_1)
	s_add_u32 s26, s33, s26
	s_addc_u32 s27, s31, s27
	s_add_i32 s18, s18, s16
	s_lshl_b64 s[40:41], s[18:19], 4
	s_delay_alu instid0(SALU_CYCLE_1)
	s_add_u32 s40, s33, s40
	s_addc_u32 s41, s31, s41
	v_fma_f64 v[2:3], s[8:9], v[5:6], -v[2:3]
	v_fma_f64 v[4:5], s[10:11], v[5:6], v[7:8]
	v_fma_f64 v[6:7], s[8:9], v[9:10], -v[31:32]
	v_fma_f64 v[8:9], s[10:11], v[9:10], v[11:12]
	;; [unrolled: 2-line block ×4, first 2 shown]
	s_clause 0x3
	global_store_b128 v1, v[2:5], s[22:23]
	global_store_b128 v1, v[6:9], s[24:25]
	;; [unrolled: 1-line block ×4, first 2 shown]
	s_branch .LBB355_14
.LBB355_59:
	s_mov_b32 s30, 0
.LBB355_60:
	s_delay_alu instid0(SALU_CYCLE_1)
	s_cmp_ge_i32 s30, s13
	s_cbranch_scc1 .LBB355_82
; %bb.61:
	v_cmp_gt_u32_e64 s1, 16, v41
	v_ashrrev_i32_e32 v22, 31, v21
	v_cmp_gt_u32_e64 s0, 32, v0
	v_cmp_gt_u32_e64 s2, 8, v0
	v_cmp_eq_u32_e64 s3, 0, v0
	v_cndmask_b32_e64 v1, 0, 1, s1
	v_cmp_gt_u32_e64 s1, 24, v41
	v_cmp_ge_i32_e64 s4, s12, v43
	s_cmp_gt_i32 s29, 0
	s_mov_b32 s15, 0
	v_lshlrev_b32_e32 v1, 4, v1
	v_cndmask_b32_e64 v2, 0, 1, s1
	v_cmp_gt_u32_e64 s1, 28, v41
	v_cmp_ge_i32_e32 vcc_lo, s12, v42
	s_cselect_b32 s18, -1, 0
	s_waitcnt lgkmcnt(0)
	v_add_lshl_u32 v18, v1, v41, 2
	v_lshlrev_b32_e32 v2, 3, v2
	v_cndmask_b32_e64 v3, 0, 1, s1
	v_cmp_gt_u32_e64 s1, 30, v41
	v_add_nc_u32_e32 v1, s28, v21
	v_lshlrev_b32_e32 v17, 4, v40
	v_add_lshl_u32 v19, v2, v41, 2
	v_lshlrev_b32_e32 v3, 2, v3
	v_cndmask_b32_e64 v4, 0, 1, s1
	v_cmp_ne_u32_e64 s1, 31, v41
	v_ashrrev_i32_e32 v2, 31, v1
	v_add_nc_u32_e32 v0, s28, v1
	v_add_lshl_u32 v20, v3, v41, 2
	v_lshlrev_b32_e32 v4, 1, v4
	v_add_co_ci_u32_e64 v5, s1, 0, v41, s1
	v_lshlrev_b64 v[7:8], 4, v[1:2]
	v_add_nc_u32_e32 v2, s28, v0
	s_delay_alu instid0(VALU_DEP_4)
	v_add_lshl_u32 v23, v4, v41, 2
	v_lshlrev_b64 v[3:4], 4, v[21:22]
	v_ashrrev_i32_e32 v1, 31, v0
	v_lshlrev_b32_e32 v24, 2, v5
	v_cmp_eq_u32_e64 s1, 0, v40
	v_and_b32_e32 v25, 0x70, v39
	s_lshl_b64 s[14:15], s[14:15], 4
	v_add_co_u32 v5, s5, s6, v3
	v_ashrrev_i32_e32 v3, 31, v2
	v_lshlrev_b64 v[0:1], 4, v[0:1]
	v_add_co_ci_u32_e64 v6, s5, s7, v4, s5
	v_add_co_u32 v7, s5, s6, v7
	s_delay_alu instid0(VALU_DEP_4)
	v_lshlrev_b64 v[2:3], 4, v[2:3]
	v_add_co_ci_u32_e64 v8, s5, s7, v8, s5
	v_add_co_u32 v9, s5, s6, v0
	v_mov_b32_e32 v0, 0
	v_add_co_ci_u32_e64 v10, s5, s7, v1, s5
	v_add_co_u32 v11, s5, s6, v2
	s_delay_alu instid0(VALU_DEP_1)
	v_add_co_ci_u32_e64 v12, s5, s7, v3, s5
	s_add_u32 s12, s33, s14
	s_addc_u32 s5, s31, s15
	s_and_b32 s18, s18, s4
	s_mul_i32 s14, s30, s17
	s_branch .LBB355_63
.LBB355_62:                             ;   in Loop: Header=BB355_63 Depth=1
	s_or_b32 exec_lo, exec_lo, s4
	s_add_i32 s30, s30, 1
	s_add_i32 s14, s14, s17
	s_cmp_lt_i32 s30, s13
	s_cbranch_scc0 .LBB355_82
.LBB355_63:                             ; =>This Loop Header: Depth=1
                                        ;     Child Loop BB355_75 Depth 2
                                        ;     Child Loop BB355_77 Depth 2
                                        ; implicit-def: $vgpr13_vgpr14
                                        ; implicit-def: $vgpr15_vgpr16
	s_and_saveexec_b32 s4, vcc_lo
	s_delay_alu instid0(SALU_CYCLE_1)
	s_xor_b32 s15, exec_lo, s4
	s_cbranch_execnz .LBB355_72
; %bb.64:                               ;   in Loop: Header=BB355_63 Depth=1
	s_and_not1_saveexec_b32 s19, s15
	s_cbranch_execnz .LBB355_73
.LBB355_65:                             ;   in Loop: Header=BB355_63 Depth=1
	s_or_b32 exec_lo, exec_lo, s19
	s_and_saveexec_b32 s4, s0
	s_cbranch_execz .LBB355_67
.LBB355_66:                             ;   in Loop: Header=BB355_63 Depth=1
	s_waitcnt lgkmcnt(0)
	v_mov_b32_e32 v1, v0
	v_mov_b32_e32 v2, v0
	;; [unrolled: 1-line block ×3, first 2 shown]
	ds_store_b128 v17, v[0:3]
.LBB355_67:                             ;   in Loop: Header=BB355_63 Depth=1
	s_or_b32 exec_lo, exec_lo, s4
	s_waitcnt lgkmcnt(0)
	ds_bpermute_b32 v1, v18, v13
	ds_bpermute_b32 v2, v18, v14
	;; [unrolled: 1-line block ×4, first 2 shown]
	s_waitcnt lgkmcnt(0)
	s_waitcnt_vscnt null, 0x0
	s_barrier
	buffer_gl0_inv
	v_add_f64 v[1:2], v[13:14], v[1:2]
	v_add_f64 v[3:4], v[15:16], v[3:4]
	ds_bpermute_b32 v13, v19, v1
	ds_bpermute_b32 v14, v19, v2
	ds_bpermute_b32 v15, v19, v3
	ds_bpermute_b32 v16, v19, v4
	s_waitcnt lgkmcnt(2)
	v_add_f64 v[1:2], v[1:2], v[13:14]
	s_waitcnt lgkmcnt(0)
	v_add_f64 v[3:4], v[3:4], v[15:16]
	ds_bpermute_b32 v13, v20, v1
	ds_bpermute_b32 v14, v20, v2
	ds_bpermute_b32 v15, v20, v3
	ds_bpermute_b32 v16, v20, v4
	s_waitcnt lgkmcnt(2)
	v_add_f64 v[1:2], v[1:2], v[13:14]
	s_waitcnt lgkmcnt(0)
	;; [unrolled: 8-line block ×3, first 2 shown]
	v_add_f64 v[13:14], v[3:4], v[15:16]
	ds_bpermute_b32 v3, v24, v1
	ds_bpermute_b32 v4, v24, v2
	;; [unrolled: 1-line block ×4, first 2 shown]
	s_and_saveexec_b32 s4, s1
	s_cbranch_execz .LBB355_69
; %bb.68:                               ;   in Loop: Header=BB355_63 Depth=1
	s_waitcnt lgkmcnt(0)
	v_add_f64 v[15:16], v[13:14], v[15:16]
	v_add_f64 v[13:14], v[1:2], v[3:4]
	ds_store_b128 v25, v[13:16]
.LBB355_69:                             ;   in Loop: Header=BB355_63 Depth=1
	s_or_b32 exec_lo, exec_lo, s4
	s_waitcnt lgkmcnt(2)
	v_mov_b32_e32 v3, 0
	v_mov_b32_e32 v4, 0
	s_delay_alu instid0(VALU_DEP_2)
	v_mov_b32_e32 v1, v3
	s_waitcnt lgkmcnt(0)
	s_barrier
	buffer_gl0_inv
	v_mov_b32_e32 v2, v4
	s_and_saveexec_b32 s4, s2
	s_cbranch_execnz .LBB355_79
; %bb.70:                               ;   in Loop: Header=BB355_63 Depth=1
	s_or_b32 exec_lo, exec_lo, s4
	s_and_saveexec_b32 s4, s0
	s_cbranch_execnz .LBB355_80
.LBB355_71:                             ;   in Loop: Header=BB355_63 Depth=1
	s_or_b32 exec_lo, exec_lo, s4
	s_and_saveexec_b32 s4, s3
	s_cbranch_execz .LBB355_62
	s_branch .LBB355_81
.LBB355_72:                             ;   in Loop: Header=BB355_63 Depth=1
	s_waitcnt lgkmcnt(0)
	s_clause 0x3
	flat_load_b128 v[1:4], v[7:8]
	flat_load_b128 v[13:16], v[9:10]
	;; [unrolled: 1-line block ×4, first 2 shown]
	s_mul_i32 s20, s30, s17
	s_waitcnt vmcnt(3) lgkmcnt(3)
	scratch_store_b128 v35, v[1:4], off
	s_waitcnt vmcnt(2) lgkmcnt(2)
	scratch_store_b128 v36, v[13:16], off
	s_waitcnt vmcnt(1) lgkmcnt(1)
	scratch_store_b128 off, v[26:29], off
	s_waitcnt vmcnt(0) lgkmcnt(0)
	scratch_store_b128 v37, v[39:42], off
	s_ashr_i32 s21, s20, 31
	s_delay_alu instid0(SALU_CYCLE_1) | instskip(NEXT) | instid1(SALU_CYCLE_1)
	s_lshl_b64 s[20:21], s[20:21], 4
	v_add_co_u32 v30, s4, v33, s20
	s_delay_alu instid0(VALU_DEP_1)
	v_add_co_ci_u32_e64 v31, s4, s21, v34, s4
	s_clause 0x1
	flat_load_b128 v[1:4], v[30:31]
	flat_load_b128 v[13:16], v[30:31] offset:16
	s_clause 0x1
	scratch_load_b128 v[39:42], off, off offset:16
	scratch_load_b128 v[43:46], off, off offset:32
	s_clause 0x1
	flat_load_b128 v[47:50], v[30:31] offset:32
	flat_load_b128 v[51:54], v[30:31] offset:48
	scratch_load_b128 v[55:58], off, off offset:48
	s_waitcnt vmcnt(6) lgkmcnt(3)
	v_mul_f64 v[30:31], v[3:4], v[28:29]
	v_mul_f64 v[28:29], v[1:2], v[28:29]
	s_waitcnt vmcnt(4) lgkmcnt(2)
	v_mul_f64 v[59:60], v[15:16], v[41:42]
	v_mul_f64 v[41:42], v[13:14], v[41:42]
	s_delay_alu instid0(VALU_DEP_4) | instskip(NEXT) | instid1(VALU_DEP_4)
	v_fma_f64 v[1:2], v[1:2], v[26:27], -v[30:31]
	v_fma_f64 v[3:4], v[3:4], v[26:27], v[28:29]
	s_waitcnt vmcnt(2) lgkmcnt(1)
	v_mul_f64 v[26:27], v[49:50], v[45:46]
	v_mul_f64 v[28:29], v[47:48], v[45:46]
	v_fma_f64 v[13:14], v[13:14], v[39:40], -v[59:60]
	v_fma_f64 v[15:16], v[15:16], v[39:40], v[41:42]
	s_waitcnt vmcnt(0) lgkmcnt(0)
	v_mul_f64 v[30:31], v[53:54], v[57:58]
	v_mul_f64 v[39:40], v[51:52], v[57:58]
	v_add_f64 v[1:2], v[1:2], 0
	v_add_f64 v[3:4], v[3:4], 0
	v_fma_f64 v[26:27], v[47:48], v[43:44], -v[26:27]
	v_fma_f64 v[28:29], v[49:50], v[43:44], v[28:29]
	s_delay_alu instid0(VALU_DEP_4) | instskip(NEXT) | instid1(VALU_DEP_4)
	v_add_f64 v[1:2], v[1:2], v[13:14]
	v_add_f64 v[3:4], v[3:4], v[15:16]
	v_fma_f64 v[13:14], v[51:52], v[55:56], -v[30:31]
	v_fma_f64 v[15:16], v[53:54], v[55:56], v[39:40]
	s_delay_alu instid0(VALU_DEP_4) | instskip(NEXT) | instid1(VALU_DEP_4)
	v_add_f64 v[1:2], v[1:2], v[26:27]
	v_add_f64 v[3:4], v[3:4], v[28:29]
	s_delay_alu instid0(VALU_DEP_2) | instskip(NEXT) | instid1(VALU_DEP_2)
	v_add_f64 v[13:14], v[1:2], v[13:14]
	v_add_f64 v[15:16], v[3:4], v[15:16]
	s_and_not1_saveexec_b32 s19, s15
	s_cbranch_execz .LBB355_65
.LBB355_73:                             ;   in Loop: Header=BB355_63 Depth=1
	v_mov_b32_e32 v13, 0
	v_mov_b32_e32 v14, 0
	s_delay_alu instid0(VALU_DEP_1)
	v_dual_mov_b32 v16, v14 :: v_dual_mov_b32 v15, v13
	s_and_saveexec_b32 s20, s18
	s_cbranch_execz .LBB355_78
; %bb.74:                               ;   in Loop: Header=BB355_63 Depth=1
	s_waitcnt lgkmcnt(0)
	v_mov_b32_e32 v3, 0
	v_mov_b32_e32 v1, v21
	s_mov_b32 s15, s29
.LBB355_75:                             ;   Parent Loop BB355_63 Depth=1
                                        ; =>  This Inner Loop Header: Depth=2
	s_delay_alu instid0(VALU_DEP_1) | instskip(SKIP_1) | instid1(SALU_CYCLE_1)
	v_ashrrev_i32_e32 v2, 31, v1
	s_add_i32 s15, s15, -1
	s_cmp_eq_u32 s15, 0
	s_delay_alu instid0(VALU_DEP_1) | instskip(SKIP_1) | instid1(VALU_DEP_2)
	v_lshlrev_b64 v[13:14], 4, v[1:2]
	v_add_nc_u32_e32 v1, s28, v1
	v_add_co_u32 v13, s4, s6, v13
	s_delay_alu instid0(VALU_DEP_1)
	v_add_co_ci_u32_e64 v14, s4, s7, v14, s4
	flat_load_b128 v[13:16], v[13:14]
	s_waitcnt vmcnt(0) lgkmcnt(0)
	scratch_store_b128 v3, v[13:16], off
	v_add_nc_u32_e32 v3, 16, v3
	s_cbranch_scc0 .LBB355_75
; %bb.76:                               ;   in Loop: Header=BB355_63 Depth=1
	s_ashr_i32 s15, s14, 31
	v_mov_b32_e32 v13, 0
	v_dual_mov_b32 v14, 0 :: v_dual_mov_b32 v3, v38
	s_lshl_b64 s[22:23], s[14:15], 4
	s_mov_b32 s15, s29
	v_add_co_u32 v1, s4, v33, s22
	s_delay_alu instid0(VALU_DEP_1)
	v_add_co_ci_u32_e64 v2, s4, s23, v34, s4
	v_dual_mov_b32 v16, v14 :: v_dual_mov_b32 v15, v13
	.p2align	6
.LBB355_77:                             ;   Parent Loop BB355_63 Depth=1
                                        ; =>  This Inner Loop Header: Depth=2
	flat_load_b128 v[26:29], v[1:2]
	scratch_load_b128 v[39:42], v3, off offset:-8
	v_add_co_u32 v1, s4, v1, 16
	v_add_nc_u32_e32 v3, 16, v3
	v_add_co_ci_u32_e64 v2, s4, 0, v2, s4
	s_add_i32 s15, s15, -1
	s_delay_alu instid0(SALU_CYCLE_1) | instskip(SKIP_3) | instid1(VALU_DEP_2)
	s_cmp_lg_u32 s15, 0
	s_waitcnt vmcnt(0) lgkmcnt(0)
	v_mul_f64 v[30:31], v[28:29], v[41:42]
	v_mul_f64 v[41:42], v[26:27], v[41:42]
	v_fma_f64 v[26:27], v[26:27], v[39:40], -v[30:31]
	s_delay_alu instid0(VALU_DEP_2) | instskip(NEXT) | instid1(VALU_DEP_2)
	v_fma_f64 v[28:29], v[28:29], v[39:40], v[41:42]
	v_add_f64 v[13:14], v[13:14], v[26:27]
	s_delay_alu instid0(VALU_DEP_2)
	v_add_f64 v[15:16], v[15:16], v[28:29]
	s_cbranch_scc1 .LBB355_77
.LBB355_78:                             ;   in Loop: Header=BB355_63 Depth=1
	s_or_b32 exec_lo, exec_lo, s20
	s_delay_alu instid0(SALU_CYCLE_1)
	s_or_b32 exec_lo, exec_lo, s19
	s_and_saveexec_b32 s4, s0
	s_cbranch_execnz .LBB355_66
	s_branch .LBB355_67
.LBB355_79:                             ;   in Loop: Header=BB355_63 Depth=1
	ds_load_b128 v[1:4], v17
	s_or_b32 exec_lo, exec_lo, s4
	s_and_saveexec_b32 s4, s0
	s_cbranch_execz .LBB355_71
.LBB355_80:                             ;   in Loop: Header=BB355_63 Depth=1
	s_waitcnt lgkmcnt(0)
	ds_bpermute_b32 v13, v20, v1
	ds_bpermute_b32 v14, v20, v2
	ds_bpermute_b32 v15, v20, v3
	ds_bpermute_b32 v16, v20, v4
	s_waitcnt lgkmcnt(2)
	v_add_f64 v[1:2], v[1:2], v[13:14]
	s_waitcnt lgkmcnt(0)
	v_add_f64 v[3:4], v[3:4], v[15:16]
	ds_bpermute_b32 v13, v23, v1
	ds_bpermute_b32 v14, v23, v2
	ds_bpermute_b32 v15, v23, v3
	ds_bpermute_b32 v16, v23, v4
	s_waitcnt lgkmcnt(2)
	v_add_f64 v[1:2], v[1:2], v[13:14]
	s_waitcnt lgkmcnt(0)
	v_add_f64 v[3:4], v[3:4], v[15:16]
	ds_bpermute_b32 v13, v24, v1
	ds_bpermute_b32 v14, v24, v2
	ds_bpermute_b32 v15, v24, v3
	ds_bpermute_b32 v16, v24, v4
	s_waitcnt lgkmcnt(2)
	v_add_f64 v[1:2], v[1:2], v[13:14]
	s_waitcnt lgkmcnt(0)
	v_add_f64 v[3:4], v[3:4], v[15:16]
	s_or_b32 exec_lo, exec_lo, s4
	s_and_saveexec_b32 s4, s3
	s_cbranch_execz .LBB355_62
.LBB355_81:                             ;   in Loop: Header=BB355_63 Depth=1
	s_waitcnt lgkmcnt(0)
	s_delay_alu instid0(VALU_DEP_1) | instskip(SKIP_3) | instid1(SALU_CYCLE_1)
	v_mul_f64 v[13:14], s[10:11], v[3:4]
	v_mul_f64 v[3:4], s[8:9], v[3:4]
	s_mul_hi_u32 s21, s30, s16
	s_mul_i32 s20, s30, s16
	s_lshl_b64 s[20:21], s[20:21], 4
	s_delay_alu instid0(SALU_CYCLE_1) | instskip(SKIP_1) | instid1(VALU_DEP_2)
	s_add_u32 s20, s12, s20
	s_addc_u32 s21, s5, s21
	v_fma_f64 v[13:14], s[8:9], v[1:2], -v[13:14]
	s_delay_alu instid0(VALU_DEP_2)
	v_fma_f64 v[15:16], s[10:11], v[1:2], v[3:4]
	global_store_b128 v0, v[13:16], s[20:21]
	s_branch .LBB355_62
.LBB355_82:
	s_nop 0
	s_sendmsg sendmsg(MSG_DEALLOC_VGPRS)
	s_endpgm
	.section	.rodata,"a",@progbits
	.p2align	6, 0x0
	.amdhsa_kernel _ZL23rocblas_gemvt_sn_kernelILb0ELi256ELi4EiPK19rocblas_complex_numIdES1_S1_EviiT4_lPKT3_lilS7_lilPT5_i
		.amdhsa_group_segment_fixed_size 512
		.amdhsa_private_segment_fixed_size 80
		.amdhsa_kernarg_size 368
		.amdhsa_user_sgpr_count 14
		.amdhsa_user_sgpr_dispatch_ptr 0
		.amdhsa_user_sgpr_queue_ptr 0
		.amdhsa_user_sgpr_kernarg_segment_ptr 1
		.amdhsa_user_sgpr_dispatch_id 0
		.amdhsa_user_sgpr_private_segment_size 0
		.amdhsa_wavefront_size32 1
		.amdhsa_uses_dynamic_stack 0
		.amdhsa_enable_private_segment 1
		.amdhsa_system_sgpr_workgroup_id_x 1
		.amdhsa_system_sgpr_workgroup_id_y 0
		.amdhsa_system_sgpr_workgroup_id_z 1
		.amdhsa_system_sgpr_workgroup_info 0
		.amdhsa_system_vgpr_workitem_id 0
		.amdhsa_next_free_vgpr 78
		.amdhsa_next_free_sgpr 46
		.amdhsa_reserve_vcc 1
		.amdhsa_float_round_mode_32 0
		.amdhsa_float_round_mode_16_64 0
		.amdhsa_float_denorm_mode_32 3
		.amdhsa_float_denorm_mode_16_64 3
		.amdhsa_dx10_clamp 1
		.amdhsa_ieee_mode 1
		.amdhsa_fp16_overflow 0
		.amdhsa_workgroup_processor_mode 1
		.amdhsa_memory_ordered 1
		.amdhsa_forward_progress 0
		.amdhsa_shared_vgpr_count 0
		.amdhsa_exception_fp_ieee_invalid_op 0
		.amdhsa_exception_fp_denorm_src 0
		.amdhsa_exception_fp_ieee_div_zero 0
		.amdhsa_exception_fp_ieee_overflow 0
		.amdhsa_exception_fp_ieee_underflow 0
		.amdhsa_exception_fp_ieee_inexact 0
		.amdhsa_exception_int_div_zero 0
	.end_amdhsa_kernel
	.section	.text._ZL23rocblas_gemvt_sn_kernelILb0ELi256ELi4EiPK19rocblas_complex_numIdES1_S1_EviiT4_lPKT3_lilS7_lilPT5_i,"axG",@progbits,_ZL23rocblas_gemvt_sn_kernelILb0ELi256ELi4EiPK19rocblas_complex_numIdES1_S1_EviiT4_lPKT3_lilS7_lilPT5_i,comdat
.Lfunc_end355:
	.size	_ZL23rocblas_gemvt_sn_kernelILb0ELi256ELi4EiPK19rocblas_complex_numIdES1_S1_EviiT4_lPKT3_lilS7_lilPT5_i, .Lfunc_end355-_ZL23rocblas_gemvt_sn_kernelILb0ELi256ELi4EiPK19rocblas_complex_numIdES1_S1_EviiT4_lPKT3_lilS7_lilPT5_i
                                        ; -- End function
	.section	.AMDGPU.csdata,"",@progbits
; Kernel info:
; codeLenInByte = 7652
; NumSgprs: 48
; NumVgprs: 78
; ScratchSize: 80
; MemoryBound: 0
; FloatMode: 240
; IeeeMode: 1
; LDSByteSize: 512 bytes/workgroup (compile time only)
; SGPRBlocks: 5
; VGPRBlocks: 9
; NumSGPRsForWavesPerEU: 48
; NumVGPRsForWavesPerEU: 78
; Occupancy: 16
; WaveLimiterHint : 0
; COMPUTE_PGM_RSRC2:SCRATCH_EN: 1
; COMPUTE_PGM_RSRC2:USER_SGPR: 14
; COMPUTE_PGM_RSRC2:TRAP_HANDLER: 0
; COMPUTE_PGM_RSRC2:TGID_X_EN: 1
; COMPUTE_PGM_RSRC2:TGID_Y_EN: 0
; COMPUTE_PGM_RSRC2:TGID_Z_EN: 1
; COMPUTE_PGM_RSRC2:TIDIG_COMP_CNT: 0
	.section	.text._ZL23rocblas_gemvt_sn_kernelILb0ELi256ELi4ElPK19rocblas_complex_numIdES1_S1_EviiT4_lPKT3_lilS7_lilPT5_i,"axG",@progbits,_ZL23rocblas_gemvt_sn_kernelILb0ELi256ELi4ElPK19rocblas_complex_numIdES1_S1_EviiT4_lPKT3_lilS7_lilPT5_i,comdat
	.globl	_ZL23rocblas_gemvt_sn_kernelILb0ELi256ELi4ElPK19rocblas_complex_numIdES1_S1_EviiT4_lPKT3_lilS7_lilPT5_i ; -- Begin function _ZL23rocblas_gemvt_sn_kernelILb0ELi256ELi4ElPK19rocblas_complex_numIdES1_S1_EviiT4_lPKT3_lilS7_lilPT5_i
	.p2align	8
	.type	_ZL23rocblas_gemvt_sn_kernelILb0ELi256ELi4ElPK19rocblas_complex_numIdES1_S1_EviiT4_lPKT3_lilS7_lilPT5_i,@function
_ZL23rocblas_gemvt_sn_kernelILb0ELi256ELi4ElPK19rocblas_complex_numIdES1_S1_EviiT4_lPKT3_lilS7_lilPT5_i: ; @_ZL23rocblas_gemvt_sn_kernelILb0ELi256ELi4ElPK19rocblas_complex_numIdES1_S1_EviiT4_lPKT3_lilS7_lilPT5_i
; %bb.0:
	s_load_b128 s[8:11], s[0:1], 0x8
	s_mov_b32 s4, s15
	s_mov_b64 s[18:19], 0
	s_mov_b32 s5, -1
	s_waitcnt lgkmcnt(0)
	v_cmp_neq_f64_e64 s2, s[8:9], 0
	v_cmp_neq_f64_e64 s3, s[10:11], 0
	s_delay_alu instid0(VALU_DEP_1) | instskip(NEXT) | instid1(SALU_CYCLE_1)
	s_or_b32 s2, s2, s3
	s_and_b32 vcc_lo, exec_lo, s2
	s_cbranch_vccnz .LBB356_2
; %bb.1:
	s_mov_b32 s5, 0
	s_cbranch_execz .LBB356_3
	s_branch .LBB356_4
.LBB356_2:
                                        ; implicit-def: $sgpr18_sgpr19
	s_and_not1_b32 vcc_lo, exec_lo, s5
	s_cbranch_vccnz .LBB356_4
.LBB356_3:
	s_load_b128 s[16:19], s[0:1], 0x20
	s_mov_b32 s5, 0
	s_delay_alu instid0(SALU_CYCLE_1)
	s_lshl_b64 s[6:7], s[4:5], 3
	s_waitcnt lgkmcnt(0)
	s_add_u32 s6, s16, s6
	s_addc_u32 s7, s17, s7
	s_lshl_b64 s[12:13], s[18:19], 4
	s_load_b64 s[6:7], s[6:7], 0x0
	s_waitcnt lgkmcnt(0)
	s_add_u32 s18, s6, s12
	s_addc_u32 s19, s7, s13
.LBB356_4:
	v_cndmask_b32_e64 v1, 0, 1, s2
	s_xor_b32 s3, s2, -1
	s_mov_b64 s[20:21], 0
	s_delay_alu instid0(VALU_DEP_1)
	v_cmp_ne_u32_e32 vcc_lo, 1, v1
	s_cbranch_vccnz .LBB356_6
; %bb.5:
	s_load_b128 s[20:23], s[0:1], 0x40
	s_lshl_b64 s[6:7], s[4:5], 3
	s_waitcnt lgkmcnt(0)
	s_add_u32 s6, s20, s6
	s_addc_u32 s7, s21, s7
	s_lshl_b64 s[12:13], s[22:23], 4
	s_load_b64 s[6:7], s[6:7], 0x0
	s_waitcnt lgkmcnt(0)
	s_add_u32 s20, s6, s12
	s_addc_u32 s21, s7, s13
.LBB356_6:
	s_clause 0x2
	s_load_b64 s[6:7], s[0:1], 0x0
	s_load_b32 s12, s[0:1], 0x70
	s_load_b64 s[24:25], s[0:1], 0x60
	s_and_not1_b32 vcc_lo, exec_lo, s3
	v_cmp_eq_u32_e64 s2, 0, v0
	s_mov_b32 s13, 0
	s_waitcnt lgkmcnt(0)
	s_ashr_i32 s26, s7, 31
	s_mul_hi_u32 s3, s4, s7
	s_mul_i32 s15, s4, s26
	s_mul_i32 s5, s5, s7
	s_add_i32 s3, s3, s15
	s_mul_i32 s4, s4, s7
	s_add_i32 s3, s3, s5
	s_mul_hi_u32 s5, s4, s12
	s_mul_i32 s3, s3, s12
	s_mul_i32 s4, s4, s12
	s_add_i32 s5, s5, s3
	s_mov_b32 s3, -1
	s_cbranch_vccnz .LBB356_11
; %bb.7:
	s_cmp_gt_i32 s7, 0
	s_cselect_b32 s3, -1, 0
	s_delay_alu instid0(SALU_CYCLE_1) | instskip(NEXT) | instid1(SALU_CYCLE_1)
	s_and_b32 s2, s2, s3
	s_and_saveexec_b32 s22, s2
	s_cbranch_execz .LBB356_10
; %bb.8:
	s_mov_b32 s15, 0
	v_mov_b32_e32 v1, 0
	s_lshl_b64 s[2:3], s[4:5], 4
	s_lshl_b64 s[16:17], s[14:15], 4
	s_delay_alu instid0(SALU_CYCLE_1)
	s_add_u32 s2, s2, s16
	s_addc_u32 s3, s3, s17
	s_add_u32 s2, s2, s24
	v_mov_b32_e32 v2, v1
	v_mov_b32_e32 v3, v1
	;; [unrolled: 1-line block ×3, first 2 shown]
	s_addc_u32 s3, s3, s25
	s_add_u32 s2, s2, 8
	s_addc_u32 s3, s3, 0
	s_lshl_b64 s[16:17], s[12:13], 4
	s_mov_b32 s13, s7
.LBB356_9:                              ; =>This Inner Loop Header: Depth=1
	s_delay_alu instid0(SALU_CYCLE_1)
	s_add_i32 s13, s13, -1
	global_store_b128 v1, v[1:4], s[2:3] offset:-8
	s_add_u32 s2, s2, s16
	s_addc_u32 s3, s3, s17
	s_cmp_eq_u32 s13, 0
	s_cbranch_scc0 .LBB356_9
.LBB356_10:
	s_or_b32 exec_lo, exec_lo, s22
	s_mov_b32 s3, 0
.LBB356_11:
	s_delay_alu instid0(SALU_CYCLE_1)
	s_and_not1_b32 vcc_lo, exec_lo, s3
	s_cbranch_vccnz .LBB356_82
; %bb.12:
	s_clause 0x1
	s_load_b32 s16, s[0:1], 0x30
	s_load_b32 s22, s[0:1], 0x50
	s_lshl_b64 s[2:3], s[4:5], 4
	v_and_b32_e32 v44, 31, v0
	v_cmp_gt_u32_e64 s0, 32, v0
	v_mbcnt_lo_u32_b32 v46, -1, 0
	v_cmp_gt_u32_e64 s1, 8, v0
	v_lshrrev_b32_e32 v45, 1, v0
	v_add_nc_u32_e64 v38, 0, 16
	v_add_nc_u32_e64 v39, 0, 32
	;; [unrolled: 1-line block ×3, first 2 shown]
	v_or_b32_e64 v41, 0, 8
	s_waitcnt lgkmcnt(0)
	s_ashr_i32 s17, s16, 31
	s_ashr_i32 s23, s22, 31
	s_add_u32 s30, s24, s2
	s_addc_u32 s31, s25, s3
	s_lshl_b32 s2, s14, 10
	s_ashr_i32 s3, s6, 31
	v_lshl_or_b32 v25, v0, 2, s2
	s_lshr_b32 s2, s26, 30
	s_lshr_b32 s3, s3, 30
	s_add_i32 s2, s7, s2
	s_add_i32 s3, s6, s3
	v_ashrrev_i32_e32 v26, 31, v25
	s_and_b32 s33, s2, -4
	s_and_b32 s2, s3, -4
	v_add_nc_u32_e32 v48, 4, v25
	s_sub_i32 s13, s6, s2
	v_lshlrev_b64 v[23:24], 4, v[25:26]
	v_or_b32_e32 v47, 1, v25
	v_or_b32_e32 v43, 2, v25
	;; [unrolled: 1-line block ×3, first 2 shown]
	v_add_nc_u32_e32 v49, s13, v25
	s_cmp_lt_i32 s33, 1
	v_add_co_u32 v21, vcc_lo, s18, v23
	v_add_co_ci_u32_e32 v22, vcc_lo, s19, v24, vcc_lo
	s_cbranch_scc1 .LBB356_59
; %bb.13:
	v_cmp_gt_u32_e32 vcc_lo, 16, v46
	v_mad_i64_i32 v[7:8], null, s22, v42, 0
	s_mov_b32 s15, 0
	s_cmp_gt_i32 s13, 0
	v_cndmask_b32_e64 v1, 0, 1, vcc_lo
	v_cmp_gt_u32_e32 vcc_lo, 24, v46
	v_cmp_ge_i32_e64 s2, s6, v48
	v_cmp_ge_i32_e64 s3, s6, v49
	s_cselect_b32 s34, -1, 0
	v_lshlrev_b32_e32 v1, 4, v1
	v_cndmask_b32_e64 v2, 0, 1, vcc_lo
	v_cmp_gt_u32_e32 vcc_lo, 28, v46
	v_cmp_eq_u32_e64 s4, 0, v44
	v_lshlrev_b32_e32 v55, 4, v44
	v_and_b32_e32 v56, 0x70, v45
	v_lshlrev_b32_e32 v2, 3, v2
	v_cndmask_b32_e64 v3, 0, 1, vcc_lo
	v_cmp_gt_u32_e32 vcc_lo, 30, v46
	s_lshl_b64 s[24:25], s[14:15], 4
	v_cmp_eq_u32_e64 s5, 0, v0
	v_add_lshl_u32 v51, v2, v46, 2
	v_lshlrev_b32_e32 v3, 2, v3
	v_cndmask_b32_e64 v4, 0, 1, vcc_lo
	v_cmp_ne_u32_e32 vcc_lo, 31, v46
	v_dual_mov_b32 v35, v22 :: v_dual_mov_b32 v34, v21
	v_add_lshl_u32 v50, v1, v46, 2
	s_delay_alu instid0(VALU_DEP_4) | instskip(SKIP_3) | instid1(VALU_DEP_4)
	v_lshlrev_b32_e32 v4, 1, v4
	v_mad_i64_i32 v[1:2], null, s22, v25, 0
	v_add_co_ci_u32_e32 v5, vcc_lo, 0, v46, vcc_lo
	v_add_lshl_u32 v52, v3, v46, 2
	v_add_lshl_u32 v53, v4, v46, 2
	v_mad_i64_i32 v[3:4], null, s22, v47, 0
	s_delay_alu instid0(VALU_DEP_4)
	v_lshlrev_b32_e32 v54, 2, v5
	v_lshlrev_b64 v[1:2], 4, v[1:2]
	v_mad_i64_i32 v[5:6], null, s22, v43, 0
	v_or_b32_e64 v57, 0, 8
	s_add_u32 s35, s30, s24
	v_lshlrev_b64 v[3:4], 4, v[3:4]
	s_delay_alu instid0(VALU_DEP_4) | instskip(SKIP_2) | instid1(VALU_DEP_4)
	v_add_co_u32 v26, vcc_lo, s20, v1
	v_add_co_ci_u32_e32 v27, vcc_lo, s21, v2, vcc_lo
	v_lshlrev_b64 v[1:2], 4, v[5:6]
	v_add_co_u32 v28, vcc_lo, s20, v3
	v_add_co_ci_u32_e32 v29, vcc_lo, s21, v4, vcc_lo
	v_lshlrev_b64 v[3:4], 4, v[7:8]
	s_delay_alu instid0(VALU_DEP_4) | instskip(SKIP_2) | instid1(VALU_DEP_4)
	v_add_co_u32 v30, vcc_lo, s20, v1
	v_add_co_ci_u32_e32 v31, vcc_lo, s21, v2, vcc_lo
	v_mov_b32_e32 v1, 0
	v_add_co_u32 v32, vcc_lo, s20, v3
	v_add_co_ci_u32_e32 v33, vcc_lo, s21, v4, vcc_lo
	s_addc_u32 s36, s31, s25
	s_lshl_b64 s[24:25], s[22:23], 4
	s_lshl_b64 s[26:27], s[16:17], 6
	;; [unrolled: 1-line block ×3, first 2 shown]
	s_branch .LBB356_15
.LBB356_14:                             ;   in Loop: Header=BB356_15 Depth=1
	s_or_b32 exec_lo, exec_lo, s37
	v_add_co_u32 v34, vcc_lo, v34, s26
	v_add_co_ci_u32_e32 v35, vcc_lo, s27, v35, vcc_lo
	s_add_i32 s15, s15, 4
	s_delay_alu instid0(SALU_CYCLE_1)
	s_cmp_ge_i32 s15, s33
	s_cbranch_scc1 .LBB356_60
.LBB356_15:                             ; =>This Loop Header: Depth=1
                                        ;     Child Loop BB356_46 Depth 2
                                        ;     Child Loop BB356_48 Depth 2
                                        ; implicit-def: $vgpr17_vgpr18
                                        ; implicit-def: $vgpr19_vgpr20
                                        ; implicit-def: $vgpr13_vgpr14
                                        ; implicit-def: $vgpr15_vgpr16
                                        ; implicit-def: $vgpr9_vgpr10
                                        ; implicit-def: $vgpr11_vgpr12
                                        ; implicit-def: $vgpr7_vgpr8
                                        ; implicit-def: $vgpr5_vgpr6
	s_and_saveexec_b32 s37, s2
	s_delay_alu instid0(SALU_CYCLE_1)
	s_xor_b32 s37, exec_lo, s37
	s_cbranch_execnz .LBB356_42
; %bb.16:                               ;   in Loop: Header=BB356_15 Depth=1
	s_and_not1_saveexec_b32 s37, s37
	s_cbranch_execnz .LBB356_43
.LBB356_17:                             ;   in Loop: Header=BB356_15 Depth=1
	s_or_b32 exec_lo, exec_lo, s37
	s_and_saveexec_b32 s37, s0
	s_cbranch_execz .LBB356_19
.LBB356_18:                             ;   in Loop: Header=BB356_15 Depth=1
	v_mov_b32_e32 v2, v1
	v_mov_b32_e32 v3, v1
	;; [unrolled: 1-line block ×3, first 2 shown]
	ds_store_b128 v55, v[1:4]
.LBB356_19:                             ;   in Loop: Header=BB356_15 Depth=1
	s_or_b32 exec_lo, exec_lo, s37
	ds_bpermute_b32 v2, v50, v7
	ds_bpermute_b32 v3, v50, v8
	ds_bpermute_b32 v36, v50, v5
	ds_bpermute_b32 v37, v50, v6
	s_waitcnt lgkmcnt(0)
	s_waitcnt_vscnt null, 0x0
	s_barrier
	buffer_gl0_inv
	v_add_f64 v[2:3], v[7:8], v[2:3]
	v_add_f64 v[4:5], v[5:6], v[36:37]
	ds_bpermute_b32 v6, v51, v2
	ds_bpermute_b32 v7, v51, v3
	ds_bpermute_b32 v36, v51, v4
	ds_bpermute_b32 v37, v51, v5
	s_waitcnt lgkmcnt(2)
	v_add_f64 v[2:3], v[2:3], v[6:7]
	s_waitcnt lgkmcnt(0)
	v_add_f64 v[4:5], v[4:5], v[36:37]
	ds_bpermute_b32 v6, v52, v2
	ds_bpermute_b32 v7, v52, v3
	ds_bpermute_b32 v36, v52, v4
	ds_bpermute_b32 v37, v52, v5
	s_waitcnt lgkmcnt(2)
	v_add_f64 v[2:3], v[2:3], v[6:7]
	s_waitcnt lgkmcnt(0)
	;; [unrolled: 8-line block ×3, first 2 shown]
	v_add_f64 v[6:7], v[4:5], v[36:37]
	ds_bpermute_b32 v4, v54, v2
	ds_bpermute_b32 v5, v54, v3
	;; [unrolled: 1-line block ×4, first 2 shown]
	s_and_saveexec_b32 s37, s4
	s_cbranch_execz .LBB356_21
; %bb.20:                               ;   in Loop: Header=BB356_15 Depth=1
	s_waitcnt lgkmcnt(0)
	v_add_f64 v[6:7], v[6:7], v[36:37]
	v_add_f64 v[4:5], v[2:3], v[4:5]
	ds_store_b128 v56, v[4:7]
.LBB356_21:                             ;   in Loop: Header=BB356_15 Depth=1
	s_or_b32 exec_lo, exec_lo, s37
	v_mov_b32_e32 v7, 0
	v_mov_b32_e32 v8, 0
	s_waitcnt lgkmcnt(2)
	s_delay_alu instid0(VALU_DEP_2)
	v_mov_b32_e32 v5, v7
	s_waitcnt lgkmcnt(0)
	s_barrier
	buffer_gl0_inv
	v_mov_b32_e32 v6, v8
	s_and_saveexec_b32 s37, s1
	s_cbranch_execnz .LBB356_50
; %bb.22:                               ;   in Loop: Header=BB356_15 Depth=1
	s_or_b32 exec_lo, exec_lo, s37
	s_and_saveexec_b32 s37, s0
	s_cbranch_execnz .LBB356_51
.LBB356_23:                             ;   in Loop: Header=BB356_15 Depth=1
	s_or_b32 exec_lo, exec_lo, s37
	s_and_saveexec_b32 s37, s0
	s_cbranch_execz .LBB356_25
.LBB356_24:                             ;   in Loop: Header=BB356_15 Depth=1
	v_mov_b32_e32 v2, v1
	v_mov_b32_e32 v3, v1
	;; [unrolled: 1-line block ×3, first 2 shown]
	ds_store_b128 v55, v[1:4]
.LBB356_25:                             ;   in Loop: Header=BB356_15 Depth=1
	s_or_b32 exec_lo, exec_lo, s37
	ds_bpermute_b32 v2, v50, v9
	ds_bpermute_b32 v3, v50, v10
	;; [unrolled: 1-line block ×4, first 2 shown]
	s_waitcnt lgkmcnt(0)
	s_barrier
	buffer_gl0_inv
	v_add_f64 v[2:3], v[9:10], v[2:3]
	v_add_f64 v[9:10], v[11:12], v[36:37]
	ds_bpermute_b32 v11, v51, v2
	ds_bpermute_b32 v12, v51, v3
	ds_bpermute_b32 v36, v51, v9
	ds_bpermute_b32 v37, v51, v10
	s_waitcnt lgkmcnt(2)
	v_add_f64 v[2:3], v[2:3], v[11:12]
	s_waitcnt lgkmcnt(0)
	v_add_f64 v[9:10], v[9:10], v[36:37]
	ds_bpermute_b32 v11, v52, v2
	ds_bpermute_b32 v12, v52, v3
	ds_bpermute_b32 v36, v52, v9
	ds_bpermute_b32 v37, v52, v10
	s_waitcnt lgkmcnt(2)
	v_add_f64 v[2:3], v[2:3], v[11:12]
	s_waitcnt lgkmcnt(0)
	;; [unrolled: 8-line block ×3, first 2 shown]
	v_add_f64 v[11:12], v[9:10], v[36:37]
	ds_bpermute_b32 v9, v54, v2
	ds_bpermute_b32 v10, v54, v3
	;; [unrolled: 1-line block ×4, first 2 shown]
	s_and_saveexec_b32 s37, s4
	s_cbranch_execz .LBB356_27
; %bb.26:                               ;   in Loop: Header=BB356_15 Depth=1
	s_waitcnt lgkmcnt(0)
	v_add_f64 v[11:12], v[11:12], v[36:37]
	v_add_f64 v[9:10], v[2:3], v[9:10]
	ds_store_b128 v56, v[9:12]
.LBB356_27:                             ;   in Loop: Header=BB356_15 Depth=1
	s_or_b32 exec_lo, exec_lo, s37
	v_mov_b32_e32 v11, 0
	v_mov_b32_e32 v12, 0
	s_waitcnt lgkmcnt(2)
	s_delay_alu instid0(VALU_DEP_2)
	v_mov_b32_e32 v9, v11
	s_waitcnt lgkmcnt(0)
	s_barrier
	buffer_gl0_inv
	v_mov_b32_e32 v10, v12
	s_and_saveexec_b32 s37, s1
	s_cbranch_execnz .LBB356_52
; %bb.28:                               ;   in Loop: Header=BB356_15 Depth=1
	s_or_b32 exec_lo, exec_lo, s37
	s_and_saveexec_b32 s37, s0
	s_cbranch_execnz .LBB356_53
.LBB356_29:                             ;   in Loop: Header=BB356_15 Depth=1
	s_or_b32 exec_lo, exec_lo, s37
	s_and_saveexec_b32 s37, s0
	s_cbranch_execz .LBB356_31
.LBB356_30:                             ;   in Loop: Header=BB356_15 Depth=1
	v_mov_b32_e32 v2, v1
	v_mov_b32_e32 v3, v1
	;; [unrolled: 1-line block ×3, first 2 shown]
	ds_store_b128 v55, v[1:4]
.LBB356_31:                             ;   in Loop: Header=BB356_15 Depth=1
	s_or_b32 exec_lo, exec_lo, s37
	ds_bpermute_b32 v2, v50, v13
	ds_bpermute_b32 v3, v50, v14
	;; [unrolled: 1-line block ×4, first 2 shown]
	s_waitcnt lgkmcnt(0)
	s_barrier
	buffer_gl0_inv
	v_add_f64 v[2:3], v[13:14], v[2:3]
	v_add_f64 v[13:14], v[15:16], v[36:37]
	ds_bpermute_b32 v15, v51, v2
	ds_bpermute_b32 v16, v51, v3
	ds_bpermute_b32 v36, v51, v13
	ds_bpermute_b32 v37, v51, v14
	s_waitcnt lgkmcnt(2)
	v_add_f64 v[2:3], v[2:3], v[15:16]
	s_waitcnt lgkmcnt(0)
	v_add_f64 v[13:14], v[13:14], v[36:37]
	ds_bpermute_b32 v15, v52, v2
	ds_bpermute_b32 v16, v52, v3
	ds_bpermute_b32 v36, v52, v13
	ds_bpermute_b32 v37, v52, v14
	s_waitcnt lgkmcnt(2)
	v_add_f64 v[2:3], v[2:3], v[15:16]
	s_waitcnt lgkmcnt(0)
	;; [unrolled: 8-line block ×3, first 2 shown]
	v_add_f64 v[15:16], v[13:14], v[36:37]
	ds_bpermute_b32 v13, v54, v2
	ds_bpermute_b32 v14, v54, v3
	;; [unrolled: 1-line block ×4, first 2 shown]
	s_and_saveexec_b32 s37, s4
	s_cbranch_execz .LBB356_33
; %bb.32:                               ;   in Loop: Header=BB356_15 Depth=1
	s_waitcnt lgkmcnt(0)
	v_add_f64 v[15:16], v[15:16], v[36:37]
	v_add_f64 v[13:14], v[2:3], v[13:14]
	ds_store_b128 v56, v[13:16]
.LBB356_33:                             ;   in Loop: Header=BB356_15 Depth=1
	s_or_b32 exec_lo, exec_lo, s37
	v_mov_b32_e32 v15, 0
	v_mov_b32_e32 v16, 0
	s_waitcnt lgkmcnt(2)
	s_delay_alu instid0(VALU_DEP_2)
	v_mov_b32_e32 v13, v15
	s_waitcnt lgkmcnt(0)
	s_barrier
	buffer_gl0_inv
	v_mov_b32_e32 v14, v16
	s_and_saveexec_b32 s37, s1
	s_cbranch_execnz .LBB356_54
; %bb.34:                               ;   in Loop: Header=BB356_15 Depth=1
	s_or_b32 exec_lo, exec_lo, s37
	s_and_saveexec_b32 s37, s0
	s_cbranch_execnz .LBB356_55
.LBB356_35:                             ;   in Loop: Header=BB356_15 Depth=1
	s_or_b32 exec_lo, exec_lo, s37
	s_and_saveexec_b32 s37, s0
	s_cbranch_execz .LBB356_37
.LBB356_36:                             ;   in Loop: Header=BB356_15 Depth=1
	v_mov_b32_e32 v2, v1
	v_mov_b32_e32 v3, v1
	v_mov_b32_e32 v4, v1
	ds_store_b128 v55, v[1:4]
.LBB356_37:                             ;   in Loop: Header=BB356_15 Depth=1
	s_or_b32 exec_lo, exec_lo, s37
	ds_bpermute_b32 v2, v50, v17
	ds_bpermute_b32 v3, v50, v18
	;; [unrolled: 1-line block ×4, first 2 shown]
	s_waitcnt lgkmcnt(0)
	s_barrier
	buffer_gl0_inv
	v_add_f64 v[2:3], v[17:18], v[2:3]
	v_add_f64 v[17:18], v[19:20], v[36:37]
	ds_bpermute_b32 v19, v51, v2
	ds_bpermute_b32 v20, v51, v3
	ds_bpermute_b32 v36, v51, v17
	ds_bpermute_b32 v37, v51, v18
	s_waitcnt lgkmcnt(2)
	v_add_f64 v[2:3], v[2:3], v[19:20]
	s_waitcnt lgkmcnt(0)
	v_add_f64 v[17:18], v[17:18], v[36:37]
	ds_bpermute_b32 v19, v52, v2
	ds_bpermute_b32 v20, v52, v3
	ds_bpermute_b32 v36, v52, v17
	ds_bpermute_b32 v37, v52, v18
	s_waitcnt lgkmcnt(2)
	v_add_f64 v[2:3], v[2:3], v[19:20]
	s_waitcnt lgkmcnt(0)
	;; [unrolled: 8-line block ×3, first 2 shown]
	v_add_f64 v[19:20], v[17:18], v[36:37]
	ds_bpermute_b32 v17, v54, v2
	ds_bpermute_b32 v18, v54, v3
	;; [unrolled: 1-line block ×4, first 2 shown]
	s_and_saveexec_b32 s37, s4
	s_cbranch_execz .LBB356_39
; %bb.38:                               ;   in Loop: Header=BB356_15 Depth=1
	s_waitcnt lgkmcnt(0)
	v_add_f64 v[19:20], v[19:20], v[36:37]
	v_add_f64 v[17:18], v[2:3], v[17:18]
	ds_store_b128 v56, v[17:20]
.LBB356_39:                             ;   in Loop: Header=BB356_15 Depth=1
	s_or_b32 exec_lo, exec_lo, s37
	v_mov_b32_e32 v19, 0
	v_mov_b32_e32 v20, 0
	s_waitcnt lgkmcnt(2)
	s_delay_alu instid0(VALU_DEP_2)
	v_mov_b32_e32 v17, v19
	s_waitcnt lgkmcnt(0)
	s_barrier
	buffer_gl0_inv
	v_mov_b32_e32 v18, v20
	s_and_saveexec_b32 s37, s1
	s_cbranch_execnz .LBB356_56
; %bb.40:                               ;   in Loop: Header=BB356_15 Depth=1
	s_or_b32 exec_lo, exec_lo, s37
	s_and_saveexec_b32 s37, s0
	s_cbranch_execnz .LBB356_57
.LBB356_41:                             ;   in Loop: Header=BB356_15 Depth=1
	s_or_b32 exec_lo, exec_lo, s37
	s_and_saveexec_b32 s37, s5
	s_cbranch_execz .LBB356_14
	s_branch .LBB356_58
.LBB356_42:                             ;   in Loop: Header=BB356_15 Depth=1
	s_clause 0x1
	flat_load_b128 v[2:5], v[26:27]
	flat_load_b128 v[6:9], v[28:29]
	s_mul_i32 s38, s15, s17
	s_mul_hi_u32 s39, s15, s16
	s_delay_alu instid0(SALU_CYCLE_1) | instskip(SKIP_1) | instid1(SALU_CYCLE_1)
	s_add_i32 s39, s39, s38
	s_mul_i32 s38, s15, s16
	s_lshl_b64 s[38:39], s[38:39], 4
	s_delay_alu instid0(SALU_CYCLE_1) | instskip(SKIP_2) | instid1(SALU_CYCLE_1)
	v_add_co_u32 v10, vcc_lo, v21, s38
	v_add_co_ci_u32_e32 v11, vcc_lo, s39, v22, vcc_lo
	s_or_b32 s38, s15, 1
	s_mul_i32 s39, s38, s17
	s_mul_hi_u32 s40, s38, s16
	s_mul_i32 s38, s38, s16
	s_add_i32 s39, s40, s39
	s_delay_alu instid0(SALU_CYCLE_1) | instskip(NEXT) | instid1(SALU_CYCLE_1)
	s_lshl_b64 s[38:39], s[38:39], 4
	v_add_co_u32 v36, vcc_lo, v21, s38
	v_add_co_ci_u32_e32 v37, vcc_lo, s39, v22, vcc_lo
	s_or_b32 s38, s15, 2
	s_delay_alu instid0(SALU_CYCLE_1) | instskip(SKIP_3) | instid1(SALU_CYCLE_1)
	s_mul_i32 s39, s38, s17
	s_mul_hi_u32 s40, s38, s16
	s_mul_i32 s38, s38, s16
	s_add_i32 s39, s40, s39
	s_lshl_b64 s[38:39], s[38:39], 4
	s_delay_alu instid0(SALU_CYCLE_1) | instskip(SKIP_2) | instid1(SALU_CYCLE_1)
	v_add_co_u32 v58, vcc_lo, v21, s38
	v_add_co_ci_u32_e32 v59, vcc_lo, s39, v22, vcc_lo
	s_or_b32 s38, s15, 3
	s_mul_i32 s39, s38, s17
	s_mul_hi_u32 s40, s38, s16
	s_mul_i32 s38, s38, s16
	s_add_i32 s39, s40, s39
	s_delay_alu instid0(SALU_CYCLE_1) | instskip(NEXT) | instid1(SALU_CYCLE_1)
	s_lshl_b64 s[38:39], s[38:39], 4
	v_add_co_u32 v64, vcc_lo, v21, s38
	v_add_co_ci_u32_e32 v65, vcc_lo, s39, v22, vcc_lo
	s_waitcnt vmcnt(1) lgkmcnt(1)
	scratch_store_b128 off, v[2:5], off
	s_waitcnt vmcnt(0) lgkmcnt(0)
	scratch_store_b128 v38, v[6:9], off
	flat_load_b128 v[6:9], v[30:31]
	s_waitcnt vmcnt(0) lgkmcnt(0)
	scratch_store_b128 v39, v[6:9], off
	flat_load_b128 v[6:9], v[32:33]
	;; [unrolled: 3-line block ×3, first 2 shown]
	s_waitcnt vmcnt(0) lgkmcnt(0)
	v_mul_f64 v[12:13], v[4:5], v[8:9]
	v_mul_f64 v[8:9], v[2:3], v[8:9]
	s_delay_alu instid0(VALU_DEP_2) | instskip(NEXT) | instid1(VALU_DEP_2)
	v_fma_f64 v[12:13], v[2:3], v[6:7], -v[12:13]
	v_fma_f64 v[6:7], v[4:5], v[6:7], v[8:9]
	s_delay_alu instid0(VALU_DEP_2) | instskip(NEXT) | instid1(VALU_DEP_2)
	v_add_f64 v[12:13], v[12:13], 0
	v_add_f64 v[14:15], v[6:7], 0
	flat_load_b128 v[6:9], v[36:37]
	s_waitcnt vmcnt(0) lgkmcnt(0)
	v_mul_f64 v[16:17], v[4:5], v[8:9]
	v_mul_f64 v[8:9], v[2:3], v[8:9]
	s_delay_alu instid0(VALU_DEP_2) | instskip(NEXT) | instid1(VALU_DEP_2)
	v_fma_f64 v[16:17], v[2:3], v[6:7], -v[16:17]
	v_fma_f64 v[6:7], v[4:5], v[6:7], v[8:9]
	s_delay_alu instid0(VALU_DEP_2) | instskip(NEXT) | instid1(VALU_DEP_2)
	v_add_f64 v[16:17], v[16:17], 0
	v_add_f64 v[18:19], v[6:7], 0
	flat_load_b128 v[6:9], v[58:59]
	;; [unrolled: 10-line block ×3, first 2 shown]
	s_waitcnt vmcnt(0) lgkmcnt(0)
	v_mul_f64 v[66:67], v[4:5], v[8:9]
	s_delay_alu instid0(VALU_DEP_1) | instskip(SKIP_1) | instid1(VALU_DEP_2)
	v_fma_f64 v[66:67], v[2:3], v[6:7], -v[66:67]
	v_mul_f64 v[2:3], v[2:3], v[8:9]
	v_add_f64 v[66:67], v[66:67], 0
	s_delay_alu instid0(VALU_DEP_2) | instskip(NEXT) | instid1(VALU_DEP_1)
	v_fma_f64 v[2:3], v[4:5], v[6:7], v[2:3]
	v_add_f64 v[68:69], v[2:3], 0
	scratch_load_b128 v[2:5], off, off offset:16
	flat_load_b128 v[6:9], v[10:11] offset:16
	s_waitcnt vmcnt(0) lgkmcnt(0)
	v_mul_f64 v[70:71], v[4:5], v[8:9]
	v_mul_f64 v[8:9], v[2:3], v[8:9]
	s_delay_alu instid0(VALU_DEP_2) | instskip(NEXT) | instid1(VALU_DEP_2)
	v_fma_f64 v[70:71], v[2:3], v[6:7], -v[70:71]
	v_fma_f64 v[6:7], v[4:5], v[6:7], v[8:9]
	s_delay_alu instid0(VALU_DEP_2) | instskip(NEXT) | instid1(VALU_DEP_2)
	v_add_f64 v[12:13], v[12:13], v[70:71]
	v_add_f64 v[14:15], v[14:15], v[6:7]
	flat_load_b128 v[6:9], v[36:37] offset:16
	s_waitcnt vmcnt(0) lgkmcnt(0)
	v_mul_f64 v[70:71], v[4:5], v[8:9]
	v_mul_f64 v[8:9], v[2:3], v[8:9]
	s_delay_alu instid0(VALU_DEP_2) | instskip(NEXT) | instid1(VALU_DEP_2)
	v_fma_f64 v[70:71], v[2:3], v[6:7], -v[70:71]
	v_fma_f64 v[6:7], v[4:5], v[6:7], v[8:9]
	s_delay_alu instid0(VALU_DEP_2) | instskip(NEXT) | instid1(VALU_DEP_2)
	v_add_f64 v[16:17], v[16:17], v[70:71]
	v_add_f64 v[18:19], v[18:19], v[6:7]
	;; [unrolled: 10-line block ×3, first 2 shown]
	flat_load_b128 v[6:9], v[64:65] offset:16
	s_waitcnt vmcnt(0) lgkmcnt(0)
	v_mul_f64 v[70:71], v[4:5], v[8:9]
	s_delay_alu instid0(VALU_DEP_1) | instskip(SKIP_1) | instid1(VALU_DEP_2)
	v_fma_f64 v[70:71], v[2:3], v[6:7], -v[70:71]
	v_mul_f64 v[2:3], v[2:3], v[8:9]
	v_add_f64 v[66:67], v[66:67], v[70:71]
	s_delay_alu instid0(VALU_DEP_2) | instskip(NEXT) | instid1(VALU_DEP_1)
	v_fma_f64 v[2:3], v[4:5], v[6:7], v[2:3]
	v_add_f64 v[68:69], v[68:69], v[2:3]
	scratch_load_b128 v[2:5], off, off offset:32
	flat_load_b128 v[6:9], v[10:11] offset:32
	s_waitcnt vmcnt(0) lgkmcnt(0)
	v_mul_f64 v[70:71], v[4:5], v[8:9]
	v_mul_f64 v[8:9], v[2:3], v[8:9]
	s_delay_alu instid0(VALU_DEP_2) | instskip(NEXT) | instid1(VALU_DEP_2)
	v_fma_f64 v[70:71], v[2:3], v[6:7], -v[70:71]
	v_fma_f64 v[6:7], v[4:5], v[6:7], v[8:9]
	s_delay_alu instid0(VALU_DEP_2) | instskip(NEXT) | instid1(VALU_DEP_2)
	v_add_f64 v[12:13], v[12:13], v[70:71]
	v_add_f64 v[14:15], v[14:15], v[6:7]
	flat_load_b128 v[6:9], v[36:37] offset:32
	s_waitcnt vmcnt(0) lgkmcnt(0)
	v_mul_f64 v[70:71], v[4:5], v[8:9]
	v_mul_f64 v[8:9], v[2:3], v[8:9]
	s_delay_alu instid0(VALU_DEP_2) | instskip(NEXT) | instid1(VALU_DEP_2)
	v_fma_f64 v[70:71], v[2:3], v[6:7], -v[70:71]
	v_fma_f64 v[6:7], v[4:5], v[6:7], v[8:9]
	s_delay_alu instid0(VALU_DEP_2) | instskip(NEXT) | instid1(VALU_DEP_2)
	v_add_f64 v[70:71], v[16:17], v[70:71]
	v_add_f64 v[72:73], v[18:19], v[6:7]
	;; [unrolled: 10-line block ×3, first 2 shown]
	flat_load_b128 v[6:9], v[64:65] offset:32
	s_waitcnt vmcnt(0) lgkmcnt(0)
	v_mul_f64 v[16:17], v[4:5], v[8:9]
	s_delay_alu instid0(VALU_DEP_1) | instskip(SKIP_1) | instid1(VALU_DEP_2)
	v_fma_f64 v[16:17], v[2:3], v[6:7], -v[16:17]
	v_mul_f64 v[2:3], v[2:3], v[8:9]
	v_add_f64 v[66:67], v[66:67], v[16:17]
	s_delay_alu instid0(VALU_DEP_2) | instskip(NEXT) | instid1(VALU_DEP_1)
	v_fma_f64 v[2:3], v[4:5], v[6:7], v[2:3]
	v_add_f64 v[68:69], v[68:69], v[2:3]
	scratch_load_b128 v[17:20], off, off offset:48
	flat_load_b128 v[2:5], v[10:11] offset:48
	s_waitcnt vmcnt(0) lgkmcnt(0)
	v_mul_f64 v[6:7], v[19:20], v[4:5]
	v_mul_f64 v[4:5], v[17:18], v[4:5]
	s_delay_alu instid0(VALU_DEP_2) | instskip(NEXT) | instid1(VALU_DEP_2)
	v_fma_f64 v[6:7], v[17:18], v[2:3], -v[6:7]
	v_fma_f64 v[2:3], v[19:20], v[2:3], v[4:5]
	s_delay_alu instid0(VALU_DEP_2)
	v_add_f64 v[7:8], v[12:13], v[6:7]
	flat_load_b128 v[9:12], v[36:37] offset:48
	v_add_f64 v[5:6], v[14:15], v[2:3]
	flat_load_b128 v[13:16], v[58:59] offset:48
	s_waitcnt vmcnt(1) lgkmcnt(1)
	v_mul_f64 v[2:3], v[19:20], v[11:12]
	v_mul_f64 v[11:12], v[17:18], v[11:12]
	s_delay_alu instid0(VALU_DEP_2) | instskip(NEXT) | instid1(VALU_DEP_2)
	v_fma_f64 v[2:3], v[17:18], v[9:10], -v[2:3]
	v_fma_f64 v[11:12], v[19:20], v[9:10], v[11:12]
	s_delay_alu instid0(VALU_DEP_2) | instskip(SKIP_3) | instid1(VALU_DEP_4)
	v_add_f64 v[9:10], v[70:71], v[2:3]
	s_waitcnt vmcnt(0) lgkmcnt(0)
	v_mul_f64 v[2:3], v[19:20], v[15:16]
	v_mul_f64 v[15:16], v[17:18], v[15:16]
	v_add_f64 v[11:12], v[72:73], v[11:12]
	s_delay_alu instid0(VALU_DEP_3) | instskip(NEXT) | instid1(VALU_DEP_3)
	v_fma_f64 v[2:3], v[17:18], v[13:14], -v[2:3]
	v_fma_f64 v[15:16], v[19:20], v[13:14], v[15:16]
	s_delay_alu instid0(VALU_DEP_2) | instskip(SKIP_4) | instid1(VALU_DEP_1)
	v_add_f64 v[13:14], v[60:61], v[2:3]
	flat_load_b128 v[58:61], v[64:65] offset:48
	v_add_f64 v[15:16], v[62:63], v[15:16]
	s_waitcnt vmcnt(0) lgkmcnt(0)
	v_mul_f64 v[2:3], v[19:20], v[60:61]
	v_fma_f64 v[2:3], v[17:18], v[58:59], -v[2:3]
	v_mul_f64 v[17:18], v[17:18], v[60:61]
	s_delay_alu instid0(VALU_DEP_1) | instskip(NEXT) | instid1(VALU_DEP_3)
	v_fma_f64 v[19:20], v[19:20], v[58:59], v[17:18]
	v_add_f64 v[17:18], v[66:67], v[2:3]
	s_delay_alu instid0(VALU_DEP_2)
	v_add_f64 v[19:20], v[68:69], v[19:20]
	s_and_not1_saveexec_b32 s37, s37
	s_cbranch_execz .LBB356_17
.LBB356_43:                             ;   in Loop: Header=BB356_15 Depth=1
	s_waitcnt lgkmcnt(0)
	v_mov_b32_e32 v17, 0
	v_mov_b32_e32 v18, 0
	s_delay_alu instid0(VALU_DEP_2) | instskip(SKIP_2) | instid1(VALU_DEP_4)
	v_mov_b32_e32 v13, v17
	v_mov_b32_e32 v15, v17
	;; [unrolled: 1-line block ×3, first 2 shown]
	v_dual_mov_b32 v11, v17 :: v_dual_mov_b32 v12, v18
	v_dual_mov_b32 v20, v18 :: v_dual_mov_b32 v19, v17
	v_mov_b32_e32 v14, v18
	v_mov_b32_e32 v16, v18
	v_dual_mov_b32 v10, v18 :: v_dual_mov_b32 v7, v17
	v_dual_mov_b32 v8, v18 :: v_dual_mov_b32 v5, v17
	v_mov_b32_e32 v6, v18
	s_and_saveexec_b32 s38, s3
	s_cbranch_execz .LBB356_49
; %bb.44:                               ;   in Loop: Header=BB356_15 Depth=1
	v_mov_b32_e32 v17, 0
	v_mov_b32_e32 v18, 0
	s_delay_alu instid0(VALU_DEP_2) | instskip(SKIP_2) | instid1(VALU_DEP_4)
	v_mov_b32_e32 v13, v17
	v_mov_b32_e32 v15, v17
	;; [unrolled: 1-line block ×3, first 2 shown]
	v_dual_mov_b32 v11, v17 :: v_dual_mov_b32 v12, v18
	v_dual_mov_b32 v20, v18 :: v_dual_mov_b32 v19, v17
	v_mov_b32_e32 v14, v18
	v_mov_b32_e32 v16, v18
	v_dual_mov_b32 v10, v18 :: v_dual_mov_b32 v7, v17
	v_dual_mov_b32 v8, v18 :: v_dual_mov_b32 v5, v17
	v_mov_b32_e32 v6, v18
	s_and_not1_b32 vcc_lo, exec_lo, s34
	s_cbranch_vccnz .LBB356_49
; %bb.45:                               ;   in Loop: Header=BB356_15 Depth=1
	v_mov_b32_e32 v2, v26
	v_dual_mov_b32 v4, 0 :: v_dual_mov_b32 v3, v27
	s_mov_b32 s39, s13
.LBB356_46:                             ;   Parent Loop BB356_15 Depth=1
                                        ; =>  This Inner Loop Header: Depth=2
	flat_load_b128 v[5:8], v[2:3]
	v_add_co_u32 v2, vcc_lo, v2, s24
	v_add_co_ci_u32_e32 v3, vcc_lo, s25, v3, vcc_lo
	s_add_i32 s39, s39, -1
	s_delay_alu instid0(SALU_CYCLE_1)
	s_cmp_eq_u32 s39, 0
	s_waitcnt vmcnt(0) lgkmcnt(0)
	scratch_store_b128 v4, v[5:8], off
	v_add_nc_u32_e32 v4, 16, v4
	s_cbranch_scc0 .LBB356_46
; %bb.47:                               ;   in Loop: Header=BB356_15 Depth=1
	v_dual_mov_b32 v5, 0 :: v_dual_mov_b32 v2, v34
	v_dual_mov_b32 v6, 0 :: v_dual_mov_b32 v3, v35
	v_mov_b32_e32 v4, v57
	s_mov_b32 s39, s13
	s_delay_alu instid0(VALU_DEP_2)
	v_dual_mov_b32 v8, v6 :: v_dual_mov_b32 v7, v5
	v_dual_mov_b32 v12, v6 :: v_dual_mov_b32 v11, v5
	v_dual_mov_b32 v10, v6 :: v_dual_mov_b32 v9, v5
	v_dual_mov_b32 v16, v6 :: v_dual_mov_b32 v15, v5
	v_dual_mov_b32 v14, v6 :: v_dual_mov_b32 v13, v5
	v_dual_mov_b32 v20, v6 :: v_dual_mov_b32 v19, v5
	v_dual_mov_b32 v18, v6 :: v_dual_mov_b32 v17, v5
.LBB356_48:                             ;   Parent Loop BB356_15 Depth=1
                                        ; =>  This Inner Loop Header: Depth=2
	v_add_co_u32 v36, vcc_lo, v2, s28
	v_add_co_ci_u32_e32 v37, vcc_lo, s29, v3, vcc_lo
	scratch_load_b128 v[58:61], v4, off offset:-8
	v_add_co_u32 v70, vcc_lo, v36, s28
	v_add_co_ci_u32_e32 v71, vcc_lo, s29, v37, vcc_lo
	flat_load_b128 v[62:65], v[2:3]
	v_add_co_u32 v74, vcc_lo, v70, s28
	v_add_co_ci_u32_e32 v75, vcc_lo, s29, v71, vcc_lo
	v_add_co_u32 v2, vcc_lo, v2, 16
	s_clause 0x2
	flat_load_b128 v[66:69], v[36:37]
	flat_load_b128 v[70:73], v[70:71]
	;; [unrolled: 1-line block ×3, first 2 shown]
	v_add_nc_u32_e32 v4, 16, v4
	v_add_co_ci_u32_e32 v3, vcc_lo, 0, v3, vcc_lo
	s_add_i32 s39, s39, -1
	s_delay_alu instid0(SALU_CYCLE_1)
	s_cmp_lg_u32 s39, 0
	s_waitcnt vmcnt(3) lgkmcnt(3)
	v_mul_f64 v[36:37], v[60:61], v[64:65]
	v_mul_f64 v[64:65], v[58:59], v[64:65]
	s_waitcnt vmcnt(2) lgkmcnt(2)
	v_mul_f64 v[78:79], v[60:61], v[68:69]
	v_mul_f64 v[68:69], v[58:59], v[68:69]
	;; [unrolled: 3-line block ×4, first 2 shown]
	v_fma_f64 v[36:37], v[58:59], v[62:63], -v[36:37]
	v_fma_f64 v[62:63], v[60:61], v[62:63], v[64:65]
	v_fma_f64 v[64:65], v[58:59], v[66:67], -v[78:79]
	v_fma_f64 v[66:67], v[60:61], v[66:67], v[68:69]
	;; [unrolled: 2-line block ×4, first 2 shown]
	v_add_f64 v[7:8], v[7:8], v[36:37]
	v_add_f64 v[5:6], v[5:6], v[62:63]
	;; [unrolled: 1-line block ×8, first 2 shown]
	s_cbranch_scc1 .LBB356_48
.LBB356_49:                             ;   in Loop: Header=BB356_15 Depth=1
	s_or_b32 exec_lo, exec_lo, s38
	s_delay_alu instid0(SALU_CYCLE_1)
	s_or_b32 exec_lo, exec_lo, s37
	s_and_saveexec_b32 s37, s0
	s_cbranch_execnz .LBB356_18
	s_branch .LBB356_19
.LBB356_50:                             ;   in Loop: Header=BB356_15 Depth=1
	ds_load_b128 v[5:8], v55
	s_or_b32 exec_lo, exec_lo, s37
	s_and_saveexec_b32 s37, s0
	s_cbranch_execz .LBB356_23
.LBB356_51:                             ;   in Loop: Header=BB356_15 Depth=1
	s_waitcnt lgkmcnt(0)
	ds_bpermute_b32 v2, v52, v5
	ds_bpermute_b32 v3, v52, v6
	ds_bpermute_b32 v36, v52, v7
	ds_bpermute_b32 v37, v52, v8
	s_waitcnt lgkmcnt(2)
	v_add_f64 v[2:3], v[5:6], v[2:3]
	s_waitcnt lgkmcnt(0)
	v_add_f64 v[4:5], v[7:8], v[36:37]
	ds_bpermute_b32 v6, v53, v2
	ds_bpermute_b32 v7, v53, v3
	ds_bpermute_b32 v36, v53, v4
	ds_bpermute_b32 v37, v53, v5
	s_waitcnt lgkmcnt(2)
	v_add_f64 v[2:3], v[2:3], v[6:7]
	s_waitcnt lgkmcnt(0)
	v_add_f64 v[7:8], v[4:5], v[36:37]
	;; [unrolled: 8-line block ×3, first 2 shown]
	s_or_b32 exec_lo, exec_lo, s37
	s_and_saveexec_b32 s37, s0
	s_cbranch_execnz .LBB356_24
	s_branch .LBB356_25
.LBB356_52:                             ;   in Loop: Header=BB356_15 Depth=1
	ds_load_b128 v[9:12], v55
	s_or_b32 exec_lo, exec_lo, s37
	s_and_saveexec_b32 s37, s0
	s_cbranch_execz .LBB356_29
.LBB356_53:                             ;   in Loop: Header=BB356_15 Depth=1
	s_waitcnt lgkmcnt(0)
	ds_bpermute_b32 v2, v52, v9
	ds_bpermute_b32 v3, v52, v10
	ds_bpermute_b32 v36, v52, v11
	ds_bpermute_b32 v37, v52, v12
	s_waitcnt lgkmcnt(2)
	v_add_f64 v[2:3], v[9:10], v[2:3]
	s_waitcnt lgkmcnt(0)
	v_add_f64 v[9:10], v[11:12], v[36:37]
	ds_bpermute_b32 v11, v53, v2
	ds_bpermute_b32 v12, v53, v3
	ds_bpermute_b32 v36, v53, v9
	ds_bpermute_b32 v37, v53, v10
	s_waitcnt lgkmcnt(2)
	v_add_f64 v[2:3], v[2:3], v[11:12]
	s_waitcnt lgkmcnt(0)
	v_add_f64 v[11:12], v[9:10], v[36:37]
	;; [unrolled: 8-line block ×3, first 2 shown]
	s_or_b32 exec_lo, exec_lo, s37
	s_and_saveexec_b32 s37, s0
	s_cbranch_execnz .LBB356_30
	s_branch .LBB356_31
.LBB356_54:                             ;   in Loop: Header=BB356_15 Depth=1
	ds_load_b128 v[13:16], v55
	s_or_b32 exec_lo, exec_lo, s37
	s_and_saveexec_b32 s37, s0
	s_cbranch_execz .LBB356_35
.LBB356_55:                             ;   in Loop: Header=BB356_15 Depth=1
	s_waitcnt lgkmcnt(0)
	ds_bpermute_b32 v2, v52, v13
	ds_bpermute_b32 v3, v52, v14
	ds_bpermute_b32 v36, v52, v15
	ds_bpermute_b32 v37, v52, v16
	s_waitcnt lgkmcnt(2)
	v_add_f64 v[2:3], v[13:14], v[2:3]
	s_waitcnt lgkmcnt(0)
	v_add_f64 v[13:14], v[15:16], v[36:37]
	ds_bpermute_b32 v15, v53, v2
	ds_bpermute_b32 v16, v53, v3
	ds_bpermute_b32 v36, v53, v13
	ds_bpermute_b32 v37, v53, v14
	s_waitcnt lgkmcnt(2)
	v_add_f64 v[2:3], v[2:3], v[15:16]
	s_waitcnt lgkmcnt(0)
	v_add_f64 v[15:16], v[13:14], v[36:37]
	;; [unrolled: 8-line block ×3, first 2 shown]
	s_or_b32 exec_lo, exec_lo, s37
	s_and_saveexec_b32 s37, s0
	s_cbranch_execnz .LBB356_36
	s_branch .LBB356_37
.LBB356_56:                             ;   in Loop: Header=BB356_15 Depth=1
	ds_load_b128 v[17:20], v55
	s_or_b32 exec_lo, exec_lo, s37
	s_and_saveexec_b32 s37, s0
	s_cbranch_execz .LBB356_41
.LBB356_57:                             ;   in Loop: Header=BB356_15 Depth=1
	s_waitcnt lgkmcnt(0)
	ds_bpermute_b32 v2, v52, v17
	ds_bpermute_b32 v3, v52, v18
	ds_bpermute_b32 v36, v52, v19
	ds_bpermute_b32 v37, v52, v20
	s_waitcnt lgkmcnt(2)
	v_add_f64 v[2:3], v[17:18], v[2:3]
	s_waitcnt lgkmcnt(0)
	v_add_f64 v[17:18], v[19:20], v[36:37]
	ds_bpermute_b32 v19, v53, v2
	ds_bpermute_b32 v20, v53, v3
	ds_bpermute_b32 v36, v53, v17
	ds_bpermute_b32 v37, v53, v18
	s_waitcnt lgkmcnt(2)
	v_add_f64 v[2:3], v[2:3], v[19:20]
	s_waitcnt lgkmcnt(0)
	v_add_f64 v[19:20], v[17:18], v[36:37]
	;; [unrolled: 8-line block ×3, first 2 shown]
	s_or_b32 exec_lo, exec_lo, s37
	s_and_saveexec_b32 s37, s5
	s_cbranch_execz .LBB356_14
.LBB356_58:                             ;   in Loop: Header=BB356_15 Depth=1
	v_mul_f64 v[2:3], s[10:11], v[7:8]
	v_mul_f64 v[7:8], s[8:9], v[7:8]
	;; [unrolled: 1-line block ×6, first 2 shown]
	s_waitcnt lgkmcnt(0)
	v_mul_f64 v[60:61], s[10:11], v[19:20]
	v_mul_f64 v[19:20], s[8:9], v[19:20]
	s_mul_hi_u32 s39, s15, s12
	s_mul_i32 s38, s15, s12
	s_delay_alu instid0(SALU_CYCLE_1) | instskip(NEXT) | instid1(SALU_CYCLE_1)
	s_lshl_b64 s[38:39], s[38:39], 4
	s_add_u32 s38, s35, s38
	s_addc_u32 s39, s36, s39
	s_or_b32 s40, s15, 1
	s_delay_alu instid0(SALU_CYCLE_1) | instskip(SKIP_1) | instid1(SALU_CYCLE_1)
	s_mul_hi_u32 s41, s40, s12
	s_mul_i32 s40, s40, s12
	s_lshl_b64 s[40:41], s[40:41], 4
	s_delay_alu instid0(SALU_CYCLE_1) | instskip(SKIP_2) | instid1(SALU_CYCLE_1)
	s_add_u32 s40, s35, s40
	s_addc_u32 s41, s36, s41
	s_or_b32 s42, s15, 2
	s_mul_hi_u32 s43, s42, s12
	s_mul_i32 s42, s42, s12
	s_delay_alu instid0(SALU_CYCLE_1) | instskip(NEXT) | instid1(SALU_CYCLE_1)
	s_lshl_b64 s[42:43], s[42:43], 4
	s_add_u32 s42, s35, s42
	s_addc_u32 s43, s36, s43
	s_or_b32 s44, s15, 3
	s_delay_alu instid0(SALU_CYCLE_1) | instskip(SKIP_1) | instid1(SALU_CYCLE_1)
	s_mul_hi_u32 s45, s44, s12
	s_mul_i32 s44, s44, s12
	s_lshl_b64 s[44:45], s[44:45], 4
	v_fma_f64 v[2:3], s[8:9], v[5:6], -v[2:3]
	v_fma_f64 v[4:5], s[10:11], v[5:6], v[7:8]
	v_fma_f64 v[6:7], s[8:9], v[9:10], -v[36:37]
	v_fma_f64 v[8:9], s[10:11], v[9:10], v[11:12]
	;; [unrolled: 2-line block ×4, first 2 shown]
	s_add_u32 s44, s35, s44
	s_addc_u32 s45, s36, s45
	s_clause 0x3
	global_store_b128 v1, v[2:5], s[38:39]
	global_store_b128 v1, v[6:9], s[40:41]
	;; [unrolled: 1-line block ×4, first 2 shown]
	s_branch .LBB356_14
.LBB356_59:
	s_mov_b32 s15, 0
.LBB356_60:
	s_delay_alu instid0(SALU_CYCLE_1)
	s_cmp_ge_i32 s15, s7
	s_cbranch_scc1 .LBB356_82
; %bb.61:
	v_cmp_gt_u32_e64 s1, 16, v46
	v_cmp_gt_u32_e64 s0, 32, v0
	;; [unrolled: 1-line block ×3, first 2 shown]
	v_cmp_eq_u32_e64 s3, 0, v0
	v_mad_i64_i32 v[7:8], null, s22, v43, 0
	v_cndmask_b32_e64 v1, 0, 1, s1
	v_cmp_gt_u32_e64 s1, 24, v46
	v_mad_i64_i32 v[9:10], null, s22, v42, 0
	s_cmp_gt_i32 s13, 0
	s_delay_alu instid0(VALU_DEP_3) | instskip(NEXT) | instid1(VALU_DEP_3)
	v_lshlrev_b32_e32 v1, 4, v1
	v_cndmask_b32_e64 v2, 0, 1, s1
	v_cmp_gt_u32_e64 s1, 28, v46
	s_mov_b32 s25, 0
	s_mov_b32 s24, s14
	s_waitcnt lgkmcnt(0)
	v_add_lshl_u32 v20, v1, v46, 2
	v_lshlrev_b32_e32 v2, 3, v2
	v_cndmask_b32_e64 v3, 0, 1, s1
	v_cmp_gt_u32_e64 s1, 30, v46
	s_cselect_b32 s26, -1, 0
	s_lshl_b64 s[24:25], s[24:25], 4
	v_add_lshl_u32 v26, v2, v46, 2
	v_lshlrev_b32_e32 v3, 2, v3
	v_cndmask_b32_e64 v4, 0, 1, s1
	v_mad_i64_i32 v[1:2], null, s22, v25, 0
	v_cmp_ne_u32_e64 s1, 31, v46
	s_delay_alu instid0(VALU_DEP_4) | instskip(NEXT) | instid1(VALU_DEP_4)
	v_add_lshl_u32 v27, v3, v46, 2
	v_lshlrev_b32_e32 v4, 1, v4
	v_cmp_ge_i32_e32 vcc_lo, s6, v48
	v_cmp_ge_i32_e64 s4, s6, v49
	v_add_co_ci_u32_e64 v5, s1, 0, v46, s1
	s_delay_alu instid0(VALU_DEP_4) | instskip(SKIP_2) | instid1(VALU_DEP_4)
	v_add_lshl_u32 v28, v4, v46, 2
	v_mad_i64_i32 v[3:4], null, s22, v47, 0
	v_lshlrev_b64 v[0:1], 4, v[1:2]
	v_lshlrev_b32_e32 v29, 2, v5
	s_add_u32 s6, s30, s24
	s_addc_u32 s14, s31, s25
	s_mul_i32 s24, s17, s15
	s_mul_hi_u32 s25, s16, s15
	s_delay_alu instid0(VALU_DEP_3) | instskip(SKIP_1) | instid1(VALU_DEP_1)
	v_lshlrev_b64 v[2:3], 4, v[3:4]
	v_add_co_u32 v5, s5, s20, v0
	v_add_co_ci_u32_e64 v6, s5, s21, v1, s5
	v_lshlrev_b64 v[0:1], 4, v[7:8]
	s_delay_alu instid0(VALU_DEP_4) | instskip(NEXT) | instid1(VALU_DEP_1)
	v_add_co_u32 v7, s5, s20, v2
	v_add_co_ci_u32_e64 v8, s5, s21, v3, s5
	v_lshlrev_b64 v[2:3], 4, v[9:10]
	s_delay_alu instid0(VALU_DEP_4) | instskip(NEXT) | instid1(VALU_DEP_1)
	v_add_co_u32 v9, s5, s20, v0
	v_add_co_ci_u32_e64 v10, s5, s21, v1, s5
	v_dual_mov_b32 v0, 0 :: v_dual_lshlrev_b32 v19, 4, v44
	s_delay_alu instid0(VALU_DEP_4) | instskip(NEXT) | instid1(VALU_DEP_1)
	v_add_co_u32 v11, s5, s20, v2
	v_add_co_ci_u32_e64 v12, s5, s21, v3, s5
	s_add_i32 s21, s25, s24
	s_mul_i32 s20, s16, s15
	s_and_b32 s5, s26, s4
	s_lshl_b64 s[24:25], s[20:21], 4
	s_lshl_b64 s[20:21], s[22:23], 4
	s_add_u32 s4, s18, s24
	s_addc_u32 s18, s19, s25
	v_add_co_u32 v13, s4, s4, v23
	v_cmp_eq_u32_e64 s1, 0, v44
	v_and_b32_e32 v30, 0x70, v45
	v_add_co_ci_u32_e64 v14, s4, s18, v24, s4
	s_lshl_b64 s[18:19], s[16:17], 4
	s_branch .LBB356_63
.LBB356_62:                             ;   in Loop: Header=BB356_63 Depth=1
	s_or_b32 exec_lo, exec_lo, s4
	v_add_co_u32 v13, s4, v13, s18
	s_delay_alu instid0(VALU_DEP_1) | instskip(SKIP_1) | instid1(SALU_CYCLE_1)
	v_add_co_ci_u32_e64 v14, s4, s19, v14, s4
	s_add_i32 s15, s15, 1
	s_cmp_lt_i32 s15, s7
	s_cbranch_scc0 .LBB356_82
.LBB356_63:                             ; =>This Loop Header: Depth=1
                                        ;     Child Loop BB356_75 Depth 2
                                        ;     Child Loop BB356_77 Depth 2
                                        ; implicit-def: $vgpr15_vgpr16
                                        ; implicit-def: $vgpr17_vgpr18
	s_and_saveexec_b32 s4, vcc_lo
	s_delay_alu instid0(SALU_CYCLE_1)
	s_xor_b32 s22, exec_lo, s4
	s_cbranch_execnz .LBB356_72
; %bb.64:                               ;   in Loop: Header=BB356_63 Depth=1
	s_and_not1_saveexec_b32 s22, s22
	s_cbranch_execnz .LBB356_73
.LBB356_65:                             ;   in Loop: Header=BB356_63 Depth=1
	s_or_b32 exec_lo, exec_lo, s22
	s_and_saveexec_b32 s4, s0
	s_cbranch_execz .LBB356_67
.LBB356_66:                             ;   in Loop: Header=BB356_63 Depth=1
	s_waitcnt lgkmcnt(0)
	v_mov_b32_e32 v1, v0
	v_mov_b32_e32 v2, v0
	;; [unrolled: 1-line block ×3, first 2 shown]
	ds_store_b128 v19, v[0:3]
.LBB356_67:                             ;   in Loop: Header=BB356_63 Depth=1
	s_or_b32 exec_lo, exec_lo, s4
	s_waitcnt lgkmcnt(0)
	ds_bpermute_b32 v1, v20, v15
	ds_bpermute_b32 v2, v20, v16
	;; [unrolled: 1-line block ×4, first 2 shown]
	s_waitcnt lgkmcnt(0)
	s_waitcnt_vscnt null, 0x0
	s_barrier
	buffer_gl0_inv
	v_add_f64 v[1:2], v[15:16], v[1:2]
	v_add_f64 v[3:4], v[17:18], v[3:4]
	ds_bpermute_b32 v15, v26, v1
	ds_bpermute_b32 v16, v26, v2
	ds_bpermute_b32 v17, v26, v3
	ds_bpermute_b32 v18, v26, v4
	s_waitcnt lgkmcnt(2)
	v_add_f64 v[1:2], v[1:2], v[15:16]
	s_waitcnt lgkmcnt(0)
	v_add_f64 v[3:4], v[3:4], v[17:18]
	ds_bpermute_b32 v15, v27, v1
	ds_bpermute_b32 v16, v27, v2
	ds_bpermute_b32 v17, v27, v3
	ds_bpermute_b32 v18, v27, v4
	s_waitcnt lgkmcnt(2)
	v_add_f64 v[1:2], v[1:2], v[15:16]
	s_waitcnt lgkmcnt(0)
	;; [unrolled: 8-line block ×3, first 2 shown]
	v_add_f64 v[15:16], v[3:4], v[17:18]
	ds_bpermute_b32 v3, v29, v1
	ds_bpermute_b32 v4, v29, v2
	;; [unrolled: 1-line block ×4, first 2 shown]
	s_and_saveexec_b32 s4, s1
	s_cbranch_execz .LBB356_69
; %bb.68:                               ;   in Loop: Header=BB356_63 Depth=1
	s_waitcnt lgkmcnt(0)
	v_add_f64 v[17:18], v[15:16], v[17:18]
	v_add_f64 v[15:16], v[1:2], v[3:4]
	ds_store_b128 v30, v[15:18]
.LBB356_69:                             ;   in Loop: Header=BB356_63 Depth=1
	s_or_b32 exec_lo, exec_lo, s4
	s_waitcnt lgkmcnt(2)
	v_mov_b32_e32 v3, 0
	v_mov_b32_e32 v4, 0
	s_delay_alu instid0(VALU_DEP_2)
	v_mov_b32_e32 v1, v3
	s_waitcnt lgkmcnt(0)
	s_barrier
	buffer_gl0_inv
	v_mov_b32_e32 v2, v4
	s_and_saveexec_b32 s4, s2
	s_cbranch_execnz .LBB356_79
; %bb.70:                               ;   in Loop: Header=BB356_63 Depth=1
	s_or_b32 exec_lo, exec_lo, s4
	s_and_saveexec_b32 s4, s0
	s_cbranch_execnz .LBB356_80
.LBB356_71:                             ;   in Loop: Header=BB356_63 Depth=1
	s_or_b32 exec_lo, exec_lo, s4
	s_and_saveexec_b32 s4, s3
	s_cbranch_execz .LBB356_62
	s_branch .LBB356_81
.LBB356_72:                             ;   in Loop: Header=BB356_63 Depth=1
	s_waitcnt lgkmcnt(0)
	s_clause 0x3
	flat_load_b128 v[1:4], v[7:8]
	flat_load_b128 v[15:18], v[9:10]
	;; [unrolled: 1-line block ×4, first 2 shown]
	s_mul_i32 s4, s15, s17
	s_mul_hi_u32 s23, s15, s16
	s_mul_i32 s24, s15, s16
	s_add_i32 s25, s23, s4
	s_waitcnt vmcnt(3) lgkmcnt(3)
	scratch_store_b128 v38, v[1:4], off
	s_waitcnt vmcnt(2) lgkmcnt(2)
	scratch_store_b128 v39, v[15:18], off
	s_waitcnt vmcnt(1) lgkmcnt(1)
	scratch_store_b128 off, v[31:34], off
	s_waitcnt vmcnt(0) lgkmcnt(0)
	scratch_store_b128 v40, v[42:45], off
	s_lshl_b64 s[24:25], s[24:25], 4
	s_delay_alu instid0(SALU_CYCLE_1) | instskip(NEXT) | instid1(VALU_DEP_1)
	v_add_co_u32 v23, s4, v21, s24
	v_add_co_ci_u32_e64 v24, s4, s25, v22, s4
	s_clause 0x1
	flat_load_b128 v[1:4], v[23:24]
	flat_load_b128 v[15:18], v[23:24] offset:16
	s_clause 0x1
	scratch_load_b128 v[42:45], off, off offset:16
	scratch_load_b128 v[46:49], off, off offset:32
	s_clause 0x1
	flat_load_b128 v[50:53], v[23:24] offset:32
	flat_load_b128 v[54:57], v[23:24] offset:48
	scratch_load_b128 v[58:61], off, off offset:48
	s_waitcnt vmcnt(6) lgkmcnt(3)
	v_mul_f64 v[23:24], v[3:4], v[33:34]
	v_mul_f64 v[33:34], v[1:2], v[33:34]
	s_waitcnt vmcnt(4) lgkmcnt(2)
	v_mul_f64 v[35:36], v[17:18], v[44:45]
	v_mul_f64 v[44:45], v[15:16], v[44:45]
	s_delay_alu instid0(VALU_DEP_4) | instskip(NEXT) | instid1(VALU_DEP_4)
	v_fma_f64 v[1:2], v[1:2], v[31:32], -v[23:24]
	v_fma_f64 v[3:4], v[3:4], v[31:32], v[33:34]
	s_waitcnt vmcnt(2) lgkmcnt(1)
	v_mul_f64 v[23:24], v[52:53], v[48:49]
	v_mul_f64 v[31:32], v[50:51], v[48:49]
	v_fma_f64 v[15:16], v[15:16], v[42:43], -v[35:36]
	v_fma_f64 v[17:18], v[17:18], v[42:43], v[44:45]
	s_waitcnt vmcnt(0) lgkmcnt(0)
	v_mul_f64 v[33:34], v[56:57], v[60:61]
	v_mul_f64 v[35:36], v[54:55], v[60:61]
	v_add_f64 v[1:2], v[1:2], 0
	v_add_f64 v[3:4], v[3:4], 0
	v_fma_f64 v[23:24], v[50:51], v[46:47], -v[23:24]
	v_fma_f64 v[31:32], v[52:53], v[46:47], v[31:32]
	s_delay_alu instid0(VALU_DEP_4) | instskip(NEXT) | instid1(VALU_DEP_4)
	v_add_f64 v[1:2], v[1:2], v[15:16]
	v_add_f64 v[3:4], v[3:4], v[17:18]
	v_fma_f64 v[15:16], v[54:55], v[58:59], -v[33:34]
	v_fma_f64 v[17:18], v[56:57], v[58:59], v[35:36]
	s_delay_alu instid0(VALU_DEP_4) | instskip(NEXT) | instid1(VALU_DEP_4)
	v_add_f64 v[1:2], v[1:2], v[23:24]
	v_add_f64 v[3:4], v[3:4], v[31:32]
	s_delay_alu instid0(VALU_DEP_2) | instskip(NEXT) | instid1(VALU_DEP_2)
	v_add_f64 v[15:16], v[1:2], v[15:16]
	v_add_f64 v[17:18], v[3:4], v[17:18]
	s_and_not1_saveexec_b32 s22, s22
	s_cbranch_execz .LBB356_65
.LBB356_73:                             ;   in Loop: Header=BB356_63 Depth=1
	v_mov_b32_e32 v15, 0
	v_mov_b32_e32 v16, 0
	s_delay_alu instid0(VALU_DEP_1)
	v_dual_mov_b32 v18, v16 :: v_dual_mov_b32 v17, v15
	s_and_saveexec_b32 s23, s5
	s_cbranch_execz .LBB356_78
; %bb.74:                               ;   in Loop: Header=BB356_63 Depth=1
	s_waitcnt lgkmcnt(0)
	v_mov_b32_e32 v1, v5
	v_dual_mov_b32 v3, 0 :: v_dual_mov_b32 v2, v6
	s_mov_b32 s24, s13
.LBB356_75:                             ;   Parent Loop BB356_63 Depth=1
                                        ; =>  This Inner Loop Header: Depth=2
	flat_load_b128 v[15:18], v[1:2]
	v_add_co_u32 v1, s4, v1, s20
	s_delay_alu instid0(VALU_DEP_1) | instskip(SKIP_1) | instid1(SALU_CYCLE_1)
	v_add_co_ci_u32_e64 v2, s4, s21, v2, s4
	s_add_i32 s24, s24, -1
	s_cmp_eq_u32 s24, 0
	s_waitcnt vmcnt(0) lgkmcnt(0)
	scratch_store_b128 v3, v[15:18], off
	v_add_nc_u32_e32 v3, 16, v3
	s_cbranch_scc0 .LBB356_75
; %bb.76:                               ;   in Loop: Header=BB356_63 Depth=1
	v_mov_b32_e32 v15, 0
	v_dual_mov_b32 v16, 0 :: v_dual_mov_b32 v1, v13
	v_dual_mov_b32 v3, v41 :: v_dual_mov_b32 v2, v14
	s_mov_b32 s24, s13
	s_delay_alu instid0(VALU_DEP_2)
	v_dual_mov_b32 v18, v16 :: v_dual_mov_b32 v17, v15
	.p2align	6
.LBB356_77:                             ;   Parent Loop BB356_63 Depth=1
                                        ; =>  This Inner Loop Header: Depth=2
	flat_load_b128 v[31:34], v[1:2]
	scratch_load_b128 v[42:45], v3, off offset:-8
	v_add_co_u32 v1, s4, v1, 16
	v_add_nc_u32_e32 v3, 16, v3
	v_add_co_ci_u32_e64 v2, s4, 0, v2, s4
	s_add_i32 s24, s24, -1
	s_delay_alu instid0(SALU_CYCLE_1) | instskip(SKIP_3) | instid1(VALU_DEP_2)
	s_cmp_lg_u32 s24, 0
	s_waitcnt vmcnt(0) lgkmcnt(0)
	v_mul_f64 v[23:24], v[33:34], v[44:45]
	v_mul_f64 v[35:36], v[31:32], v[44:45]
	v_fma_f64 v[23:24], v[31:32], v[42:43], -v[23:24]
	s_delay_alu instid0(VALU_DEP_2) | instskip(NEXT) | instid1(VALU_DEP_2)
	v_fma_f64 v[31:32], v[33:34], v[42:43], v[35:36]
	v_add_f64 v[15:16], v[15:16], v[23:24]
	s_delay_alu instid0(VALU_DEP_2)
	v_add_f64 v[17:18], v[17:18], v[31:32]
	s_cbranch_scc1 .LBB356_77
.LBB356_78:                             ;   in Loop: Header=BB356_63 Depth=1
	s_or_b32 exec_lo, exec_lo, s23
	s_delay_alu instid0(SALU_CYCLE_1)
	s_or_b32 exec_lo, exec_lo, s22
	s_and_saveexec_b32 s4, s0
	s_cbranch_execnz .LBB356_66
	s_branch .LBB356_67
.LBB356_79:                             ;   in Loop: Header=BB356_63 Depth=1
	ds_load_b128 v[1:4], v19
	s_or_b32 exec_lo, exec_lo, s4
	s_and_saveexec_b32 s4, s0
	s_cbranch_execz .LBB356_71
.LBB356_80:                             ;   in Loop: Header=BB356_63 Depth=1
	s_waitcnt lgkmcnt(0)
	ds_bpermute_b32 v15, v27, v1
	ds_bpermute_b32 v16, v27, v2
	ds_bpermute_b32 v17, v27, v3
	ds_bpermute_b32 v18, v27, v4
	s_waitcnt lgkmcnt(2)
	v_add_f64 v[1:2], v[1:2], v[15:16]
	s_waitcnt lgkmcnt(0)
	v_add_f64 v[3:4], v[3:4], v[17:18]
	ds_bpermute_b32 v15, v28, v1
	ds_bpermute_b32 v16, v28, v2
	ds_bpermute_b32 v17, v28, v3
	ds_bpermute_b32 v18, v28, v4
	s_waitcnt lgkmcnt(2)
	v_add_f64 v[1:2], v[1:2], v[15:16]
	s_waitcnt lgkmcnt(0)
	v_add_f64 v[3:4], v[3:4], v[17:18]
	;; [unrolled: 8-line block ×3, first 2 shown]
	s_or_b32 exec_lo, exec_lo, s4
	s_and_saveexec_b32 s4, s3
	s_cbranch_execz .LBB356_62
.LBB356_81:                             ;   in Loop: Header=BB356_63 Depth=1
	s_waitcnt lgkmcnt(0)
	s_delay_alu instid0(VALU_DEP_1) | instskip(SKIP_3) | instid1(SALU_CYCLE_1)
	v_mul_f64 v[15:16], s[10:11], v[3:4]
	v_mul_f64 v[3:4], s[8:9], v[3:4]
	s_mul_hi_u32 s23, s15, s12
	s_mul_i32 s22, s15, s12
	s_lshl_b64 s[22:23], s[22:23], 4
	s_delay_alu instid0(SALU_CYCLE_1) | instskip(SKIP_1) | instid1(VALU_DEP_2)
	s_add_u32 s22, s6, s22
	s_addc_u32 s23, s14, s23
	v_fma_f64 v[15:16], s[8:9], v[1:2], -v[15:16]
	s_delay_alu instid0(VALU_DEP_2)
	v_fma_f64 v[17:18], s[10:11], v[1:2], v[3:4]
	global_store_b128 v0, v[15:18], s[22:23]
	s_branch .LBB356_62
.LBB356_82:
	s_nop 0
	s_sendmsg sendmsg(MSG_DEALLOC_VGPRS)
	s_endpgm
	.section	.rodata,"a",@progbits
	.p2align	6, 0x0
	.amdhsa_kernel _ZL23rocblas_gemvt_sn_kernelILb0ELi256ELi4ElPK19rocblas_complex_numIdES1_S1_EviiT4_lPKT3_lilS7_lilPT5_i
		.amdhsa_group_segment_fixed_size 512
		.amdhsa_private_segment_fixed_size 80
		.amdhsa_kernarg_size 368
		.amdhsa_user_sgpr_count 14
		.amdhsa_user_sgpr_dispatch_ptr 0
		.amdhsa_user_sgpr_queue_ptr 0
		.amdhsa_user_sgpr_kernarg_segment_ptr 1
		.amdhsa_user_sgpr_dispatch_id 0
		.amdhsa_user_sgpr_private_segment_size 0
		.amdhsa_wavefront_size32 1
		.amdhsa_uses_dynamic_stack 0
		.amdhsa_enable_private_segment 1
		.amdhsa_system_sgpr_workgroup_id_x 1
		.amdhsa_system_sgpr_workgroup_id_y 0
		.amdhsa_system_sgpr_workgroup_id_z 1
		.amdhsa_system_sgpr_workgroup_info 0
		.amdhsa_system_vgpr_workitem_id 0
		.amdhsa_next_free_vgpr 84
		.amdhsa_next_free_sgpr 46
		.amdhsa_reserve_vcc 1
		.amdhsa_float_round_mode_32 0
		.amdhsa_float_round_mode_16_64 0
		.amdhsa_float_denorm_mode_32 3
		.amdhsa_float_denorm_mode_16_64 3
		.amdhsa_dx10_clamp 1
		.amdhsa_ieee_mode 1
		.amdhsa_fp16_overflow 0
		.amdhsa_workgroup_processor_mode 1
		.amdhsa_memory_ordered 1
		.amdhsa_forward_progress 0
		.amdhsa_shared_vgpr_count 0
		.amdhsa_exception_fp_ieee_invalid_op 0
		.amdhsa_exception_fp_denorm_src 0
		.amdhsa_exception_fp_ieee_div_zero 0
		.amdhsa_exception_fp_ieee_overflow 0
		.amdhsa_exception_fp_ieee_underflow 0
		.amdhsa_exception_fp_ieee_inexact 0
		.amdhsa_exception_int_div_zero 0
	.end_amdhsa_kernel
	.section	.text._ZL23rocblas_gemvt_sn_kernelILb0ELi256ELi4ElPK19rocblas_complex_numIdES1_S1_EviiT4_lPKT3_lilS7_lilPT5_i,"axG",@progbits,_ZL23rocblas_gemvt_sn_kernelILb0ELi256ELi4ElPK19rocblas_complex_numIdES1_S1_EviiT4_lPKT3_lilS7_lilPT5_i,comdat
.Lfunc_end356:
	.size	_ZL23rocblas_gemvt_sn_kernelILb0ELi256ELi4ElPK19rocblas_complex_numIdES1_S1_EviiT4_lPKT3_lilS7_lilPT5_i, .Lfunc_end356-_ZL23rocblas_gemvt_sn_kernelILb0ELi256ELi4ElPK19rocblas_complex_numIdES1_S1_EviiT4_lPKT3_lilS7_lilPT5_i
                                        ; -- End function
	.section	.AMDGPU.csdata,"",@progbits
; Kernel info:
; codeLenInByte = 7744
; NumSgprs: 48
; NumVgprs: 84
; ScratchSize: 80
; MemoryBound: 0
; FloatMode: 240
; IeeeMode: 1
; LDSByteSize: 512 bytes/workgroup (compile time only)
; SGPRBlocks: 5
; VGPRBlocks: 10
; NumSGPRsForWavesPerEU: 48
; NumVGPRsForWavesPerEU: 84
; Occupancy: 16
; WaveLimiterHint : 0
; COMPUTE_PGM_RSRC2:SCRATCH_EN: 1
; COMPUTE_PGM_RSRC2:USER_SGPR: 14
; COMPUTE_PGM_RSRC2:TRAP_HANDLER: 0
; COMPUTE_PGM_RSRC2:TGID_X_EN: 1
; COMPUTE_PGM_RSRC2:TGID_Y_EN: 0
; COMPUTE_PGM_RSRC2:TGID_Z_EN: 1
; COMPUTE_PGM_RSRC2:TIDIG_COMP_CNT: 0
	.section	.text._ZL23rocblas_gemvt_sn_reduceILi256ELi8E19rocblas_complex_numIdES1_KPS1_EviT2_lPT3_lilPT1_i,"axG",@progbits,_ZL23rocblas_gemvt_sn_reduceILi256ELi8E19rocblas_complex_numIdES1_KPS1_EviT2_lPT3_lilPT1_i,comdat
	.globl	_ZL23rocblas_gemvt_sn_reduceILi256ELi8E19rocblas_complex_numIdES1_KPS1_EviT2_lPT3_lilPT1_i ; -- Begin function _ZL23rocblas_gemvt_sn_reduceILi256ELi8E19rocblas_complex_numIdES1_KPS1_EviT2_lPT3_lilPT1_i
	.p2align	8
	.type	_ZL23rocblas_gemvt_sn_reduceILi256ELi8E19rocblas_complex_numIdES1_KPS1_EviT2_lPT3_lilPT1_i,@function
_ZL23rocblas_gemvt_sn_reduceILi256ELi8E19rocblas_complex_numIdES1_KPS1_EviT2_lPT3_lilPT1_i: ; @_ZL23rocblas_gemvt_sn_reduceILi256ELi8E19rocblas_complex_numIdES1_KPS1_EviT2_lPT3_lilPT1_i
; %bb.0:
	s_mov_b32 s2, s15
	s_clause 0x2
	s_load_b32 s15, s[0:1], 0x0
	s_load_b128 s[4:7], s[0:1], 0x20
	s_load_b32 s10, s[0:1], 0x54
	s_mov_b32 s3, 0
	v_mov_b32_e32 v1, 0
	s_lshl_b64 s[8:9], s[2:3], 3
	v_dual_mov_b32 v2, 0 :: v_dual_lshlrev_b32 v7, 3, v0
	s_delay_alu instid0(VALU_DEP_1)
	v_dual_mov_b32 v4, v2 :: v_dual_mov_b32 v3, v1
	s_waitcnt lgkmcnt(0)
	s_ashr_i32 s11, s15, 31
	s_add_u32 s4, s4, s8
	s_addc_u32 s5, s5, s9
	s_load_b64 s[12:13], s[0:1], 0x40
	s_load_b64 s[4:5], s[4:5], 0x0
	s_add_u32 s8, s0, 0x50
	s_mul_i32 s2, s10, s2
	s_addc_u32 s9, s1, 0
	s_lshr_b32 s10, s11, 29
	s_add_i32 s2, s2, s14
	s_add_i32 s10, s15, s10
	s_mul_i32 s11, s2, s11
	s_and_b32 s18, s10, -8
	s_mul_hi_u32 s10, s2, s15
	s_mul_i32 s16, s2, s15
	s_add_i32 s17, s10, s11
	s_mov_b32 s10, exec_lo
	v_cmpx_gt_i32_e64 s18, v7
	s_cbranch_execz .LBB357_4
; %bb.1:
	s_load_b32 s2, s[8:9], 0xc
	v_lshlrev_b32_e32 v3, 7, v0
	s_lshl_b64 s[20:21], s[16:17], 4
	v_mov_b32_e32 v1, 0
	v_mov_b32_e32 v2, 0
	s_waitcnt lgkmcnt(0)
	s_and_b32 s2, s2, 0xffff
	s_delay_alu instid0(SALU_CYCLE_1) | instskip(SKIP_3) | instid1(VALU_DEP_1)
	s_lshl_b32 s8, s2, 3
	s_add_u32 s9, s12, s20
	s_addc_u32 s11, s13, s21
	v_add_co_u32 v3, s9, s9, v3
	v_add_co_ci_u32_e64 v4, null, s11, 0, s9
	s_lshl_b32 s9, s2, 7
	s_delay_alu instid0(VALU_DEP_2) | instskip(NEXT) | instid1(VALU_DEP_2)
	v_add_co_u32 v5, vcc_lo, 0x78, v3
	v_add_co_ci_u32_e32 v6, vcc_lo, 0, v4, vcc_lo
	v_dual_mov_b32 v4, v2 :: v_dual_mov_b32 v3, v1
.LBB357_2:                              ; =>This Inner Loop Header: Depth=1
	s_clause 0x7
	global_load_b128 v[8:11], v[5:6], off offset:-120
	global_load_b128 v[12:15], v[5:6], off offset:-104
	;; [unrolled: 1-line block ×8, first 2 shown]
	v_add_nc_u32_e32 v7, s8, v7
	v_add_co_u32 v5, s2, v5, s9
	s_delay_alu instid0(VALU_DEP_1) | instskip(NEXT) | instid1(VALU_DEP_3)
	v_add_co_ci_u32_e64 v6, s2, 0, v6, s2
	v_cmp_le_i32_e32 vcc_lo, s18, v7
	s_or_b32 s3, vcc_lo, s3
	s_waitcnt vmcnt(7)
	v_add_f64 v[3:4], v[3:4], v[8:9]
	v_add_f64 v[1:2], v[1:2], v[10:11]
	s_waitcnt vmcnt(6)
	s_delay_alu instid0(VALU_DEP_2) | instskip(NEXT) | instid1(VALU_DEP_2)
	v_add_f64 v[3:4], v[3:4], v[12:13]
	v_add_f64 v[1:2], v[1:2], v[14:15]
	s_waitcnt vmcnt(5)
	s_delay_alu instid0(VALU_DEP_2) | instskip(NEXT) | instid1(VALU_DEP_2)
	;; [unrolled: 4-line block ×7, first 2 shown]
	v_add_f64 v[3:4], v[3:4], v[36:37]
	v_add_f64 v[1:2], v[1:2], v[38:39]
	s_and_not1_b32 exec_lo, exec_lo, s3
	s_cbranch_execnz .LBB357_2
; %bb.3:
	s_or_b32 exec_lo, exec_lo, s3
.LBB357_4:
	s_delay_alu instid0(SALU_CYCLE_1) | instskip(SKIP_2) | instid1(SALU_CYCLE_1)
	s_or_b32 exec_lo, exec_lo, s10
	s_load_b128 s[8:11], s[0:1], 0x8
	s_sub_i32 s2, s15, s18
	v_cmp_gt_u32_e32 vcc_lo, s2, v0
	s_and_saveexec_b32 s2, vcc_lo
	s_cbranch_execz .LBB357_6
; %bb.5:
	v_xad_u32 v5, v0, -1, s15
	v_mov_b32_e32 v6, 0
	s_lshl_b64 s[16:17], s[16:17], 4
	s_waitcnt lgkmcnt(0)
	s_add_u32 s3, s12, s16
	s_addc_u32 s12, s13, s17
	v_lshlrev_b64 v[5:6], 4, v[5:6]
	s_delay_alu instid0(VALU_DEP_1) | instskip(NEXT) | instid1(VALU_DEP_2)
	v_add_co_u32 v5, vcc_lo, s3, v5
	v_add_co_ci_u32_e32 v6, vcc_lo, s12, v6, vcc_lo
	global_load_b128 v[5:8], v[5:6], off
	s_waitcnt vmcnt(0)
	v_add_f64 v[3:4], v[3:4], v[5:6]
	v_add_f64 v[1:2], v[1:2], v[7:8]
.LBB357_6:
	s_or_b32 exec_lo, exec_lo, s2
	v_and_b32_e32 v13, 31, v0
	v_cmp_gt_u32_e32 vcc_lo, 32, v0
	s_delay_alu instid0(VALU_DEP_2)
	v_lshlrev_b32_e32 v9, 4, v13
	s_and_saveexec_b32 s2, vcc_lo
	s_cbranch_execz .LBB357_8
; %bb.7:
	v_mov_b32_e32 v5, 0
	s_delay_alu instid0(VALU_DEP_1)
	v_mov_b32_e32 v6, v5
	v_mov_b32_e32 v7, v5
	;; [unrolled: 1-line block ×3, first 2 shown]
	ds_store_b128 v9, v[5:8]
.LBB357_8:
	s_or_b32 exec_lo, exec_lo, s2
	v_mbcnt_lo_u32_b32 v12, -1, 0
	s_mov_b32 s3, exec_lo
	s_waitcnt lgkmcnt(0)
	s_barrier
	buffer_gl0_inv
	v_cmp_gt_u32_e64 s2, 16, v12
	s_delay_alu instid0(VALU_DEP_1) | instskip(SKIP_1) | instid1(VALU_DEP_2)
	v_cndmask_b32_e64 v5, 0, 1, s2
	v_cmp_gt_u32_e64 s2, 24, v12
	v_lshlrev_b32_e32 v5, 4, v5
	s_delay_alu instid0(VALU_DEP_1)
	v_add_lshl_u32 v8, v5, v12, 2
	ds_bpermute_b32 v5, v8, v3
	ds_bpermute_b32 v6, v8, v4
	;; [unrolled: 1-line block ×4, first 2 shown]
	s_waitcnt lgkmcnt(2)
	v_add_f64 v[3:4], v[3:4], v[5:6]
	v_cndmask_b32_e64 v5, 0, 1, s2
	s_waitcnt lgkmcnt(0)
	v_add_f64 v[1:2], v[1:2], v[7:8]
	v_cmp_gt_u32_e64 s2, 28, v12
	s_delay_alu instid0(VALU_DEP_3) | instskip(NEXT) | instid1(VALU_DEP_1)
	v_lshlrev_b32_e32 v5, 3, v5
	v_add_lshl_u32 v8, v5, v12, 2
	ds_bpermute_b32 v5, v8, v3
	ds_bpermute_b32 v6, v8, v4
	;; [unrolled: 1-line block ×4, first 2 shown]
	s_waitcnt lgkmcnt(2)
	v_add_f64 v[3:4], v[3:4], v[5:6]
	v_cndmask_b32_e64 v5, 0, 1, s2
	s_waitcnt lgkmcnt(0)
	v_add_f64 v[1:2], v[1:2], v[7:8]
	v_cmp_gt_u32_e64 s2, 30, v12
	s_delay_alu instid0(VALU_DEP_3) | instskip(NEXT) | instid1(VALU_DEP_1)
	v_lshlrev_b32_e32 v5, 2, v5
	v_add_lshl_u32 v10, v5, v12, 2
	ds_bpermute_b32 v5, v10, v3
	ds_bpermute_b32 v6, v10, v4
	;; [unrolled: 1-line block ×4, first 2 shown]
	s_waitcnt lgkmcnt(2)
	v_add_f64 v[3:4], v[3:4], v[5:6]
	s_waitcnt lgkmcnt(0)
	v_add_f64 v[5:6], v[1:2], v[7:8]
	v_cndmask_b32_e64 v1, 0, 1, s2
	v_cmp_ne_u32_e64 s2, 31, v12
	s_delay_alu instid0(VALU_DEP_2) | instskip(NEXT) | instid1(VALU_DEP_1)
	v_lshlrev_b32_e32 v1, 1, v1
	v_add_lshl_u32 v11, v1, v12, 2
	ds_bpermute_b32 v1, v11, v3
	ds_bpermute_b32 v2, v11, v4
	;; [unrolled: 1-line block ×4, first 2 shown]
	s_waitcnt lgkmcnt(2)
	v_add_f64 v[1:2], v[3:4], v[1:2]
	v_add_co_ci_u32_e64 v3, s2, 0, v12, s2
	s_waitcnt lgkmcnt(0)
	v_add_f64 v[5:6], v[5:6], v[7:8]
	s_delay_alu instid0(VALU_DEP_2)
	v_lshlrev_b32_e32 v12, 2, v3
	ds_bpermute_b32 v3, v12, v1
	ds_bpermute_b32 v4, v12, v2
	;; [unrolled: 1-line block ×4, first 2 shown]
	v_cmpx_eq_u32_e32 0, v13
	s_cbranch_execz .LBB357_10
; %bb.9:
	s_waitcnt lgkmcnt(0)
	v_add_f64 v[5:6], v[5:6], v[7:8]
	v_add_f64 v[3:4], v[1:2], v[3:4]
	v_lshrrev_b32_e32 v1, 1, v0
	s_delay_alu instid0(VALU_DEP_1)
	v_and_b32_e32 v1, 0x70, v1
	ds_store_b128 v1, v[3:6]
.LBB357_10:
	s_or_b32 exec_lo, exec_lo, s3
	s_waitcnt lgkmcnt(2)
	v_mov_b32_e32 v3, 0
	v_mov_b32_e32 v4, 0
	s_delay_alu instid0(VALU_DEP_2)
	v_mov_b32_e32 v1, v3
	s_mov_b32 s3, exec_lo
	s_waitcnt lgkmcnt(0)
	s_barrier
	v_mov_b32_e32 v2, v4
	buffer_gl0_inv
	v_cmpx_gt_u32_e32 8, v0
	s_cbranch_execz .LBB357_12
; %bb.11:
	ds_load_b128 v[1:4], v9
.LBB357_12:
	s_or_b32 exec_lo, exec_lo, s3
	s_and_saveexec_b32 s2, vcc_lo
	s_cbranch_execz .LBB357_14
; %bb.13:
	s_waitcnt lgkmcnt(0)
	ds_bpermute_b32 v5, v10, v1
	ds_bpermute_b32 v6, v10, v2
	ds_bpermute_b32 v7, v10, v3
	ds_bpermute_b32 v8, v10, v4
	s_waitcnt lgkmcnt(2)
	v_add_f64 v[1:2], v[1:2], v[5:6]
	s_waitcnt lgkmcnt(0)
	v_add_f64 v[3:4], v[3:4], v[7:8]
	ds_bpermute_b32 v5, v11, v1
	ds_bpermute_b32 v6, v11, v2
	ds_bpermute_b32 v7, v11, v3
	ds_bpermute_b32 v8, v11, v4
	s_waitcnt lgkmcnt(2)
	v_add_f64 v[1:2], v[1:2], v[5:6]
	s_waitcnt lgkmcnt(0)
	v_add_f64 v[3:4], v[3:4], v[7:8]
	;; [unrolled: 8-line block ×3, first 2 shown]
.LBB357_14:
	s_or_b32 exec_lo, exec_lo, s2
	s_delay_alu instid0(SALU_CYCLE_1)
	s_mov_b32 s2, exec_lo
	v_cmpx_eq_u32_e32 0, v0
	s_cbranch_execz .LBB357_18
; %bb.15:
	v_cmp_neq_f64_e64 s12, s[8:9], 0
	v_cmp_neq_f64_e64 s13, s[10:11], 0
	s_load_b32 s15, s[0:1], 0x30
	s_lshl_b64 s[0:1], s[6:7], 4
	s_waitcnt lgkmcnt(0)
	s_ashr_i32 s6, s15, 31
	s_add_u32 s2, s4, s0
	s_addc_u32 s3, s5, s1
	s_mul_hi_u32 s1, s15, s14
	s_mul_i32 s6, s6, s14
	s_delay_alu instid0(SALU_CYCLE_1) | instskip(NEXT) | instid1(VALU_DEP_1)
	s_add_i32 s1, s1, s6
	s_or_b32 s0, s12, s13
	s_delay_alu instid0(SALU_CYCLE_1)
	s_and_not1_b32 vcc_lo, exec_lo, s0
	s_mul_i32 s0, s15, s14
	s_cbranch_vccnz .LBB357_17
; %bb.16:
	s_lshl_b64 s[4:5], s[0:1], 4
	s_delay_alu instid0(SALU_CYCLE_1)
	s_add_u32 s4, s2, s4
	s_addc_u32 s5, s3, s5
	s_load_b128 s[4:7], s[4:5], 0x0
	s_waitcnt lgkmcnt(0)
	v_mul_f64 v[5:6], s[10:11], s[6:7]
	v_mul_f64 v[7:8], s[8:9], s[6:7]
	s_delay_alu instid0(VALU_DEP_2) | instskip(NEXT) | instid1(VALU_DEP_2)
	v_fma_f64 v[5:6], s[8:9], s[4:5], -v[5:6]
	v_fma_f64 v[7:8], s[10:11], s[4:5], v[7:8]
	s_delay_alu instid0(VALU_DEP_2) | instskip(NEXT) | instid1(VALU_DEP_2)
	v_add_f64 v[1:2], v[1:2], v[5:6]
	v_add_f64 v[3:4], v[3:4], v[7:8]
.LBB357_17:
	s_lshl_b64 s[0:1], s[0:1], 4
	v_mov_b32_e32 v0, 0
	s_add_u32 s0, s2, s0
	s_addc_u32 s1, s3, s1
	global_store_b128 v0, v[1:4], s[0:1]
.LBB357_18:
	s_nop 0
	s_sendmsg sendmsg(MSG_DEALLOC_VGPRS)
	s_endpgm
	.section	.rodata,"a",@progbits
	.p2align	6, 0x0
	.amdhsa_kernel _ZL23rocblas_gemvt_sn_reduceILi256ELi8E19rocblas_complex_numIdES1_KPS1_EviT2_lPT3_lilPT1_i
		.amdhsa_group_segment_fixed_size 512
		.amdhsa_private_segment_fixed_size 0
		.amdhsa_kernarg_size 336
		.amdhsa_user_sgpr_count 13
		.amdhsa_user_sgpr_dispatch_ptr 0
		.amdhsa_user_sgpr_queue_ptr 0
		.amdhsa_user_sgpr_kernarg_segment_ptr 1
		.amdhsa_user_sgpr_dispatch_id 0
		.amdhsa_user_sgpr_private_segment_size 0
		.amdhsa_wavefront_size32 1
		.amdhsa_uses_dynamic_stack 0
		.amdhsa_enable_private_segment 0
		.amdhsa_system_sgpr_workgroup_id_x 1
		.amdhsa_system_sgpr_workgroup_id_y 1
		.amdhsa_system_sgpr_workgroup_id_z 1
		.amdhsa_system_sgpr_workgroup_info 0
		.amdhsa_system_vgpr_workitem_id 0
		.amdhsa_next_free_vgpr 40
		.amdhsa_next_free_sgpr 22
		.amdhsa_reserve_vcc 1
		.amdhsa_float_round_mode_32 0
		.amdhsa_float_round_mode_16_64 0
		.amdhsa_float_denorm_mode_32 3
		.amdhsa_float_denorm_mode_16_64 3
		.amdhsa_dx10_clamp 1
		.amdhsa_ieee_mode 1
		.amdhsa_fp16_overflow 0
		.amdhsa_workgroup_processor_mode 1
		.amdhsa_memory_ordered 1
		.amdhsa_forward_progress 0
		.amdhsa_shared_vgpr_count 0
		.amdhsa_exception_fp_ieee_invalid_op 0
		.amdhsa_exception_fp_denorm_src 0
		.amdhsa_exception_fp_ieee_div_zero 0
		.amdhsa_exception_fp_ieee_overflow 0
		.amdhsa_exception_fp_ieee_underflow 0
		.amdhsa_exception_fp_ieee_inexact 0
		.amdhsa_exception_int_div_zero 0
	.end_amdhsa_kernel
	.section	.text._ZL23rocblas_gemvt_sn_reduceILi256ELi8E19rocblas_complex_numIdES1_KPS1_EviT2_lPT3_lilPT1_i,"axG",@progbits,_ZL23rocblas_gemvt_sn_reduceILi256ELi8E19rocblas_complex_numIdES1_KPS1_EviT2_lPT3_lilPT1_i,comdat
.Lfunc_end357:
	.size	_ZL23rocblas_gemvt_sn_reduceILi256ELi8E19rocblas_complex_numIdES1_KPS1_EviT2_lPT3_lilPT1_i, .Lfunc_end357-_ZL23rocblas_gemvt_sn_reduceILi256ELi8E19rocblas_complex_numIdES1_KPS1_EviT2_lPT3_lilPT1_i
                                        ; -- End function
	.section	.AMDGPU.csdata,"",@progbits
; Kernel info:
; codeLenInByte = 1692
; NumSgprs: 24
; NumVgprs: 40
; ScratchSize: 0
; MemoryBound: 1
; FloatMode: 240
; IeeeMode: 1
; LDSByteSize: 512 bytes/workgroup (compile time only)
; SGPRBlocks: 2
; VGPRBlocks: 4
; NumSGPRsForWavesPerEU: 24
; NumVGPRsForWavesPerEU: 40
; Occupancy: 16
; WaveLimiterHint : 1
; COMPUTE_PGM_RSRC2:SCRATCH_EN: 0
; COMPUTE_PGM_RSRC2:USER_SGPR: 13
; COMPUTE_PGM_RSRC2:TRAP_HANDLER: 0
; COMPUTE_PGM_RSRC2:TGID_X_EN: 1
; COMPUTE_PGM_RSRC2:TGID_Y_EN: 1
; COMPUTE_PGM_RSRC2:TGID_Z_EN: 1
; COMPUTE_PGM_RSRC2:TIDIG_COMP_CNT: 0
	.section	.text._ZL32rocblas_gemvt_warp_reduce_kernelILb0ELi256EiPK19rocblas_complex_numIdES3_KPS1_EviiT3_lPKT2_lT1_lS9_lSA_lS6_lPT4_lSA_li,"axG",@progbits,_ZL32rocblas_gemvt_warp_reduce_kernelILb0ELi256EiPK19rocblas_complex_numIdES3_KPS1_EviiT3_lPKT2_lT1_lS9_lSA_lS6_lPT4_lSA_li,comdat
	.globl	_ZL32rocblas_gemvt_warp_reduce_kernelILb0ELi256EiPK19rocblas_complex_numIdES3_KPS1_EviiT3_lPKT2_lT1_lS9_lSA_lS6_lPT4_lSA_li ; -- Begin function _ZL32rocblas_gemvt_warp_reduce_kernelILb0ELi256EiPK19rocblas_complex_numIdES3_KPS1_EviiT3_lPKT2_lT1_lS9_lSA_lS6_lPT4_lSA_li
	.p2align	8
	.type	_ZL32rocblas_gemvt_warp_reduce_kernelILb0ELi256EiPK19rocblas_complex_numIdES3_KPS1_EviiT3_lPKT2_lT1_lS9_lSA_lS6_lPT4_lSA_li,@function
_ZL32rocblas_gemvt_warp_reduce_kernelILb0ELi256EiPK19rocblas_complex_numIdES3_KPS1_EviiT3_lPKT2_lT1_lS9_lSA_lS6_lPT4_lSA_li: ; @_ZL32rocblas_gemvt_warp_reduce_kernelILb0ELi256EiPK19rocblas_complex_numIdES3_KPS1_EviiT3_lPKT2_lT1_lS9_lSA_lS6_lPT4_lSA_li
; %bb.0:
	s_load_b256 s[16:23], s[0:1], 0x8
	s_mov_b32 s2, s15
	s_mov_b64 s[24:25], 0
	s_waitcnt lgkmcnt(0)
	s_mul_i32 s3, s15, s19
	s_mul_hi_u32 s5, s15, s18
	s_mul_i32 s4, s15, s18
	s_add_i32 s5, s5, s3
	s_delay_alu instid0(SALU_CYCLE_1) | instskip(NEXT) | instid1(SALU_CYCLE_1)
	s_lshl_b64 s[4:5], s[4:5], 4
	s_add_u32 s4, s16, s4
	s_addc_u32 s5, s17, s5
	s_load_b128 s[16:19], s[4:5], 0x0
	s_load_b256 s[4:11], s[0:1], 0x58
	s_waitcnt lgkmcnt(0)
	v_cmp_neq_f64_e64 s12, s[16:17], 0
	v_cmp_neq_f64_e64 s13, s[18:19], 0
	s_mul_i32 s3, s15, s7
	s_mul_hi_u32 s7, s15, s6
	s_mul_i32 s6, s15, s6
	s_add_i32 s7, s7, s3
	s_mov_b32 s3, 0
	s_lshl_b64 s[6:7], s[6:7], 4
	s_mov_b32 s15, -1
	s_add_u32 s4, s4, s6
	s_addc_u32 s5, s5, s7
	s_load_b128 s[4:7], s[4:5], 0x0
	s_delay_alu instid0(VALU_DEP_1)
	s_or_b32 s12, s12, s13
	s_mov_b32 s13, s3
	s_and_b32 vcc_lo, exec_lo, s12
	s_cbranch_vccz .LBB358_4
; %bb.1:
	s_and_not1_b32 vcc_lo, exec_lo, s15
	s_cbranch_vccz .LBB358_5
.LBB358_2:
	s_and_not1_b32 vcc_lo, exec_lo, s13
	s_cbranch_vccz .LBB358_6
.LBB358_3:
	s_endpgm
.LBB358_4:
	s_waitcnt lgkmcnt(0)
	v_cmp_neq_f64_e64 s13, s[4:5], 1.0
	v_cmp_neq_f64_e64 s15, s[6:7], 0
	s_delay_alu instid0(VALU_DEP_1)
	s_or_b32 s13, s13, s15
	s_cbranch_execnz .LBB358_2
.LBB358_5:
	s_lshl_b64 s[24:25], s[2:3], 3
	s_delay_alu instid0(SALU_CYCLE_1)
	s_add_u32 s20, s20, s24
	s_addc_u32 s21, s21, s25
	s_lshl_b64 s[22:23], s[22:23], 4
	s_load_b64 s[20:21], s[20:21], 0x0
	s_waitcnt lgkmcnt(0)
	s_add_u32 s24, s20, s22
	s_addc_u32 s25, s21, s23
.LBB358_6:
	v_cndmask_b32_e64 v1, 0, 1, s12
	s_xor_b32 s15, s12, -1
	s_mov_b64 s[12:13], 0
	s_delay_alu instid0(VALU_DEP_1)
	v_cmp_ne_u32_e32 vcc_lo, 1, v1
	s_cbranch_vccnz .LBB358_8
; %bb.7:
	s_load_b128 s[20:23], s[0:1], 0x38
	s_lshl_b64 s[12:13], s[2:3], 3
	s_waitcnt lgkmcnt(0)
	s_add_u32 s12, s20, s12
	s_addc_u32 s13, s21, s13
	s_lshl_b64 s[20:21], s[22:23], 4
	s_load_b64 s[12:13], s[12:13], 0x0
	s_waitcnt lgkmcnt(0)
	s_add_u32 s12, s12, s20
	s_addc_u32 s13, s13, s21
.LBB358_8:
	s_lshl_b64 s[2:3], s[2:3], 3
	s_delay_alu instid0(SALU_CYCLE_1)
	s_add_u32 s2, s8, s2
	s_addc_u32 s3, s9, s3
	s_lshl_b64 s[10:11], s[10:11], 4
	s_load_b64 s[8:9], s[2:3], 0x0
	s_load_b32 s20, s[0:1], 0x78
	v_cmp_eq_u32_e64 s2, 0, v0
	s_waitcnt lgkmcnt(0)
	s_add_u32 s10, s8, s10
	s_addc_u32 s11, s9, s11
	s_and_not1_b32 vcc_lo, exec_lo, s15
	s_cbranch_vccnz .LBB358_13
; %bb.9:
	s_mov_b32 s3, 0
	s_mov_b32 s15, 0
                                        ; implicit-def: $vgpr3_vgpr4
                                        ; implicit-def: $sgpr8_sgpr9
	s_and_saveexec_b32 s21, s2
	s_cbranch_execz .LBB358_14
; %bb.10:
	v_cmp_neq_f64_e64 s2, s[4:5], 0
	v_cmp_neq_f64_e64 s8, s[6:7], 0
	v_mov_b32_e32 v3, 0
	v_mov_b32_e32 v4, 0
	s_delay_alu instid0(VALU_DEP_1) | instskip(NEXT) | instid1(VALU_DEP_4)
	v_dual_mov_b32 v1, v3 :: v_dual_mov_b32 v2, v4
	s_or_b32 s2, s2, s8
	s_mul_i32 s8, s14, s20
	s_and_not1_b32 vcc_lo, exec_lo, s2
	s_ashr_i32 s9, s8, 31
	s_cbranch_vccnz .LBB358_12
; %bb.11:
	s_lshl_b64 s[22:23], s[8:9], 4
	s_delay_alu instid0(SALU_CYCLE_1)
	s_add_u32 s22, s10, s22
	s_addc_u32 s23, s11, s23
	s_load_b128 s[28:31], s[22:23], 0x0
	s_waitcnt lgkmcnt(0)
	v_mul_f64 v[1:2], s[6:7], s[30:31]
	v_mul_f64 v[3:4], s[4:5], s[30:31]
	s_delay_alu instid0(VALU_DEP_2) | instskip(NEXT) | instid1(VALU_DEP_2)
	v_fma_f64 v[1:2], s[4:5], s[28:29], -v[1:2]
	v_fma_f64 v[3:4], s[6:7], s[28:29], v[3:4]
.LBB358_12:
	s_mov_b32 s15, exec_lo
	s_or_b32 exec_lo, exec_lo, s21
	s_delay_alu instid0(SALU_CYCLE_1)
	s_and_b32 vcc_lo, exec_lo, s3
	s_cbranch_vccnz .LBB358_15
	s_branch .LBB358_34
.LBB358_13:
	s_mov_b32 s15, 0
                                        ; implicit-def: $vgpr3_vgpr4
                                        ; implicit-def: $sgpr8_sgpr9
	s_cbranch_execnz .LBB358_15
	s_branch .LBB358_34
.LBB358_14:
	s_or_b32 exec_lo, exec_lo, s21
	s_delay_alu instid0(SALU_CYCLE_1)
	s_and_b32 vcc_lo, exec_lo, s3
	s_cbranch_vccz .LBB358_34
.LBB358_15:
	s_clause 0x2
	s_load_b32 s2, s[0:1], 0x28
	s_load_b32 s3, s[0:1], 0x0
	;; [unrolled: 1-line block ×3, first 2 shown]
	s_waitcnt lgkmcnt(0)
	s_mul_i32 s8, s14, s2
	v_cmp_gt_i32_e32 vcc_lo, s3, v0
	s_ashr_i32 s9, s8, 31
	s_delay_alu instid0(SALU_CYCLE_1)
	s_lshl_b64 s[8:9], s[8:9], 4
	v_cndmask_b32_e32 v1, 0, v0, vcc_lo
	s_add_u32 s0, s8, s24
	s_addc_u32 s8, s9, s25
	s_ashr_i32 s2, s3, 31
	s_mov_b32 s9, 0
	v_lshlrev_b32_e32 v3, 4, v1
	v_mov_b32_e32 v1, 0
	v_mov_b32_e32 v2, 0
	s_lshr_b32 s2, s2, 24
	s_delay_alu instid0(SALU_CYCLE_1) | instskip(SKIP_1) | instid1(VALU_DEP_1)
	s_add_i32 s2, s3, s2
	v_add_co_u32 v5, s0, s0, v3
	v_add_co_ci_u32_e64 v6, null, s8, 0, s0
	v_dual_mov_b32 v4, v2 :: v_dual_mov_b32 v3, v1
	s_and_b32 s2, s2, 0xffffff00
	s_mov_b32 s8, exec_lo
	v_cmpx_gt_i32_e64 s2, v0
	s_cbranch_execz .LBB358_19
; %bb.16:
	v_dual_mov_b32 v1, 0 :: v_dual_mov_b32 v10, v6
	v_dual_mov_b32 v2, 0 :: v_dual_mov_b32 v9, v5
	v_mul_lo_u32 v7, v0, s1
	v_mov_b32_e32 v11, v0
	s_lshl_b32 s21, s1, 8
	s_delay_alu instid0(VALU_DEP_3)
	v_dual_mov_b32 v4, v2 :: v_dual_mov_b32 v3, v1
	s_set_inst_prefetch_distance 0x1
	.p2align	6
.LBB358_17:                             ; =>This Inner Loop Header: Depth=1
	s_delay_alu instid0(VALU_DEP_3) | instskip(SKIP_1) | instid1(VALU_DEP_2)
	v_ashrrev_i32_e32 v8, 31, v7
	v_add_nc_u32_e32 v11, 0x100, v11
	v_lshlrev_b64 v[12:13], 4, v[7:8]
	s_delay_alu instid0(VALU_DEP_2) | instskip(SKIP_1) | instid1(VALU_DEP_2)
	v_cmp_le_i32_e64 s0, s2, v11
	v_add_nc_u32_e32 v7, s21, v7
	s_or_b32 s9, s0, s9
	s_delay_alu instid0(VALU_DEP_3) | instskip(NEXT) | instid1(VALU_DEP_4)
	v_add_co_u32 v16, vcc_lo, s12, v12
	v_add_co_ci_u32_e32 v17, vcc_lo, s13, v13, vcc_lo
	flat_load_b128 v[12:15], v[9:10]
	flat_load_b128 v[16:19], v[16:17]
	v_add_co_u32 v9, vcc_lo, 0x1000, v9
	v_add_co_ci_u32_e32 v10, vcc_lo, 0, v10, vcc_lo
	s_waitcnt vmcnt(0) lgkmcnt(0)
	v_mul_f64 v[20:21], v[14:15], v[18:19]
	v_mul_f64 v[18:19], v[12:13], v[18:19]
	s_delay_alu instid0(VALU_DEP_2) | instskip(NEXT) | instid1(VALU_DEP_2)
	v_fma_f64 v[12:13], v[12:13], v[16:17], -v[20:21]
	v_fma_f64 v[14:15], v[14:15], v[16:17], v[18:19]
	s_delay_alu instid0(VALU_DEP_2) | instskip(NEXT) | instid1(VALU_DEP_2)
	v_add_f64 v[3:4], v[3:4], v[12:13]
	v_add_f64 v[1:2], v[1:2], v[14:15]
	s_and_not1_b32 exec_lo, exec_lo, s9
	s_cbranch_execnz .LBB358_17
; %bb.18:
	s_set_inst_prefetch_distance 0x2
	s_or_b32 exec_lo, exec_lo, s9
.LBB358_19:
	s_delay_alu instid0(SALU_CYCLE_1) | instskip(SKIP_2) | instid1(VALU_DEP_1)
	s_or_b32 exec_lo, exec_lo, s8
	v_add_nc_u32_e32 v7, s2, v0
	s_mov_b32 s0, exec_lo
	v_cmpx_gt_i32_e64 s3, v7
	s_cbranch_execz .LBB358_21
; %bb.20:
	v_mul_lo_u32 v7, v7, s1
	s_ashr_i32 s3, s2, 31
	s_delay_alu instid0(SALU_CYCLE_1) | instskip(NEXT) | instid1(SALU_CYCLE_1)
	s_lshl_b64 s[2:3], s[2:3], 4
	v_add_co_u32 v5, vcc_lo, v5, s2
	v_add_co_ci_u32_e32 v6, vcc_lo, s3, v6, vcc_lo
	s_delay_alu instid0(VALU_DEP_3) | instskip(NEXT) | instid1(VALU_DEP_1)
	v_ashrrev_i32_e32 v8, 31, v7
	v_lshlrev_b64 v[7:8], 4, v[7:8]
	s_delay_alu instid0(VALU_DEP_1) | instskip(NEXT) | instid1(VALU_DEP_2)
	v_add_co_u32 v9, vcc_lo, s12, v7
	v_add_co_ci_u32_e32 v10, vcc_lo, s13, v8, vcc_lo
	flat_load_b128 v[5:8], v[5:6]
	flat_load_b128 v[9:12], v[9:10]
	s_waitcnt vmcnt(0) lgkmcnt(0)
	v_mul_f64 v[13:14], v[7:8], v[11:12]
	v_mul_f64 v[11:12], v[5:6], v[11:12]
	s_delay_alu instid0(VALU_DEP_2) | instskip(NEXT) | instid1(VALU_DEP_2)
	v_fma_f64 v[5:6], v[5:6], v[9:10], -v[13:14]
	v_fma_f64 v[7:8], v[7:8], v[9:10], v[11:12]
	s_delay_alu instid0(VALU_DEP_2) | instskip(NEXT) | instid1(VALU_DEP_2)
	v_add_f64 v[3:4], v[3:4], v[5:6]
	v_add_f64 v[1:2], v[1:2], v[7:8]
.LBB358_21:
	s_or_b32 exec_lo, exec_lo, s0
	v_and_b32_e32 v13, 31, v0
	v_cmp_gt_u32_e32 vcc_lo, 32, v0
	s_delay_alu instid0(VALU_DEP_2)
	v_lshlrev_b32_e32 v9, 4, v13
	s_and_saveexec_b32 s0, vcc_lo
	s_cbranch_execz .LBB358_23
; %bb.22:
	v_mov_b32_e32 v5, 0
	s_delay_alu instid0(VALU_DEP_1)
	v_mov_b32_e32 v6, v5
	v_mov_b32_e32 v7, v5
	;; [unrolled: 1-line block ×3, first 2 shown]
	ds_store_b128 v9, v[5:8]
.LBB358_23:
	s_or_b32 exec_lo, exec_lo, s0
	v_mbcnt_lo_u32_b32 v12, -1, 0
	s_mov_b32 s1, exec_lo
	s_waitcnt lgkmcnt(0)
	s_barrier
	buffer_gl0_inv
	v_cmp_gt_u32_e64 s0, 16, v12
	s_delay_alu instid0(VALU_DEP_1) | instskip(SKIP_1) | instid1(VALU_DEP_2)
	v_cndmask_b32_e64 v5, 0, 1, s0
	v_cmp_gt_u32_e64 s0, 24, v12
	v_lshlrev_b32_e32 v5, 4, v5
	s_delay_alu instid0(VALU_DEP_1)
	v_add_lshl_u32 v8, v5, v12, 2
	ds_bpermute_b32 v5, v8, v3
	ds_bpermute_b32 v6, v8, v4
	;; [unrolled: 1-line block ×4, first 2 shown]
	s_waitcnt lgkmcnt(2)
	v_add_f64 v[3:4], v[3:4], v[5:6]
	v_cndmask_b32_e64 v5, 0, 1, s0
	s_waitcnt lgkmcnt(0)
	v_add_f64 v[1:2], v[1:2], v[7:8]
	v_cmp_gt_u32_e64 s0, 28, v12
	s_delay_alu instid0(VALU_DEP_3) | instskip(NEXT) | instid1(VALU_DEP_1)
	v_lshlrev_b32_e32 v5, 3, v5
	v_add_lshl_u32 v8, v5, v12, 2
	ds_bpermute_b32 v5, v8, v3
	ds_bpermute_b32 v6, v8, v4
	ds_bpermute_b32 v7, v8, v1
	ds_bpermute_b32 v8, v8, v2
	s_waitcnt lgkmcnt(2)
	v_add_f64 v[3:4], v[3:4], v[5:6]
	v_cndmask_b32_e64 v5, 0, 1, s0
	s_waitcnt lgkmcnt(0)
	v_add_f64 v[1:2], v[1:2], v[7:8]
	v_cmp_gt_u32_e64 s0, 30, v12
	s_delay_alu instid0(VALU_DEP_3) | instskip(NEXT) | instid1(VALU_DEP_1)
	v_lshlrev_b32_e32 v5, 2, v5
	v_add_lshl_u32 v10, v5, v12, 2
	ds_bpermute_b32 v5, v10, v3
	ds_bpermute_b32 v6, v10, v4
	;; [unrolled: 1-line block ×4, first 2 shown]
	s_waitcnt lgkmcnt(2)
	v_add_f64 v[3:4], v[3:4], v[5:6]
	s_waitcnt lgkmcnt(0)
	v_add_f64 v[5:6], v[1:2], v[7:8]
	v_cndmask_b32_e64 v1, 0, 1, s0
	v_cmp_ne_u32_e64 s0, 31, v12
	s_delay_alu instid0(VALU_DEP_2) | instskip(NEXT) | instid1(VALU_DEP_1)
	v_lshlrev_b32_e32 v1, 1, v1
	v_add_lshl_u32 v11, v1, v12, 2
	ds_bpermute_b32 v1, v11, v3
	ds_bpermute_b32 v2, v11, v4
	;; [unrolled: 1-line block ×4, first 2 shown]
	s_waitcnt lgkmcnt(2)
	v_add_f64 v[1:2], v[3:4], v[1:2]
	v_add_co_ci_u32_e64 v3, s0, 0, v12, s0
	s_waitcnt lgkmcnt(0)
	v_add_f64 v[5:6], v[5:6], v[7:8]
	s_delay_alu instid0(VALU_DEP_2)
	v_lshlrev_b32_e32 v12, 2, v3
	ds_bpermute_b32 v3, v12, v1
	ds_bpermute_b32 v4, v12, v2
	;; [unrolled: 1-line block ×4, first 2 shown]
	v_cmpx_eq_u32_e32 0, v13
	s_cbranch_execz .LBB358_25
; %bb.24:
	s_waitcnt lgkmcnt(0)
	v_add_f64 v[5:6], v[5:6], v[7:8]
	v_add_f64 v[3:4], v[1:2], v[3:4]
	v_lshrrev_b32_e32 v1, 1, v0
	s_delay_alu instid0(VALU_DEP_1)
	v_and_b32_e32 v1, 0x70, v1
	ds_store_b128 v1, v[3:6]
.LBB358_25:
	s_or_b32 exec_lo, exec_lo, s1
	s_waitcnt lgkmcnt(0)
	v_mov_b32_e32 v7, 0
	v_mov_b32_e32 v8, 0
	s_delay_alu instid0(VALU_DEP_2) | instskip(SKIP_2) | instid1(VALU_DEP_2)
	v_mov_b32_e32 v5, v7
	s_mov_b32 s1, exec_lo
	s_barrier
	v_mov_b32_e32 v6, v8
	buffer_gl0_inv
	v_cmpx_gt_u32_e32 8, v0
	s_cbranch_execz .LBB358_27
; %bb.26:
	ds_load_b128 v[5:8], v9
.LBB358_27:
	s_or_b32 exec_lo, exec_lo, s1
	s_and_saveexec_b32 s0, vcc_lo
	s_cbranch_execz .LBB358_29
; %bb.28:
	s_waitcnt lgkmcnt(0)
	ds_bpermute_b32 v1, v10, v5
	ds_bpermute_b32 v2, v10, v6
	ds_bpermute_b32 v3, v10, v7
	ds_bpermute_b32 v4, v10, v8
	s_waitcnt lgkmcnt(2)
	v_add_f64 v[1:2], v[5:6], v[1:2]
	s_waitcnt lgkmcnt(0)
	v_add_f64 v[3:4], v[7:8], v[3:4]
	ds_bpermute_b32 v5, v11, v1
	ds_bpermute_b32 v6, v11, v2
	ds_bpermute_b32 v7, v11, v3
	ds_bpermute_b32 v8, v11, v4
	s_waitcnt lgkmcnt(2)
	v_add_f64 v[1:2], v[1:2], v[5:6]
	s_waitcnt lgkmcnt(0)
	v_add_f64 v[3:4], v[3:4], v[7:8]
	;; [unrolled: 8-line block ×3, first 2 shown]
.LBB358_29:
	s_or_b32 exec_lo, exec_lo, s0
	s_delay_alu instid0(SALU_CYCLE_1)
	s_mov_b32 s0, exec_lo
                                        ; implicit-def: $vgpr3_vgpr4
                                        ; implicit-def: $sgpr8_sgpr9
	v_cmpx_eq_u32_e32 0, v0
	s_cbranch_execz .LBB358_33
; %bb.30:
	s_waitcnt lgkmcnt(0)
	s_delay_alu instid0(VALU_DEP_2) | instskip(SKIP_4) | instid1(SALU_CYCLE_1)
	v_mul_f64 v[0:1], s[18:19], v[7:8]
	v_mul_f64 v[3:4], s[16:17], v[7:8]
	v_cmp_neq_f64_e64 s1, s[4:5], 0
	v_cmp_neq_f64_e64 s2, s[6:7], 0
	s_mul_i32 s8, s14, s20
	s_ashr_i32 s9, s8, 31
	s_delay_alu instid0(VALU_DEP_4) | instskip(NEXT) | instid1(VALU_DEP_4)
	v_fma_f64 v[1:2], s[16:17], v[5:6], -v[0:1]
	v_fma_f64 v[3:4], s[18:19], v[5:6], v[3:4]
	s_delay_alu instid0(VALU_DEP_3) | instskip(NEXT) | instid1(SALU_CYCLE_1)
	s_or_b32 s1, s1, s2
	s_and_not1_b32 vcc_lo, exec_lo, s1
	s_cbranch_vccnz .LBB358_32
; %bb.31:
	s_lshl_b64 s[2:3], s[8:9], 4
	s_delay_alu instid0(SALU_CYCLE_1)
	s_add_u32 s2, s10, s2
	s_addc_u32 s3, s11, s3
	s_load_b128 s[16:19], s[2:3], 0x0
	s_waitcnt lgkmcnt(0)
	v_mul_f64 v[5:6], s[6:7], s[18:19]
	v_mul_f64 v[7:8], s[4:5], s[18:19]
	s_delay_alu instid0(VALU_DEP_2) | instskip(NEXT) | instid1(VALU_DEP_2)
	v_fma_f64 v[5:6], s[4:5], s[16:17], -v[5:6]
	v_fma_f64 v[7:8], s[6:7], s[16:17], v[7:8]
	s_delay_alu instid0(VALU_DEP_2) | instskip(NEXT) | instid1(VALU_DEP_2)
	v_add_f64 v[1:2], v[1:2], v[5:6]
	v_add_f64 v[3:4], v[3:4], v[7:8]
.LBB358_32:
	s_or_b32 s15, s15, exec_lo
.LBB358_33:
	s_or_b32 exec_lo, exec_lo, s0
.LBB358_34:
	s_and_saveexec_b32 s0, s15
	s_cbranch_execz .LBB358_3
; %bb.35:
	s_lshl_b64 s[0:1], s[8:9], 4
	v_mov_b32_e32 v0, 0
	s_add_u32 s0, s10, s0
	s_addc_u32 s1, s11, s1
	global_store_b128 v0, v[1:4], s[0:1]
	s_nop 0
	s_sendmsg sendmsg(MSG_DEALLOC_VGPRS)
	s_endpgm
	.section	.rodata,"a",@progbits
	.p2align	6, 0x0
	.amdhsa_kernel _ZL32rocblas_gemvt_warp_reduce_kernelILb0ELi256EiPK19rocblas_complex_numIdES3_KPS1_EviiT3_lPKT2_lT1_lS9_lSA_lS6_lPT4_lSA_li
		.amdhsa_group_segment_fixed_size 512
		.amdhsa_private_segment_fixed_size 0
		.amdhsa_kernarg_size 140
		.amdhsa_user_sgpr_count 14
		.amdhsa_user_sgpr_dispatch_ptr 0
		.amdhsa_user_sgpr_queue_ptr 0
		.amdhsa_user_sgpr_kernarg_segment_ptr 1
		.amdhsa_user_sgpr_dispatch_id 0
		.amdhsa_user_sgpr_private_segment_size 0
		.amdhsa_wavefront_size32 1
		.amdhsa_uses_dynamic_stack 0
		.amdhsa_enable_private_segment 0
		.amdhsa_system_sgpr_workgroup_id_x 1
		.amdhsa_system_sgpr_workgroup_id_y 0
		.amdhsa_system_sgpr_workgroup_id_z 1
		.amdhsa_system_sgpr_workgroup_info 0
		.amdhsa_system_vgpr_workitem_id 0
		.amdhsa_next_free_vgpr 22
		.amdhsa_next_free_sgpr 32
		.amdhsa_reserve_vcc 1
		.amdhsa_float_round_mode_32 0
		.amdhsa_float_round_mode_16_64 0
		.amdhsa_float_denorm_mode_32 3
		.amdhsa_float_denorm_mode_16_64 3
		.amdhsa_dx10_clamp 1
		.amdhsa_ieee_mode 1
		.amdhsa_fp16_overflow 0
		.amdhsa_workgroup_processor_mode 1
		.amdhsa_memory_ordered 1
		.amdhsa_forward_progress 0
		.amdhsa_shared_vgpr_count 0
		.amdhsa_exception_fp_ieee_invalid_op 0
		.amdhsa_exception_fp_denorm_src 0
		.amdhsa_exception_fp_ieee_div_zero 0
		.amdhsa_exception_fp_ieee_overflow 0
		.amdhsa_exception_fp_ieee_underflow 0
		.amdhsa_exception_fp_ieee_inexact 0
		.amdhsa_exception_int_div_zero 0
	.end_amdhsa_kernel
	.section	.text._ZL32rocblas_gemvt_warp_reduce_kernelILb0ELi256EiPK19rocblas_complex_numIdES3_KPS1_EviiT3_lPKT2_lT1_lS9_lSA_lS6_lPT4_lSA_li,"axG",@progbits,_ZL32rocblas_gemvt_warp_reduce_kernelILb0ELi256EiPK19rocblas_complex_numIdES3_KPS1_EviiT3_lPKT2_lT1_lS9_lSA_lS6_lPT4_lSA_li,comdat
.Lfunc_end358:
	.size	_ZL32rocblas_gemvt_warp_reduce_kernelILb0ELi256EiPK19rocblas_complex_numIdES3_KPS1_EviiT3_lPKT2_lT1_lS9_lSA_lS6_lPT4_lSA_li, .Lfunc_end358-_ZL32rocblas_gemvt_warp_reduce_kernelILb0ELi256EiPK19rocblas_complex_numIdES3_KPS1_EviiT3_lPKT2_lT1_lS9_lSA_lS6_lPT4_lSA_li
                                        ; -- End function
	.section	.AMDGPU.csdata,"",@progbits
; Kernel info:
; codeLenInByte = 2136
; NumSgprs: 34
; NumVgprs: 22
; ScratchSize: 0
; MemoryBound: 0
; FloatMode: 240
; IeeeMode: 1
; LDSByteSize: 512 bytes/workgroup (compile time only)
; SGPRBlocks: 4
; VGPRBlocks: 2
; NumSGPRsForWavesPerEU: 34
; NumVGPRsForWavesPerEU: 22
; Occupancy: 16
; WaveLimiterHint : 1
; COMPUTE_PGM_RSRC2:SCRATCH_EN: 0
; COMPUTE_PGM_RSRC2:USER_SGPR: 14
; COMPUTE_PGM_RSRC2:TRAP_HANDLER: 0
; COMPUTE_PGM_RSRC2:TGID_X_EN: 1
; COMPUTE_PGM_RSRC2:TGID_Y_EN: 0
; COMPUTE_PGM_RSRC2:TGID_Z_EN: 1
; COMPUTE_PGM_RSRC2:TIDIG_COMP_CNT: 0
	.section	.text._ZL32rocblas_gemvt_warp_reduce_kernelILb0ELi256ElPK19rocblas_complex_numIdES3_KPS1_EviiT3_lPKT2_lT1_lS9_lSA_lS6_lPT4_lSA_li,"axG",@progbits,_ZL32rocblas_gemvt_warp_reduce_kernelILb0ELi256ElPK19rocblas_complex_numIdES3_KPS1_EviiT3_lPKT2_lT1_lS9_lSA_lS6_lPT4_lSA_li,comdat
	.globl	_ZL32rocblas_gemvt_warp_reduce_kernelILb0ELi256ElPK19rocblas_complex_numIdES3_KPS1_EviiT3_lPKT2_lT1_lS9_lSA_lS6_lPT4_lSA_li ; -- Begin function _ZL32rocblas_gemvt_warp_reduce_kernelILb0ELi256ElPK19rocblas_complex_numIdES3_KPS1_EviiT3_lPKT2_lT1_lS9_lSA_lS6_lPT4_lSA_li
	.p2align	8
	.type	_ZL32rocblas_gemvt_warp_reduce_kernelILb0ELi256ElPK19rocblas_complex_numIdES3_KPS1_EviiT3_lPKT2_lT1_lS9_lSA_lS6_lPT4_lSA_li,@function
_ZL32rocblas_gemvt_warp_reduce_kernelILb0ELi256ElPK19rocblas_complex_numIdES3_KPS1_EviiT3_lPKT2_lT1_lS9_lSA_lS6_lPT4_lSA_li: ; @_ZL32rocblas_gemvt_warp_reduce_kernelILb0ELi256ElPK19rocblas_complex_numIdES3_KPS1_EviiT3_lPKT2_lT1_lS9_lSA_lS6_lPT4_lSA_li
; %bb.0:
	s_load_b256 s[16:23], s[0:1], 0x8
	s_mov_b32 s2, s15
	s_mov_b64 s[30:31], 0
	s_waitcnt lgkmcnt(0)
	s_mul_i32 s3, s15, s19
	s_mul_hi_u32 s5, s15, s18
	s_mul_i32 s4, s15, s18
	s_add_i32 s5, s5, s3
	s_delay_alu instid0(SALU_CYCLE_1) | instskip(NEXT) | instid1(SALU_CYCLE_1)
	s_lshl_b64 s[4:5], s[4:5], 4
	s_add_u32 s4, s16, s4
	s_addc_u32 s5, s17, s5
	s_load_b128 s[16:19], s[4:5], 0x0
	s_load_b256 s[4:11], s[0:1], 0x58
	s_waitcnt lgkmcnt(0)
	v_cmp_neq_f64_e64 s12, s[16:17], 0
	v_cmp_neq_f64_e64 s13, s[18:19], 0
	s_mul_i32 s3, s15, s7
	s_mul_hi_u32 s7, s15, s6
	s_mul_i32 s6, s15, s6
	s_add_i32 s7, s7, s3
	s_mov_b32 s3, 0
	s_lshl_b64 s[6:7], s[6:7], 4
	s_delay_alu instid0(SALU_CYCLE_1) | instskip(SKIP_3) | instid1(VALU_DEP_1)
	s_add_u32 s4, s4, s6
	s_addc_u32 s5, s5, s7
	s_load_b64 s[28:29], s[0:1], 0x28
	s_load_b128 s[4:7], s[4:5], 0x0
	s_or_b32 s15, s12, s13
	s_mov_b32 s13, -1
	s_and_b32 vcc_lo, exec_lo, s15
	s_mov_b32 s12, s3
	s_cbranch_vccz .LBB359_4
; %bb.1:
	s_and_not1_b32 vcc_lo, exec_lo, s13
	s_cbranch_vccz .LBB359_5
.LBB359_2:
	s_and_not1_b32 vcc_lo, exec_lo, s12
	s_cbranch_vccz .LBB359_6
.LBB359_3:
	s_endpgm
.LBB359_4:
	s_waitcnt lgkmcnt(0)
	v_cmp_neq_f64_e64 s12, s[4:5], 1.0
	v_cmp_neq_f64_e64 s13, s[6:7], 0
	s_delay_alu instid0(VALU_DEP_1)
	s_or_b32 s12, s12, s13
	s_cbranch_execnz .LBB359_2
.LBB359_5:
	s_lshl_b64 s[12:13], s[2:3], 3
	s_delay_alu instid0(SALU_CYCLE_1)
	s_add_u32 s12, s20, s12
	s_addc_u32 s13, s21, s13
	s_lshl_b64 s[20:21], s[22:23], 4
	s_load_b64 s[12:13], s[12:13], 0x0
	s_waitcnt lgkmcnt(0)
	s_add_u32 s30, s12, s20
	s_addc_u32 s31, s13, s21
.LBB359_6:
	s_clause 0x2
	s_load_b64 s[12:13], s[0:1], 0x78
	s_load_b128 s[20:23], s[0:1], 0x38
	s_load_b64 s[24:25], s[0:1], 0x48
	v_cndmask_b32_e64 v1, 0, 1, s15
	s_xor_b32 s15, s15, -1
	s_mov_b64 s[26:27], 0
	s_delay_alu instid0(VALU_DEP_1)
	v_cmp_ne_u32_e32 vcc_lo, 1, v1
	s_cbranch_vccnz .LBB359_8
; %bb.7:
	s_lshl_b64 s[26:27], s[2:3], 3
	s_waitcnt lgkmcnt(0)
	s_add_u32 s20, s20, s26
	s_addc_u32 s21, s21, s27
	s_lshl_b64 s[22:23], s[22:23], 4
	s_load_b64 s[20:21], s[20:21], 0x0
	s_waitcnt lgkmcnt(0)
	s_add_u32 s26, s20, s22
	s_addc_u32 s27, s21, s23
.LBB359_8:
	s_lshl_b64 s[2:3], s[2:3], 3
	s_delay_alu instid0(SALU_CYCLE_1)
	s_add_u32 s2, s8, s2
	s_addc_u32 s3, s9, s3
	s_lshl_b64 s[10:11], s[10:11], 4
	s_load_b64 s[8:9], s[2:3], 0x0
	v_cmp_eq_u32_e64 s2, 0, v0
	s_waitcnt lgkmcnt(0)
	s_add_u32 s10, s8, s10
	s_addc_u32 s11, s9, s11
	s_and_not1_b32 vcc_lo, exec_lo, s15
	s_cbranch_vccnz .LBB359_13
; %bb.9:
	s_mov_b32 s3, 0
	s_mov_b32 s15, 0
                                        ; implicit-def: $vgpr3_vgpr4
                                        ; implicit-def: $sgpr8_sgpr9
	s_and_saveexec_b32 s20, s2
	s_cbranch_execz .LBB359_14
; %bb.10:
	v_cmp_neq_f64_e64 s2, s[4:5], 0
	v_cmp_neq_f64_e64 s8, s[6:7], 0
	v_mov_b32_e32 v3, 0
	v_mov_b32_e32 v4, 0
	s_mul_i32 s9, s14, s13
	s_mul_hi_u32 s15, s14, s12
	s_delay_alu instid0(VALU_DEP_2)
	v_mov_b32_e32 v1, v3
	s_add_i32 s9, s15, s9
	v_mov_b32_e32 v2, v4
	s_or_b32 s2, s2, s8
	s_ashr_i32 s8, s14, 31
	s_and_not1_b32 vcc_lo, exec_lo, s2
	s_mul_i32 s8, s8, s12
	s_delay_alu instid0(SALU_CYCLE_1)
	s_add_i32 s9, s9, s8
	s_mul_i32 s8, s14, s12
	s_cbranch_vccnz .LBB359_12
; %bb.11:
	s_lshl_b64 s[22:23], s[8:9], 4
	s_delay_alu instid0(SALU_CYCLE_1)
	s_add_u32 s22, s10, s22
	s_addc_u32 s23, s11, s23
	s_load_b128 s[36:39], s[22:23], 0x0
	s_waitcnt lgkmcnt(0)
	v_mul_f64 v[1:2], s[6:7], s[38:39]
	v_mul_f64 v[3:4], s[4:5], s[38:39]
	s_delay_alu instid0(VALU_DEP_2) | instskip(NEXT) | instid1(VALU_DEP_2)
	v_fma_f64 v[1:2], s[4:5], s[36:37], -v[1:2]
	v_fma_f64 v[3:4], s[6:7], s[36:37], v[3:4]
.LBB359_12:
	s_mov_b32 s15, exec_lo
	s_or_b32 exec_lo, exec_lo, s20
	s_delay_alu instid0(SALU_CYCLE_1)
	s_and_b32 vcc_lo, exec_lo, s3
	s_cbranch_vccnz .LBB359_15
	s_branch .LBB359_34
.LBB359_13:
	s_mov_b32 s15, 0
                                        ; implicit-def: $vgpr3_vgpr4
                                        ; implicit-def: $sgpr8_sgpr9
	s_cbranch_execnz .LBB359_15
	s_branch .LBB359_34
.LBB359_14:
	s_or_b32 exec_lo, exec_lo, s20
	s_delay_alu instid0(SALU_CYCLE_1)
	s_and_b32 vcc_lo, exec_lo, s3
	s_cbranch_vccz .LBB359_34
.LBB359_15:
	s_load_b32 s3, s[0:1], 0x0
	s_mul_i32 s0, s14, s29
	s_mul_hi_u32 s2, s14, s28
	s_ashr_i32 s1, s14, 31
	s_add_i32 s0, s2, s0
	s_mul_i32 s2, s1, s28
	s_mul_i32 s8, s14, s28
	s_add_i32 s9, s0, s2
	s_mov_b32 s21, 0
	s_lshl_b64 s[8:9], s[8:9], 4
	s_mov_b32 s20, exec_lo
	s_add_u32 s0, s8, s30
	s_addc_u32 s8, s9, s31
	s_waitcnt lgkmcnt(0)
	v_cmp_gt_i32_e32 vcc_lo, s3, v0
	s_ashr_i32 s2, s3, 31
	s_delay_alu instid0(SALU_CYCLE_1) | instskip(NEXT) | instid1(SALU_CYCLE_1)
	s_lshr_b32 s2, s2, 24
	s_add_i32 s2, s3, s2
	v_cndmask_b32_e32 v1, 0, v0, vcc_lo
	s_and_b32 s2, s2, 0xffffff00
	s_delay_alu instid0(VALU_DEP_1) | instskip(SKIP_2) | instid1(VALU_DEP_3)
	v_lshlrev_b32_e32 v3, 4, v1
	v_mov_b32_e32 v1, 0
	v_mov_b32_e32 v2, 0
	v_add_co_u32 v5, s0, s0, v3
	s_delay_alu instid0(VALU_DEP_1) | instskip(NEXT) | instid1(VALU_DEP_3)
	v_add_co_ci_u32_e64 v6, null, s8, 0, s0
	v_dual_mov_b32 v4, v2 :: v_dual_mov_b32 v3, v1
	v_cmpx_gt_i32_e64 s2, v0
	s_cbranch_execz .LBB359_19
; %bb.16:
	v_mad_u64_u32 v[1:2], null, s24, v0, 0
	v_mov_b32_e32 v8, v6
	s_lshl_b64 s[8:9], s[24:25], 12
	v_mov_b32_e32 v7, v5
	v_mov_b32_e32 v11, v0
	s_delay_alu instid0(VALU_DEP_4) | instskip(NEXT) | instid1(VALU_DEP_1)
	v_mad_u64_u32 v[3:4], null, s25, v0, v[2:3]
	v_mov_b32_e32 v2, v3
	s_delay_alu instid0(VALU_DEP_1) | instskip(SKIP_2) | instid1(VALU_DEP_3)
	v_lshlrev_b64 v[3:4], 4, v[1:2]
	v_mov_b32_e32 v1, 0
	v_mov_b32_e32 v2, 0
	v_add_co_u32 v9, vcc_lo, s26, v3
	s_delay_alu instid0(VALU_DEP_4) | instskip(NEXT) | instid1(VALU_DEP_3)
	v_add_co_ci_u32_e32 v10, vcc_lo, s27, v4, vcc_lo
	v_dual_mov_b32 v4, v2 :: v_dual_mov_b32 v3, v1
	.p2align	6
.LBB359_17:                             ; =>This Inner Loop Header: Depth=1
	flat_load_b128 v[12:15], v[7:8]
	flat_load_b128 v[16:19], v[9:10]
	v_add_nc_u32_e32 v11, 0x100, v11
	v_add_co_u32 v7, vcc_lo, 0x1000, v7
	v_add_co_ci_u32_e32 v8, vcc_lo, 0, v8, vcc_lo
	s_delay_alu instid0(VALU_DEP_3) | instskip(SKIP_1) | instid1(VALU_DEP_1)
	v_cmp_le_i32_e32 vcc_lo, s2, v11
	v_add_co_u32 v9, s0, v9, s8
	v_add_co_ci_u32_e64 v10, s0, s9, v10, s0
	s_or_b32 s21, vcc_lo, s21
	s_waitcnt vmcnt(0) lgkmcnt(0)
	v_mul_f64 v[20:21], v[14:15], v[18:19]
	v_mul_f64 v[18:19], v[12:13], v[18:19]
	s_delay_alu instid0(VALU_DEP_2) | instskip(NEXT) | instid1(VALU_DEP_2)
	v_fma_f64 v[12:13], v[12:13], v[16:17], -v[20:21]
	v_fma_f64 v[14:15], v[14:15], v[16:17], v[18:19]
	s_delay_alu instid0(VALU_DEP_2) | instskip(NEXT) | instid1(VALU_DEP_2)
	v_add_f64 v[3:4], v[3:4], v[12:13]
	v_add_f64 v[1:2], v[1:2], v[14:15]
	s_and_not1_b32 exec_lo, exec_lo, s21
	s_cbranch_execnz .LBB359_17
; %bb.18:
	s_or_b32 exec_lo, exec_lo, s21
.LBB359_19:
	s_delay_alu instid0(SALU_CYCLE_1) | instskip(SKIP_2) | instid1(VALU_DEP_1)
	s_or_b32 exec_lo, exec_lo, s20
	v_add_nc_u32_e32 v7, s2, v0
	s_mov_b32 s0, exec_lo
	v_cmpx_gt_i32_e64 s3, v7
	s_cbranch_execz .LBB359_21
; %bb.20:
	v_ashrrev_i32_e32 v10, 31, v7
	v_mul_lo_u32 v11, v7, s25
	v_mad_u64_u32 v[8:9], null, v7, s24, 0
	s_ashr_i32 s3, s2, 31
	s_delay_alu instid0(VALU_DEP_3) | instskip(SKIP_1) | instid1(SALU_CYCLE_1)
	v_mul_lo_u32 v7, v10, s24
	s_lshl_b64 s[2:3], s[2:3], 4
	v_add_co_u32 v5, vcc_lo, v5, s2
	v_add_co_ci_u32_e32 v6, vcc_lo, s3, v6, vcc_lo
	s_delay_alu instid0(VALU_DEP_3) | instskip(NEXT) | instid1(VALU_DEP_1)
	v_add3_u32 v9, v9, v11, v7
	v_lshlrev_b64 v[7:8], 4, v[8:9]
	s_delay_alu instid0(VALU_DEP_1) | instskip(NEXT) | instid1(VALU_DEP_2)
	v_add_co_u32 v9, vcc_lo, s26, v7
	v_add_co_ci_u32_e32 v10, vcc_lo, s27, v8, vcc_lo
	flat_load_b128 v[5:8], v[5:6]
	flat_load_b128 v[9:12], v[9:10]
	s_waitcnt vmcnt(0) lgkmcnt(0)
	v_mul_f64 v[13:14], v[7:8], v[11:12]
	v_mul_f64 v[11:12], v[5:6], v[11:12]
	s_delay_alu instid0(VALU_DEP_2) | instskip(NEXT) | instid1(VALU_DEP_2)
	v_fma_f64 v[5:6], v[5:6], v[9:10], -v[13:14]
	v_fma_f64 v[7:8], v[7:8], v[9:10], v[11:12]
	s_delay_alu instid0(VALU_DEP_2) | instskip(NEXT) | instid1(VALU_DEP_2)
	v_add_f64 v[3:4], v[3:4], v[5:6]
	v_add_f64 v[1:2], v[1:2], v[7:8]
.LBB359_21:
	s_or_b32 exec_lo, exec_lo, s0
	v_and_b32_e32 v13, 31, v0
	v_cmp_gt_u32_e32 vcc_lo, 32, v0
	s_delay_alu instid0(VALU_DEP_2)
	v_lshlrev_b32_e32 v9, 4, v13
	s_and_saveexec_b32 s0, vcc_lo
	s_cbranch_execz .LBB359_23
; %bb.22:
	v_mov_b32_e32 v5, 0
	s_delay_alu instid0(VALU_DEP_1)
	v_mov_b32_e32 v6, v5
	v_mov_b32_e32 v7, v5
	;; [unrolled: 1-line block ×3, first 2 shown]
	ds_store_b128 v9, v[5:8]
.LBB359_23:
	s_or_b32 exec_lo, exec_lo, s0
	v_mbcnt_lo_u32_b32 v12, -1, 0
	s_mov_b32 s2, exec_lo
	s_waitcnt lgkmcnt(0)
	s_barrier
	buffer_gl0_inv
	v_cmp_gt_u32_e64 s0, 16, v12
	s_delay_alu instid0(VALU_DEP_1) | instskip(SKIP_1) | instid1(VALU_DEP_2)
	v_cndmask_b32_e64 v5, 0, 1, s0
	v_cmp_gt_u32_e64 s0, 24, v12
	v_lshlrev_b32_e32 v5, 4, v5
	s_delay_alu instid0(VALU_DEP_1)
	v_add_lshl_u32 v8, v5, v12, 2
	ds_bpermute_b32 v5, v8, v3
	ds_bpermute_b32 v6, v8, v4
	;; [unrolled: 1-line block ×4, first 2 shown]
	s_waitcnt lgkmcnt(2)
	v_add_f64 v[3:4], v[3:4], v[5:6]
	v_cndmask_b32_e64 v5, 0, 1, s0
	s_waitcnt lgkmcnt(0)
	v_add_f64 v[1:2], v[1:2], v[7:8]
	v_cmp_gt_u32_e64 s0, 28, v12
	s_delay_alu instid0(VALU_DEP_3) | instskip(NEXT) | instid1(VALU_DEP_1)
	v_lshlrev_b32_e32 v5, 3, v5
	v_add_lshl_u32 v8, v5, v12, 2
	ds_bpermute_b32 v5, v8, v3
	ds_bpermute_b32 v6, v8, v4
	;; [unrolled: 1-line block ×4, first 2 shown]
	s_waitcnt lgkmcnt(2)
	v_add_f64 v[3:4], v[3:4], v[5:6]
	v_cndmask_b32_e64 v5, 0, 1, s0
	s_waitcnt lgkmcnt(0)
	v_add_f64 v[1:2], v[1:2], v[7:8]
	v_cmp_gt_u32_e64 s0, 30, v12
	s_delay_alu instid0(VALU_DEP_3) | instskip(NEXT) | instid1(VALU_DEP_1)
	v_lshlrev_b32_e32 v5, 2, v5
	v_add_lshl_u32 v10, v5, v12, 2
	ds_bpermute_b32 v5, v10, v3
	ds_bpermute_b32 v6, v10, v4
	ds_bpermute_b32 v7, v10, v1
	ds_bpermute_b32 v8, v10, v2
	s_waitcnt lgkmcnt(2)
	v_add_f64 v[3:4], v[3:4], v[5:6]
	s_waitcnt lgkmcnt(0)
	v_add_f64 v[5:6], v[1:2], v[7:8]
	v_cndmask_b32_e64 v1, 0, 1, s0
	v_cmp_ne_u32_e64 s0, 31, v12
	s_delay_alu instid0(VALU_DEP_2) | instskip(NEXT) | instid1(VALU_DEP_1)
	v_lshlrev_b32_e32 v1, 1, v1
	v_add_lshl_u32 v11, v1, v12, 2
	ds_bpermute_b32 v1, v11, v3
	ds_bpermute_b32 v2, v11, v4
	;; [unrolled: 1-line block ×4, first 2 shown]
	s_waitcnt lgkmcnt(2)
	v_add_f64 v[1:2], v[3:4], v[1:2]
	v_add_co_ci_u32_e64 v3, s0, 0, v12, s0
	s_waitcnt lgkmcnt(0)
	v_add_f64 v[5:6], v[5:6], v[7:8]
	s_delay_alu instid0(VALU_DEP_2)
	v_lshlrev_b32_e32 v12, 2, v3
	ds_bpermute_b32 v3, v12, v1
	ds_bpermute_b32 v4, v12, v2
	;; [unrolled: 1-line block ×4, first 2 shown]
	v_cmpx_eq_u32_e32 0, v13
	s_cbranch_execz .LBB359_25
; %bb.24:
	s_waitcnt lgkmcnt(0)
	v_add_f64 v[5:6], v[5:6], v[7:8]
	v_add_f64 v[3:4], v[1:2], v[3:4]
	v_lshrrev_b32_e32 v1, 1, v0
	s_delay_alu instid0(VALU_DEP_1)
	v_and_b32_e32 v1, 0x70, v1
	ds_store_b128 v1, v[3:6]
.LBB359_25:
	s_or_b32 exec_lo, exec_lo, s2
	s_waitcnt lgkmcnt(0)
	v_mov_b32_e32 v7, 0
	v_mov_b32_e32 v8, 0
	s_delay_alu instid0(VALU_DEP_2) | instskip(SKIP_2) | instid1(VALU_DEP_2)
	v_mov_b32_e32 v5, v7
	s_mov_b32 s2, exec_lo
	s_barrier
	v_mov_b32_e32 v6, v8
	buffer_gl0_inv
	v_cmpx_gt_u32_e32 8, v0
	s_cbranch_execz .LBB359_27
; %bb.26:
	ds_load_b128 v[5:8], v9
.LBB359_27:
	s_or_b32 exec_lo, exec_lo, s2
	s_and_saveexec_b32 s0, vcc_lo
	s_cbranch_execz .LBB359_29
; %bb.28:
	s_waitcnt lgkmcnt(0)
	ds_bpermute_b32 v1, v10, v5
	ds_bpermute_b32 v2, v10, v6
	ds_bpermute_b32 v3, v10, v7
	ds_bpermute_b32 v4, v10, v8
	s_waitcnt lgkmcnt(2)
	v_add_f64 v[1:2], v[5:6], v[1:2]
	s_waitcnt lgkmcnt(0)
	v_add_f64 v[3:4], v[7:8], v[3:4]
	ds_bpermute_b32 v5, v11, v1
	ds_bpermute_b32 v6, v11, v2
	ds_bpermute_b32 v7, v11, v3
	ds_bpermute_b32 v8, v11, v4
	s_waitcnt lgkmcnt(2)
	v_add_f64 v[1:2], v[1:2], v[5:6]
	s_waitcnt lgkmcnt(0)
	v_add_f64 v[3:4], v[3:4], v[7:8]
	;; [unrolled: 8-line block ×3, first 2 shown]
.LBB359_29:
	s_or_b32 exec_lo, exec_lo, s0
	s_delay_alu instid0(SALU_CYCLE_1)
	s_mov_b32 s0, exec_lo
                                        ; implicit-def: $vgpr3_vgpr4
                                        ; implicit-def: $sgpr8_sgpr9
	v_cmpx_eq_u32_e32 0, v0
	s_cbranch_execz .LBB359_33
; %bb.30:
	s_waitcnt lgkmcnt(0)
	s_delay_alu instid0(VALU_DEP_2)
	v_mul_f64 v[0:1], s[18:19], v[7:8]
	v_mul_f64 v[3:4], s[16:17], v[7:8]
	v_cmp_neq_f64_e64 s2, s[4:5], 0
	v_cmp_neq_f64_e64 s3, s[6:7], 0
	s_mul_hi_u32 s8, s14, s12
	s_mul_i32 s1, s1, s12
	s_delay_alu instid0(VALU_DEP_4) | instskip(NEXT) | instid1(VALU_DEP_4)
	v_fma_f64 v[1:2], s[16:17], v[5:6], -v[0:1]
	v_fma_f64 v[3:4], s[18:19], v[5:6], v[3:4]
	s_delay_alu instid0(VALU_DEP_3)
	s_or_b32 s2, s2, s3
	s_mul_i32 s3, s14, s13
	s_and_not1_b32 vcc_lo, exec_lo, s2
	s_add_i32 s3, s8, s3
	s_mul_i32 s8, s14, s12
	s_add_i32 s9, s3, s1
	s_cbranch_vccnz .LBB359_32
; %bb.31:
	s_lshl_b64 s[2:3], s[8:9], 4
	s_delay_alu instid0(SALU_CYCLE_1)
	s_add_u32 s2, s10, s2
	s_addc_u32 s3, s11, s3
	s_load_b128 s[16:19], s[2:3], 0x0
	s_waitcnt lgkmcnt(0)
	v_mul_f64 v[5:6], s[6:7], s[18:19]
	v_mul_f64 v[7:8], s[4:5], s[18:19]
	s_delay_alu instid0(VALU_DEP_2) | instskip(NEXT) | instid1(VALU_DEP_2)
	v_fma_f64 v[5:6], s[4:5], s[16:17], -v[5:6]
	v_fma_f64 v[7:8], s[6:7], s[16:17], v[7:8]
	s_delay_alu instid0(VALU_DEP_2) | instskip(NEXT) | instid1(VALU_DEP_2)
	v_add_f64 v[1:2], v[1:2], v[5:6]
	v_add_f64 v[3:4], v[3:4], v[7:8]
.LBB359_32:
	s_or_b32 s15, s15, exec_lo
.LBB359_33:
	s_or_b32 exec_lo, exec_lo, s0
.LBB359_34:
	s_and_saveexec_b32 s0, s15
	s_cbranch_execz .LBB359_3
; %bb.35:
	s_lshl_b64 s[0:1], s[8:9], 4
	v_mov_b32_e32 v0, 0
	s_add_u32 s0, s10, s0
	s_addc_u32 s1, s11, s1
	global_store_b128 v0, v[1:4], s[0:1]
	s_nop 0
	s_sendmsg sendmsg(MSG_DEALLOC_VGPRS)
	s_endpgm
	.section	.rodata,"a",@progbits
	.p2align	6, 0x0
	.amdhsa_kernel _ZL32rocblas_gemvt_warp_reduce_kernelILb0ELi256ElPK19rocblas_complex_numIdES3_KPS1_EviiT3_lPKT2_lT1_lS9_lSA_lS6_lPT4_lSA_li
		.amdhsa_group_segment_fixed_size 512
		.amdhsa_private_segment_fixed_size 0
		.amdhsa_kernarg_size 140
		.amdhsa_user_sgpr_count 14
		.amdhsa_user_sgpr_dispatch_ptr 0
		.amdhsa_user_sgpr_queue_ptr 0
		.amdhsa_user_sgpr_kernarg_segment_ptr 1
		.amdhsa_user_sgpr_dispatch_id 0
		.amdhsa_user_sgpr_private_segment_size 0
		.amdhsa_wavefront_size32 1
		.amdhsa_uses_dynamic_stack 0
		.amdhsa_enable_private_segment 0
		.amdhsa_system_sgpr_workgroup_id_x 1
		.amdhsa_system_sgpr_workgroup_id_y 0
		.amdhsa_system_sgpr_workgroup_id_z 1
		.amdhsa_system_sgpr_workgroup_info 0
		.amdhsa_system_vgpr_workitem_id 0
		.amdhsa_next_free_vgpr 22
		.amdhsa_next_free_sgpr 40
		.amdhsa_reserve_vcc 1
		.amdhsa_float_round_mode_32 0
		.amdhsa_float_round_mode_16_64 0
		.amdhsa_float_denorm_mode_32 3
		.amdhsa_float_denorm_mode_16_64 3
		.amdhsa_dx10_clamp 1
		.amdhsa_ieee_mode 1
		.amdhsa_fp16_overflow 0
		.amdhsa_workgroup_processor_mode 1
		.amdhsa_memory_ordered 1
		.amdhsa_forward_progress 0
		.amdhsa_shared_vgpr_count 0
		.amdhsa_exception_fp_ieee_invalid_op 0
		.amdhsa_exception_fp_denorm_src 0
		.amdhsa_exception_fp_ieee_div_zero 0
		.amdhsa_exception_fp_ieee_overflow 0
		.amdhsa_exception_fp_ieee_underflow 0
		.amdhsa_exception_fp_ieee_inexact 0
		.amdhsa_exception_int_div_zero 0
	.end_amdhsa_kernel
	.section	.text._ZL32rocblas_gemvt_warp_reduce_kernelILb0ELi256ElPK19rocblas_complex_numIdES3_KPS1_EviiT3_lPKT2_lT1_lS9_lSA_lS6_lPT4_lSA_li,"axG",@progbits,_ZL32rocblas_gemvt_warp_reduce_kernelILb0ELi256ElPK19rocblas_complex_numIdES3_KPS1_EviiT3_lPKT2_lT1_lS9_lSA_lS6_lPT4_lSA_li,comdat
.Lfunc_end359:
	.size	_ZL32rocblas_gemvt_warp_reduce_kernelILb0ELi256ElPK19rocblas_complex_numIdES3_KPS1_EviiT3_lPKT2_lT1_lS9_lSA_lS6_lPT4_lSA_li, .Lfunc_end359-_ZL32rocblas_gemvt_warp_reduce_kernelILb0ELi256ElPK19rocblas_complex_numIdES3_KPS1_EviiT3_lPKT2_lT1_lS9_lSA_lS6_lPT4_lSA_li
                                        ; -- End function
	.section	.AMDGPU.csdata,"",@progbits
; Kernel info:
; codeLenInByte = 2232
; NumSgprs: 42
; NumVgprs: 22
; ScratchSize: 0
; MemoryBound: 0
; FloatMode: 240
; IeeeMode: 1
; LDSByteSize: 512 bytes/workgroup (compile time only)
; SGPRBlocks: 5
; VGPRBlocks: 2
; NumSGPRsForWavesPerEU: 42
; NumVGPRsForWavesPerEU: 22
; Occupancy: 16
; WaveLimiterHint : 1
; COMPUTE_PGM_RSRC2:SCRATCH_EN: 0
; COMPUTE_PGM_RSRC2:USER_SGPR: 14
; COMPUTE_PGM_RSRC2:TRAP_HANDLER: 0
; COMPUTE_PGM_RSRC2:TGID_X_EN: 1
; COMPUTE_PGM_RSRC2:TGID_Y_EN: 0
; COMPUTE_PGM_RSRC2:TGID_Z_EN: 1
; COMPUTE_PGM_RSRC2:TIDIG_COMP_CNT: 0
	.section	.text._ZL32rocblas_gemvt_warp_reduce_kernelILb0ELi256EiPK19rocblas_complex_numIdES1_KPS1_EviiT3_lPKT2_lT1_lS9_lSA_lS6_lPT4_lSA_li,"axG",@progbits,_ZL32rocblas_gemvt_warp_reduce_kernelILb0ELi256EiPK19rocblas_complex_numIdES1_KPS1_EviiT3_lPKT2_lT1_lS9_lSA_lS6_lPT4_lSA_li,comdat
	.globl	_ZL32rocblas_gemvt_warp_reduce_kernelILb0ELi256EiPK19rocblas_complex_numIdES1_KPS1_EviiT3_lPKT2_lT1_lS9_lSA_lS6_lPT4_lSA_li ; -- Begin function _ZL32rocblas_gemvt_warp_reduce_kernelILb0ELi256EiPK19rocblas_complex_numIdES1_KPS1_EviiT3_lPKT2_lT1_lS9_lSA_lS6_lPT4_lSA_li
	.p2align	8
	.type	_ZL32rocblas_gemvt_warp_reduce_kernelILb0ELi256EiPK19rocblas_complex_numIdES1_KPS1_EviiT3_lPKT2_lT1_lS9_lSA_lS6_lPT4_lSA_li,@function
_ZL32rocblas_gemvt_warp_reduce_kernelILb0ELi256EiPK19rocblas_complex_numIdES1_KPS1_EviiT3_lPKT2_lT1_lS9_lSA_lS6_lPT4_lSA_li: ; @_ZL32rocblas_gemvt_warp_reduce_kernelILb0ELi256EiPK19rocblas_complex_numIdES1_KPS1_EviiT3_lPKT2_lT1_lS9_lSA_lS6_lPT4_lSA_li
; %bb.0:
	s_clause 0x1
	s_load_b128 s[8:11], s[0:1], 0x8
	s_load_b128 s[4:7], s[0:1], 0x60
	s_mov_b32 s2, s15
	s_mov_b32 s15, -1
	s_waitcnt lgkmcnt(0)
	v_cmp_neq_f64_e64 s3, s[8:9], 0
	v_cmp_neq_f64_e64 s12, s[10:11], 0
	s_delay_alu instid0(VALU_DEP_1) | instskip(NEXT) | instid1(SALU_CYCLE_1)
	s_or_b32 s12, s3, s12
                                        ; implicit-def: $sgpr3
	s_and_b32 vcc_lo, exec_lo, s12
	s_cbranch_vccnz .LBB360_3
; %bb.1:
	v_cmp_eq_f64_e64 s3, s[4:5], 1.0
	v_cmp_eq_f64_e64 s13, s[6:7], 0
	s_mov_b32 s15, 0
	s_delay_alu instid0(VALU_DEP_1) | instskip(NEXT) | instid1(SALU_CYCLE_1)
	s_and_b32 s3, s3, s13
	s_and_not1_b32 vcc_lo, exec_lo, s3
	s_cbranch_vccz .LBB360_3
; %bb.2:
	s_mov_b32 s3, 0
	s_mov_b32 s13, -1
	s_mov_b64 s[16:17], 0
	s_and_b32 vcc_lo, exec_lo, s15
	s_cbranch_vccnz .LBB360_4
	s_branch .LBB360_5
.LBB360_3:
	s_mov_b32 s13, 0
                                        ; implicit-def: $sgpr16_sgpr17
	s_and_b32 vcc_lo, exec_lo, s15
	s_cbranch_vccz .LBB360_5
.LBB360_4:
	s_load_b128 s[16:19], s[0:1], 0x20
	s_mov_b32 s3, 0
	s_mov_b32 s13, -1
	s_lshl_b64 s[20:21], s[2:3], 3
	s_waitcnt lgkmcnt(0)
	s_add_u32 s16, s16, s20
	s_addc_u32 s17, s17, s21
	s_lshl_b64 s[18:19], s[18:19], 4
	s_load_b64 s[16:17], s[16:17], 0x0
	s_waitcnt lgkmcnt(0)
	s_add_u32 s16, s16, s18
	s_addc_u32 s17, s17, s19
.LBB360_5:
	s_and_not1_b32 vcc_lo, exec_lo, s13
	s_cbranch_vccnz .LBB360_36
; %bb.6:
	v_cndmask_b32_e64 v1, 0, 1, s12
	s_xor_b32 s18, s12, -1
	s_mov_b64 s[12:13], 0
	s_delay_alu instid0(VALU_DEP_1)
	v_cmp_ne_u32_e32 vcc_lo, 1, v1
	s_cbranch_vccnz .LBB360_8
; %bb.7:
	s_load_b128 s[20:23], s[0:1], 0x40
	s_lshl_b64 s[12:13], s[2:3], 3
	s_waitcnt lgkmcnt(0)
	s_add_u32 s12, s20, s12
	s_addc_u32 s13, s21, s13
	s_lshl_b64 s[20:21], s[22:23], 4
	s_load_b64 s[12:13], s[12:13], 0x0
	s_waitcnt lgkmcnt(0)
	s_add_u32 s12, s12, s20
	s_addc_u32 s13, s13, s21
.LBB360_8:
	s_clause 0x1
	s_load_b128 s[24:27], s[0:1], 0x78
	s_load_b32 s21, s[0:1], 0x88
	s_lshl_b64 s[2:3], s[2:3], 3
	s_waitcnt lgkmcnt(0)
	s_add_u32 s2, s24, s2
	s_addc_u32 s3, s25, s3
	s_lshl_b64 s[24:25], s[26:27], 4
	s_load_b64 s[22:23], s[2:3], 0x0
	v_cmp_eq_u32_e64 s2, 0, v0
	s_waitcnt lgkmcnt(0)
	s_add_u32 s15, s22, s24
	s_addc_u32 s20, s23, s25
	s_and_not1_b32 vcc_lo, exec_lo, s18
	s_cbranch_vccnz .LBB360_13
; %bb.9:
	s_mov_b32 s3, 0
	s_mov_b32 s22, 0
                                        ; implicit-def: $vgpr3_vgpr4
                                        ; implicit-def: $sgpr18_sgpr19
	s_and_saveexec_b32 s23, s2
	s_cbranch_execz .LBB360_14
; %bb.10:
	v_cmp_neq_f64_e64 s2, s[4:5], 0
	v_cmp_neq_f64_e64 s18, s[6:7], 0
	v_mov_b32_e32 v3, 0
	v_mov_b32_e32 v4, 0
	s_delay_alu instid0(VALU_DEP_1) | instskip(NEXT) | instid1(VALU_DEP_4)
	v_dual_mov_b32 v1, v3 :: v_dual_mov_b32 v2, v4
	s_or_b32 s2, s2, s18
	s_mul_i32 s18, s14, s21
	s_and_not1_b32 vcc_lo, exec_lo, s2
	s_ashr_i32 s19, s18, 31
	s_cbranch_vccnz .LBB360_12
; %bb.11:
	s_lshl_b64 s[24:25], s[18:19], 4
	s_delay_alu instid0(SALU_CYCLE_1)
	s_add_u32 s24, s15, s24
	s_addc_u32 s25, s20, s25
	s_load_b128 s[24:27], s[24:25], 0x0
	s_waitcnt lgkmcnt(0)
	v_mul_f64 v[1:2], s[6:7], s[26:27]
	v_mul_f64 v[3:4], s[4:5], s[26:27]
	s_delay_alu instid0(VALU_DEP_2) | instskip(NEXT) | instid1(VALU_DEP_2)
	v_fma_f64 v[1:2], s[4:5], s[24:25], -v[1:2]
	v_fma_f64 v[3:4], s[6:7], s[24:25], v[3:4]
.LBB360_12:
	s_mov_b32 s22, exec_lo
	s_or_b32 exec_lo, exec_lo, s23
	s_delay_alu instid0(SALU_CYCLE_1)
	s_and_b32 vcc_lo, exec_lo, s3
	s_cbranch_vccnz .LBB360_15
	s_branch .LBB360_34
.LBB360_13:
	s_mov_b32 s22, 0
                                        ; implicit-def: $vgpr3_vgpr4
                                        ; implicit-def: $sgpr18_sgpr19
	s_cbranch_execnz .LBB360_15
	s_branch .LBB360_34
.LBB360_14:
	s_or_b32 exec_lo, exec_lo, s23
	s_delay_alu instid0(SALU_CYCLE_1)
	s_and_b32 vcc_lo, exec_lo, s3
	s_cbranch_vccz .LBB360_34
.LBB360_15:
	s_clause 0x2
	s_load_b32 s2, s[0:1], 0x30
	s_load_b32 s3, s[0:1], 0x0
	;; [unrolled: 1-line block ×3, first 2 shown]
	s_waitcnt lgkmcnt(0)
	s_mul_i32 s18, s14, s2
	v_cmp_gt_i32_e32 vcc_lo, s3, v0
	s_ashr_i32 s19, s18, 31
	s_delay_alu instid0(SALU_CYCLE_1)
	s_lshl_b64 s[18:19], s[18:19], 4
	v_cndmask_b32_e32 v1, 0, v0, vcc_lo
	s_add_u32 s0, s18, s16
	s_addc_u32 s16, s19, s17
	s_ashr_i32 s2, s3, 31
	s_mov_b32 s17, 0
	v_lshlrev_b32_e32 v3, 4, v1
	v_mov_b32_e32 v1, 0
	v_mov_b32_e32 v2, 0
	s_lshr_b32 s2, s2, 24
	s_delay_alu instid0(SALU_CYCLE_1) | instskip(SKIP_1) | instid1(VALU_DEP_1)
	s_add_i32 s2, s3, s2
	v_add_co_u32 v5, s0, s0, v3
	v_add_co_ci_u32_e64 v6, null, s16, 0, s0
	v_dual_mov_b32 v4, v2 :: v_dual_mov_b32 v3, v1
	s_and_b32 s2, s2, 0xffffff00
	s_mov_b32 s16, exec_lo
	v_cmpx_gt_i32_e64 s2, v0
	s_cbranch_execz .LBB360_19
; %bb.16:
	v_dual_mov_b32 v1, 0 :: v_dual_mov_b32 v10, v6
	v_dual_mov_b32 v2, 0 :: v_dual_mov_b32 v9, v5
	v_mul_lo_u32 v7, v0, s1
	v_mov_b32_e32 v11, v0
	s_lshl_b32 s18, s1, 8
	s_delay_alu instid0(VALU_DEP_3)
	v_dual_mov_b32 v4, v2 :: v_dual_mov_b32 v3, v1
	s_set_inst_prefetch_distance 0x1
	.p2align	6
.LBB360_17:                             ; =>This Inner Loop Header: Depth=1
	s_delay_alu instid0(VALU_DEP_3) | instskip(SKIP_1) | instid1(VALU_DEP_2)
	v_ashrrev_i32_e32 v8, 31, v7
	v_add_nc_u32_e32 v11, 0x100, v11
	v_lshlrev_b64 v[12:13], 4, v[7:8]
	s_delay_alu instid0(VALU_DEP_2) | instskip(SKIP_1) | instid1(VALU_DEP_2)
	v_cmp_le_i32_e64 s0, s2, v11
	v_add_nc_u32_e32 v7, s18, v7
	s_or_b32 s17, s0, s17
	s_delay_alu instid0(VALU_DEP_3) | instskip(NEXT) | instid1(VALU_DEP_4)
	v_add_co_u32 v16, vcc_lo, s12, v12
	v_add_co_ci_u32_e32 v17, vcc_lo, s13, v13, vcc_lo
	flat_load_b128 v[12:15], v[9:10]
	flat_load_b128 v[16:19], v[16:17]
	v_add_co_u32 v9, vcc_lo, 0x1000, v9
	v_add_co_ci_u32_e32 v10, vcc_lo, 0, v10, vcc_lo
	s_waitcnt vmcnt(0) lgkmcnt(0)
	v_mul_f64 v[20:21], v[14:15], v[18:19]
	v_mul_f64 v[18:19], v[12:13], v[18:19]
	s_delay_alu instid0(VALU_DEP_2) | instskip(NEXT) | instid1(VALU_DEP_2)
	v_fma_f64 v[12:13], v[12:13], v[16:17], -v[20:21]
	v_fma_f64 v[14:15], v[14:15], v[16:17], v[18:19]
	s_delay_alu instid0(VALU_DEP_2) | instskip(NEXT) | instid1(VALU_DEP_2)
	v_add_f64 v[3:4], v[3:4], v[12:13]
	v_add_f64 v[1:2], v[1:2], v[14:15]
	s_and_not1_b32 exec_lo, exec_lo, s17
	s_cbranch_execnz .LBB360_17
; %bb.18:
	s_set_inst_prefetch_distance 0x2
	s_or_b32 exec_lo, exec_lo, s17
.LBB360_19:
	s_delay_alu instid0(SALU_CYCLE_1) | instskip(SKIP_2) | instid1(VALU_DEP_1)
	s_or_b32 exec_lo, exec_lo, s16
	v_add_nc_u32_e32 v7, s2, v0
	s_mov_b32 s0, exec_lo
	v_cmpx_gt_i32_e64 s3, v7
	s_cbranch_execz .LBB360_21
; %bb.20:
	v_mul_lo_u32 v7, v7, s1
	s_ashr_i32 s3, s2, 31
	s_delay_alu instid0(SALU_CYCLE_1) | instskip(NEXT) | instid1(SALU_CYCLE_1)
	s_lshl_b64 s[2:3], s[2:3], 4
	v_add_co_u32 v5, vcc_lo, v5, s2
	v_add_co_ci_u32_e32 v6, vcc_lo, s3, v6, vcc_lo
	s_delay_alu instid0(VALU_DEP_3) | instskip(NEXT) | instid1(VALU_DEP_1)
	v_ashrrev_i32_e32 v8, 31, v7
	v_lshlrev_b64 v[7:8], 4, v[7:8]
	s_delay_alu instid0(VALU_DEP_1) | instskip(NEXT) | instid1(VALU_DEP_2)
	v_add_co_u32 v9, vcc_lo, s12, v7
	v_add_co_ci_u32_e32 v10, vcc_lo, s13, v8, vcc_lo
	flat_load_b128 v[5:8], v[5:6]
	flat_load_b128 v[9:12], v[9:10]
	s_waitcnt vmcnt(0) lgkmcnt(0)
	v_mul_f64 v[13:14], v[7:8], v[11:12]
	v_mul_f64 v[11:12], v[5:6], v[11:12]
	s_delay_alu instid0(VALU_DEP_2) | instskip(NEXT) | instid1(VALU_DEP_2)
	v_fma_f64 v[5:6], v[5:6], v[9:10], -v[13:14]
	v_fma_f64 v[7:8], v[7:8], v[9:10], v[11:12]
	s_delay_alu instid0(VALU_DEP_2) | instskip(NEXT) | instid1(VALU_DEP_2)
	v_add_f64 v[3:4], v[3:4], v[5:6]
	v_add_f64 v[1:2], v[1:2], v[7:8]
.LBB360_21:
	s_or_b32 exec_lo, exec_lo, s0
	v_and_b32_e32 v13, 31, v0
	v_cmp_gt_u32_e32 vcc_lo, 32, v0
	s_delay_alu instid0(VALU_DEP_2)
	v_lshlrev_b32_e32 v9, 4, v13
	s_and_saveexec_b32 s0, vcc_lo
	s_cbranch_execz .LBB360_23
; %bb.22:
	v_mov_b32_e32 v5, 0
	s_delay_alu instid0(VALU_DEP_1)
	v_mov_b32_e32 v6, v5
	v_mov_b32_e32 v7, v5
	;; [unrolled: 1-line block ×3, first 2 shown]
	ds_store_b128 v9, v[5:8]
.LBB360_23:
	s_or_b32 exec_lo, exec_lo, s0
	v_mbcnt_lo_u32_b32 v12, -1, 0
	s_mov_b32 s1, exec_lo
	s_waitcnt lgkmcnt(0)
	s_barrier
	buffer_gl0_inv
	v_cmp_gt_u32_e64 s0, 16, v12
	s_delay_alu instid0(VALU_DEP_1) | instskip(SKIP_1) | instid1(VALU_DEP_2)
	v_cndmask_b32_e64 v5, 0, 1, s0
	v_cmp_gt_u32_e64 s0, 24, v12
	v_lshlrev_b32_e32 v5, 4, v5
	s_delay_alu instid0(VALU_DEP_1)
	v_add_lshl_u32 v8, v5, v12, 2
	ds_bpermute_b32 v5, v8, v3
	ds_bpermute_b32 v6, v8, v4
	;; [unrolled: 1-line block ×4, first 2 shown]
	s_waitcnt lgkmcnt(2)
	v_add_f64 v[3:4], v[3:4], v[5:6]
	v_cndmask_b32_e64 v5, 0, 1, s0
	s_waitcnt lgkmcnt(0)
	v_add_f64 v[1:2], v[1:2], v[7:8]
	v_cmp_gt_u32_e64 s0, 28, v12
	s_delay_alu instid0(VALU_DEP_3) | instskip(NEXT) | instid1(VALU_DEP_1)
	v_lshlrev_b32_e32 v5, 3, v5
	v_add_lshl_u32 v8, v5, v12, 2
	ds_bpermute_b32 v5, v8, v3
	ds_bpermute_b32 v6, v8, v4
	;; [unrolled: 1-line block ×4, first 2 shown]
	s_waitcnt lgkmcnt(2)
	v_add_f64 v[3:4], v[3:4], v[5:6]
	v_cndmask_b32_e64 v5, 0, 1, s0
	s_waitcnt lgkmcnt(0)
	v_add_f64 v[1:2], v[1:2], v[7:8]
	v_cmp_gt_u32_e64 s0, 30, v12
	s_delay_alu instid0(VALU_DEP_3) | instskip(NEXT) | instid1(VALU_DEP_1)
	v_lshlrev_b32_e32 v5, 2, v5
	v_add_lshl_u32 v10, v5, v12, 2
	ds_bpermute_b32 v5, v10, v3
	ds_bpermute_b32 v6, v10, v4
	;; [unrolled: 1-line block ×4, first 2 shown]
	s_waitcnt lgkmcnt(2)
	v_add_f64 v[3:4], v[3:4], v[5:6]
	s_waitcnt lgkmcnt(0)
	v_add_f64 v[5:6], v[1:2], v[7:8]
	v_cndmask_b32_e64 v1, 0, 1, s0
	v_cmp_ne_u32_e64 s0, 31, v12
	s_delay_alu instid0(VALU_DEP_2) | instskip(NEXT) | instid1(VALU_DEP_1)
	v_lshlrev_b32_e32 v1, 1, v1
	v_add_lshl_u32 v11, v1, v12, 2
	ds_bpermute_b32 v1, v11, v3
	ds_bpermute_b32 v2, v11, v4
	;; [unrolled: 1-line block ×4, first 2 shown]
	s_waitcnt lgkmcnt(2)
	v_add_f64 v[1:2], v[3:4], v[1:2]
	v_add_co_ci_u32_e64 v3, s0, 0, v12, s0
	s_waitcnt lgkmcnt(0)
	v_add_f64 v[5:6], v[5:6], v[7:8]
	s_delay_alu instid0(VALU_DEP_2)
	v_lshlrev_b32_e32 v12, 2, v3
	ds_bpermute_b32 v3, v12, v1
	ds_bpermute_b32 v4, v12, v2
	;; [unrolled: 1-line block ×4, first 2 shown]
	v_cmpx_eq_u32_e32 0, v13
	s_cbranch_execz .LBB360_25
; %bb.24:
	s_waitcnt lgkmcnt(0)
	v_add_f64 v[5:6], v[5:6], v[7:8]
	v_add_f64 v[3:4], v[1:2], v[3:4]
	v_lshrrev_b32_e32 v1, 1, v0
	s_delay_alu instid0(VALU_DEP_1)
	v_and_b32_e32 v1, 0x70, v1
	ds_store_b128 v1, v[3:6]
.LBB360_25:
	s_or_b32 exec_lo, exec_lo, s1
	s_waitcnt lgkmcnt(0)
	v_mov_b32_e32 v7, 0
	v_mov_b32_e32 v8, 0
	s_delay_alu instid0(VALU_DEP_2) | instskip(SKIP_2) | instid1(VALU_DEP_2)
	v_mov_b32_e32 v5, v7
	s_mov_b32 s1, exec_lo
	s_barrier
	v_mov_b32_e32 v6, v8
	buffer_gl0_inv
	v_cmpx_gt_u32_e32 8, v0
	s_cbranch_execz .LBB360_27
; %bb.26:
	ds_load_b128 v[5:8], v9
.LBB360_27:
	s_or_b32 exec_lo, exec_lo, s1
	s_and_saveexec_b32 s0, vcc_lo
	s_cbranch_execz .LBB360_29
; %bb.28:
	s_waitcnt lgkmcnt(0)
	ds_bpermute_b32 v1, v10, v5
	ds_bpermute_b32 v2, v10, v6
	ds_bpermute_b32 v3, v10, v7
	ds_bpermute_b32 v4, v10, v8
	s_waitcnt lgkmcnt(2)
	v_add_f64 v[1:2], v[5:6], v[1:2]
	s_waitcnt lgkmcnt(0)
	v_add_f64 v[3:4], v[7:8], v[3:4]
	ds_bpermute_b32 v5, v11, v1
	ds_bpermute_b32 v6, v11, v2
	ds_bpermute_b32 v7, v11, v3
	ds_bpermute_b32 v8, v11, v4
	s_waitcnt lgkmcnt(2)
	v_add_f64 v[1:2], v[1:2], v[5:6]
	s_waitcnt lgkmcnt(0)
	v_add_f64 v[3:4], v[3:4], v[7:8]
	;; [unrolled: 8-line block ×3, first 2 shown]
.LBB360_29:
	s_or_b32 exec_lo, exec_lo, s0
	s_delay_alu instid0(SALU_CYCLE_1)
	s_mov_b32 s0, exec_lo
                                        ; implicit-def: $vgpr3_vgpr4
                                        ; implicit-def: $sgpr18_sgpr19
	v_cmpx_eq_u32_e32 0, v0
	s_cbranch_execz .LBB360_33
; %bb.30:
	s_waitcnt lgkmcnt(0)
	s_delay_alu instid0(VALU_DEP_2) | instskip(SKIP_4) | instid1(SALU_CYCLE_1)
	v_mul_f64 v[0:1], s[10:11], v[7:8]
	v_mul_f64 v[3:4], s[8:9], v[7:8]
	v_cmp_neq_f64_e64 s1, s[4:5], 0
	v_cmp_neq_f64_e64 s2, s[6:7], 0
	s_mul_i32 s18, s14, s21
	s_ashr_i32 s19, s18, 31
	s_delay_alu instid0(VALU_DEP_4) | instskip(NEXT) | instid1(VALU_DEP_4)
	v_fma_f64 v[1:2], s[8:9], v[5:6], -v[0:1]
	v_fma_f64 v[3:4], s[10:11], v[5:6], v[3:4]
	s_delay_alu instid0(VALU_DEP_3) | instskip(NEXT) | instid1(SALU_CYCLE_1)
	s_or_b32 s1, s1, s2
	s_and_not1_b32 vcc_lo, exec_lo, s1
	s_cbranch_vccnz .LBB360_32
; %bb.31:
	s_lshl_b64 s[2:3], s[18:19], 4
	s_delay_alu instid0(SALU_CYCLE_1)
	s_add_u32 s2, s15, s2
	s_addc_u32 s3, s20, s3
	s_load_b128 s[8:11], s[2:3], 0x0
	s_waitcnt lgkmcnt(0)
	v_mul_f64 v[5:6], s[6:7], s[10:11]
	v_mul_f64 v[7:8], s[4:5], s[10:11]
	s_delay_alu instid0(VALU_DEP_2) | instskip(NEXT) | instid1(VALU_DEP_2)
	v_fma_f64 v[5:6], s[4:5], s[8:9], -v[5:6]
	v_fma_f64 v[7:8], s[6:7], s[8:9], v[7:8]
	s_delay_alu instid0(VALU_DEP_2) | instskip(NEXT) | instid1(VALU_DEP_2)
	v_add_f64 v[1:2], v[1:2], v[5:6]
	v_add_f64 v[3:4], v[3:4], v[7:8]
.LBB360_32:
	s_or_b32 s22, s22, exec_lo
.LBB360_33:
	s_or_b32 exec_lo, exec_lo, s0
.LBB360_34:
	s_and_saveexec_b32 s0, s22
	s_cbranch_execz .LBB360_36
; %bb.35:
	s_lshl_b64 s[0:1], s[18:19], 4
	v_mov_b32_e32 v0, 0
	s_add_u32 s0, s15, s0
	s_addc_u32 s1, s20, s1
	global_store_b128 v0, v[1:4], s[0:1]
.LBB360_36:
	s_nop 0
	s_sendmsg sendmsg(MSG_DEALLOC_VGPRS)
	s_endpgm
	.section	.rodata,"a",@progbits
	.p2align	6, 0x0
	.amdhsa_kernel _ZL32rocblas_gemvt_warp_reduce_kernelILb0ELi256EiPK19rocblas_complex_numIdES1_KPS1_EviiT3_lPKT2_lT1_lS9_lSA_lS6_lPT4_lSA_li
		.amdhsa_group_segment_fixed_size 512
		.amdhsa_private_segment_fixed_size 0
		.amdhsa_kernarg_size 156
		.amdhsa_user_sgpr_count 14
		.amdhsa_user_sgpr_dispatch_ptr 0
		.amdhsa_user_sgpr_queue_ptr 0
		.amdhsa_user_sgpr_kernarg_segment_ptr 1
		.amdhsa_user_sgpr_dispatch_id 0
		.amdhsa_user_sgpr_private_segment_size 0
		.amdhsa_wavefront_size32 1
		.amdhsa_uses_dynamic_stack 0
		.amdhsa_enable_private_segment 0
		.amdhsa_system_sgpr_workgroup_id_x 1
		.amdhsa_system_sgpr_workgroup_id_y 0
		.amdhsa_system_sgpr_workgroup_id_z 1
		.amdhsa_system_sgpr_workgroup_info 0
		.amdhsa_system_vgpr_workitem_id 0
		.amdhsa_next_free_vgpr 22
		.amdhsa_next_free_sgpr 28
		.amdhsa_reserve_vcc 1
		.amdhsa_float_round_mode_32 0
		.amdhsa_float_round_mode_16_64 0
		.amdhsa_float_denorm_mode_32 3
		.amdhsa_float_denorm_mode_16_64 3
		.amdhsa_dx10_clamp 1
		.amdhsa_ieee_mode 1
		.amdhsa_fp16_overflow 0
		.amdhsa_workgroup_processor_mode 1
		.amdhsa_memory_ordered 1
		.amdhsa_forward_progress 0
		.amdhsa_shared_vgpr_count 0
		.amdhsa_exception_fp_ieee_invalid_op 0
		.amdhsa_exception_fp_denorm_src 0
		.amdhsa_exception_fp_ieee_div_zero 0
		.amdhsa_exception_fp_ieee_overflow 0
		.amdhsa_exception_fp_ieee_underflow 0
		.amdhsa_exception_fp_ieee_inexact 0
		.amdhsa_exception_int_div_zero 0
	.end_amdhsa_kernel
	.section	.text._ZL32rocblas_gemvt_warp_reduce_kernelILb0ELi256EiPK19rocblas_complex_numIdES1_KPS1_EviiT3_lPKT2_lT1_lS9_lSA_lS6_lPT4_lSA_li,"axG",@progbits,_ZL32rocblas_gemvt_warp_reduce_kernelILb0ELi256EiPK19rocblas_complex_numIdES1_KPS1_EviiT3_lPKT2_lT1_lS9_lSA_lS6_lPT4_lSA_li,comdat
.Lfunc_end360:
	.size	_ZL32rocblas_gemvt_warp_reduce_kernelILb0ELi256EiPK19rocblas_complex_numIdES1_KPS1_EviiT3_lPKT2_lT1_lS9_lSA_lS6_lPT4_lSA_li, .Lfunc_end360-_ZL32rocblas_gemvt_warp_reduce_kernelILb0ELi256EiPK19rocblas_complex_numIdES1_KPS1_EviiT3_lPKT2_lT1_lS9_lSA_lS6_lPT4_lSA_li
                                        ; -- End function
	.section	.AMDGPU.csdata,"",@progbits
; Kernel info:
; codeLenInByte = 2104
; NumSgprs: 30
; NumVgprs: 22
; ScratchSize: 0
; MemoryBound: 0
; FloatMode: 240
; IeeeMode: 1
; LDSByteSize: 512 bytes/workgroup (compile time only)
; SGPRBlocks: 3
; VGPRBlocks: 2
; NumSGPRsForWavesPerEU: 30
; NumVGPRsForWavesPerEU: 22
; Occupancy: 16
; WaveLimiterHint : 1
; COMPUTE_PGM_RSRC2:SCRATCH_EN: 0
; COMPUTE_PGM_RSRC2:USER_SGPR: 14
; COMPUTE_PGM_RSRC2:TRAP_HANDLER: 0
; COMPUTE_PGM_RSRC2:TGID_X_EN: 1
; COMPUTE_PGM_RSRC2:TGID_Y_EN: 0
; COMPUTE_PGM_RSRC2:TGID_Z_EN: 1
; COMPUTE_PGM_RSRC2:TIDIG_COMP_CNT: 0
	.section	.text._ZL32rocblas_gemvt_warp_reduce_kernelILb0ELi256ElPK19rocblas_complex_numIdES1_KPS1_EviiT3_lPKT2_lT1_lS9_lSA_lS6_lPT4_lSA_li,"axG",@progbits,_ZL32rocblas_gemvt_warp_reduce_kernelILb0ELi256ElPK19rocblas_complex_numIdES1_KPS1_EviiT3_lPKT2_lT1_lS9_lSA_lS6_lPT4_lSA_li,comdat
	.globl	_ZL32rocblas_gemvt_warp_reduce_kernelILb0ELi256ElPK19rocblas_complex_numIdES1_KPS1_EviiT3_lPKT2_lT1_lS9_lSA_lS6_lPT4_lSA_li ; -- Begin function _ZL32rocblas_gemvt_warp_reduce_kernelILb0ELi256ElPK19rocblas_complex_numIdES1_KPS1_EviiT3_lPKT2_lT1_lS9_lSA_lS6_lPT4_lSA_li
	.p2align	8
	.type	_ZL32rocblas_gemvt_warp_reduce_kernelILb0ELi256ElPK19rocblas_complex_numIdES1_KPS1_EviiT3_lPKT2_lT1_lS9_lSA_lS6_lPT4_lSA_li,@function
_ZL32rocblas_gemvt_warp_reduce_kernelILb0ELi256ElPK19rocblas_complex_numIdES1_KPS1_EviiT3_lPKT2_lT1_lS9_lSA_lS6_lPT4_lSA_li: ; @_ZL32rocblas_gemvt_warp_reduce_kernelILb0ELi256ElPK19rocblas_complex_numIdES1_KPS1_EviiT3_lPKT2_lT1_lS9_lSA_lS6_lPT4_lSA_li
; %bb.0:
	s_clause 0x3
	s_load_b128 s[8:11], s[0:1], 0x8
	s_load_b128 s[16:19], s[0:1], 0x20
	s_load_b64 s[24:25], s[0:1], 0x30
	s_load_b128 s[4:7], s[0:1], 0x60
	s_mov_b32 s2, s15
	s_mov_b32 s15, -1
	s_waitcnt lgkmcnt(0)
	v_cmp_neq_f64_e64 s3, s[8:9], 0
	v_cmp_neq_f64_e64 s12, s[10:11], 0
	s_delay_alu instid0(VALU_DEP_1) | instskip(NEXT) | instid1(SALU_CYCLE_1)
	s_or_b32 s12, s3, s12
                                        ; implicit-def: $sgpr3
	s_and_b32 vcc_lo, exec_lo, s12
	s_cbranch_vccnz .LBB361_3
; %bb.1:
	v_cmp_eq_f64_e64 s3, s[4:5], 1.0
	v_cmp_eq_f64_e64 s13, s[6:7], 0
	s_mov_b32 s15, 0
	s_delay_alu instid0(VALU_DEP_1) | instskip(NEXT) | instid1(SALU_CYCLE_1)
	s_and_b32 s3, s3, s13
	s_and_not1_b32 vcc_lo, exec_lo, s3
	s_cbranch_vccz .LBB361_3
; %bb.2:
	s_mov_b32 s3, 0
	s_mov_b32 s13, -1
	s_mov_b64 s[26:27], 0
	s_and_b32 vcc_lo, exec_lo, s15
	s_cbranch_vccnz .LBB361_4
	s_branch .LBB361_5
.LBB361_3:
	s_mov_b32 s13, 0
                                        ; implicit-def: $sgpr26_sgpr27
	s_and_b32 vcc_lo, exec_lo, s15
	s_cbranch_vccz .LBB361_5
.LBB361_4:
	s_mov_b32 s3, 0
	s_mov_b32 s13, -1
	s_lshl_b64 s[20:21], s[2:3], 3
	s_delay_alu instid0(SALU_CYCLE_1)
	s_add_u32 s16, s16, s20
	s_addc_u32 s17, s17, s21
	s_lshl_b64 s[18:19], s[18:19], 4
	s_load_b64 s[16:17], s[16:17], 0x0
	s_waitcnt lgkmcnt(0)
	s_add_u32 s26, s16, s18
	s_addc_u32 s27, s17, s19
.LBB361_5:
	s_and_not1_b32 vcc_lo, exec_lo, s13
	s_cbranch_vccnz .LBB361_36
; %bb.6:
	s_clause 0x1
	s_load_b128 s[16:19], s[0:1], 0x40
	s_load_b64 s[20:21], s[0:1], 0x50
	v_cndmask_b32_e64 v1, 0, 1, s12
	s_xor_b32 s28, s12, -1
	s_mov_b64 s[22:23], 0
	s_delay_alu instid0(VALU_DEP_1)
	v_cmp_ne_u32_e32 vcc_lo, 1, v1
	s_cbranch_vccnz .LBB361_8
; %bb.7:
	s_lshl_b64 s[12:13], s[2:3], 3
	s_waitcnt lgkmcnt(0)
	s_add_u32 s12, s16, s12
	s_addc_u32 s13, s17, s13
	s_lshl_b64 s[16:17], s[18:19], 4
	s_load_b64 s[12:13], s[12:13], 0x0
	s_waitcnt lgkmcnt(0)
	s_add_u32 s22, s12, s16
	s_addc_u32 s23, s13, s17
.LBB361_8:
	s_waitcnt lgkmcnt(0)
	s_clause 0x1
	s_load_b128 s[16:19], s[0:1], 0x78
	s_load_b64 s[12:13], s[0:1], 0x88
	s_lshl_b64 s[2:3], s[2:3], 3
	s_waitcnt lgkmcnt(0)
	s_add_u32 s2, s16, s2
	s_addc_u32 s3, s17, s3
	s_lshl_b64 s[18:19], s[18:19], 4
	s_load_b64 s[16:17], s[2:3], 0x0
	v_cmp_eq_u32_e64 s2, 0, v0
	s_waitcnt lgkmcnt(0)
	s_add_u32 s15, s16, s18
	s_addc_u32 s18, s17, s19
	s_and_not1_b32 vcc_lo, exec_lo, s28
	s_cbranch_vccnz .LBB361_13
; %bb.9:
	s_mov_b32 s3, 0
	s_mov_b32 s19, 0
                                        ; implicit-def: $vgpr3_vgpr4
                                        ; implicit-def: $sgpr16_sgpr17
	s_and_saveexec_b32 s28, s2
	s_cbranch_execz .LBB361_14
; %bb.10:
	v_cmp_neq_f64_e64 s2, s[4:5], 0
	v_cmp_neq_f64_e64 s16, s[6:7], 0
	v_mov_b32_e32 v3, 0
	v_mov_b32_e32 v4, 0
	s_mul_i32 s17, s14, s13
	s_mul_hi_u32 s19, s14, s12
	s_delay_alu instid0(VALU_DEP_2)
	v_mov_b32_e32 v1, v3
	s_add_i32 s17, s19, s17
	v_mov_b32_e32 v2, v4
	s_or_b32 s2, s2, s16
	s_ashr_i32 s16, s14, 31
	s_and_not1_b32 vcc_lo, exec_lo, s2
	s_mul_i32 s16, s16, s12
	s_delay_alu instid0(SALU_CYCLE_1)
	s_add_i32 s17, s17, s16
	s_mul_i32 s16, s14, s12
	s_cbranch_vccnz .LBB361_12
; %bb.11:
	s_lshl_b64 s[30:31], s[16:17], 4
	s_delay_alu instid0(SALU_CYCLE_1)
	s_add_u32 s30, s15, s30
	s_addc_u32 s31, s18, s31
	s_load_b128 s[36:39], s[30:31], 0x0
	s_waitcnt lgkmcnt(0)
	v_mul_f64 v[1:2], s[6:7], s[38:39]
	v_mul_f64 v[3:4], s[4:5], s[38:39]
	s_delay_alu instid0(VALU_DEP_2) | instskip(NEXT) | instid1(VALU_DEP_2)
	v_fma_f64 v[1:2], s[4:5], s[36:37], -v[1:2]
	v_fma_f64 v[3:4], s[6:7], s[36:37], v[3:4]
.LBB361_12:
	s_mov_b32 s19, exec_lo
	s_or_b32 exec_lo, exec_lo, s28
	s_delay_alu instid0(SALU_CYCLE_1)
	s_and_b32 vcc_lo, exec_lo, s3
	s_cbranch_vccnz .LBB361_15
	s_branch .LBB361_34
.LBB361_13:
	s_mov_b32 s19, 0
                                        ; implicit-def: $vgpr3_vgpr4
                                        ; implicit-def: $sgpr16_sgpr17
	s_cbranch_execnz .LBB361_15
	s_branch .LBB361_34
.LBB361_14:
	s_or_b32 exec_lo, exec_lo, s28
	s_delay_alu instid0(SALU_CYCLE_1)
	s_and_b32 vcc_lo, exec_lo, s3
	s_cbranch_vccz .LBB361_34
.LBB361_15:
	s_load_b32 s3, s[0:1], 0x0
	s_mul_i32 s0, s14, s25
	s_mul_hi_u32 s2, s14, s24
	s_ashr_i32 s1, s14, 31
	s_add_i32 s0, s2, s0
	s_mul_i32 s2, s1, s24
	s_mul_i32 s16, s14, s24
	s_add_i32 s17, s0, s2
	s_mov_b32 s25, 0
	s_lshl_b64 s[16:17], s[16:17], 4
	s_mov_b32 s24, exec_lo
	s_add_u32 s0, s16, s26
	s_addc_u32 s16, s17, s27
	s_waitcnt lgkmcnt(0)
	v_cmp_gt_i32_e32 vcc_lo, s3, v0
	s_ashr_i32 s2, s3, 31
	s_delay_alu instid0(SALU_CYCLE_1) | instskip(NEXT) | instid1(SALU_CYCLE_1)
	s_lshr_b32 s2, s2, 24
	s_add_i32 s2, s3, s2
	v_cndmask_b32_e32 v1, 0, v0, vcc_lo
	s_and_b32 s2, s2, 0xffffff00
	s_delay_alu instid0(VALU_DEP_1) | instskip(SKIP_2) | instid1(VALU_DEP_3)
	v_lshlrev_b32_e32 v3, 4, v1
	v_mov_b32_e32 v1, 0
	v_mov_b32_e32 v2, 0
	v_add_co_u32 v5, s0, s0, v3
	s_delay_alu instid0(VALU_DEP_1) | instskip(NEXT) | instid1(VALU_DEP_3)
	v_add_co_ci_u32_e64 v6, null, s16, 0, s0
	v_dual_mov_b32 v4, v2 :: v_dual_mov_b32 v3, v1
	v_cmpx_gt_i32_e64 s2, v0
	s_cbranch_execz .LBB361_19
; %bb.16:
	v_mad_u64_u32 v[1:2], null, s20, v0, 0
	v_mov_b32_e32 v8, v6
	s_lshl_b64 s[16:17], s[20:21], 12
	v_mov_b32_e32 v7, v5
	v_mov_b32_e32 v11, v0
	s_delay_alu instid0(VALU_DEP_4) | instskip(NEXT) | instid1(VALU_DEP_1)
	v_mad_u64_u32 v[3:4], null, s21, v0, v[2:3]
	v_mov_b32_e32 v2, v3
	s_delay_alu instid0(VALU_DEP_1) | instskip(SKIP_2) | instid1(VALU_DEP_3)
	v_lshlrev_b64 v[3:4], 4, v[1:2]
	v_mov_b32_e32 v1, 0
	v_mov_b32_e32 v2, 0
	v_add_co_u32 v9, vcc_lo, s22, v3
	s_delay_alu instid0(VALU_DEP_4) | instskip(NEXT) | instid1(VALU_DEP_3)
	v_add_co_ci_u32_e32 v10, vcc_lo, s23, v4, vcc_lo
	v_dual_mov_b32 v4, v2 :: v_dual_mov_b32 v3, v1
	.p2align	6
.LBB361_17:                             ; =>This Inner Loop Header: Depth=1
	flat_load_b128 v[12:15], v[7:8]
	flat_load_b128 v[16:19], v[9:10]
	v_add_nc_u32_e32 v11, 0x100, v11
	v_add_co_u32 v7, vcc_lo, 0x1000, v7
	v_add_co_ci_u32_e32 v8, vcc_lo, 0, v8, vcc_lo
	s_delay_alu instid0(VALU_DEP_3) | instskip(SKIP_1) | instid1(VALU_DEP_1)
	v_cmp_le_i32_e32 vcc_lo, s2, v11
	v_add_co_u32 v9, s0, v9, s16
	v_add_co_ci_u32_e64 v10, s0, s17, v10, s0
	s_or_b32 s25, vcc_lo, s25
	s_waitcnt vmcnt(0) lgkmcnt(0)
	v_mul_f64 v[20:21], v[14:15], v[18:19]
	v_mul_f64 v[18:19], v[12:13], v[18:19]
	s_delay_alu instid0(VALU_DEP_2) | instskip(NEXT) | instid1(VALU_DEP_2)
	v_fma_f64 v[12:13], v[12:13], v[16:17], -v[20:21]
	v_fma_f64 v[14:15], v[14:15], v[16:17], v[18:19]
	s_delay_alu instid0(VALU_DEP_2) | instskip(NEXT) | instid1(VALU_DEP_2)
	v_add_f64 v[3:4], v[3:4], v[12:13]
	v_add_f64 v[1:2], v[1:2], v[14:15]
	s_and_not1_b32 exec_lo, exec_lo, s25
	s_cbranch_execnz .LBB361_17
; %bb.18:
	s_or_b32 exec_lo, exec_lo, s25
.LBB361_19:
	s_delay_alu instid0(SALU_CYCLE_1) | instskip(SKIP_2) | instid1(VALU_DEP_1)
	s_or_b32 exec_lo, exec_lo, s24
	v_add_nc_u32_e32 v7, s2, v0
	s_mov_b32 s0, exec_lo
	v_cmpx_gt_i32_e64 s3, v7
	s_cbranch_execz .LBB361_21
; %bb.20:
	v_ashrrev_i32_e32 v10, 31, v7
	v_mul_lo_u32 v11, v7, s21
	v_mad_u64_u32 v[8:9], null, v7, s20, 0
	s_ashr_i32 s3, s2, 31
	s_delay_alu instid0(VALU_DEP_3) | instskip(SKIP_1) | instid1(SALU_CYCLE_1)
	v_mul_lo_u32 v7, v10, s20
	s_lshl_b64 s[2:3], s[2:3], 4
	v_add_co_u32 v5, vcc_lo, v5, s2
	v_add_co_ci_u32_e32 v6, vcc_lo, s3, v6, vcc_lo
	s_delay_alu instid0(VALU_DEP_3) | instskip(NEXT) | instid1(VALU_DEP_1)
	v_add3_u32 v9, v9, v11, v7
	v_lshlrev_b64 v[7:8], 4, v[8:9]
	s_delay_alu instid0(VALU_DEP_1) | instskip(NEXT) | instid1(VALU_DEP_2)
	v_add_co_u32 v9, vcc_lo, s22, v7
	v_add_co_ci_u32_e32 v10, vcc_lo, s23, v8, vcc_lo
	flat_load_b128 v[5:8], v[5:6]
	flat_load_b128 v[9:12], v[9:10]
	s_waitcnt vmcnt(0) lgkmcnt(0)
	v_mul_f64 v[13:14], v[7:8], v[11:12]
	v_mul_f64 v[11:12], v[5:6], v[11:12]
	s_delay_alu instid0(VALU_DEP_2) | instskip(NEXT) | instid1(VALU_DEP_2)
	v_fma_f64 v[5:6], v[5:6], v[9:10], -v[13:14]
	v_fma_f64 v[7:8], v[7:8], v[9:10], v[11:12]
	s_delay_alu instid0(VALU_DEP_2) | instskip(NEXT) | instid1(VALU_DEP_2)
	v_add_f64 v[3:4], v[3:4], v[5:6]
	v_add_f64 v[1:2], v[1:2], v[7:8]
.LBB361_21:
	s_or_b32 exec_lo, exec_lo, s0
	v_and_b32_e32 v13, 31, v0
	v_cmp_gt_u32_e32 vcc_lo, 32, v0
	s_delay_alu instid0(VALU_DEP_2)
	v_lshlrev_b32_e32 v9, 4, v13
	s_and_saveexec_b32 s0, vcc_lo
	s_cbranch_execz .LBB361_23
; %bb.22:
	v_mov_b32_e32 v5, 0
	s_delay_alu instid0(VALU_DEP_1)
	v_mov_b32_e32 v6, v5
	v_mov_b32_e32 v7, v5
	;; [unrolled: 1-line block ×3, first 2 shown]
	ds_store_b128 v9, v[5:8]
.LBB361_23:
	s_or_b32 exec_lo, exec_lo, s0
	v_mbcnt_lo_u32_b32 v12, -1, 0
	s_mov_b32 s2, exec_lo
	s_waitcnt lgkmcnt(0)
	s_barrier
	buffer_gl0_inv
	v_cmp_gt_u32_e64 s0, 16, v12
	s_delay_alu instid0(VALU_DEP_1) | instskip(SKIP_1) | instid1(VALU_DEP_2)
	v_cndmask_b32_e64 v5, 0, 1, s0
	v_cmp_gt_u32_e64 s0, 24, v12
	v_lshlrev_b32_e32 v5, 4, v5
	s_delay_alu instid0(VALU_DEP_1)
	v_add_lshl_u32 v8, v5, v12, 2
	ds_bpermute_b32 v5, v8, v3
	ds_bpermute_b32 v6, v8, v4
	;; [unrolled: 1-line block ×4, first 2 shown]
	s_waitcnt lgkmcnt(2)
	v_add_f64 v[3:4], v[3:4], v[5:6]
	v_cndmask_b32_e64 v5, 0, 1, s0
	s_waitcnt lgkmcnt(0)
	v_add_f64 v[1:2], v[1:2], v[7:8]
	v_cmp_gt_u32_e64 s0, 28, v12
	s_delay_alu instid0(VALU_DEP_3) | instskip(NEXT) | instid1(VALU_DEP_1)
	v_lshlrev_b32_e32 v5, 3, v5
	v_add_lshl_u32 v8, v5, v12, 2
	ds_bpermute_b32 v5, v8, v3
	ds_bpermute_b32 v6, v8, v4
	ds_bpermute_b32 v7, v8, v1
	ds_bpermute_b32 v8, v8, v2
	s_waitcnt lgkmcnt(2)
	v_add_f64 v[3:4], v[3:4], v[5:6]
	v_cndmask_b32_e64 v5, 0, 1, s0
	s_waitcnt lgkmcnt(0)
	v_add_f64 v[1:2], v[1:2], v[7:8]
	v_cmp_gt_u32_e64 s0, 30, v12
	s_delay_alu instid0(VALU_DEP_3) | instskip(NEXT) | instid1(VALU_DEP_1)
	v_lshlrev_b32_e32 v5, 2, v5
	v_add_lshl_u32 v10, v5, v12, 2
	ds_bpermute_b32 v5, v10, v3
	ds_bpermute_b32 v6, v10, v4
	;; [unrolled: 1-line block ×4, first 2 shown]
	s_waitcnt lgkmcnt(2)
	v_add_f64 v[3:4], v[3:4], v[5:6]
	s_waitcnt lgkmcnt(0)
	v_add_f64 v[5:6], v[1:2], v[7:8]
	v_cndmask_b32_e64 v1, 0, 1, s0
	v_cmp_ne_u32_e64 s0, 31, v12
	s_delay_alu instid0(VALU_DEP_2) | instskip(NEXT) | instid1(VALU_DEP_1)
	v_lshlrev_b32_e32 v1, 1, v1
	v_add_lshl_u32 v11, v1, v12, 2
	ds_bpermute_b32 v1, v11, v3
	ds_bpermute_b32 v2, v11, v4
	;; [unrolled: 1-line block ×4, first 2 shown]
	s_waitcnt lgkmcnt(2)
	v_add_f64 v[1:2], v[3:4], v[1:2]
	v_add_co_ci_u32_e64 v3, s0, 0, v12, s0
	s_waitcnt lgkmcnt(0)
	v_add_f64 v[5:6], v[5:6], v[7:8]
	s_delay_alu instid0(VALU_DEP_2)
	v_lshlrev_b32_e32 v12, 2, v3
	ds_bpermute_b32 v3, v12, v1
	ds_bpermute_b32 v4, v12, v2
	;; [unrolled: 1-line block ×4, first 2 shown]
	v_cmpx_eq_u32_e32 0, v13
	s_cbranch_execz .LBB361_25
; %bb.24:
	s_waitcnt lgkmcnt(0)
	v_add_f64 v[5:6], v[5:6], v[7:8]
	v_add_f64 v[3:4], v[1:2], v[3:4]
	v_lshrrev_b32_e32 v1, 1, v0
	s_delay_alu instid0(VALU_DEP_1)
	v_and_b32_e32 v1, 0x70, v1
	ds_store_b128 v1, v[3:6]
.LBB361_25:
	s_or_b32 exec_lo, exec_lo, s2
	s_waitcnt lgkmcnt(0)
	v_mov_b32_e32 v7, 0
	v_mov_b32_e32 v8, 0
	s_delay_alu instid0(VALU_DEP_2) | instskip(SKIP_2) | instid1(VALU_DEP_2)
	v_mov_b32_e32 v5, v7
	s_mov_b32 s2, exec_lo
	s_barrier
	v_mov_b32_e32 v6, v8
	buffer_gl0_inv
	v_cmpx_gt_u32_e32 8, v0
	s_cbranch_execz .LBB361_27
; %bb.26:
	ds_load_b128 v[5:8], v9
.LBB361_27:
	s_or_b32 exec_lo, exec_lo, s2
	s_and_saveexec_b32 s0, vcc_lo
	s_cbranch_execz .LBB361_29
; %bb.28:
	s_waitcnt lgkmcnt(0)
	ds_bpermute_b32 v1, v10, v5
	ds_bpermute_b32 v2, v10, v6
	ds_bpermute_b32 v3, v10, v7
	ds_bpermute_b32 v4, v10, v8
	s_waitcnt lgkmcnt(2)
	v_add_f64 v[1:2], v[5:6], v[1:2]
	s_waitcnt lgkmcnt(0)
	v_add_f64 v[3:4], v[7:8], v[3:4]
	ds_bpermute_b32 v5, v11, v1
	ds_bpermute_b32 v6, v11, v2
	ds_bpermute_b32 v7, v11, v3
	ds_bpermute_b32 v8, v11, v4
	s_waitcnt lgkmcnt(2)
	v_add_f64 v[1:2], v[1:2], v[5:6]
	s_waitcnt lgkmcnt(0)
	v_add_f64 v[3:4], v[3:4], v[7:8]
	;; [unrolled: 8-line block ×3, first 2 shown]
.LBB361_29:
	s_or_b32 exec_lo, exec_lo, s0
	s_delay_alu instid0(SALU_CYCLE_1)
	s_mov_b32 s0, exec_lo
                                        ; implicit-def: $vgpr3_vgpr4
                                        ; implicit-def: $sgpr16_sgpr17
	v_cmpx_eq_u32_e32 0, v0
	s_cbranch_execz .LBB361_33
; %bb.30:
	s_waitcnt lgkmcnt(0)
	s_delay_alu instid0(VALU_DEP_2)
	v_mul_f64 v[0:1], s[10:11], v[7:8]
	v_mul_f64 v[3:4], s[8:9], v[7:8]
	v_cmp_neq_f64_e64 s2, s[4:5], 0
	v_cmp_neq_f64_e64 s3, s[6:7], 0
	s_mul_i32 s1, s1, s12
	s_mul_i32 s16, s14, s12
	s_delay_alu instid0(VALU_DEP_4) | instskip(NEXT) | instid1(VALU_DEP_4)
	v_fma_f64 v[1:2], s[8:9], v[5:6], -v[0:1]
	v_fma_f64 v[3:4], s[10:11], v[5:6], v[3:4]
	s_mul_hi_u32 s8, s14, s12
	s_delay_alu instid0(VALU_DEP_3) | instskip(SKIP_3) | instid1(SALU_CYCLE_1)
	s_or_b32 s2, s2, s3
	s_mul_i32 s3, s14, s13
	s_and_not1_b32 vcc_lo, exec_lo, s2
	s_add_i32 s3, s8, s3
	s_add_i32 s17, s3, s1
	s_cbranch_vccnz .LBB361_32
; %bb.31:
	s_lshl_b64 s[2:3], s[16:17], 4
	s_delay_alu instid0(SALU_CYCLE_1)
	s_add_u32 s2, s15, s2
	s_addc_u32 s3, s18, s3
	s_load_b128 s[8:11], s[2:3], 0x0
	s_waitcnt lgkmcnt(0)
	v_mul_f64 v[5:6], s[6:7], s[10:11]
	v_mul_f64 v[7:8], s[4:5], s[10:11]
	s_delay_alu instid0(VALU_DEP_2) | instskip(NEXT) | instid1(VALU_DEP_2)
	v_fma_f64 v[5:6], s[4:5], s[8:9], -v[5:6]
	v_fma_f64 v[7:8], s[6:7], s[8:9], v[7:8]
	s_delay_alu instid0(VALU_DEP_2) | instskip(NEXT) | instid1(VALU_DEP_2)
	v_add_f64 v[1:2], v[1:2], v[5:6]
	v_add_f64 v[3:4], v[3:4], v[7:8]
.LBB361_32:
	s_or_b32 s19, s19, exec_lo
.LBB361_33:
	s_or_b32 exec_lo, exec_lo, s0
.LBB361_34:
	s_and_saveexec_b32 s0, s19
	s_cbranch_execz .LBB361_36
; %bb.35:
	s_lshl_b64 s[0:1], s[16:17], 4
	v_mov_b32_e32 v0, 0
	s_add_u32 s0, s15, s0
	s_addc_u32 s1, s18, s1
	global_store_b128 v0, v[1:4], s[0:1]
.LBB361_36:
	s_nop 0
	s_sendmsg sendmsg(MSG_DEALLOC_VGPRS)
	s_endpgm
	.section	.rodata,"a",@progbits
	.p2align	6, 0x0
	.amdhsa_kernel _ZL32rocblas_gemvt_warp_reduce_kernelILb0ELi256ElPK19rocblas_complex_numIdES1_KPS1_EviiT3_lPKT2_lT1_lS9_lSA_lS6_lPT4_lSA_li
		.amdhsa_group_segment_fixed_size 512
		.amdhsa_private_segment_fixed_size 0
		.amdhsa_kernarg_size 156
		.amdhsa_user_sgpr_count 14
		.amdhsa_user_sgpr_dispatch_ptr 0
		.amdhsa_user_sgpr_queue_ptr 0
		.amdhsa_user_sgpr_kernarg_segment_ptr 1
		.amdhsa_user_sgpr_dispatch_id 0
		.amdhsa_user_sgpr_private_segment_size 0
		.amdhsa_wavefront_size32 1
		.amdhsa_uses_dynamic_stack 0
		.amdhsa_enable_private_segment 0
		.amdhsa_system_sgpr_workgroup_id_x 1
		.amdhsa_system_sgpr_workgroup_id_y 0
		.amdhsa_system_sgpr_workgroup_id_z 1
		.amdhsa_system_sgpr_workgroup_info 0
		.amdhsa_system_vgpr_workitem_id 0
		.amdhsa_next_free_vgpr 22
		.amdhsa_next_free_sgpr 40
		.amdhsa_reserve_vcc 1
		.amdhsa_float_round_mode_32 0
		.amdhsa_float_round_mode_16_64 0
		.amdhsa_float_denorm_mode_32 3
		.amdhsa_float_denorm_mode_16_64 3
		.amdhsa_dx10_clamp 1
		.amdhsa_ieee_mode 1
		.amdhsa_fp16_overflow 0
		.amdhsa_workgroup_processor_mode 1
		.amdhsa_memory_ordered 1
		.amdhsa_forward_progress 0
		.amdhsa_shared_vgpr_count 0
		.amdhsa_exception_fp_ieee_invalid_op 0
		.amdhsa_exception_fp_denorm_src 0
		.amdhsa_exception_fp_ieee_div_zero 0
		.amdhsa_exception_fp_ieee_overflow 0
		.amdhsa_exception_fp_ieee_underflow 0
		.amdhsa_exception_fp_ieee_inexact 0
		.amdhsa_exception_int_div_zero 0
	.end_amdhsa_kernel
	.section	.text._ZL32rocblas_gemvt_warp_reduce_kernelILb0ELi256ElPK19rocblas_complex_numIdES1_KPS1_EviiT3_lPKT2_lT1_lS9_lSA_lS6_lPT4_lSA_li,"axG",@progbits,_ZL32rocblas_gemvt_warp_reduce_kernelILb0ELi256ElPK19rocblas_complex_numIdES1_KPS1_EviiT3_lPKT2_lT1_lS9_lSA_lS6_lPT4_lSA_li,comdat
.Lfunc_end361:
	.size	_ZL32rocblas_gemvt_warp_reduce_kernelILb0ELi256ElPK19rocblas_complex_numIdES1_KPS1_EviiT3_lPKT2_lT1_lS9_lSA_lS6_lPT4_lSA_li, .Lfunc_end361-_ZL32rocblas_gemvt_warp_reduce_kernelILb0ELi256ElPK19rocblas_complex_numIdES1_KPS1_EviiT3_lPKT2_lT1_lS9_lSA_lS6_lPT4_lSA_li
                                        ; -- End function
	.section	.AMDGPU.csdata,"",@progbits
; Kernel info:
; codeLenInByte = 2204
; NumSgprs: 42
; NumVgprs: 22
; ScratchSize: 0
; MemoryBound: 0
; FloatMode: 240
; IeeeMode: 1
; LDSByteSize: 512 bytes/workgroup (compile time only)
; SGPRBlocks: 5
; VGPRBlocks: 2
; NumSGPRsForWavesPerEU: 42
; NumVGPRsForWavesPerEU: 22
; Occupancy: 16
; WaveLimiterHint : 1
; COMPUTE_PGM_RSRC2:SCRATCH_EN: 0
; COMPUTE_PGM_RSRC2:USER_SGPR: 14
; COMPUTE_PGM_RSRC2:TRAP_HANDLER: 0
; COMPUTE_PGM_RSRC2:TGID_X_EN: 1
; COMPUTE_PGM_RSRC2:TGID_Y_EN: 0
; COMPUTE_PGM_RSRC2:TGID_Z_EN: 1
; COMPUTE_PGM_RSRC2:TIDIG_COMP_CNT: 0
	.section	.text._ZL20rocblas_gemvt_kernelILb0ELi256EPK19rocblas_complex_numIdES3_KPS1_EviiT2_lPKT1_lilS9_lilS6_lPT3_lili,"axG",@progbits,_ZL20rocblas_gemvt_kernelILb0ELi256EPK19rocblas_complex_numIdES3_KPS1_EviiT2_lPKT1_lilS9_lilS6_lPT3_lili,comdat
	.globl	_ZL20rocblas_gemvt_kernelILb0ELi256EPK19rocblas_complex_numIdES3_KPS1_EviiT2_lPKT1_lilS9_lilS6_lPT3_lili ; -- Begin function _ZL20rocblas_gemvt_kernelILb0ELi256EPK19rocblas_complex_numIdES3_KPS1_EviiT2_lPKT1_lilS9_lilS6_lPT3_lili
	.p2align	8
	.type	_ZL20rocblas_gemvt_kernelILb0ELi256EPK19rocblas_complex_numIdES3_KPS1_EviiT2_lPKT1_lilS9_lilS6_lPT3_lili,@function
_ZL20rocblas_gemvt_kernelILb0ELi256EPK19rocblas_complex_numIdES3_KPS1_EviiT2_lPKT1_lilS9_lilS6_lPT3_lili: ; @_ZL20rocblas_gemvt_kernelILb0ELi256EPK19rocblas_complex_numIdES3_KPS1_EviiT2_lPKT1_lilS9_lilS6_lPT3_lili
; %bb.0:
	s_load_b256 s[16:23], s[0:1], 0x8
	s_mov_b32 s2, s15
	s_mov_b64 s[24:25], 0
	s_waitcnt lgkmcnt(0)
	s_mul_i32 s3, s15, s19
	s_mul_hi_u32 s5, s15, s18
	s_mul_i32 s4, s15, s18
	s_add_i32 s5, s5, s3
	s_delay_alu instid0(SALU_CYCLE_1) | instskip(NEXT) | instid1(SALU_CYCLE_1)
	s_lshl_b64 s[4:5], s[4:5], 4
	s_add_u32 s4, s16, s4
	s_addc_u32 s5, s17, s5
	s_load_b128 s[16:19], s[4:5], 0x0
	s_load_b256 s[4:11], s[0:1], 0x58
	s_waitcnt lgkmcnt(0)
	v_cmp_neq_f64_e64 s12, s[16:17], 0
	v_cmp_neq_f64_e64 s13, s[18:19], 0
	s_mul_i32 s3, s15, s7
	s_mul_hi_u32 s7, s15, s6
	s_mul_i32 s6, s15, s6
	s_add_i32 s7, s7, s3
	s_mov_b32 s3, 0
	s_lshl_b64 s[6:7], s[6:7], 4
	s_mov_b32 s15, -1
	s_add_u32 s4, s4, s6
	s_addc_u32 s5, s5, s7
	s_load_b128 s[4:7], s[4:5], 0x0
	s_delay_alu instid0(VALU_DEP_1)
	s_or_b32 s12, s12, s13
	s_mov_b32 s13, s3
	s_and_b32 vcc_lo, exec_lo, s12
	s_cbranch_vccz .LBB362_4
; %bb.1:
	s_and_not1_b32 vcc_lo, exec_lo, s15
	s_cbranch_vccz .LBB362_5
.LBB362_2:
	s_and_not1_b32 vcc_lo, exec_lo, s13
	s_cbranch_vccz .LBB362_6
.LBB362_3:
	s_endpgm
.LBB362_4:
	s_waitcnt lgkmcnt(0)
	v_cmp_neq_f64_e64 s13, s[4:5], 1.0
	v_cmp_neq_f64_e64 s15, s[6:7], 0
	s_delay_alu instid0(VALU_DEP_1)
	s_or_b32 s13, s13, s15
	s_cbranch_execnz .LBB362_2
.LBB362_5:
	s_lshl_b64 s[24:25], s[2:3], 3
	s_delay_alu instid0(SALU_CYCLE_1)
	s_add_u32 s20, s20, s24
	s_addc_u32 s21, s21, s25
	s_lshl_b64 s[22:23], s[22:23], 4
	s_load_b64 s[20:21], s[20:21], 0x0
	s_waitcnt lgkmcnt(0)
	s_add_u32 s24, s20, s22
	s_addc_u32 s25, s21, s23
.LBB362_6:
	v_cndmask_b32_e64 v1, 0, 1, s12
	s_xor_b32 s20, s12, -1
	s_mov_b64 s[12:13], 0
	s_delay_alu instid0(VALU_DEP_1)
	v_cmp_ne_u32_e32 vcc_lo, 1, v1
	s_cbranch_vccnz .LBB362_8
; %bb.7:
	s_load_b128 s[28:31], s[0:1], 0x38
	s_lshl_b64 s[12:13], s[2:3], 3
	s_waitcnt lgkmcnt(0)
	s_add_u32 s12, s28, s12
	s_addc_u32 s13, s29, s13
	s_lshl_b64 s[22:23], s[30:31], 4
	s_load_b64 s[12:13], s[12:13], 0x0
	s_waitcnt lgkmcnt(0)
	s_add_u32 s12, s12, s22
	s_addc_u32 s13, s13, s23
.LBB362_8:
	s_lshl_b64 s[2:3], s[2:3], 3
	s_delay_alu instid0(SALU_CYCLE_1)
	s_add_u32 s2, s8, s2
	s_addc_u32 s3, s9, s3
	s_lshl_b64 s[10:11], s[10:11], 4
	s_load_b64 s[8:9], s[2:3], 0x0
	s_load_b32 s15, s[0:1], 0x78
	v_cmp_eq_u32_e64 s2, 0, v0
	s_waitcnt lgkmcnt(0)
	s_add_u32 s10, s8, s10
	s_addc_u32 s11, s9, s11
	s_and_not1_b32 vcc_lo, exec_lo, s20
	s_cbranch_vccnz .LBB362_13
; %bb.9:
	s_mov_b32 s3, 0
	s_mov_b32 s20, 0
                                        ; implicit-def: $vgpr3_vgpr4
                                        ; implicit-def: $sgpr8_sgpr9
	s_and_saveexec_b32 s21, s2
	s_cbranch_execz .LBB362_14
; %bb.10:
	v_cmp_neq_f64_e64 s2, s[4:5], 0
	v_cmp_neq_f64_e64 s8, s[6:7], 0
	v_mov_b32_e32 v3, 0
	v_mov_b32_e32 v4, 0
	s_delay_alu instid0(VALU_DEP_2) | instskip(SKIP_1) | instid1(VALU_DEP_2)
	v_mov_b32_e32 v1, v3
	s_mul_hi_i32 s9, s15, s14
	v_mov_b32_e32 v2, v4
	s_or_b32 s2, s2, s8
	s_mul_i32 s8, s15, s14
	s_and_not1_b32 vcc_lo, exec_lo, s2
	s_cbranch_vccnz .LBB362_12
; %bb.11:
	s_lshl_b64 s[22:23], s[8:9], 4
	s_delay_alu instid0(SALU_CYCLE_1)
	s_add_u32 s22, s10, s22
	s_addc_u32 s23, s11, s23
	s_load_b128 s[28:31], s[22:23], 0x0
	s_waitcnt lgkmcnt(0)
	v_mul_f64 v[1:2], s[6:7], s[30:31]
	v_mul_f64 v[3:4], s[4:5], s[30:31]
	s_delay_alu instid0(VALU_DEP_2) | instskip(NEXT) | instid1(VALU_DEP_2)
	v_fma_f64 v[1:2], s[4:5], s[28:29], -v[1:2]
	v_fma_f64 v[3:4], s[6:7], s[28:29], v[3:4]
.LBB362_12:
	s_mov_b32 s20, exec_lo
	s_or_b32 exec_lo, exec_lo, s21
	s_delay_alu instid0(SALU_CYCLE_1)
	s_and_b32 vcc_lo, exec_lo, s3
	s_cbranch_vccnz .LBB362_15
	s_branch .LBB362_41
.LBB362_13:
	s_mov_b32 s20, 0
                                        ; implicit-def: $vgpr3_vgpr4
                                        ; implicit-def: $sgpr8_sgpr9
	s_cbranch_execnz .LBB362_15
	s_branch .LBB362_41
.LBB362_14:
	s_or_b32 exec_lo, exec_lo, s21
	s_delay_alu instid0(SALU_CYCLE_1)
	s_and_b32 vcc_lo, exec_lo, s3
	s_cbranch_vccz .LBB362_41
.LBB362_15:
	s_clause 0x2
	s_load_b32 s2, s[0:1], 0x28
	s_load_b32 s3, s[0:1], 0x0
	;; [unrolled: 1-line block ×3, first 2 shown]
	v_mov_b32_e32 v3, 0
	s_mov_b32 s21, 0
	v_mov_b32_e32 v4, 0
	s_waitcnt lgkmcnt(0)
	s_mul_hi_i32 s9, s2, s14
	v_cmp_gt_i32_e32 vcc_lo, s3, v0
	s_mul_i32 s8, s2, s14
	s_delay_alu instid0(SALU_CYCLE_1) | instskip(SKIP_4) | instid1(SALU_CYCLE_1)
	s_lshl_b64 s[8:9], s[8:9], 4
	v_cndmask_b32_e32 v1, 0, v0, vcc_lo
	s_add_u32 s1, s8, s24
	s_addc_u32 s2, s9, s25
	s_ashr_i32 s8, s3, 31
	s_lshr_b32 s8, s8, 24
	v_lshlrev_b32_e32 v1, 4, v1
	s_add_i32 s8, s3, s8
	s_delay_alu instid0(VALU_DEP_1)
	v_add_co_u32 v5, s1, s1, v1
	v_dual_mov_b32 v1, v3 :: v_dual_mov_b32 v2, v4
	v_add_co_ci_u32_e64 v6, null, s2, 0, s1
	s_and_b32 s2, s8, 0xffffff00
	s_cmpk_lt_i32 s3, 0x100
	s_cbranch_scc1 .LBB362_18
; %bb.16:
	v_mad_i64_i32 v[1:2], null, s0, v0, 0
	v_dual_mov_b32 v3, 0 :: v_dual_mov_b32 v8, v6
	v_dual_mov_b32 v4, 0 :: v_dual_mov_b32 v7, v5
	s_ashr_i32 s1, s0, 31
	s_delay_alu instid0(SALU_CYCLE_1) | instskip(NEXT) | instid1(VALU_DEP_3)
	s_lshl_b64 s[8:9], s[0:1], 12
	v_lshlrev_b64 v[1:2], 4, v[1:2]
	s_delay_alu instid0(VALU_DEP_1) | instskip(NEXT) | instid1(VALU_DEP_2)
	v_add_co_u32 v9, vcc_lo, s12, v1
	v_add_co_ci_u32_e32 v10, vcc_lo, s13, v2, vcc_lo
	v_dual_mov_b32 v1, v3 :: v_dual_mov_b32 v2, v4
	.p2align	6
.LBB362_17:                             ; =>This Inner Loop Header: Depth=1
	flat_load_b128 v[11:14], v[7:8]
	flat_load_b128 v[15:18], v[9:10]
	v_add_co_u32 v9, vcc_lo, v9, s8
	v_add_co_ci_u32_e32 v10, vcc_lo, s9, v10, vcc_lo
	v_add_co_u32 v7, vcc_lo, 0x1000, v7
	v_add_co_ci_u32_e32 v8, vcc_lo, 0, v8, vcc_lo
	s_addk_i32 s21, 0x100
	s_delay_alu instid0(SALU_CYCLE_1) | instskip(SKIP_3) | instid1(VALU_DEP_2)
	s_cmp_ge_i32 s21, s2
	s_waitcnt vmcnt(0) lgkmcnt(0)
	v_mul_f64 v[19:20], v[13:14], v[17:18]
	v_mul_f64 v[17:18], v[11:12], v[17:18]
	v_fma_f64 v[11:12], v[11:12], v[15:16], -v[19:20]
	s_delay_alu instid0(VALU_DEP_2) | instskip(NEXT) | instid1(VALU_DEP_2)
	v_fma_f64 v[13:14], v[13:14], v[15:16], v[17:18]
	v_add_f64 v[1:2], v[1:2], v[11:12]
	s_delay_alu instid0(VALU_DEP_2)
	v_add_f64 v[3:4], v[3:4], v[13:14]
	s_cbranch_scc0 .LBB362_17
.LBB362_18:
	v_add_nc_u32_e32 v7, s2, v0
	s_mov_b32 s1, exec_lo
	s_delay_alu instid0(VALU_DEP_1)
	v_cmpx_gt_i32_e64 s3, v7
	s_cbranch_execz .LBB362_20
; %bb.19:
	v_mad_i64_i32 v[8:9], null, s0, v7, 0
	s_ashr_i32 s3, s2, 31
	s_delay_alu instid0(SALU_CYCLE_1) | instskip(NEXT) | instid1(SALU_CYCLE_1)
	s_lshl_b64 s[2:3], s[2:3], 4
	v_add_co_u32 v5, vcc_lo, v5, s2
	s_delay_alu instid0(VALU_DEP_2) | instskip(SKIP_1) | instid1(VALU_DEP_2)
	v_lshlrev_b64 v[7:8], 4, v[8:9]
	v_add_co_ci_u32_e32 v6, vcc_lo, s3, v6, vcc_lo
	v_add_co_u32 v9, vcc_lo, s12, v7
	s_delay_alu instid0(VALU_DEP_3)
	v_add_co_ci_u32_e32 v10, vcc_lo, s13, v8, vcc_lo
	flat_load_b128 v[5:8], v[5:6]
	flat_load_b128 v[9:12], v[9:10]
	s_waitcnt vmcnt(0) lgkmcnt(0)
	v_mul_f64 v[13:14], v[7:8], v[11:12]
	v_mul_f64 v[11:12], v[5:6], v[11:12]
	s_delay_alu instid0(VALU_DEP_2) | instskip(NEXT) | instid1(VALU_DEP_2)
	v_fma_f64 v[5:6], v[5:6], v[9:10], -v[13:14]
	v_fma_f64 v[7:8], v[7:8], v[9:10], v[11:12]
	s_delay_alu instid0(VALU_DEP_2) | instskip(NEXT) | instid1(VALU_DEP_2)
	v_add_f64 v[1:2], v[1:2], v[5:6]
	v_add_f64 v[3:4], v[3:4], v[7:8]
.LBB362_20:
	s_or_b32 exec_lo, exec_lo, s1
	v_lshlrev_b32_e32 v5, 4, v0
	s_mov_b32 s0, exec_lo
	ds_store_b128 v5, v[1:4]
	s_waitcnt lgkmcnt(0)
	s_barrier
	buffer_gl0_inv
	v_cmpx_gt_u32_e32 0x80, v0
	s_cbranch_execz .LBB362_22
; %bb.21:
	ds_load_b128 v[1:4], v5 offset:2048
	ds_load_b128 v[6:9], v5
	s_waitcnt lgkmcnt(0)
	v_add_f64 v[1:2], v[1:2], v[6:7]
	v_add_f64 v[3:4], v[3:4], v[8:9]
	ds_store_b128 v5, v[1:4]
.LBB362_22:
	s_or_b32 exec_lo, exec_lo, s0
	s_delay_alu instid0(SALU_CYCLE_1)
	s_mov_b32 s0, exec_lo
	s_waitcnt lgkmcnt(0)
	s_barrier
	buffer_gl0_inv
	v_cmpx_gt_u32_e32 64, v0
	s_cbranch_execz .LBB362_24
; %bb.23:
	ds_load_b128 v[1:4], v5 offset:1024
	ds_load_b128 v[6:9], v5
	s_waitcnt lgkmcnt(0)
	v_add_f64 v[1:2], v[1:2], v[6:7]
	v_add_f64 v[3:4], v[3:4], v[8:9]
	ds_store_b128 v5, v[1:4]
.LBB362_24:
	s_or_b32 exec_lo, exec_lo, s0
	s_delay_alu instid0(SALU_CYCLE_1)
	s_mov_b32 s0, exec_lo
	;; [unrolled: 16-line block ×6, first 2 shown]
	s_waitcnt lgkmcnt(0)
	s_barrier
	buffer_gl0_inv
	v_cmpx_gt_u32_e32 2, v0
	s_cbranch_execz .LBB362_34
; %bb.33:
	ds_load_b128 v[1:4], v5
	ds_load_b128 v[6:9], v5 offset:32
	s_waitcnt lgkmcnt(0)
	v_add_f64 v[1:2], v[6:7], v[1:2]
	v_add_f64 v[3:4], v[8:9], v[3:4]
	ds_store_b128 v5, v[1:4]
.LBB362_34:
	s_or_b32 exec_lo, exec_lo, s0
	v_cmp_eq_u32_e32 vcc_lo, 0, v0
	s_waitcnt lgkmcnt(0)
	s_barrier
	buffer_gl0_inv
	s_and_saveexec_b32 s0, vcc_lo
	s_cbranch_execz .LBB362_36
; %bb.35:
	v_mov_b32_e32 v8, 0
	ds_load_b128 v[0:3], v8
	ds_load_b128 v[4:7], v8 offset:16
	s_waitcnt lgkmcnt(0)
	v_add_f64 v[0:1], v[4:5], v[0:1]
	v_add_f64 v[2:3], v[6:7], v[2:3]
	ds_store_b128 v8, v[0:3]
.LBB362_36:
	s_or_b32 exec_lo, exec_lo, s0
	s_waitcnt lgkmcnt(0)
	s_barrier
	buffer_gl0_inv
                                        ; implicit-def: $vgpr3_vgpr4
                                        ; implicit-def: $sgpr8_sgpr9
	s_and_saveexec_b32 s0, vcc_lo
	s_cbranch_execz .LBB362_40
; %bb.37:
	v_mov_b32_e32 v0, 0
	v_cmp_neq_f64_e64 s1, s[4:5], 0
	v_cmp_neq_f64_e64 s2, s[6:7], 0
	s_mul_hi_i32 s9, s15, s14
	s_mul_i32 s8, s15, s14
	ds_load_b128 v[3:6], v0
	s_waitcnt lgkmcnt(0)
	v_mul_f64 v[0:1], s[18:19], v[5:6]
	v_mul_f64 v[5:6], s[16:17], v[5:6]
	s_or_b32 s1, s1, s2
	s_delay_alu instid0(SALU_CYCLE_1) | instskip(NEXT) | instid1(VALU_DEP_2)
	s_and_not1_b32 vcc_lo, exec_lo, s1
	v_fma_f64 v[1:2], s[16:17], v[3:4], -v[0:1]
	s_delay_alu instid0(VALU_DEP_2)
	v_fma_f64 v[3:4], s[18:19], v[3:4], v[5:6]
	s_cbranch_vccnz .LBB362_39
; %bb.38:
	s_lshl_b64 s[2:3], s[8:9], 4
	s_delay_alu instid0(SALU_CYCLE_1)
	s_add_u32 s2, s10, s2
	s_addc_u32 s3, s11, s3
	s_load_b128 s[12:15], s[2:3], 0x0
	s_waitcnt lgkmcnt(0)
	v_mul_f64 v[5:6], s[6:7], s[14:15]
	v_mul_f64 v[7:8], s[4:5], s[14:15]
	s_delay_alu instid0(VALU_DEP_2) | instskip(NEXT) | instid1(VALU_DEP_2)
	v_fma_f64 v[5:6], s[4:5], s[12:13], -v[5:6]
	v_fma_f64 v[7:8], s[6:7], s[12:13], v[7:8]
	s_delay_alu instid0(VALU_DEP_2) | instskip(NEXT) | instid1(VALU_DEP_2)
	v_add_f64 v[1:2], v[1:2], v[5:6]
	v_add_f64 v[3:4], v[3:4], v[7:8]
.LBB362_39:
	s_or_b32 s20, s20, exec_lo
.LBB362_40:
	s_or_b32 exec_lo, exec_lo, s0
.LBB362_41:
	s_and_saveexec_b32 s0, s20
	s_cbranch_execz .LBB362_3
; %bb.42:
	s_lshl_b64 s[0:1], s[8:9], 4
	v_mov_b32_e32 v0, 0
	s_add_u32 s0, s10, s0
	s_addc_u32 s1, s11, s1
	global_store_b128 v0, v[1:4], s[0:1]
	s_nop 0
	s_sendmsg sendmsg(MSG_DEALLOC_VGPRS)
	s_endpgm
	.section	.rodata,"a",@progbits
	.p2align	6, 0x0
	.amdhsa_kernel _ZL20rocblas_gemvt_kernelILb0ELi256EPK19rocblas_complex_numIdES3_KPS1_EviiT2_lPKT1_lilS9_lilS6_lPT3_lili
		.amdhsa_group_segment_fixed_size 4096
		.amdhsa_private_segment_fixed_size 0
		.amdhsa_kernarg_size 140
		.amdhsa_user_sgpr_count 14
		.amdhsa_user_sgpr_dispatch_ptr 0
		.amdhsa_user_sgpr_queue_ptr 0
		.amdhsa_user_sgpr_kernarg_segment_ptr 1
		.amdhsa_user_sgpr_dispatch_id 0
		.amdhsa_user_sgpr_private_segment_size 0
		.amdhsa_wavefront_size32 1
		.amdhsa_uses_dynamic_stack 0
		.amdhsa_enable_private_segment 0
		.amdhsa_system_sgpr_workgroup_id_x 1
		.amdhsa_system_sgpr_workgroup_id_y 0
		.amdhsa_system_sgpr_workgroup_id_z 1
		.amdhsa_system_sgpr_workgroup_info 0
		.amdhsa_system_vgpr_workitem_id 0
		.amdhsa_next_free_vgpr 21
		.amdhsa_next_free_sgpr 32
		.amdhsa_reserve_vcc 1
		.amdhsa_float_round_mode_32 0
		.amdhsa_float_round_mode_16_64 0
		.amdhsa_float_denorm_mode_32 3
		.amdhsa_float_denorm_mode_16_64 3
		.amdhsa_dx10_clamp 1
		.amdhsa_ieee_mode 1
		.amdhsa_fp16_overflow 0
		.amdhsa_workgroup_processor_mode 1
		.amdhsa_memory_ordered 1
		.amdhsa_forward_progress 0
		.amdhsa_shared_vgpr_count 0
		.amdhsa_exception_fp_ieee_invalid_op 0
		.amdhsa_exception_fp_denorm_src 0
		.amdhsa_exception_fp_ieee_div_zero 0
		.amdhsa_exception_fp_ieee_overflow 0
		.amdhsa_exception_fp_ieee_underflow 0
		.amdhsa_exception_fp_ieee_inexact 0
		.amdhsa_exception_int_div_zero 0
	.end_amdhsa_kernel
	.section	.text._ZL20rocblas_gemvt_kernelILb0ELi256EPK19rocblas_complex_numIdES3_KPS1_EviiT2_lPKT1_lilS9_lilS6_lPT3_lili,"axG",@progbits,_ZL20rocblas_gemvt_kernelILb0ELi256EPK19rocblas_complex_numIdES3_KPS1_EviiT2_lPKT1_lilS9_lilS6_lPT3_lili,comdat
.Lfunc_end362:
	.size	_ZL20rocblas_gemvt_kernelILb0ELi256EPK19rocblas_complex_numIdES3_KPS1_EviiT2_lPKT1_lilS9_lilS6_lPT3_lili, .Lfunc_end362-_ZL20rocblas_gemvt_kernelILb0ELi256EPK19rocblas_complex_numIdES3_KPS1_EviiT2_lPKT1_lilS9_lilS6_lPT3_lili
                                        ; -- End function
	.section	.AMDGPU.csdata,"",@progbits
; Kernel info:
; codeLenInByte = 1964
; NumSgprs: 34
; NumVgprs: 21
; ScratchSize: 0
; MemoryBound: 0
; FloatMode: 240
; IeeeMode: 1
; LDSByteSize: 4096 bytes/workgroup (compile time only)
; SGPRBlocks: 4
; VGPRBlocks: 2
; NumSGPRsForWavesPerEU: 34
; NumVGPRsForWavesPerEU: 21
; Occupancy: 16
; WaveLimiterHint : 1
; COMPUTE_PGM_RSRC2:SCRATCH_EN: 0
; COMPUTE_PGM_RSRC2:USER_SGPR: 14
; COMPUTE_PGM_RSRC2:TRAP_HANDLER: 0
; COMPUTE_PGM_RSRC2:TGID_X_EN: 1
; COMPUTE_PGM_RSRC2:TGID_Y_EN: 0
; COMPUTE_PGM_RSRC2:TGID_Z_EN: 1
; COMPUTE_PGM_RSRC2:TIDIG_COMP_CNT: 0
	.section	.text._ZL20rocblas_gemvt_kernelILb0ELi256EPK19rocblas_complex_numIdES1_KPS1_EviiT2_lPKT1_lilS9_lilS6_lPT3_lili,"axG",@progbits,_ZL20rocblas_gemvt_kernelILb0ELi256EPK19rocblas_complex_numIdES1_KPS1_EviiT2_lPKT1_lilS9_lilS6_lPT3_lili,comdat
	.globl	_ZL20rocblas_gemvt_kernelILb0ELi256EPK19rocblas_complex_numIdES1_KPS1_EviiT2_lPKT1_lilS9_lilS6_lPT3_lili ; -- Begin function _ZL20rocblas_gemvt_kernelILb0ELi256EPK19rocblas_complex_numIdES1_KPS1_EviiT2_lPKT1_lilS9_lilS6_lPT3_lili
	.p2align	8
	.type	_ZL20rocblas_gemvt_kernelILb0ELi256EPK19rocblas_complex_numIdES1_KPS1_EviiT2_lPKT1_lilS9_lilS6_lPT3_lili,@function
_ZL20rocblas_gemvt_kernelILb0ELi256EPK19rocblas_complex_numIdES1_KPS1_EviiT2_lPKT1_lilS9_lilS6_lPT3_lili: ; @_ZL20rocblas_gemvt_kernelILb0ELi256EPK19rocblas_complex_numIdES1_KPS1_EviiT2_lPKT1_lilS9_lilS6_lPT3_lili
; %bb.0:
	s_clause 0x1
	s_load_b128 s[8:11], s[0:1], 0x8
	s_load_b128 s[4:7], s[0:1], 0x60
	s_mov_b32 s2, s15
	s_mov_b32 s15, -1
	s_waitcnt lgkmcnt(0)
	v_cmp_neq_f64_e64 s3, s[8:9], 0
	v_cmp_neq_f64_e64 s12, s[10:11], 0
	s_delay_alu instid0(VALU_DEP_1) | instskip(NEXT) | instid1(SALU_CYCLE_1)
	s_or_b32 s12, s3, s12
                                        ; implicit-def: $sgpr3
	s_and_b32 vcc_lo, exec_lo, s12
	s_cbranch_vccnz .LBB363_3
; %bb.1:
	v_cmp_eq_f64_e64 s3, s[4:5], 1.0
	v_cmp_eq_f64_e64 s13, s[6:7], 0
	s_mov_b32 s15, 0
	s_delay_alu instid0(VALU_DEP_1) | instskip(NEXT) | instid1(SALU_CYCLE_1)
	s_and_b32 s3, s3, s13
	s_and_not1_b32 vcc_lo, exec_lo, s3
	s_cbranch_vccz .LBB363_3
; %bb.2:
	s_mov_b32 s3, 0
	s_mov_b32 s13, -1
	s_mov_b64 s[16:17], 0
	s_and_b32 vcc_lo, exec_lo, s15
	s_cbranch_vccnz .LBB363_4
	s_branch .LBB363_5
.LBB363_3:
	s_mov_b32 s13, 0
                                        ; implicit-def: $sgpr16_sgpr17
	s_and_b32 vcc_lo, exec_lo, s15
	s_cbranch_vccz .LBB363_5
.LBB363_4:
	s_load_b128 s[16:19], s[0:1], 0x20
	s_mov_b32 s3, 0
	s_mov_b32 s13, -1
	s_lshl_b64 s[20:21], s[2:3], 3
	s_waitcnt lgkmcnt(0)
	s_add_u32 s16, s16, s20
	s_addc_u32 s17, s17, s21
	s_lshl_b64 s[18:19], s[18:19], 4
	s_load_b64 s[16:17], s[16:17], 0x0
	s_waitcnt lgkmcnt(0)
	s_add_u32 s16, s16, s18
	s_addc_u32 s17, s17, s19
.LBB363_5:
	s_and_not1_b32 vcc_lo, exec_lo, s13
	s_cbranch_vccnz .LBB363_43
; %bb.6:
	v_cndmask_b32_e64 v1, 0, 1, s12
	s_xor_b32 s18, s12, -1
	s_mov_b64 s[12:13], 0
	s_delay_alu instid0(VALU_DEP_1)
	v_cmp_ne_u32_e32 vcc_lo, 1, v1
	s_cbranch_vccnz .LBB363_8
; %bb.7:
	s_load_b128 s[20:23], s[0:1], 0x40
	s_lshl_b64 s[12:13], s[2:3], 3
	s_waitcnt lgkmcnt(0)
	s_add_u32 s12, s20, s12
	s_addc_u32 s13, s21, s13
	s_lshl_b64 s[20:21], s[22:23], 4
	s_load_b64 s[12:13], s[12:13], 0x0
	s_waitcnt lgkmcnt(0)
	s_add_u32 s12, s12, s20
	s_addc_u32 s13, s13, s21
.LBB363_8:
	s_clause 0x1
	s_load_b128 s[24:27], s[0:1], 0x78
	s_load_b32 s21, s[0:1], 0x88
	s_lshl_b64 s[2:3], s[2:3], 3
	s_waitcnt lgkmcnt(0)
	s_add_u32 s2, s24, s2
	s_addc_u32 s3, s25, s3
	s_lshl_b64 s[24:25], s[26:27], 4
	s_load_b64 s[22:23], s[2:3], 0x0
	v_cmp_eq_u32_e64 s2, 0, v0
	s_waitcnt lgkmcnt(0)
	s_add_u32 s15, s22, s24
	s_addc_u32 s20, s23, s25
	s_and_not1_b32 vcc_lo, exec_lo, s18
	s_cbranch_vccnz .LBB363_13
; %bb.9:
	s_mov_b32 s3, 0
	s_mov_b32 s22, 0
                                        ; implicit-def: $vgpr3_vgpr4
                                        ; implicit-def: $sgpr18_sgpr19
	s_and_saveexec_b32 s23, s2
	s_cbranch_execz .LBB363_14
; %bb.10:
	v_cmp_neq_f64_e64 s2, s[4:5], 0
	v_cmp_neq_f64_e64 s18, s[6:7], 0
	v_mov_b32_e32 v3, 0
	v_mov_b32_e32 v4, 0
	s_delay_alu instid0(VALU_DEP_2) | instskip(SKIP_1) | instid1(VALU_DEP_2)
	v_mov_b32_e32 v1, v3
	s_mul_hi_i32 s19, s21, s14
	v_mov_b32_e32 v2, v4
	s_or_b32 s2, s2, s18
	s_mul_i32 s18, s21, s14
	s_and_not1_b32 vcc_lo, exec_lo, s2
	s_cbranch_vccnz .LBB363_12
; %bb.11:
	s_lshl_b64 s[24:25], s[18:19], 4
	s_delay_alu instid0(SALU_CYCLE_1)
	s_add_u32 s24, s15, s24
	s_addc_u32 s25, s20, s25
	s_load_b128 s[24:27], s[24:25], 0x0
	s_waitcnt lgkmcnt(0)
	v_mul_f64 v[1:2], s[6:7], s[26:27]
	v_mul_f64 v[3:4], s[4:5], s[26:27]
	s_delay_alu instid0(VALU_DEP_2) | instskip(NEXT) | instid1(VALU_DEP_2)
	v_fma_f64 v[1:2], s[4:5], s[24:25], -v[1:2]
	v_fma_f64 v[3:4], s[6:7], s[24:25], v[3:4]
.LBB363_12:
	s_mov_b32 s22, exec_lo
	s_or_b32 exec_lo, exec_lo, s23
	s_delay_alu instid0(SALU_CYCLE_1)
	s_and_b32 vcc_lo, exec_lo, s3
	s_cbranch_vccnz .LBB363_15
	s_branch .LBB363_41
.LBB363_13:
	s_mov_b32 s22, 0
                                        ; implicit-def: $vgpr3_vgpr4
                                        ; implicit-def: $sgpr18_sgpr19
	s_cbranch_execnz .LBB363_15
	s_branch .LBB363_41
.LBB363_14:
	s_or_b32 exec_lo, exec_lo, s23
	s_delay_alu instid0(SALU_CYCLE_1)
	s_and_b32 vcc_lo, exec_lo, s3
	s_cbranch_vccz .LBB363_41
.LBB363_15:
	s_clause 0x2
	s_load_b32 s2, s[0:1], 0x30
	s_load_b32 s3, s[0:1], 0x0
	;; [unrolled: 1-line block ×3, first 2 shown]
	v_mov_b32_e32 v3, 0
	v_mov_b32_e32 v4, 0
	s_waitcnt lgkmcnt(0)
	s_mul_hi_i32 s19, s2, s14
	v_cmp_gt_i32_e32 vcc_lo, s3, v0
	s_mul_i32 s18, s2, s14
	s_delay_alu instid0(SALU_CYCLE_1)
	s_lshl_b64 s[18:19], s[18:19], 4
	v_cndmask_b32_e32 v1, 0, v0, vcc_lo
	s_add_u32 s1, s18, s16
	s_addc_u32 s2, s19, s17
	s_ashr_i32 s16, s3, 31
	s_mov_b32 s18, 0
	v_lshlrev_b32_e32 v1, 4, v1
	s_lshr_b32 s16, s16, 24
	s_delay_alu instid0(SALU_CYCLE_1) | instskip(NEXT) | instid1(VALU_DEP_1)
	s_add_i32 s16, s3, s16
	v_add_co_u32 v5, s1, s1, v1
	v_dual_mov_b32 v1, v3 :: v_dual_mov_b32 v2, v4
	v_add_co_ci_u32_e64 v6, null, s2, 0, s1
	s_and_b32 s2, s16, 0xffffff00
	s_cmpk_lt_i32 s3, 0x100
	s_cbranch_scc1 .LBB363_18
; %bb.16:
	v_mad_i64_i32 v[1:2], null, s0, v0, 0
	v_dual_mov_b32 v3, 0 :: v_dual_mov_b32 v8, v6
	v_dual_mov_b32 v4, 0 :: v_dual_mov_b32 v7, v5
	s_ashr_i32 s1, s0, 31
	s_delay_alu instid0(SALU_CYCLE_1) | instskip(NEXT) | instid1(VALU_DEP_3)
	s_lshl_b64 s[16:17], s[0:1], 12
	v_lshlrev_b64 v[1:2], 4, v[1:2]
	s_delay_alu instid0(VALU_DEP_1) | instskip(NEXT) | instid1(VALU_DEP_2)
	v_add_co_u32 v9, vcc_lo, s12, v1
	v_add_co_ci_u32_e32 v10, vcc_lo, s13, v2, vcc_lo
	v_dual_mov_b32 v1, v3 :: v_dual_mov_b32 v2, v4
	.p2align	6
.LBB363_17:                             ; =>This Inner Loop Header: Depth=1
	flat_load_b128 v[11:14], v[7:8]
	flat_load_b128 v[15:18], v[9:10]
	v_add_co_u32 v9, vcc_lo, v9, s16
	v_add_co_ci_u32_e32 v10, vcc_lo, s17, v10, vcc_lo
	v_add_co_u32 v7, vcc_lo, 0x1000, v7
	v_add_co_ci_u32_e32 v8, vcc_lo, 0, v8, vcc_lo
	s_addk_i32 s18, 0x100
	s_delay_alu instid0(SALU_CYCLE_1) | instskip(SKIP_3) | instid1(VALU_DEP_2)
	s_cmp_ge_i32 s18, s2
	s_waitcnt vmcnt(0) lgkmcnt(0)
	v_mul_f64 v[19:20], v[13:14], v[17:18]
	v_mul_f64 v[17:18], v[11:12], v[17:18]
	v_fma_f64 v[11:12], v[11:12], v[15:16], -v[19:20]
	s_delay_alu instid0(VALU_DEP_2) | instskip(NEXT) | instid1(VALU_DEP_2)
	v_fma_f64 v[13:14], v[13:14], v[15:16], v[17:18]
	v_add_f64 v[1:2], v[1:2], v[11:12]
	s_delay_alu instid0(VALU_DEP_2)
	v_add_f64 v[3:4], v[3:4], v[13:14]
	s_cbranch_scc0 .LBB363_17
.LBB363_18:
	v_add_nc_u32_e32 v7, s2, v0
	s_mov_b32 s1, exec_lo
	s_delay_alu instid0(VALU_DEP_1)
	v_cmpx_gt_i32_e64 s3, v7
	s_cbranch_execz .LBB363_20
; %bb.19:
	v_mad_i64_i32 v[8:9], null, s0, v7, 0
	s_ashr_i32 s3, s2, 31
	s_delay_alu instid0(SALU_CYCLE_1) | instskip(NEXT) | instid1(SALU_CYCLE_1)
	s_lshl_b64 s[2:3], s[2:3], 4
	v_add_co_u32 v5, vcc_lo, v5, s2
	s_delay_alu instid0(VALU_DEP_2) | instskip(SKIP_1) | instid1(VALU_DEP_2)
	v_lshlrev_b64 v[7:8], 4, v[8:9]
	v_add_co_ci_u32_e32 v6, vcc_lo, s3, v6, vcc_lo
	v_add_co_u32 v9, vcc_lo, s12, v7
	s_delay_alu instid0(VALU_DEP_3)
	v_add_co_ci_u32_e32 v10, vcc_lo, s13, v8, vcc_lo
	flat_load_b128 v[5:8], v[5:6]
	flat_load_b128 v[9:12], v[9:10]
	s_waitcnt vmcnt(0) lgkmcnt(0)
	v_mul_f64 v[13:14], v[7:8], v[11:12]
	v_mul_f64 v[11:12], v[5:6], v[11:12]
	s_delay_alu instid0(VALU_DEP_2) | instskip(NEXT) | instid1(VALU_DEP_2)
	v_fma_f64 v[5:6], v[5:6], v[9:10], -v[13:14]
	v_fma_f64 v[7:8], v[7:8], v[9:10], v[11:12]
	s_delay_alu instid0(VALU_DEP_2) | instskip(NEXT) | instid1(VALU_DEP_2)
	v_add_f64 v[1:2], v[1:2], v[5:6]
	v_add_f64 v[3:4], v[3:4], v[7:8]
.LBB363_20:
	s_or_b32 exec_lo, exec_lo, s1
	v_lshlrev_b32_e32 v5, 4, v0
	s_mov_b32 s0, exec_lo
	ds_store_b128 v5, v[1:4]
	s_waitcnt lgkmcnt(0)
	s_barrier
	buffer_gl0_inv
	v_cmpx_gt_u32_e32 0x80, v0
	s_cbranch_execz .LBB363_22
; %bb.21:
	ds_load_b128 v[1:4], v5 offset:2048
	ds_load_b128 v[6:9], v5
	s_waitcnt lgkmcnt(0)
	v_add_f64 v[1:2], v[1:2], v[6:7]
	v_add_f64 v[3:4], v[3:4], v[8:9]
	ds_store_b128 v5, v[1:4]
.LBB363_22:
	s_or_b32 exec_lo, exec_lo, s0
	s_delay_alu instid0(SALU_CYCLE_1)
	s_mov_b32 s0, exec_lo
	s_waitcnt lgkmcnt(0)
	s_barrier
	buffer_gl0_inv
	v_cmpx_gt_u32_e32 64, v0
	s_cbranch_execz .LBB363_24
; %bb.23:
	ds_load_b128 v[1:4], v5 offset:1024
	ds_load_b128 v[6:9], v5
	s_waitcnt lgkmcnt(0)
	v_add_f64 v[1:2], v[1:2], v[6:7]
	v_add_f64 v[3:4], v[3:4], v[8:9]
	ds_store_b128 v5, v[1:4]
.LBB363_24:
	s_or_b32 exec_lo, exec_lo, s0
	s_delay_alu instid0(SALU_CYCLE_1)
	s_mov_b32 s0, exec_lo
	;; [unrolled: 16-line block ×6, first 2 shown]
	s_waitcnt lgkmcnt(0)
	s_barrier
	buffer_gl0_inv
	v_cmpx_gt_u32_e32 2, v0
	s_cbranch_execz .LBB363_34
; %bb.33:
	ds_load_b128 v[1:4], v5
	ds_load_b128 v[6:9], v5 offset:32
	s_waitcnt lgkmcnt(0)
	v_add_f64 v[1:2], v[6:7], v[1:2]
	v_add_f64 v[3:4], v[8:9], v[3:4]
	ds_store_b128 v5, v[1:4]
.LBB363_34:
	s_or_b32 exec_lo, exec_lo, s0
	v_cmp_eq_u32_e32 vcc_lo, 0, v0
	s_waitcnt lgkmcnt(0)
	s_barrier
	buffer_gl0_inv
	s_and_saveexec_b32 s0, vcc_lo
	s_cbranch_execz .LBB363_36
; %bb.35:
	v_mov_b32_e32 v8, 0
	ds_load_b128 v[0:3], v8
	ds_load_b128 v[4:7], v8 offset:16
	s_waitcnt lgkmcnt(0)
	v_add_f64 v[0:1], v[4:5], v[0:1]
	v_add_f64 v[2:3], v[6:7], v[2:3]
	ds_store_b128 v8, v[0:3]
.LBB363_36:
	s_or_b32 exec_lo, exec_lo, s0
	s_waitcnt lgkmcnt(0)
	s_barrier
	buffer_gl0_inv
                                        ; implicit-def: $vgpr3_vgpr4
                                        ; implicit-def: $sgpr18_sgpr19
	s_and_saveexec_b32 s0, vcc_lo
	s_cbranch_execz .LBB363_40
; %bb.37:
	v_mov_b32_e32 v0, 0
	v_cmp_neq_f64_e64 s1, s[4:5], 0
	v_cmp_neq_f64_e64 s2, s[6:7], 0
	s_mul_hi_i32 s19, s21, s14
	s_mul_i32 s18, s21, s14
	ds_load_b128 v[3:6], v0
	s_waitcnt lgkmcnt(0)
	v_mul_f64 v[0:1], s[10:11], v[5:6]
	v_mul_f64 v[5:6], s[8:9], v[5:6]
	s_or_b32 s1, s1, s2
	s_delay_alu instid0(SALU_CYCLE_1) | instskip(NEXT) | instid1(VALU_DEP_2)
	s_and_not1_b32 vcc_lo, exec_lo, s1
	v_fma_f64 v[1:2], s[8:9], v[3:4], -v[0:1]
	s_delay_alu instid0(VALU_DEP_2)
	v_fma_f64 v[3:4], s[10:11], v[3:4], v[5:6]
	s_cbranch_vccnz .LBB363_39
; %bb.38:
	s_lshl_b64 s[2:3], s[18:19], 4
	s_delay_alu instid0(SALU_CYCLE_1)
	s_add_u32 s2, s15, s2
	s_addc_u32 s3, s20, s3
	s_load_b128 s[8:11], s[2:3], 0x0
	s_waitcnt lgkmcnt(0)
	v_mul_f64 v[5:6], s[6:7], s[10:11]
	v_mul_f64 v[7:8], s[4:5], s[10:11]
	s_delay_alu instid0(VALU_DEP_2) | instskip(NEXT) | instid1(VALU_DEP_2)
	v_fma_f64 v[5:6], s[4:5], s[8:9], -v[5:6]
	v_fma_f64 v[7:8], s[6:7], s[8:9], v[7:8]
	s_delay_alu instid0(VALU_DEP_2) | instskip(NEXT) | instid1(VALU_DEP_2)
	v_add_f64 v[1:2], v[1:2], v[5:6]
	v_add_f64 v[3:4], v[3:4], v[7:8]
.LBB363_39:
	s_or_b32 s22, s22, exec_lo
.LBB363_40:
	s_or_b32 exec_lo, exec_lo, s0
.LBB363_41:
	s_and_saveexec_b32 s0, s22
	s_cbranch_execz .LBB363_43
; %bb.42:
	s_lshl_b64 s[0:1], s[18:19], 4
	v_mov_b32_e32 v0, 0
	s_add_u32 s0, s15, s0
	s_addc_u32 s1, s20, s1
	global_store_b128 v0, v[1:4], s[0:1]
.LBB363_43:
	s_nop 0
	s_sendmsg sendmsg(MSG_DEALLOC_VGPRS)
	s_endpgm
	.section	.rodata,"a",@progbits
	.p2align	6, 0x0
	.amdhsa_kernel _ZL20rocblas_gemvt_kernelILb0ELi256EPK19rocblas_complex_numIdES1_KPS1_EviiT2_lPKT1_lilS9_lilS6_lPT3_lili
		.amdhsa_group_segment_fixed_size 4096
		.amdhsa_private_segment_fixed_size 0
		.amdhsa_kernarg_size 156
		.amdhsa_user_sgpr_count 14
		.amdhsa_user_sgpr_dispatch_ptr 0
		.amdhsa_user_sgpr_queue_ptr 0
		.amdhsa_user_sgpr_kernarg_segment_ptr 1
		.amdhsa_user_sgpr_dispatch_id 0
		.amdhsa_user_sgpr_private_segment_size 0
		.amdhsa_wavefront_size32 1
		.amdhsa_uses_dynamic_stack 0
		.amdhsa_enable_private_segment 0
		.amdhsa_system_sgpr_workgroup_id_x 1
		.amdhsa_system_sgpr_workgroup_id_y 0
		.amdhsa_system_sgpr_workgroup_id_z 1
		.amdhsa_system_sgpr_workgroup_info 0
		.amdhsa_system_vgpr_workitem_id 0
		.amdhsa_next_free_vgpr 21
		.amdhsa_next_free_sgpr 28
		.amdhsa_reserve_vcc 1
		.amdhsa_float_round_mode_32 0
		.amdhsa_float_round_mode_16_64 0
		.amdhsa_float_denorm_mode_32 3
		.amdhsa_float_denorm_mode_16_64 3
		.amdhsa_dx10_clamp 1
		.amdhsa_ieee_mode 1
		.amdhsa_fp16_overflow 0
		.amdhsa_workgroup_processor_mode 1
		.amdhsa_memory_ordered 1
		.amdhsa_forward_progress 0
		.amdhsa_shared_vgpr_count 0
		.amdhsa_exception_fp_ieee_invalid_op 0
		.amdhsa_exception_fp_denorm_src 0
		.amdhsa_exception_fp_ieee_div_zero 0
		.amdhsa_exception_fp_ieee_overflow 0
		.amdhsa_exception_fp_ieee_underflow 0
		.amdhsa_exception_fp_ieee_inexact 0
		.amdhsa_exception_int_div_zero 0
	.end_amdhsa_kernel
	.section	.text._ZL20rocblas_gemvt_kernelILb0ELi256EPK19rocblas_complex_numIdES1_KPS1_EviiT2_lPKT1_lilS9_lilS6_lPT3_lili,"axG",@progbits,_ZL20rocblas_gemvt_kernelILb0ELi256EPK19rocblas_complex_numIdES1_KPS1_EviiT2_lPKT1_lilS9_lilS6_lPT3_lili,comdat
.Lfunc_end363:
	.size	_ZL20rocblas_gemvt_kernelILb0ELi256EPK19rocblas_complex_numIdES1_KPS1_EviiT2_lPKT1_lilS9_lilS6_lPT3_lili, .Lfunc_end363-_ZL20rocblas_gemvt_kernelILb0ELi256EPK19rocblas_complex_numIdES1_KPS1_EviiT2_lPKT1_lilS9_lilS6_lPT3_lili
                                        ; -- End function
	.section	.AMDGPU.csdata,"",@progbits
; Kernel info:
; codeLenInByte = 1932
; NumSgprs: 30
; NumVgprs: 21
; ScratchSize: 0
; MemoryBound: 0
; FloatMode: 240
; IeeeMode: 1
; LDSByteSize: 4096 bytes/workgroup (compile time only)
; SGPRBlocks: 3
; VGPRBlocks: 2
; NumSGPRsForWavesPerEU: 30
; NumVGPRsForWavesPerEU: 21
; Occupancy: 16
; WaveLimiterHint : 1
; COMPUTE_PGM_RSRC2:SCRATCH_EN: 0
; COMPUTE_PGM_RSRC2:USER_SGPR: 14
; COMPUTE_PGM_RSRC2:TRAP_HANDLER: 0
; COMPUTE_PGM_RSRC2:TGID_X_EN: 1
; COMPUTE_PGM_RSRC2:TGID_Y_EN: 0
; COMPUTE_PGM_RSRC2:TGID_Z_EN: 1
; COMPUTE_PGM_RSRC2:TIDIG_COMP_CNT: 0
	.section	.text._ZL32rocblas_gemvt_warp_reduce_kernelILb0ELi1024EiPK19rocblas_complex_numIdES3_KPS1_EviiT3_lPKT2_lT1_lS9_lSA_lS6_lPT4_lSA_li,"axG",@progbits,_ZL32rocblas_gemvt_warp_reduce_kernelILb0ELi1024EiPK19rocblas_complex_numIdES3_KPS1_EviiT3_lPKT2_lT1_lS9_lSA_lS6_lPT4_lSA_li,comdat
	.globl	_ZL32rocblas_gemvt_warp_reduce_kernelILb0ELi1024EiPK19rocblas_complex_numIdES3_KPS1_EviiT3_lPKT2_lT1_lS9_lSA_lS6_lPT4_lSA_li ; -- Begin function _ZL32rocblas_gemvt_warp_reduce_kernelILb0ELi1024EiPK19rocblas_complex_numIdES3_KPS1_EviiT3_lPKT2_lT1_lS9_lSA_lS6_lPT4_lSA_li
	.p2align	8
	.type	_ZL32rocblas_gemvt_warp_reduce_kernelILb0ELi1024EiPK19rocblas_complex_numIdES3_KPS1_EviiT3_lPKT2_lT1_lS9_lSA_lS6_lPT4_lSA_li,@function
_ZL32rocblas_gemvt_warp_reduce_kernelILb0ELi1024EiPK19rocblas_complex_numIdES3_KPS1_EviiT3_lPKT2_lT1_lS9_lSA_lS6_lPT4_lSA_li: ; @_ZL32rocblas_gemvt_warp_reduce_kernelILb0ELi1024EiPK19rocblas_complex_numIdES3_KPS1_EviiT3_lPKT2_lT1_lS9_lSA_lS6_lPT4_lSA_li
; %bb.0:
	s_load_b256 s[16:23], s[0:1], 0x8
	s_mov_b32 s2, s15
	s_mov_b64 s[24:25], 0
	s_waitcnt lgkmcnt(0)
	s_mul_i32 s3, s15, s19
	s_mul_hi_u32 s5, s15, s18
	s_mul_i32 s4, s15, s18
	s_add_i32 s5, s5, s3
	s_delay_alu instid0(SALU_CYCLE_1) | instskip(NEXT) | instid1(SALU_CYCLE_1)
	s_lshl_b64 s[4:5], s[4:5], 4
	s_add_u32 s4, s16, s4
	s_addc_u32 s5, s17, s5
	s_load_b128 s[16:19], s[4:5], 0x0
	s_load_b256 s[4:11], s[0:1], 0x58
	s_waitcnt lgkmcnt(0)
	v_cmp_neq_f64_e64 s12, s[16:17], 0
	v_cmp_neq_f64_e64 s13, s[18:19], 0
	s_mul_i32 s3, s15, s7
	s_mul_hi_u32 s7, s15, s6
	s_mul_i32 s6, s15, s6
	s_add_i32 s7, s7, s3
	s_mov_b32 s3, 0
	s_lshl_b64 s[6:7], s[6:7], 4
	s_mov_b32 s15, -1
	s_add_u32 s4, s4, s6
	s_addc_u32 s5, s5, s7
	s_load_b128 s[4:7], s[4:5], 0x0
	s_delay_alu instid0(VALU_DEP_1)
	s_or_b32 s12, s12, s13
	s_mov_b32 s13, s3
	s_and_b32 vcc_lo, exec_lo, s12
	s_cbranch_vccz .LBB364_4
; %bb.1:
	s_and_not1_b32 vcc_lo, exec_lo, s15
	s_cbranch_vccz .LBB364_5
.LBB364_2:
	s_and_not1_b32 vcc_lo, exec_lo, s13
	s_cbranch_vccz .LBB364_6
.LBB364_3:
	s_endpgm
.LBB364_4:
	s_waitcnt lgkmcnt(0)
	v_cmp_neq_f64_e64 s13, s[4:5], 1.0
	v_cmp_neq_f64_e64 s15, s[6:7], 0
	s_delay_alu instid0(VALU_DEP_1)
	s_or_b32 s13, s13, s15
	s_cbranch_execnz .LBB364_2
.LBB364_5:
	s_lshl_b64 s[24:25], s[2:3], 3
	s_delay_alu instid0(SALU_CYCLE_1)
	s_add_u32 s20, s20, s24
	s_addc_u32 s21, s21, s25
	s_lshl_b64 s[22:23], s[22:23], 4
	s_load_b64 s[20:21], s[20:21], 0x0
	s_waitcnt lgkmcnt(0)
	s_add_u32 s24, s20, s22
	s_addc_u32 s25, s21, s23
.LBB364_6:
	v_cndmask_b32_e64 v1, 0, 1, s12
	s_xor_b32 s15, s12, -1
	s_mov_b64 s[12:13], 0
	s_delay_alu instid0(VALU_DEP_1)
	v_cmp_ne_u32_e32 vcc_lo, 1, v1
	s_cbranch_vccnz .LBB364_8
; %bb.7:
	s_load_b128 s[20:23], s[0:1], 0x38
	s_lshl_b64 s[12:13], s[2:3], 3
	s_waitcnt lgkmcnt(0)
	s_add_u32 s12, s20, s12
	s_addc_u32 s13, s21, s13
	s_lshl_b64 s[20:21], s[22:23], 4
	s_load_b64 s[12:13], s[12:13], 0x0
	s_waitcnt lgkmcnt(0)
	s_add_u32 s12, s12, s20
	s_addc_u32 s13, s13, s21
.LBB364_8:
	s_lshl_b64 s[2:3], s[2:3], 3
	s_delay_alu instid0(SALU_CYCLE_1)
	s_add_u32 s2, s8, s2
	s_addc_u32 s3, s9, s3
	s_lshl_b64 s[10:11], s[10:11], 4
	s_load_b64 s[8:9], s[2:3], 0x0
	s_load_b32 s20, s[0:1], 0x78
	v_cmp_eq_u32_e64 s2, 0, v0
	s_waitcnt lgkmcnt(0)
	s_add_u32 s10, s8, s10
	s_addc_u32 s11, s9, s11
	s_and_not1_b32 vcc_lo, exec_lo, s15
	s_cbranch_vccnz .LBB364_13
; %bb.9:
	s_mov_b32 s3, 0
	s_mov_b32 s15, 0
                                        ; implicit-def: $vgpr3_vgpr4
                                        ; implicit-def: $sgpr8_sgpr9
	s_and_saveexec_b32 s21, s2
	s_cbranch_execz .LBB364_14
; %bb.10:
	v_cmp_neq_f64_e64 s2, s[4:5], 0
	v_cmp_neq_f64_e64 s8, s[6:7], 0
	v_mov_b32_e32 v3, 0
	v_mov_b32_e32 v4, 0
	s_delay_alu instid0(VALU_DEP_1) | instskip(NEXT) | instid1(VALU_DEP_4)
	v_dual_mov_b32 v1, v3 :: v_dual_mov_b32 v2, v4
	s_or_b32 s2, s2, s8
	s_mul_i32 s8, s14, s20
	s_and_not1_b32 vcc_lo, exec_lo, s2
	s_ashr_i32 s9, s8, 31
	s_cbranch_vccnz .LBB364_12
; %bb.11:
	s_lshl_b64 s[22:23], s[8:9], 4
	s_delay_alu instid0(SALU_CYCLE_1)
	s_add_u32 s22, s10, s22
	s_addc_u32 s23, s11, s23
	s_load_b128 s[28:31], s[22:23], 0x0
	s_waitcnt lgkmcnt(0)
	v_mul_f64 v[1:2], s[6:7], s[30:31]
	v_mul_f64 v[3:4], s[4:5], s[30:31]
	s_delay_alu instid0(VALU_DEP_2) | instskip(NEXT) | instid1(VALU_DEP_2)
	v_fma_f64 v[1:2], s[4:5], s[28:29], -v[1:2]
	v_fma_f64 v[3:4], s[6:7], s[28:29], v[3:4]
.LBB364_12:
	s_mov_b32 s15, exec_lo
	s_or_b32 exec_lo, exec_lo, s21
	s_delay_alu instid0(SALU_CYCLE_1)
	s_and_b32 vcc_lo, exec_lo, s3
	s_cbranch_vccnz .LBB364_15
	s_branch .LBB364_34
.LBB364_13:
	s_mov_b32 s15, 0
                                        ; implicit-def: $vgpr3_vgpr4
                                        ; implicit-def: $sgpr8_sgpr9
	s_cbranch_execnz .LBB364_15
	s_branch .LBB364_34
.LBB364_14:
	s_or_b32 exec_lo, exec_lo, s21
	s_delay_alu instid0(SALU_CYCLE_1)
	s_and_b32 vcc_lo, exec_lo, s3
	s_cbranch_vccz .LBB364_34
.LBB364_15:
	s_clause 0x2
	s_load_b32 s2, s[0:1], 0x28
	s_load_b32 s3, s[0:1], 0x0
	;; [unrolled: 1-line block ×3, first 2 shown]
	s_waitcnt lgkmcnt(0)
	s_mul_i32 s8, s14, s2
	v_cmp_gt_i32_e32 vcc_lo, s3, v0
	s_ashr_i32 s9, s8, 31
	s_delay_alu instid0(SALU_CYCLE_1)
	s_lshl_b64 s[8:9], s[8:9], 4
	v_cndmask_b32_e32 v1, 0, v0, vcc_lo
	s_add_u32 s0, s8, s24
	s_addc_u32 s8, s9, s25
	s_ashr_i32 s2, s3, 31
	s_mov_b32 s9, 0
	v_lshlrev_b32_e32 v3, 4, v1
	v_mov_b32_e32 v1, 0
	v_mov_b32_e32 v2, 0
	s_lshr_b32 s2, s2, 22
	s_delay_alu instid0(SALU_CYCLE_1) | instskip(SKIP_1) | instid1(VALU_DEP_1)
	s_add_i32 s2, s3, s2
	v_add_co_u32 v5, s0, s0, v3
	v_add_co_ci_u32_e64 v6, null, s8, 0, s0
	v_dual_mov_b32 v4, v2 :: v_dual_mov_b32 v3, v1
	s_and_b32 s2, s2, 0xfffffc00
	s_mov_b32 s8, exec_lo
	v_cmpx_gt_i32_e64 s2, v0
	s_cbranch_execz .LBB364_19
; %bb.16:
	v_dual_mov_b32 v1, 0 :: v_dual_mov_b32 v10, v6
	v_dual_mov_b32 v2, 0 :: v_dual_mov_b32 v9, v5
	v_mul_lo_u32 v7, v0, s1
	v_mov_b32_e32 v11, v0
	s_lshl_b32 s21, s1, 10
	s_delay_alu instid0(VALU_DEP_3)
	v_dual_mov_b32 v4, v2 :: v_dual_mov_b32 v3, v1
	s_set_inst_prefetch_distance 0x1
	.p2align	6
.LBB364_17:                             ; =>This Inner Loop Header: Depth=1
	s_delay_alu instid0(VALU_DEP_3) | instskip(SKIP_1) | instid1(VALU_DEP_2)
	v_ashrrev_i32_e32 v8, 31, v7
	v_add_nc_u32_e32 v11, 0x400, v11
	v_lshlrev_b64 v[12:13], 4, v[7:8]
	s_delay_alu instid0(VALU_DEP_2) | instskip(SKIP_1) | instid1(VALU_DEP_2)
	v_cmp_le_i32_e64 s0, s2, v11
	v_add_nc_u32_e32 v7, s21, v7
	s_or_b32 s9, s0, s9
	s_delay_alu instid0(VALU_DEP_3) | instskip(NEXT) | instid1(VALU_DEP_4)
	v_add_co_u32 v16, vcc_lo, s12, v12
	v_add_co_ci_u32_e32 v17, vcc_lo, s13, v13, vcc_lo
	flat_load_b128 v[12:15], v[9:10]
	flat_load_b128 v[16:19], v[16:17]
	v_add_co_u32 v9, vcc_lo, 0x4000, v9
	v_add_co_ci_u32_e32 v10, vcc_lo, 0, v10, vcc_lo
	s_waitcnt vmcnt(0) lgkmcnt(0)
	v_mul_f64 v[20:21], v[14:15], v[18:19]
	v_mul_f64 v[18:19], v[12:13], v[18:19]
	s_delay_alu instid0(VALU_DEP_2) | instskip(NEXT) | instid1(VALU_DEP_2)
	v_fma_f64 v[12:13], v[12:13], v[16:17], -v[20:21]
	v_fma_f64 v[14:15], v[14:15], v[16:17], v[18:19]
	s_delay_alu instid0(VALU_DEP_2) | instskip(NEXT) | instid1(VALU_DEP_2)
	v_add_f64 v[3:4], v[3:4], v[12:13]
	v_add_f64 v[1:2], v[1:2], v[14:15]
	s_and_not1_b32 exec_lo, exec_lo, s9
	s_cbranch_execnz .LBB364_17
; %bb.18:
	s_set_inst_prefetch_distance 0x2
	s_or_b32 exec_lo, exec_lo, s9
.LBB364_19:
	s_delay_alu instid0(SALU_CYCLE_1) | instskip(SKIP_2) | instid1(VALU_DEP_1)
	s_or_b32 exec_lo, exec_lo, s8
	v_or_b32_e32 v7, s2, v0
	s_mov_b32 s0, exec_lo
	v_cmpx_gt_i32_e64 s3, v7
	s_cbranch_execz .LBB364_21
; %bb.20:
	v_mul_lo_u32 v7, v7, s1
	s_ashr_i32 s3, s2, 31
	s_delay_alu instid0(SALU_CYCLE_1) | instskip(NEXT) | instid1(SALU_CYCLE_1)
	s_lshl_b64 s[2:3], s[2:3], 4
	v_add_co_u32 v5, vcc_lo, v5, s2
	v_add_co_ci_u32_e32 v6, vcc_lo, s3, v6, vcc_lo
	s_delay_alu instid0(VALU_DEP_3) | instskip(NEXT) | instid1(VALU_DEP_1)
	v_ashrrev_i32_e32 v8, 31, v7
	v_lshlrev_b64 v[7:8], 4, v[7:8]
	s_delay_alu instid0(VALU_DEP_1) | instskip(NEXT) | instid1(VALU_DEP_2)
	v_add_co_u32 v9, vcc_lo, s12, v7
	v_add_co_ci_u32_e32 v10, vcc_lo, s13, v8, vcc_lo
	flat_load_b128 v[5:8], v[5:6]
	flat_load_b128 v[9:12], v[9:10]
	s_waitcnt vmcnt(0) lgkmcnt(0)
	v_mul_f64 v[13:14], v[7:8], v[11:12]
	v_mul_f64 v[11:12], v[5:6], v[11:12]
	s_delay_alu instid0(VALU_DEP_2) | instskip(NEXT) | instid1(VALU_DEP_2)
	v_fma_f64 v[5:6], v[5:6], v[9:10], -v[13:14]
	v_fma_f64 v[7:8], v[7:8], v[9:10], v[11:12]
	s_delay_alu instid0(VALU_DEP_2) | instskip(NEXT) | instid1(VALU_DEP_2)
	v_add_f64 v[3:4], v[3:4], v[5:6]
	v_add_f64 v[1:2], v[1:2], v[7:8]
.LBB364_21:
	s_or_b32 exec_lo, exec_lo, s0
	v_and_b32_e32 v15, 31, v0
	v_cmp_gt_u32_e32 vcc_lo, 32, v0
	s_delay_alu instid0(VALU_DEP_2)
	v_lshlrev_b32_e32 v11, 4, v15
	s_and_saveexec_b32 s0, vcc_lo
	s_cbranch_execz .LBB364_23
; %bb.22:
	v_mov_b32_e32 v5, 0
	s_delay_alu instid0(VALU_DEP_1)
	v_mov_b32_e32 v6, v5
	v_mov_b32_e32 v7, v5
	;; [unrolled: 1-line block ×3, first 2 shown]
	ds_store_b128 v11, v[5:8]
.LBB364_23:
	s_or_b32 exec_lo, exec_lo, s0
	v_mbcnt_lo_u32_b32 v14, -1, 0
	s_mov_b32 s1, exec_lo
	s_waitcnt lgkmcnt(0)
	s_barrier
	buffer_gl0_inv
	v_cmp_gt_u32_e64 s0, 16, v14
	s_delay_alu instid0(VALU_DEP_1) | instskip(SKIP_1) | instid1(VALU_DEP_2)
	v_cndmask_b32_e64 v5, 0, 1, s0
	v_cmp_gt_u32_e64 s0, 24, v14
	v_lshlrev_b32_e32 v5, 4, v5
	s_delay_alu instid0(VALU_DEP_1)
	v_add_lshl_u32 v9, v5, v14, 2
	ds_bpermute_b32 v5, v9, v3
	ds_bpermute_b32 v6, v9, v4
	;; [unrolled: 1-line block ×4, first 2 shown]
	s_waitcnt lgkmcnt(2)
	v_add_f64 v[3:4], v[3:4], v[5:6]
	v_cndmask_b32_e64 v5, 0, 1, s0
	s_waitcnt lgkmcnt(0)
	v_add_f64 v[1:2], v[1:2], v[7:8]
	v_cmp_gt_u32_e64 s0, 28, v14
	s_delay_alu instid0(VALU_DEP_3) | instskip(NEXT) | instid1(VALU_DEP_1)
	v_lshlrev_b32_e32 v5, 3, v5
	v_add_lshl_u32 v10, v5, v14, 2
	ds_bpermute_b32 v5, v10, v3
	ds_bpermute_b32 v6, v10, v4
	;; [unrolled: 1-line block ×4, first 2 shown]
	s_waitcnt lgkmcnt(2)
	v_add_f64 v[3:4], v[3:4], v[5:6]
	v_cndmask_b32_e64 v5, 0, 1, s0
	s_waitcnt lgkmcnt(0)
	v_add_f64 v[1:2], v[1:2], v[7:8]
	v_cmp_gt_u32_e64 s0, 30, v14
	s_delay_alu instid0(VALU_DEP_3) | instskip(NEXT) | instid1(VALU_DEP_1)
	v_lshlrev_b32_e32 v5, 2, v5
	v_add_lshl_u32 v12, v5, v14, 2
	ds_bpermute_b32 v5, v12, v3
	ds_bpermute_b32 v6, v12, v4
	;; [unrolled: 1-line block ×4, first 2 shown]
	s_waitcnt lgkmcnt(2)
	v_add_f64 v[3:4], v[3:4], v[5:6]
	s_waitcnt lgkmcnt(0)
	v_add_f64 v[5:6], v[1:2], v[7:8]
	v_cndmask_b32_e64 v1, 0, 1, s0
	v_cmp_ne_u32_e64 s0, 31, v14
	s_delay_alu instid0(VALU_DEP_2) | instskip(NEXT) | instid1(VALU_DEP_1)
	v_lshlrev_b32_e32 v1, 1, v1
	v_add_lshl_u32 v13, v1, v14, 2
	ds_bpermute_b32 v1, v13, v3
	ds_bpermute_b32 v2, v13, v4
	ds_bpermute_b32 v7, v13, v5
	ds_bpermute_b32 v8, v13, v6
	s_waitcnt lgkmcnt(2)
	v_add_f64 v[1:2], v[3:4], v[1:2]
	v_add_co_ci_u32_e64 v3, s0, 0, v14, s0
	s_waitcnt lgkmcnt(0)
	v_add_f64 v[5:6], v[5:6], v[7:8]
	s_delay_alu instid0(VALU_DEP_2)
	v_lshlrev_b32_e32 v14, 2, v3
	ds_bpermute_b32 v3, v14, v1
	ds_bpermute_b32 v4, v14, v2
	;; [unrolled: 1-line block ×4, first 2 shown]
	v_cmpx_eq_u32_e32 0, v15
	s_cbranch_execz .LBB364_25
; %bb.24:
	s_waitcnt lgkmcnt(0)
	v_add_f64 v[5:6], v[5:6], v[7:8]
	v_add_f64 v[3:4], v[1:2], v[3:4]
	v_lshrrev_b32_e32 v1, 1, v0
	s_delay_alu instid0(VALU_DEP_1)
	v_and_b32_e32 v1, 0x1f0, v1
	ds_store_b128 v1, v[3:6]
.LBB364_25:
	s_or_b32 exec_lo, exec_lo, s1
	s_waitcnt lgkmcnt(0)
	v_mov_b32_e32 v7, 0
	v_mov_b32_e32 v8, 0
	s_delay_alu instid0(VALU_DEP_2)
	v_mov_b32_e32 v5, v7
	s_barrier
	buffer_gl0_inv
	v_mov_b32_e32 v6, v8
	s_and_saveexec_b32 s0, vcc_lo
	s_cbranch_execz .LBB364_27
; %bb.26:
	ds_load_b128 v[5:8], v11
.LBB364_27:
	s_or_b32 exec_lo, exec_lo, s0
	s_and_saveexec_b32 s0, vcc_lo
	s_cbranch_execz .LBB364_29
; %bb.28:
	s_waitcnt lgkmcnt(0)
	ds_bpermute_b32 v1, v9, v5
	ds_bpermute_b32 v2, v9, v6
	ds_bpermute_b32 v3, v9, v7
	ds_bpermute_b32 v4, v9, v8
	s_waitcnt lgkmcnt(2)
	v_add_f64 v[1:2], v[5:6], v[1:2]
	s_waitcnt lgkmcnt(0)
	v_add_f64 v[3:4], v[7:8], v[3:4]
	ds_bpermute_b32 v5, v10, v1
	ds_bpermute_b32 v6, v10, v2
	ds_bpermute_b32 v7, v10, v3
	ds_bpermute_b32 v8, v10, v4
	s_waitcnt lgkmcnt(2)
	v_add_f64 v[1:2], v[1:2], v[5:6]
	s_waitcnt lgkmcnt(0)
	v_add_f64 v[3:4], v[3:4], v[7:8]
	;; [unrolled: 8-line block ×5, first 2 shown]
.LBB364_29:
	s_or_b32 exec_lo, exec_lo, s0
	s_delay_alu instid0(SALU_CYCLE_1)
	s_mov_b32 s0, exec_lo
                                        ; implicit-def: $vgpr3_vgpr4
                                        ; implicit-def: $sgpr8_sgpr9
	v_cmpx_eq_u32_e32 0, v0
	s_cbranch_execz .LBB364_33
; %bb.30:
	s_waitcnt lgkmcnt(0)
	s_delay_alu instid0(VALU_DEP_2) | instskip(SKIP_4) | instid1(SALU_CYCLE_1)
	v_mul_f64 v[0:1], s[18:19], v[7:8]
	v_mul_f64 v[3:4], s[16:17], v[7:8]
	v_cmp_neq_f64_e64 s1, s[4:5], 0
	v_cmp_neq_f64_e64 s2, s[6:7], 0
	s_mul_i32 s8, s14, s20
	s_ashr_i32 s9, s8, 31
	s_delay_alu instid0(VALU_DEP_4) | instskip(NEXT) | instid1(VALU_DEP_4)
	v_fma_f64 v[1:2], s[16:17], v[5:6], -v[0:1]
	v_fma_f64 v[3:4], s[18:19], v[5:6], v[3:4]
	s_delay_alu instid0(VALU_DEP_3) | instskip(NEXT) | instid1(SALU_CYCLE_1)
	s_or_b32 s1, s1, s2
	s_and_not1_b32 vcc_lo, exec_lo, s1
	s_cbranch_vccnz .LBB364_32
; %bb.31:
	s_lshl_b64 s[2:3], s[8:9], 4
	s_delay_alu instid0(SALU_CYCLE_1)
	s_add_u32 s2, s10, s2
	s_addc_u32 s3, s11, s3
	s_load_b128 s[16:19], s[2:3], 0x0
	s_waitcnt lgkmcnt(0)
	v_mul_f64 v[5:6], s[6:7], s[18:19]
	v_mul_f64 v[7:8], s[4:5], s[18:19]
	s_delay_alu instid0(VALU_DEP_2) | instskip(NEXT) | instid1(VALU_DEP_2)
	v_fma_f64 v[5:6], s[4:5], s[16:17], -v[5:6]
	v_fma_f64 v[7:8], s[6:7], s[16:17], v[7:8]
	s_delay_alu instid0(VALU_DEP_2) | instskip(NEXT) | instid1(VALU_DEP_2)
	v_add_f64 v[1:2], v[1:2], v[5:6]
	v_add_f64 v[3:4], v[3:4], v[7:8]
.LBB364_32:
	s_or_b32 s15, s15, exec_lo
.LBB364_33:
	s_or_b32 exec_lo, exec_lo, s0
.LBB364_34:
	s_and_saveexec_b32 s0, s15
	s_cbranch_execz .LBB364_3
; %bb.35:
	s_lshl_b64 s[0:1], s[8:9], 4
	v_mov_b32_e32 v0, 0
	s_add_u32 s0, s10, s0
	s_addc_u32 s1, s11, s1
	global_store_b128 v0, v[1:4], s[0:1]
	s_nop 0
	s_sendmsg sendmsg(MSG_DEALLOC_VGPRS)
	s_endpgm
	.section	.rodata,"a",@progbits
	.p2align	6, 0x0
	.amdhsa_kernel _ZL32rocblas_gemvt_warp_reduce_kernelILb0ELi1024EiPK19rocblas_complex_numIdES3_KPS1_EviiT3_lPKT2_lT1_lS9_lSA_lS6_lPT4_lSA_li
		.amdhsa_group_segment_fixed_size 512
		.amdhsa_private_segment_fixed_size 0
		.amdhsa_kernarg_size 140
		.amdhsa_user_sgpr_count 14
		.amdhsa_user_sgpr_dispatch_ptr 0
		.amdhsa_user_sgpr_queue_ptr 0
		.amdhsa_user_sgpr_kernarg_segment_ptr 1
		.amdhsa_user_sgpr_dispatch_id 0
		.amdhsa_user_sgpr_private_segment_size 0
		.amdhsa_wavefront_size32 1
		.amdhsa_uses_dynamic_stack 0
		.amdhsa_enable_private_segment 0
		.amdhsa_system_sgpr_workgroup_id_x 1
		.amdhsa_system_sgpr_workgroup_id_y 0
		.amdhsa_system_sgpr_workgroup_id_z 1
		.amdhsa_system_sgpr_workgroup_info 0
		.amdhsa_system_vgpr_workitem_id 0
		.amdhsa_next_free_vgpr 22
		.amdhsa_next_free_sgpr 32
		.amdhsa_reserve_vcc 1
		.amdhsa_float_round_mode_32 0
		.amdhsa_float_round_mode_16_64 0
		.amdhsa_float_denorm_mode_32 3
		.amdhsa_float_denorm_mode_16_64 3
		.amdhsa_dx10_clamp 1
		.amdhsa_ieee_mode 1
		.amdhsa_fp16_overflow 0
		.amdhsa_workgroup_processor_mode 1
		.amdhsa_memory_ordered 1
		.amdhsa_forward_progress 0
		.amdhsa_shared_vgpr_count 0
		.amdhsa_exception_fp_ieee_invalid_op 0
		.amdhsa_exception_fp_denorm_src 0
		.amdhsa_exception_fp_ieee_div_zero 0
		.amdhsa_exception_fp_ieee_overflow 0
		.amdhsa_exception_fp_ieee_underflow 0
		.amdhsa_exception_fp_ieee_inexact 0
		.amdhsa_exception_int_div_zero 0
	.end_amdhsa_kernel
	.section	.text._ZL32rocblas_gemvt_warp_reduce_kernelILb0ELi1024EiPK19rocblas_complex_numIdES3_KPS1_EviiT3_lPKT2_lT1_lS9_lSA_lS6_lPT4_lSA_li,"axG",@progbits,_ZL32rocblas_gemvt_warp_reduce_kernelILb0ELi1024EiPK19rocblas_complex_numIdES3_KPS1_EviiT3_lPKT2_lT1_lS9_lSA_lS6_lPT4_lSA_li,comdat
.Lfunc_end364:
	.size	_ZL32rocblas_gemvt_warp_reduce_kernelILb0ELi1024EiPK19rocblas_complex_numIdES3_KPS1_EviiT3_lPKT2_lT1_lS9_lSA_lS6_lPT4_lSA_li, .Lfunc_end364-_ZL32rocblas_gemvt_warp_reduce_kernelILb0ELi1024EiPK19rocblas_complex_numIdES3_KPS1_EviiT3_lPKT2_lT1_lS9_lSA_lS6_lPT4_lSA_li
                                        ; -- End function
	.section	.AMDGPU.csdata,"",@progbits
; Kernel info:
; codeLenInByte = 2244
; NumSgprs: 34
; NumVgprs: 22
; ScratchSize: 0
; MemoryBound: 0
; FloatMode: 240
; IeeeMode: 1
; LDSByteSize: 512 bytes/workgroup (compile time only)
; SGPRBlocks: 4
; VGPRBlocks: 2
; NumSGPRsForWavesPerEU: 34
; NumVGPRsForWavesPerEU: 22
; Occupancy: 16
; WaveLimiterHint : 1
; COMPUTE_PGM_RSRC2:SCRATCH_EN: 0
; COMPUTE_PGM_RSRC2:USER_SGPR: 14
; COMPUTE_PGM_RSRC2:TRAP_HANDLER: 0
; COMPUTE_PGM_RSRC2:TGID_X_EN: 1
; COMPUTE_PGM_RSRC2:TGID_Y_EN: 0
; COMPUTE_PGM_RSRC2:TGID_Z_EN: 1
; COMPUTE_PGM_RSRC2:TIDIG_COMP_CNT: 0
	.section	.text._ZL32rocblas_gemvt_warp_reduce_kernelILb0ELi1024ElPK19rocblas_complex_numIdES3_KPS1_EviiT3_lPKT2_lT1_lS9_lSA_lS6_lPT4_lSA_li,"axG",@progbits,_ZL32rocblas_gemvt_warp_reduce_kernelILb0ELi1024ElPK19rocblas_complex_numIdES3_KPS1_EviiT3_lPKT2_lT1_lS9_lSA_lS6_lPT4_lSA_li,comdat
	.globl	_ZL32rocblas_gemvt_warp_reduce_kernelILb0ELi1024ElPK19rocblas_complex_numIdES3_KPS1_EviiT3_lPKT2_lT1_lS9_lSA_lS6_lPT4_lSA_li ; -- Begin function _ZL32rocblas_gemvt_warp_reduce_kernelILb0ELi1024ElPK19rocblas_complex_numIdES3_KPS1_EviiT3_lPKT2_lT1_lS9_lSA_lS6_lPT4_lSA_li
	.p2align	8
	.type	_ZL32rocblas_gemvt_warp_reduce_kernelILb0ELi1024ElPK19rocblas_complex_numIdES3_KPS1_EviiT3_lPKT2_lT1_lS9_lSA_lS6_lPT4_lSA_li,@function
_ZL32rocblas_gemvt_warp_reduce_kernelILb0ELi1024ElPK19rocblas_complex_numIdES3_KPS1_EviiT3_lPKT2_lT1_lS9_lSA_lS6_lPT4_lSA_li: ; @_ZL32rocblas_gemvt_warp_reduce_kernelILb0ELi1024ElPK19rocblas_complex_numIdES3_KPS1_EviiT3_lPKT2_lT1_lS9_lSA_lS6_lPT4_lSA_li
; %bb.0:
	s_load_b256 s[16:23], s[0:1], 0x8
	s_mov_b32 s2, s15
	s_mov_b64 s[30:31], 0
	s_waitcnt lgkmcnt(0)
	s_mul_i32 s3, s15, s19
	s_mul_hi_u32 s5, s15, s18
	s_mul_i32 s4, s15, s18
	s_add_i32 s5, s5, s3
	s_delay_alu instid0(SALU_CYCLE_1) | instskip(NEXT) | instid1(SALU_CYCLE_1)
	s_lshl_b64 s[4:5], s[4:5], 4
	s_add_u32 s4, s16, s4
	s_addc_u32 s5, s17, s5
	s_load_b128 s[16:19], s[4:5], 0x0
	s_load_b256 s[4:11], s[0:1], 0x58
	s_waitcnt lgkmcnt(0)
	v_cmp_neq_f64_e64 s12, s[16:17], 0
	v_cmp_neq_f64_e64 s13, s[18:19], 0
	s_mul_i32 s3, s15, s7
	s_mul_hi_u32 s7, s15, s6
	s_mul_i32 s6, s15, s6
	s_add_i32 s7, s7, s3
	s_mov_b32 s3, 0
	s_lshl_b64 s[6:7], s[6:7], 4
	s_delay_alu instid0(SALU_CYCLE_1) | instskip(SKIP_3) | instid1(VALU_DEP_1)
	s_add_u32 s4, s4, s6
	s_addc_u32 s5, s5, s7
	s_load_b64 s[28:29], s[0:1], 0x28
	s_load_b128 s[4:7], s[4:5], 0x0
	s_or_b32 s15, s12, s13
	s_mov_b32 s13, -1
	s_and_b32 vcc_lo, exec_lo, s15
	s_mov_b32 s12, s3
	s_cbranch_vccz .LBB365_4
; %bb.1:
	s_and_not1_b32 vcc_lo, exec_lo, s13
	s_cbranch_vccz .LBB365_5
.LBB365_2:
	s_and_not1_b32 vcc_lo, exec_lo, s12
	s_cbranch_vccz .LBB365_6
.LBB365_3:
	s_endpgm
.LBB365_4:
	s_waitcnt lgkmcnt(0)
	v_cmp_neq_f64_e64 s12, s[4:5], 1.0
	v_cmp_neq_f64_e64 s13, s[6:7], 0
	s_delay_alu instid0(VALU_DEP_1)
	s_or_b32 s12, s12, s13
	s_cbranch_execnz .LBB365_2
.LBB365_5:
	s_lshl_b64 s[12:13], s[2:3], 3
	s_delay_alu instid0(SALU_CYCLE_1)
	s_add_u32 s12, s20, s12
	s_addc_u32 s13, s21, s13
	s_lshl_b64 s[20:21], s[22:23], 4
	s_load_b64 s[12:13], s[12:13], 0x0
	s_waitcnt lgkmcnt(0)
	s_add_u32 s30, s12, s20
	s_addc_u32 s31, s13, s21
.LBB365_6:
	s_clause 0x2
	s_load_b64 s[12:13], s[0:1], 0x78
	s_load_b128 s[20:23], s[0:1], 0x38
	s_load_b64 s[24:25], s[0:1], 0x48
	v_cndmask_b32_e64 v1, 0, 1, s15
	s_xor_b32 s15, s15, -1
	s_mov_b64 s[26:27], 0
	s_delay_alu instid0(VALU_DEP_1)
	v_cmp_ne_u32_e32 vcc_lo, 1, v1
	s_cbranch_vccnz .LBB365_8
; %bb.7:
	s_lshl_b64 s[26:27], s[2:3], 3
	s_waitcnt lgkmcnt(0)
	s_add_u32 s20, s20, s26
	s_addc_u32 s21, s21, s27
	s_lshl_b64 s[22:23], s[22:23], 4
	s_load_b64 s[20:21], s[20:21], 0x0
	s_waitcnt lgkmcnt(0)
	s_add_u32 s26, s20, s22
	s_addc_u32 s27, s21, s23
.LBB365_8:
	s_lshl_b64 s[2:3], s[2:3], 3
	s_delay_alu instid0(SALU_CYCLE_1)
	s_add_u32 s2, s8, s2
	s_addc_u32 s3, s9, s3
	s_lshl_b64 s[10:11], s[10:11], 4
	s_load_b64 s[8:9], s[2:3], 0x0
	v_cmp_eq_u32_e64 s2, 0, v0
	s_waitcnt lgkmcnt(0)
	s_add_u32 s10, s8, s10
	s_addc_u32 s11, s9, s11
	s_and_not1_b32 vcc_lo, exec_lo, s15
	s_cbranch_vccnz .LBB365_13
; %bb.9:
	s_mov_b32 s3, 0
	s_mov_b32 s15, 0
                                        ; implicit-def: $vgpr3_vgpr4
                                        ; implicit-def: $sgpr8_sgpr9
	s_and_saveexec_b32 s20, s2
	s_cbranch_execz .LBB365_14
; %bb.10:
	v_cmp_neq_f64_e64 s2, s[4:5], 0
	v_cmp_neq_f64_e64 s8, s[6:7], 0
	v_mov_b32_e32 v3, 0
	v_mov_b32_e32 v4, 0
	s_mul_i32 s9, s14, s13
	s_mul_hi_u32 s15, s14, s12
	s_delay_alu instid0(VALU_DEP_2)
	v_mov_b32_e32 v1, v3
	s_add_i32 s9, s15, s9
	v_mov_b32_e32 v2, v4
	s_or_b32 s2, s2, s8
	s_ashr_i32 s8, s14, 31
	s_and_not1_b32 vcc_lo, exec_lo, s2
	s_mul_i32 s8, s8, s12
	s_delay_alu instid0(SALU_CYCLE_1)
	s_add_i32 s9, s9, s8
	s_mul_i32 s8, s14, s12
	s_cbranch_vccnz .LBB365_12
; %bb.11:
	s_lshl_b64 s[22:23], s[8:9], 4
	s_delay_alu instid0(SALU_CYCLE_1)
	s_add_u32 s22, s10, s22
	s_addc_u32 s23, s11, s23
	s_load_b128 s[36:39], s[22:23], 0x0
	s_waitcnt lgkmcnt(0)
	v_mul_f64 v[1:2], s[6:7], s[38:39]
	v_mul_f64 v[3:4], s[4:5], s[38:39]
	s_delay_alu instid0(VALU_DEP_2) | instskip(NEXT) | instid1(VALU_DEP_2)
	v_fma_f64 v[1:2], s[4:5], s[36:37], -v[1:2]
	v_fma_f64 v[3:4], s[6:7], s[36:37], v[3:4]
.LBB365_12:
	s_mov_b32 s15, exec_lo
	s_or_b32 exec_lo, exec_lo, s20
	s_delay_alu instid0(SALU_CYCLE_1)
	s_and_b32 vcc_lo, exec_lo, s3
	s_cbranch_vccnz .LBB365_15
	s_branch .LBB365_34
.LBB365_13:
	s_mov_b32 s15, 0
                                        ; implicit-def: $vgpr3_vgpr4
                                        ; implicit-def: $sgpr8_sgpr9
	s_cbranch_execnz .LBB365_15
	s_branch .LBB365_34
.LBB365_14:
	s_or_b32 exec_lo, exec_lo, s20
	s_delay_alu instid0(SALU_CYCLE_1)
	s_and_b32 vcc_lo, exec_lo, s3
	s_cbranch_vccz .LBB365_34
.LBB365_15:
	s_load_b32 s3, s[0:1], 0x0
	s_mul_i32 s0, s14, s29
	s_mul_hi_u32 s2, s14, s28
	s_ashr_i32 s1, s14, 31
	s_add_i32 s0, s2, s0
	s_mul_i32 s2, s1, s28
	s_mul_i32 s8, s14, s28
	s_add_i32 s9, s0, s2
	s_mov_b32 s21, 0
	s_lshl_b64 s[8:9], s[8:9], 4
	s_mov_b32 s20, exec_lo
	s_add_u32 s0, s8, s30
	s_addc_u32 s8, s9, s31
	s_waitcnt lgkmcnt(0)
	v_cmp_gt_i32_e32 vcc_lo, s3, v0
	s_ashr_i32 s2, s3, 31
	s_delay_alu instid0(SALU_CYCLE_1) | instskip(NEXT) | instid1(SALU_CYCLE_1)
	s_lshr_b32 s2, s2, 22
	s_add_i32 s2, s3, s2
	v_cndmask_b32_e32 v1, 0, v0, vcc_lo
	s_and_b32 s2, s2, 0xfffffc00
	s_delay_alu instid0(VALU_DEP_1) | instskip(SKIP_2) | instid1(VALU_DEP_3)
	v_lshlrev_b32_e32 v3, 4, v1
	v_mov_b32_e32 v1, 0
	v_mov_b32_e32 v2, 0
	v_add_co_u32 v5, s0, s0, v3
	s_delay_alu instid0(VALU_DEP_1) | instskip(NEXT) | instid1(VALU_DEP_3)
	v_add_co_ci_u32_e64 v6, null, s8, 0, s0
	v_dual_mov_b32 v4, v2 :: v_dual_mov_b32 v3, v1
	v_cmpx_gt_i32_e64 s2, v0
	s_cbranch_execz .LBB365_19
; %bb.16:
	v_mad_u64_u32 v[1:2], null, s24, v0, 0
	v_mov_b32_e32 v8, v6
	s_lshl_b64 s[8:9], s[24:25], 14
	v_mov_b32_e32 v7, v5
	v_mov_b32_e32 v11, v0
	s_delay_alu instid0(VALU_DEP_4) | instskip(NEXT) | instid1(VALU_DEP_1)
	v_mad_u64_u32 v[3:4], null, s25, v0, v[2:3]
	v_mov_b32_e32 v2, v3
	s_delay_alu instid0(VALU_DEP_1) | instskip(SKIP_2) | instid1(VALU_DEP_3)
	v_lshlrev_b64 v[3:4], 4, v[1:2]
	v_mov_b32_e32 v1, 0
	v_mov_b32_e32 v2, 0
	v_add_co_u32 v9, vcc_lo, s26, v3
	s_delay_alu instid0(VALU_DEP_4) | instskip(NEXT) | instid1(VALU_DEP_3)
	v_add_co_ci_u32_e32 v10, vcc_lo, s27, v4, vcc_lo
	v_dual_mov_b32 v4, v2 :: v_dual_mov_b32 v3, v1
	.p2align	6
.LBB365_17:                             ; =>This Inner Loop Header: Depth=1
	flat_load_b128 v[12:15], v[7:8]
	flat_load_b128 v[16:19], v[9:10]
	v_add_nc_u32_e32 v11, 0x400, v11
	v_add_co_u32 v7, vcc_lo, 0x4000, v7
	v_add_co_ci_u32_e32 v8, vcc_lo, 0, v8, vcc_lo
	s_delay_alu instid0(VALU_DEP_3) | instskip(SKIP_1) | instid1(VALU_DEP_1)
	v_cmp_le_i32_e32 vcc_lo, s2, v11
	v_add_co_u32 v9, s0, v9, s8
	v_add_co_ci_u32_e64 v10, s0, s9, v10, s0
	s_or_b32 s21, vcc_lo, s21
	s_waitcnt vmcnt(0) lgkmcnt(0)
	v_mul_f64 v[20:21], v[14:15], v[18:19]
	v_mul_f64 v[18:19], v[12:13], v[18:19]
	s_delay_alu instid0(VALU_DEP_2) | instskip(NEXT) | instid1(VALU_DEP_2)
	v_fma_f64 v[12:13], v[12:13], v[16:17], -v[20:21]
	v_fma_f64 v[14:15], v[14:15], v[16:17], v[18:19]
	s_delay_alu instid0(VALU_DEP_2) | instskip(NEXT) | instid1(VALU_DEP_2)
	v_add_f64 v[3:4], v[3:4], v[12:13]
	v_add_f64 v[1:2], v[1:2], v[14:15]
	s_and_not1_b32 exec_lo, exec_lo, s21
	s_cbranch_execnz .LBB365_17
; %bb.18:
	s_or_b32 exec_lo, exec_lo, s21
.LBB365_19:
	s_delay_alu instid0(SALU_CYCLE_1) | instskip(SKIP_2) | instid1(VALU_DEP_1)
	s_or_b32 exec_lo, exec_lo, s20
	v_or_b32_e32 v7, s2, v0
	s_mov_b32 s0, exec_lo
	v_cmpx_gt_i32_e64 s3, v7
	s_cbranch_execz .LBB365_21
; %bb.20:
	v_ashrrev_i32_e32 v10, 31, v7
	v_mul_lo_u32 v11, v7, s25
	v_mad_u64_u32 v[8:9], null, v7, s24, 0
	s_ashr_i32 s3, s2, 31
	s_delay_alu instid0(VALU_DEP_3) | instskip(SKIP_1) | instid1(SALU_CYCLE_1)
	v_mul_lo_u32 v7, v10, s24
	s_lshl_b64 s[2:3], s[2:3], 4
	v_add_co_u32 v5, vcc_lo, v5, s2
	v_add_co_ci_u32_e32 v6, vcc_lo, s3, v6, vcc_lo
	s_delay_alu instid0(VALU_DEP_3) | instskip(NEXT) | instid1(VALU_DEP_1)
	v_add3_u32 v9, v9, v11, v7
	v_lshlrev_b64 v[7:8], 4, v[8:9]
	s_delay_alu instid0(VALU_DEP_1) | instskip(NEXT) | instid1(VALU_DEP_2)
	v_add_co_u32 v9, vcc_lo, s26, v7
	v_add_co_ci_u32_e32 v10, vcc_lo, s27, v8, vcc_lo
	flat_load_b128 v[5:8], v[5:6]
	flat_load_b128 v[9:12], v[9:10]
	s_waitcnt vmcnt(0) lgkmcnt(0)
	v_mul_f64 v[13:14], v[7:8], v[11:12]
	v_mul_f64 v[11:12], v[5:6], v[11:12]
	s_delay_alu instid0(VALU_DEP_2) | instskip(NEXT) | instid1(VALU_DEP_2)
	v_fma_f64 v[5:6], v[5:6], v[9:10], -v[13:14]
	v_fma_f64 v[7:8], v[7:8], v[9:10], v[11:12]
	s_delay_alu instid0(VALU_DEP_2) | instskip(NEXT) | instid1(VALU_DEP_2)
	v_add_f64 v[3:4], v[3:4], v[5:6]
	v_add_f64 v[1:2], v[1:2], v[7:8]
.LBB365_21:
	s_or_b32 exec_lo, exec_lo, s0
	v_and_b32_e32 v15, 31, v0
	v_cmp_gt_u32_e32 vcc_lo, 32, v0
	s_delay_alu instid0(VALU_DEP_2)
	v_lshlrev_b32_e32 v11, 4, v15
	s_and_saveexec_b32 s0, vcc_lo
	s_cbranch_execz .LBB365_23
; %bb.22:
	v_mov_b32_e32 v5, 0
	s_delay_alu instid0(VALU_DEP_1)
	v_mov_b32_e32 v6, v5
	v_mov_b32_e32 v7, v5
	;; [unrolled: 1-line block ×3, first 2 shown]
	ds_store_b128 v11, v[5:8]
.LBB365_23:
	s_or_b32 exec_lo, exec_lo, s0
	v_mbcnt_lo_u32_b32 v14, -1, 0
	s_mov_b32 s2, exec_lo
	s_waitcnt lgkmcnt(0)
	s_barrier
	buffer_gl0_inv
	v_cmp_gt_u32_e64 s0, 16, v14
	s_delay_alu instid0(VALU_DEP_1) | instskip(SKIP_1) | instid1(VALU_DEP_2)
	v_cndmask_b32_e64 v5, 0, 1, s0
	v_cmp_gt_u32_e64 s0, 24, v14
	v_lshlrev_b32_e32 v5, 4, v5
	s_delay_alu instid0(VALU_DEP_1)
	v_add_lshl_u32 v9, v5, v14, 2
	ds_bpermute_b32 v5, v9, v3
	ds_bpermute_b32 v6, v9, v4
	;; [unrolled: 1-line block ×4, first 2 shown]
	s_waitcnt lgkmcnt(2)
	v_add_f64 v[3:4], v[3:4], v[5:6]
	v_cndmask_b32_e64 v5, 0, 1, s0
	s_waitcnt lgkmcnt(0)
	v_add_f64 v[1:2], v[1:2], v[7:8]
	v_cmp_gt_u32_e64 s0, 28, v14
	s_delay_alu instid0(VALU_DEP_3) | instskip(NEXT) | instid1(VALU_DEP_1)
	v_lshlrev_b32_e32 v5, 3, v5
	v_add_lshl_u32 v10, v5, v14, 2
	ds_bpermute_b32 v5, v10, v3
	ds_bpermute_b32 v6, v10, v4
	;; [unrolled: 1-line block ×4, first 2 shown]
	s_waitcnt lgkmcnt(2)
	v_add_f64 v[3:4], v[3:4], v[5:6]
	v_cndmask_b32_e64 v5, 0, 1, s0
	s_waitcnt lgkmcnt(0)
	v_add_f64 v[1:2], v[1:2], v[7:8]
	v_cmp_gt_u32_e64 s0, 30, v14
	s_delay_alu instid0(VALU_DEP_3) | instskip(NEXT) | instid1(VALU_DEP_1)
	v_lshlrev_b32_e32 v5, 2, v5
	v_add_lshl_u32 v12, v5, v14, 2
	ds_bpermute_b32 v5, v12, v3
	ds_bpermute_b32 v6, v12, v4
	;; [unrolled: 1-line block ×4, first 2 shown]
	s_waitcnt lgkmcnt(2)
	v_add_f64 v[3:4], v[3:4], v[5:6]
	s_waitcnt lgkmcnt(0)
	v_add_f64 v[5:6], v[1:2], v[7:8]
	v_cndmask_b32_e64 v1, 0, 1, s0
	v_cmp_ne_u32_e64 s0, 31, v14
	s_delay_alu instid0(VALU_DEP_2) | instskip(NEXT) | instid1(VALU_DEP_1)
	v_lshlrev_b32_e32 v1, 1, v1
	v_add_lshl_u32 v13, v1, v14, 2
	ds_bpermute_b32 v1, v13, v3
	ds_bpermute_b32 v2, v13, v4
	;; [unrolled: 1-line block ×4, first 2 shown]
	s_waitcnt lgkmcnt(2)
	v_add_f64 v[1:2], v[3:4], v[1:2]
	v_add_co_ci_u32_e64 v3, s0, 0, v14, s0
	s_waitcnt lgkmcnt(0)
	v_add_f64 v[5:6], v[5:6], v[7:8]
	s_delay_alu instid0(VALU_DEP_2)
	v_lshlrev_b32_e32 v14, 2, v3
	ds_bpermute_b32 v3, v14, v1
	ds_bpermute_b32 v4, v14, v2
	;; [unrolled: 1-line block ×4, first 2 shown]
	v_cmpx_eq_u32_e32 0, v15
	s_cbranch_execz .LBB365_25
; %bb.24:
	s_waitcnt lgkmcnt(0)
	v_add_f64 v[5:6], v[5:6], v[7:8]
	v_add_f64 v[3:4], v[1:2], v[3:4]
	v_lshrrev_b32_e32 v1, 1, v0
	s_delay_alu instid0(VALU_DEP_1)
	v_and_b32_e32 v1, 0x1f0, v1
	ds_store_b128 v1, v[3:6]
.LBB365_25:
	s_or_b32 exec_lo, exec_lo, s2
	s_waitcnt lgkmcnt(0)
	v_mov_b32_e32 v7, 0
	v_mov_b32_e32 v8, 0
	s_delay_alu instid0(VALU_DEP_2)
	v_mov_b32_e32 v5, v7
	s_barrier
	buffer_gl0_inv
	v_mov_b32_e32 v6, v8
	s_and_saveexec_b32 s0, vcc_lo
	s_cbranch_execz .LBB365_27
; %bb.26:
	ds_load_b128 v[5:8], v11
.LBB365_27:
	s_or_b32 exec_lo, exec_lo, s0
	s_and_saveexec_b32 s0, vcc_lo
	s_cbranch_execz .LBB365_29
; %bb.28:
	s_waitcnt lgkmcnt(0)
	ds_bpermute_b32 v1, v9, v5
	ds_bpermute_b32 v2, v9, v6
	ds_bpermute_b32 v3, v9, v7
	ds_bpermute_b32 v4, v9, v8
	s_waitcnt lgkmcnt(2)
	v_add_f64 v[1:2], v[5:6], v[1:2]
	s_waitcnt lgkmcnt(0)
	v_add_f64 v[3:4], v[7:8], v[3:4]
	ds_bpermute_b32 v5, v10, v1
	ds_bpermute_b32 v6, v10, v2
	ds_bpermute_b32 v7, v10, v3
	ds_bpermute_b32 v8, v10, v4
	s_waitcnt lgkmcnt(2)
	v_add_f64 v[1:2], v[1:2], v[5:6]
	s_waitcnt lgkmcnt(0)
	v_add_f64 v[3:4], v[3:4], v[7:8]
	;; [unrolled: 8-line block ×5, first 2 shown]
.LBB365_29:
	s_or_b32 exec_lo, exec_lo, s0
	s_delay_alu instid0(SALU_CYCLE_1)
	s_mov_b32 s0, exec_lo
                                        ; implicit-def: $vgpr3_vgpr4
                                        ; implicit-def: $sgpr8_sgpr9
	v_cmpx_eq_u32_e32 0, v0
	s_cbranch_execz .LBB365_33
; %bb.30:
	s_waitcnt lgkmcnt(0)
	s_delay_alu instid0(VALU_DEP_2)
	v_mul_f64 v[0:1], s[18:19], v[7:8]
	v_mul_f64 v[3:4], s[16:17], v[7:8]
	v_cmp_neq_f64_e64 s2, s[4:5], 0
	v_cmp_neq_f64_e64 s3, s[6:7], 0
	s_mul_hi_u32 s8, s14, s12
	s_mul_i32 s1, s1, s12
	s_delay_alu instid0(VALU_DEP_4) | instskip(NEXT) | instid1(VALU_DEP_4)
	v_fma_f64 v[1:2], s[16:17], v[5:6], -v[0:1]
	v_fma_f64 v[3:4], s[18:19], v[5:6], v[3:4]
	s_delay_alu instid0(VALU_DEP_3)
	s_or_b32 s2, s2, s3
	s_mul_i32 s3, s14, s13
	s_and_not1_b32 vcc_lo, exec_lo, s2
	s_add_i32 s3, s8, s3
	s_mul_i32 s8, s14, s12
	s_add_i32 s9, s3, s1
	s_cbranch_vccnz .LBB365_32
; %bb.31:
	s_lshl_b64 s[2:3], s[8:9], 4
	s_delay_alu instid0(SALU_CYCLE_1)
	s_add_u32 s2, s10, s2
	s_addc_u32 s3, s11, s3
	s_load_b128 s[16:19], s[2:3], 0x0
	s_waitcnt lgkmcnt(0)
	v_mul_f64 v[5:6], s[6:7], s[18:19]
	v_mul_f64 v[7:8], s[4:5], s[18:19]
	s_delay_alu instid0(VALU_DEP_2) | instskip(NEXT) | instid1(VALU_DEP_2)
	v_fma_f64 v[5:6], s[4:5], s[16:17], -v[5:6]
	v_fma_f64 v[7:8], s[6:7], s[16:17], v[7:8]
	s_delay_alu instid0(VALU_DEP_2) | instskip(NEXT) | instid1(VALU_DEP_2)
	v_add_f64 v[1:2], v[1:2], v[5:6]
	v_add_f64 v[3:4], v[3:4], v[7:8]
.LBB365_32:
	s_or_b32 s15, s15, exec_lo
.LBB365_33:
	s_or_b32 exec_lo, exec_lo, s0
.LBB365_34:
	s_and_saveexec_b32 s0, s15
	s_cbranch_execz .LBB365_3
; %bb.35:
	s_lshl_b64 s[0:1], s[8:9], 4
	v_mov_b32_e32 v0, 0
	s_add_u32 s0, s10, s0
	s_addc_u32 s1, s11, s1
	global_store_b128 v0, v[1:4], s[0:1]
	s_nop 0
	s_sendmsg sendmsg(MSG_DEALLOC_VGPRS)
	s_endpgm
	.section	.rodata,"a",@progbits
	.p2align	6, 0x0
	.amdhsa_kernel _ZL32rocblas_gemvt_warp_reduce_kernelILb0ELi1024ElPK19rocblas_complex_numIdES3_KPS1_EviiT3_lPKT2_lT1_lS9_lSA_lS6_lPT4_lSA_li
		.amdhsa_group_segment_fixed_size 512
		.amdhsa_private_segment_fixed_size 0
		.amdhsa_kernarg_size 140
		.amdhsa_user_sgpr_count 14
		.amdhsa_user_sgpr_dispatch_ptr 0
		.amdhsa_user_sgpr_queue_ptr 0
		.amdhsa_user_sgpr_kernarg_segment_ptr 1
		.amdhsa_user_sgpr_dispatch_id 0
		.amdhsa_user_sgpr_private_segment_size 0
		.amdhsa_wavefront_size32 1
		.amdhsa_uses_dynamic_stack 0
		.amdhsa_enable_private_segment 0
		.amdhsa_system_sgpr_workgroup_id_x 1
		.amdhsa_system_sgpr_workgroup_id_y 0
		.amdhsa_system_sgpr_workgroup_id_z 1
		.amdhsa_system_sgpr_workgroup_info 0
		.amdhsa_system_vgpr_workitem_id 0
		.amdhsa_next_free_vgpr 22
		.amdhsa_next_free_sgpr 40
		.amdhsa_reserve_vcc 1
		.amdhsa_float_round_mode_32 0
		.amdhsa_float_round_mode_16_64 0
		.amdhsa_float_denorm_mode_32 3
		.amdhsa_float_denorm_mode_16_64 3
		.amdhsa_dx10_clamp 1
		.amdhsa_ieee_mode 1
		.amdhsa_fp16_overflow 0
		.amdhsa_workgroup_processor_mode 1
		.amdhsa_memory_ordered 1
		.amdhsa_forward_progress 0
		.amdhsa_shared_vgpr_count 0
		.amdhsa_exception_fp_ieee_invalid_op 0
		.amdhsa_exception_fp_denorm_src 0
		.amdhsa_exception_fp_ieee_div_zero 0
		.amdhsa_exception_fp_ieee_overflow 0
		.amdhsa_exception_fp_ieee_underflow 0
		.amdhsa_exception_fp_ieee_inexact 0
		.amdhsa_exception_int_div_zero 0
	.end_amdhsa_kernel
	.section	.text._ZL32rocblas_gemvt_warp_reduce_kernelILb0ELi1024ElPK19rocblas_complex_numIdES3_KPS1_EviiT3_lPKT2_lT1_lS9_lSA_lS6_lPT4_lSA_li,"axG",@progbits,_ZL32rocblas_gemvt_warp_reduce_kernelILb0ELi1024ElPK19rocblas_complex_numIdES3_KPS1_EviiT3_lPKT2_lT1_lS9_lSA_lS6_lPT4_lSA_li,comdat
.Lfunc_end365:
	.size	_ZL32rocblas_gemvt_warp_reduce_kernelILb0ELi1024ElPK19rocblas_complex_numIdES3_KPS1_EviiT3_lPKT2_lT1_lS9_lSA_lS6_lPT4_lSA_li, .Lfunc_end365-_ZL32rocblas_gemvt_warp_reduce_kernelILb0ELi1024ElPK19rocblas_complex_numIdES3_KPS1_EviiT3_lPKT2_lT1_lS9_lSA_lS6_lPT4_lSA_li
                                        ; -- End function
	.section	.AMDGPU.csdata,"",@progbits
; Kernel info:
; codeLenInByte = 2340
; NumSgprs: 42
; NumVgprs: 22
; ScratchSize: 0
; MemoryBound: 0
; FloatMode: 240
; IeeeMode: 1
; LDSByteSize: 512 bytes/workgroup (compile time only)
; SGPRBlocks: 5
; VGPRBlocks: 2
; NumSGPRsForWavesPerEU: 42
; NumVGPRsForWavesPerEU: 22
; Occupancy: 16
; WaveLimiterHint : 1
; COMPUTE_PGM_RSRC2:SCRATCH_EN: 0
; COMPUTE_PGM_RSRC2:USER_SGPR: 14
; COMPUTE_PGM_RSRC2:TRAP_HANDLER: 0
; COMPUTE_PGM_RSRC2:TGID_X_EN: 1
; COMPUTE_PGM_RSRC2:TGID_Y_EN: 0
; COMPUTE_PGM_RSRC2:TGID_Z_EN: 1
; COMPUTE_PGM_RSRC2:TIDIG_COMP_CNT: 0
	.section	.text._ZL32rocblas_gemvt_warp_reduce_kernelILb0ELi1024EiPK19rocblas_complex_numIdES1_KPS1_EviiT3_lPKT2_lT1_lS9_lSA_lS6_lPT4_lSA_li,"axG",@progbits,_ZL32rocblas_gemvt_warp_reduce_kernelILb0ELi1024EiPK19rocblas_complex_numIdES1_KPS1_EviiT3_lPKT2_lT1_lS9_lSA_lS6_lPT4_lSA_li,comdat
	.globl	_ZL32rocblas_gemvt_warp_reduce_kernelILb0ELi1024EiPK19rocblas_complex_numIdES1_KPS1_EviiT3_lPKT2_lT1_lS9_lSA_lS6_lPT4_lSA_li ; -- Begin function _ZL32rocblas_gemvt_warp_reduce_kernelILb0ELi1024EiPK19rocblas_complex_numIdES1_KPS1_EviiT3_lPKT2_lT1_lS9_lSA_lS6_lPT4_lSA_li
	.p2align	8
	.type	_ZL32rocblas_gemvt_warp_reduce_kernelILb0ELi1024EiPK19rocblas_complex_numIdES1_KPS1_EviiT3_lPKT2_lT1_lS9_lSA_lS6_lPT4_lSA_li,@function
_ZL32rocblas_gemvt_warp_reduce_kernelILb0ELi1024EiPK19rocblas_complex_numIdES1_KPS1_EviiT3_lPKT2_lT1_lS9_lSA_lS6_lPT4_lSA_li: ; @_ZL32rocblas_gemvt_warp_reduce_kernelILb0ELi1024EiPK19rocblas_complex_numIdES1_KPS1_EviiT3_lPKT2_lT1_lS9_lSA_lS6_lPT4_lSA_li
; %bb.0:
	s_clause 0x1
	s_load_b128 s[8:11], s[0:1], 0x8
	s_load_b128 s[4:7], s[0:1], 0x60
	s_mov_b32 s2, s15
	s_mov_b32 s15, -1
	s_waitcnt lgkmcnt(0)
	v_cmp_neq_f64_e64 s3, s[8:9], 0
	v_cmp_neq_f64_e64 s12, s[10:11], 0
	s_delay_alu instid0(VALU_DEP_1) | instskip(NEXT) | instid1(SALU_CYCLE_1)
	s_or_b32 s12, s3, s12
                                        ; implicit-def: $sgpr3
	s_and_b32 vcc_lo, exec_lo, s12
	s_cbranch_vccnz .LBB366_3
; %bb.1:
	v_cmp_eq_f64_e64 s3, s[4:5], 1.0
	v_cmp_eq_f64_e64 s13, s[6:7], 0
	s_mov_b32 s15, 0
	s_delay_alu instid0(VALU_DEP_1) | instskip(NEXT) | instid1(SALU_CYCLE_1)
	s_and_b32 s3, s3, s13
	s_and_not1_b32 vcc_lo, exec_lo, s3
	s_cbranch_vccz .LBB366_3
; %bb.2:
	s_mov_b32 s3, 0
	s_mov_b32 s13, -1
	s_mov_b64 s[16:17], 0
	s_and_b32 vcc_lo, exec_lo, s15
	s_cbranch_vccnz .LBB366_4
	s_branch .LBB366_5
.LBB366_3:
	s_mov_b32 s13, 0
                                        ; implicit-def: $sgpr16_sgpr17
	s_and_b32 vcc_lo, exec_lo, s15
	s_cbranch_vccz .LBB366_5
.LBB366_4:
	s_load_b128 s[16:19], s[0:1], 0x20
	s_mov_b32 s3, 0
	s_mov_b32 s13, -1
	s_lshl_b64 s[20:21], s[2:3], 3
	s_waitcnt lgkmcnt(0)
	s_add_u32 s16, s16, s20
	s_addc_u32 s17, s17, s21
	s_lshl_b64 s[18:19], s[18:19], 4
	s_load_b64 s[16:17], s[16:17], 0x0
	s_waitcnt lgkmcnt(0)
	s_add_u32 s16, s16, s18
	s_addc_u32 s17, s17, s19
.LBB366_5:
	s_and_not1_b32 vcc_lo, exec_lo, s13
	s_cbranch_vccnz .LBB366_36
; %bb.6:
	v_cndmask_b32_e64 v1, 0, 1, s12
	s_xor_b32 s18, s12, -1
	s_mov_b64 s[12:13], 0
	s_delay_alu instid0(VALU_DEP_1)
	v_cmp_ne_u32_e32 vcc_lo, 1, v1
	s_cbranch_vccnz .LBB366_8
; %bb.7:
	s_load_b128 s[20:23], s[0:1], 0x40
	s_lshl_b64 s[12:13], s[2:3], 3
	s_waitcnt lgkmcnt(0)
	s_add_u32 s12, s20, s12
	s_addc_u32 s13, s21, s13
	s_lshl_b64 s[20:21], s[22:23], 4
	s_load_b64 s[12:13], s[12:13], 0x0
	s_waitcnt lgkmcnt(0)
	s_add_u32 s12, s12, s20
	s_addc_u32 s13, s13, s21
.LBB366_8:
	s_clause 0x1
	s_load_b128 s[24:27], s[0:1], 0x78
	s_load_b32 s21, s[0:1], 0x88
	s_lshl_b64 s[2:3], s[2:3], 3
	s_waitcnt lgkmcnt(0)
	s_add_u32 s2, s24, s2
	s_addc_u32 s3, s25, s3
	s_lshl_b64 s[24:25], s[26:27], 4
	s_load_b64 s[22:23], s[2:3], 0x0
	v_cmp_eq_u32_e64 s2, 0, v0
	s_waitcnt lgkmcnt(0)
	s_add_u32 s15, s22, s24
	s_addc_u32 s20, s23, s25
	s_and_not1_b32 vcc_lo, exec_lo, s18
	s_cbranch_vccnz .LBB366_13
; %bb.9:
	s_mov_b32 s3, 0
	s_mov_b32 s22, 0
                                        ; implicit-def: $vgpr3_vgpr4
                                        ; implicit-def: $sgpr18_sgpr19
	s_and_saveexec_b32 s23, s2
	s_cbranch_execz .LBB366_14
; %bb.10:
	v_cmp_neq_f64_e64 s2, s[4:5], 0
	v_cmp_neq_f64_e64 s18, s[6:7], 0
	v_mov_b32_e32 v3, 0
	v_mov_b32_e32 v4, 0
	s_delay_alu instid0(VALU_DEP_1) | instskip(NEXT) | instid1(VALU_DEP_4)
	v_dual_mov_b32 v1, v3 :: v_dual_mov_b32 v2, v4
	s_or_b32 s2, s2, s18
	s_mul_i32 s18, s14, s21
	s_and_not1_b32 vcc_lo, exec_lo, s2
	s_ashr_i32 s19, s18, 31
	s_cbranch_vccnz .LBB366_12
; %bb.11:
	s_lshl_b64 s[24:25], s[18:19], 4
	s_delay_alu instid0(SALU_CYCLE_1)
	s_add_u32 s24, s15, s24
	s_addc_u32 s25, s20, s25
	s_load_b128 s[24:27], s[24:25], 0x0
	s_waitcnt lgkmcnt(0)
	v_mul_f64 v[1:2], s[6:7], s[26:27]
	v_mul_f64 v[3:4], s[4:5], s[26:27]
	s_delay_alu instid0(VALU_DEP_2) | instskip(NEXT) | instid1(VALU_DEP_2)
	v_fma_f64 v[1:2], s[4:5], s[24:25], -v[1:2]
	v_fma_f64 v[3:4], s[6:7], s[24:25], v[3:4]
.LBB366_12:
	s_mov_b32 s22, exec_lo
	s_or_b32 exec_lo, exec_lo, s23
	s_delay_alu instid0(SALU_CYCLE_1)
	s_and_b32 vcc_lo, exec_lo, s3
	s_cbranch_vccnz .LBB366_15
	s_branch .LBB366_34
.LBB366_13:
	s_mov_b32 s22, 0
                                        ; implicit-def: $vgpr3_vgpr4
                                        ; implicit-def: $sgpr18_sgpr19
	s_cbranch_execnz .LBB366_15
	s_branch .LBB366_34
.LBB366_14:
	s_or_b32 exec_lo, exec_lo, s23
	s_delay_alu instid0(SALU_CYCLE_1)
	s_and_b32 vcc_lo, exec_lo, s3
	s_cbranch_vccz .LBB366_34
.LBB366_15:
	s_clause 0x2
	s_load_b32 s2, s[0:1], 0x30
	s_load_b32 s3, s[0:1], 0x0
	;; [unrolled: 1-line block ×3, first 2 shown]
	s_waitcnt lgkmcnt(0)
	s_mul_i32 s18, s14, s2
	v_cmp_gt_i32_e32 vcc_lo, s3, v0
	s_ashr_i32 s19, s18, 31
	s_delay_alu instid0(SALU_CYCLE_1)
	s_lshl_b64 s[18:19], s[18:19], 4
	v_cndmask_b32_e32 v1, 0, v0, vcc_lo
	s_add_u32 s0, s18, s16
	s_addc_u32 s16, s19, s17
	s_ashr_i32 s2, s3, 31
	s_mov_b32 s17, 0
	v_lshlrev_b32_e32 v3, 4, v1
	v_mov_b32_e32 v1, 0
	v_mov_b32_e32 v2, 0
	s_lshr_b32 s2, s2, 22
	s_delay_alu instid0(SALU_CYCLE_1) | instskip(SKIP_1) | instid1(VALU_DEP_1)
	s_add_i32 s2, s3, s2
	v_add_co_u32 v5, s0, s0, v3
	v_add_co_ci_u32_e64 v6, null, s16, 0, s0
	v_dual_mov_b32 v4, v2 :: v_dual_mov_b32 v3, v1
	s_and_b32 s2, s2, 0xfffffc00
	s_mov_b32 s16, exec_lo
	v_cmpx_gt_i32_e64 s2, v0
	s_cbranch_execz .LBB366_19
; %bb.16:
	v_dual_mov_b32 v1, 0 :: v_dual_mov_b32 v10, v6
	v_dual_mov_b32 v2, 0 :: v_dual_mov_b32 v9, v5
	v_mul_lo_u32 v7, v0, s1
	v_mov_b32_e32 v11, v0
	s_lshl_b32 s18, s1, 10
	s_delay_alu instid0(VALU_DEP_3)
	v_dual_mov_b32 v4, v2 :: v_dual_mov_b32 v3, v1
	s_set_inst_prefetch_distance 0x1
	.p2align	6
.LBB366_17:                             ; =>This Inner Loop Header: Depth=1
	s_delay_alu instid0(VALU_DEP_3) | instskip(SKIP_1) | instid1(VALU_DEP_2)
	v_ashrrev_i32_e32 v8, 31, v7
	v_add_nc_u32_e32 v11, 0x400, v11
	v_lshlrev_b64 v[12:13], 4, v[7:8]
	s_delay_alu instid0(VALU_DEP_2) | instskip(SKIP_1) | instid1(VALU_DEP_2)
	v_cmp_le_i32_e64 s0, s2, v11
	v_add_nc_u32_e32 v7, s18, v7
	s_or_b32 s17, s0, s17
	s_delay_alu instid0(VALU_DEP_3) | instskip(NEXT) | instid1(VALU_DEP_4)
	v_add_co_u32 v16, vcc_lo, s12, v12
	v_add_co_ci_u32_e32 v17, vcc_lo, s13, v13, vcc_lo
	flat_load_b128 v[12:15], v[9:10]
	flat_load_b128 v[16:19], v[16:17]
	v_add_co_u32 v9, vcc_lo, 0x4000, v9
	v_add_co_ci_u32_e32 v10, vcc_lo, 0, v10, vcc_lo
	s_waitcnt vmcnt(0) lgkmcnt(0)
	v_mul_f64 v[20:21], v[14:15], v[18:19]
	v_mul_f64 v[18:19], v[12:13], v[18:19]
	s_delay_alu instid0(VALU_DEP_2) | instskip(NEXT) | instid1(VALU_DEP_2)
	v_fma_f64 v[12:13], v[12:13], v[16:17], -v[20:21]
	v_fma_f64 v[14:15], v[14:15], v[16:17], v[18:19]
	s_delay_alu instid0(VALU_DEP_2) | instskip(NEXT) | instid1(VALU_DEP_2)
	v_add_f64 v[3:4], v[3:4], v[12:13]
	v_add_f64 v[1:2], v[1:2], v[14:15]
	s_and_not1_b32 exec_lo, exec_lo, s17
	s_cbranch_execnz .LBB366_17
; %bb.18:
	s_set_inst_prefetch_distance 0x2
	s_or_b32 exec_lo, exec_lo, s17
.LBB366_19:
	s_delay_alu instid0(SALU_CYCLE_1) | instskip(SKIP_2) | instid1(VALU_DEP_1)
	s_or_b32 exec_lo, exec_lo, s16
	v_or_b32_e32 v7, s2, v0
	s_mov_b32 s0, exec_lo
	v_cmpx_gt_i32_e64 s3, v7
	s_cbranch_execz .LBB366_21
; %bb.20:
	v_mul_lo_u32 v7, v7, s1
	s_ashr_i32 s3, s2, 31
	s_delay_alu instid0(SALU_CYCLE_1) | instskip(NEXT) | instid1(SALU_CYCLE_1)
	s_lshl_b64 s[2:3], s[2:3], 4
	v_add_co_u32 v5, vcc_lo, v5, s2
	v_add_co_ci_u32_e32 v6, vcc_lo, s3, v6, vcc_lo
	s_delay_alu instid0(VALU_DEP_3) | instskip(NEXT) | instid1(VALU_DEP_1)
	v_ashrrev_i32_e32 v8, 31, v7
	v_lshlrev_b64 v[7:8], 4, v[7:8]
	s_delay_alu instid0(VALU_DEP_1) | instskip(NEXT) | instid1(VALU_DEP_2)
	v_add_co_u32 v9, vcc_lo, s12, v7
	v_add_co_ci_u32_e32 v10, vcc_lo, s13, v8, vcc_lo
	flat_load_b128 v[5:8], v[5:6]
	flat_load_b128 v[9:12], v[9:10]
	s_waitcnt vmcnt(0) lgkmcnt(0)
	v_mul_f64 v[13:14], v[7:8], v[11:12]
	v_mul_f64 v[11:12], v[5:6], v[11:12]
	s_delay_alu instid0(VALU_DEP_2) | instskip(NEXT) | instid1(VALU_DEP_2)
	v_fma_f64 v[5:6], v[5:6], v[9:10], -v[13:14]
	v_fma_f64 v[7:8], v[7:8], v[9:10], v[11:12]
	s_delay_alu instid0(VALU_DEP_2) | instskip(NEXT) | instid1(VALU_DEP_2)
	v_add_f64 v[3:4], v[3:4], v[5:6]
	v_add_f64 v[1:2], v[1:2], v[7:8]
.LBB366_21:
	s_or_b32 exec_lo, exec_lo, s0
	v_and_b32_e32 v15, 31, v0
	v_cmp_gt_u32_e32 vcc_lo, 32, v0
	s_delay_alu instid0(VALU_DEP_2)
	v_lshlrev_b32_e32 v11, 4, v15
	s_and_saveexec_b32 s0, vcc_lo
	s_cbranch_execz .LBB366_23
; %bb.22:
	v_mov_b32_e32 v5, 0
	s_delay_alu instid0(VALU_DEP_1)
	v_mov_b32_e32 v6, v5
	v_mov_b32_e32 v7, v5
	;; [unrolled: 1-line block ×3, first 2 shown]
	ds_store_b128 v11, v[5:8]
.LBB366_23:
	s_or_b32 exec_lo, exec_lo, s0
	v_mbcnt_lo_u32_b32 v14, -1, 0
	s_mov_b32 s1, exec_lo
	s_waitcnt lgkmcnt(0)
	s_barrier
	buffer_gl0_inv
	v_cmp_gt_u32_e64 s0, 16, v14
	s_delay_alu instid0(VALU_DEP_1) | instskip(SKIP_1) | instid1(VALU_DEP_2)
	v_cndmask_b32_e64 v5, 0, 1, s0
	v_cmp_gt_u32_e64 s0, 24, v14
	v_lshlrev_b32_e32 v5, 4, v5
	s_delay_alu instid0(VALU_DEP_1)
	v_add_lshl_u32 v9, v5, v14, 2
	ds_bpermute_b32 v5, v9, v3
	ds_bpermute_b32 v6, v9, v4
	;; [unrolled: 1-line block ×4, first 2 shown]
	s_waitcnt lgkmcnt(2)
	v_add_f64 v[3:4], v[3:4], v[5:6]
	v_cndmask_b32_e64 v5, 0, 1, s0
	s_waitcnt lgkmcnt(0)
	v_add_f64 v[1:2], v[1:2], v[7:8]
	v_cmp_gt_u32_e64 s0, 28, v14
	s_delay_alu instid0(VALU_DEP_3) | instskip(NEXT) | instid1(VALU_DEP_1)
	v_lshlrev_b32_e32 v5, 3, v5
	v_add_lshl_u32 v10, v5, v14, 2
	ds_bpermute_b32 v5, v10, v3
	ds_bpermute_b32 v6, v10, v4
	;; [unrolled: 1-line block ×4, first 2 shown]
	s_waitcnt lgkmcnt(2)
	v_add_f64 v[3:4], v[3:4], v[5:6]
	v_cndmask_b32_e64 v5, 0, 1, s0
	s_waitcnt lgkmcnt(0)
	v_add_f64 v[1:2], v[1:2], v[7:8]
	v_cmp_gt_u32_e64 s0, 30, v14
	s_delay_alu instid0(VALU_DEP_3) | instskip(NEXT) | instid1(VALU_DEP_1)
	v_lshlrev_b32_e32 v5, 2, v5
	v_add_lshl_u32 v12, v5, v14, 2
	ds_bpermute_b32 v5, v12, v3
	ds_bpermute_b32 v6, v12, v4
	;; [unrolled: 1-line block ×4, first 2 shown]
	s_waitcnt lgkmcnt(2)
	v_add_f64 v[3:4], v[3:4], v[5:6]
	s_waitcnt lgkmcnt(0)
	v_add_f64 v[5:6], v[1:2], v[7:8]
	v_cndmask_b32_e64 v1, 0, 1, s0
	v_cmp_ne_u32_e64 s0, 31, v14
	s_delay_alu instid0(VALU_DEP_2) | instskip(NEXT) | instid1(VALU_DEP_1)
	v_lshlrev_b32_e32 v1, 1, v1
	v_add_lshl_u32 v13, v1, v14, 2
	ds_bpermute_b32 v1, v13, v3
	ds_bpermute_b32 v2, v13, v4
	;; [unrolled: 1-line block ×4, first 2 shown]
	s_waitcnt lgkmcnt(2)
	v_add_f64 v[1:2], v[3:4], v[1:2]
	v_add_co_ci_u32_e64 v3, s0, 0, v14, s0
	s_waitcnt lgkmcnt(0)
	v_add_f64 v[5:6], v[5:6], v[7:8]
	s_delay_alu instid0(VALU_DEP_2)
	v_lshlrev_b32_e32 v14, 2, v3
	ds_bpermute_b32 v3, v14, v1
	ds_bpermute_b32 v4, v14, v2
	;; [unrolled: 1-line block ×4, first 2 shown]
	v_cmpx_eq_u32_e32 0, v15
	s_cbranch_execz .LBB366_25
; %bb.24:
	s_waitcnt lgkmcnt(0)
	v_add_f64 v[5:6], v[5:6], v[7:8]
	v_add_f64 v[3:4], v[1:2], v[3:4]
	v_lshrrev_b32_e32 v1, 1, v0
	s_delay_alu instid0(VALU_DEP_1)
	v_and_b32_e32 v1, 0x1f0, v1
	ds_store_b128 v1, v[3:6]
.LBB366_25:
	s_or_b32 exec_lo, exec_lo, s1
	s_waitcnt lgkmcnt(0)
	v_mov_b32_e32 v7, 0
	v_mov_b32_e32 v8, 0
	s_delay_alu instid0(VALU_DEP_2)
	v_mov_b32_e32 v5, v7
	s_barrier
	buffer_gl0_inv
	v_mov_b32_e32 v6, v8
	s_and_saveexec_b32 s0, vcc_lo
	s_cbranch_execz .LBB366_27
; %bb.26:
	ds_load_b128 v[5:8], v11
.LBB366_27:
	s_or_b32 exec_lo, exec_lo, s0
	s_and_saveexec_b32 s0, vcc_lo
	s_cbranch_execz .LBB366_29
; %bb.28:
	s_waitcnt lgkmcnt(0)
	ds_bpermute_b32 v1, v9, v5
	ds_bpermute_b32 v2, v9, v6
	ds_bpermute_b32 v3, v9, v7
	ds_bpermute_b32 v4, v9, v8
	s_waitcnt lgkmcnt(2)
	v_add_f64 v[1:2], v[5:6], v[1:2]
	s_waitcnt lgkmcnt(0)
	v_add_f64 v[3:4], v[7:8], v[3:4]
	ds_bpermute_b32 v5, v10, v1
	ds_bpermute_b32 v6, v10, v2
	ds_bpermute_b32 v7, v10, v3
	ds_bpermute_b32 v8, v10, v4
	s_waitcnt lgkmcnt(2)
	v_add_f64 v[1:2], v[1:2], v[5:6]
	s_waitcnt lgkmcnt(0)
	v_add_f64 v[3:4], v[3:4], v[7:8]
	;; [unrolled: 8-line block ×5, first 2 shown]
.LBB366_29:
	s_or_b32 exec_lo, exec_lo, s0
	s_delay_alu instid0(SALU_CYCLE_1)
	s_mov_b32 s0, exec_lo
                                        ; implicit-def: $vgpr3_vgpr4
                                        ; implicit-def: $sgpr18_sgpr19
	v_cmpx_eq_u32_e32 0, v0
	s_cbranch_execz .LBB366_33
; %bb.30:
	s_waitcnt lgkmcnt(0)
	s_delay_alu instid0(VALU_DEP_2) | instskip(SKIP_4) | instid1(SALU_CYCLE_1)
	v_mul_f64 v[0:1], s[10:11], v[7:8]
	v_mul_f64 v[3:4], s[8:9], v[7:8]
	v_cmp_neq_f64_e64 s1, s[4:5], 0
	v_cmp_neq_f64_e64 s2, s[6:7], 0
	s_mul_i32 s18, s14, s21
	s_ashr_i32 s19, s18, 31
	s_delay_alu instid0(VALU_DEP_4) | instskip(NEXT) | instid1(VALU_DEP_4)
	v_fma_f64 v[1:2], s[8:9], v[5:6], -v[0:1]
	v_fma_f64 v[3:4], s[10:11], v[5:6], v[3:4]
	s_delay_alu instid0(VALU_DEP_3) | instskip(NEXT) | instid1(SALU_CYCLE_1)
	s_or_b32 s1, s1, s2
	s_and_not1_b32 vcc_lo, exec_lo, s1
	s_cbranch_vccnz .LBB366_32
; %bb.31:
	s_lshl_b64 s[2:3], s[18:19], 4
	s_delay_alu instid0(SALU_CYCLE_1)
	s_add_u32 s2, s15, s2
	s_addc_u32 s3, s20, s3
	s_load_b128 s[8:11], s[2:3], 0x0
	s_waitcnt lgkmcnt(0)
	v_mul_f64 v[5:6], s[6:7], s[10:11]
	v_mul_f64 v[7:8], s[4:5], s[10:11]
	s_delay_alu instid0(VALU_DEP_2) | instskip(NEXT) | instid1(VALU_DEP_2)
	v_fma_f64 v[5:6], s[4:5], s[8:9], -v[5:6]
	v_fma_f64 v[7:8], s[6:7], s[8:9], v[7:8]
	s_delay_alu instid0(VALU_DEP_2) | instskip(NEXT) | instid1(VALU_DEP_2)
	v_add_f64 v[1:2], v[1:2], v[5:6]
	v_add_f64 v[3:4], v[3:4], v[7:8]
.LBB366_32:
	s_or_b32 s22, s22, exec_lo
.LBB366_33:
	s_or_b32 exec_lo, exec_lo, s0
.LBB366_34:
	s_and_saveexec_b32 s0, s22
	s_cbranch_execz .LBB366_36
; %bb.35:
	s_lshl_b64 s[0:1], s[18:19], 4
	v_mov_b32_e32 v0, 0
	s_add_u32 s0, s15, s0
	s_addc_u32 s1, s20, s1
	global_store_b128 v0, v[1:4], s[0:1]
.LBB366_36:
	s_nop 0
	s_sendmsg sendmsg(MSG_DEALLOC_VGPRS)
	s_endpgm
	.section	.rodata,"a",@progbits
	.p2align	6, 0x0
	.amdhsa_kernel _ZL32rocblas_gemvt_warp_reduce_kernelILb0ELi1024EiPK19rocblas_complex_numIdES1_KPS1_EviiT3_lPKT2_lT1_lS9_lSA_lS6_lPT4_lSA_li
		.amdhsa_group_segment_fixed_size 512
		.amdhsa_private_segment_fixed_size 0
		.amdhsa_kernarg_size 156
		.amdhsa_user_sgpr_count 14
		.amdhsa_user_sgpr_dispatch_ptr 0
		.amdhsa_user_sgpr_queue_ptr 0
		.amdhsa_user_sgpr_kernarg_segment_ptr 1
		.amdhsa_user_sgpr_dispatch_id 0
		.amdhsa_user_sgpr_private_segment_size 0
		.amdhsa_wavefront_size32 1
		.amdhsa_uses_dynamic_stack 0
		.amdhsa_enable_private_segment 0
		.amdhsa_system_sgpr_workgroup_id_x 1
		.amdhsa_system_sgpr_workgroup_id_y 0
		.amdhsa_system_sgpr_workgroup_id_z 1
		.amdhsa_system_sgpr_workgroup_info 0
		.amdhsa_system_vgpr_workitem_id 0
		.amdhsa_next_free_vgpr 22
		.amdhsa_next_free_sgpr 28
		.amdhsa_reserve_vcc 1
		.amdhsa_float_round_mode_32 0
		.amdhsa_float_round_mode_16_64 0
		.amdhsa_float_denorm_mode_32 3
		.amdhsa_float_denorm_mode_16_64 3
		.amdhsa_dx10_clamp 1
		.amdhsa_ieee_mode 1
		.amdhsa_fp16_overflow 0
		.amdhsa_workgroup_processor_mode 1
		.amdhsa_memory_ordered 1
		.amdhsa_forward_progress 0
		.amdhsa_shared_vgpr_count 0
		.amdhsa_exception_fp_ieee_invalid_op 0
		.amdhsa_exception_fp_denorm_src 0
		.amdhsa_exception_fp_ieee_div_zero 0
		.amdhsa_exception_fp_ieee_overflow 0
		.amdhsa_exception_fp_ieee_underflow 0
		.amdhsa_exception_fp_ieee_inexact 0
		.amdhsa_exception_int_div_zero 0
	.end_amdhsa_kernel
	.section	.text._ZL32rocblas_gemvt_warp_reduce_kernelILb0ELi1024EiPK19rocblas_complex_numIdES1_KPS1_EviiT3_lPKT2_lT1_lS9_lSA_lS6_lPT4_lSA_li,"axG",@progbits,_ZL32rocblas_gemvt_warp_reduce_kernelILb0ELi1024EiPK19rocblas_complex_numIdES1_KPS1_EviiT3_lPKT2_lT1_lS9_lSA_lS6_lPT4_lSA_li,comdat
.Lfunc_end366:
	.size	_ZL32rocblas_gemvt_warp_reduce_kernelILb0ELi1024EiPK19rocblas_complex_numIdES1_KPS1_EviiT3_lPKT2_lT1_lS9_lSA_lS6_lPT4_lSA_li, .Lfunc_end366-_ZL32rocblas_gemvt_warp_reduce_kernelILb0ELi1024EiPK19rocblas_complex_numIdES1_KPS1_EviiT3_lPKT2_lT1_lS9_lSA_lS6_lPT4_lSA_li
                                        ; -- End function
	.section	.AMDGPU.csdata,"",@progbits
; Kernel info:
; codeLenInByte = 2212
; NumSgprs: 30
; NumVgprs: 22
; ScratchSize: 0
; MemoryBound: 0
; FloatMode: 240
; IeeeMode: 1
; LDSByteSize: 512 bytes/workgroup (compile time only)
; SGPRBlocks: 3
; VGPRBlocks: 2
; NumSGPRsForWavesPerEU: 30
; NumVGPRsForWavesPerEU: 22
; Occupancy: 16
; WaveLimiterHint : 1
; COMPUTE_PGM_RSRC2:SCRATCH_EN: 0
; COMPUTE_PGM_RSRC2:USER_SGPR: 14
; COMPUTE_PGM_RSRC2:TRAP_HANDLER: 0
; COMPUTE_PGM_RSRC2:TGID_X_EN: 1
; COMPUTE_PGM_RSRC2:TGID_Y_EN: 0
; COMPUTE_PGM_RSRC2:TGID_Z_EN: 1
; COMPUTE_PGM_RSRC2:TIDIG_COMP_CNT: 0
	.section	.text._ZL32rocblas_gemvt_warp_reduce_kernelILb0ELi1024ElPK19rocblas_complex_numIdES1_KPS1_EviiT3_lPKT2_lT1_lS9_lSA_lS6_lPT4_lSA_li,"axG",@progbits,_ZL32rocblas_gemvt_warp_reduce_kernelILb0ELi1024ElPK19rocblas_complex_numIdES1_KPS1_EviiT3_lPKT2_lT1_lS9_lSA_lS6_lPT4_lSA_li,comdat
	.globl	_ZL32rocblas_gemvt_warp_reduce_kernelILb0ELi1024ElPK19rocblas_complex_numIdES1_KPS1_EviiT3_lPKT2_lT1_lS9_lSA_lS6_lPT4_lSA_li ; -- Begin function _ZL32rocblas_gemvt_warp_reduce_kernelILb0ELi1024ElPK19rocblas_complex_numIdES1_KPS1_EviiT3_lPKT2_lT1_lS9_lSA_lS6_lPT4_lSA_li
	.p2align	8
	.type	_ZL32rocblas_gemvt_warp_reduce_kernelILb0ELi1024ElPK19rocblas_complex_numIdES1_KPS1_EviiT3_lPKT2_lT1_lS9_lSA_lS6_lPT4_lSA_li,@function
_ZL32rocblas_gemvt_warp_reduce_kernelILb0ELi1024ElPK19rocblas_complex_numIdES1_KPS1_EviiT3_lPKT2_lT1_lS9_lSA_lS6_lPT4_lSA_li: ; @_ZL32rocblas_gemvt_warp_reduce_kernelILb0ELi1024ElPK19rocblas_complex_numIdES1_KPS1_EviiT3_lPKT2_lT1_lS9_lSA_lS6_lPT4_lSA_li
; %bb.0:
	s_clause 0x3
	s_load_b128 s[8:11], s[0:1], 0x8
	s_load_b128 s[16:19], s[0:1], 0x20
	s_load_b64 s[24:25], s[0:1], 0x30
	s_load_b128 s[4:7], s[0:1], 0x60
	s_mov_b32 s2, s15
	s_mov_b32 s15, -1
	s_waitcnt lgkmcnt(0)
	v_cmp_neq_f64_e64 s3, s[8:9], 0
	v_cmp_neq_f64_e64 s12, s[10:11], 0
	s_delay_alu instid0(VALU_DEP_1) | instskip(NEXT) | instid1(SALU_CYCLE_1)
	s_or_b32 s12, s3, s12
                                        ; implicit-def: $sgpr3
	s_and_b32 vcc_lo, exec_lo, s12
	s_cbranch_vccnz .LBB367_3
; %bb.1:
	v_cmp_eq_f64_e64 s3, s[4:5], 1.0
	v_cmp_eq_f64_e64 s13, s[6:7], 0
	s_mov_b32 s15, 0
	s_delay_alu instid0(VALU_DEP_1) | instskip(NEXT) | instid1(SALU_CYCLE_1)
	s_and_b32 s3, s3, s13
	s_and_not1_b32 vcc_lo, exec_lo, s3
	s_cbranch_vccz .LBB367_3
; %bb.2:
	s_mov_b32 s3, 0
	s_mov_b32 s13, -1
	s_mov_b64 s[26:27], 0
	s_and_b32 vcc_lo, exec_lo, s15
	s_cbranch_vccnz .LBB367_4
	s_branch .LBB367_5
.LBB367_3:
	s_mov_b32 s13, 0
                                        ; implicit-def: $sgpr26_sgpr27
	s_and_b32 vcc_lo, exec_lo, s15
	s_cbranch_vccz .LBB367_5
.LBB367_4:
	s_mov_b32 s3, 0
	s_mov_b32 s13, -1
	s_lshl_b64 s[20:21], s[2:3], 3
	s_delay_alu instid0(SALU_CYCLE_1)
	s_add_u32 s16, s16, s20
	s_addc_u32 s17, s17, s21
	s_lshl_b64 s[18:19], s[18:19], 4
	s_load_b64 s[16:17], s[16:17], 0x0
	s_waitcnt lgkmcnt(0)
	s_add_u32 s26, s16, s18
	s_addc_u32 s27, s17, s19
.LBB367_5:
	s_and_not1_b32 vcc_lo, exec_lo, s13
	s_cbranch_vccnz .LBB367_36
; %bb.6:
	s_clause 0x1
	s_load_b128 s[16:19], s[0:1], 0x40
	s_load_b64 s[20:21], s[0:1], 0x50
	v_cndmask_b32_e64 v1, 0, 1, s12
	s_xor_b32 s28, s12, -1
	s_mov_b64 s[22:23], 0
	s_delay_alu instid0(VALU_DEP_1)
	v_cmp_ne_u32_e32 vcc_lo, 1, v1
	s_cbranch_vccnz .LBB367_8
; %bb.7:
	s_lshl_b64 s[12:13], s[2:3], 3
	s_waitcnt lgkmcnt(0)
	s_add_u32 s12, s16, s12
	s_addc_u32 s13, s17, s13
	s_lshl_b64 s[16:17], s[18:19], 4
	s_load_b64 s[12:13], s[12:13], 0x0
	s_waitcnt lgkmcnt(0)
	s_add_u32 s22, s12, s16
	s_addc_u32 s23, s13, s17
.LBB367_8:
	s_waitcnt lgkmcnt(0)
	s_clause 0x1
	s_load_b128 s[16:19], s[0:1], 0x78
	s_load_b64 s[12:13], s[0:1], 0x88
	s_lshl_b64 s[2:3], s[2:3], 3
	s_waitcnt lgkmcnt(0)
	s_add_u32 s2, s16, s2
	s_addc_u32 s3, s17, s3
	s_lshl_b64 s[18:19], s[18:19], 4
	s_load_b64 s[16:17], s[2:3], 0x0
	v_cmp_eq_u32_e64 s2, 0, v0
	s_waitcnt lgkmcnt(0)
	s_add_u32 s15, s16, s18
	s_addc_u32 s18, s17, s19
	s_and_not1_b32 vcc_lo, exec_lo, s28
	s_cbranch_vccnz .LBB367_13
; %bb.9:
	s_mov_b32 s3, 0
	s_mov_b32 s19, 0
                                        ; implicit-def: $vgpr3_vgpr4
                                        ; implicit-def: $sgpr16_sgpr17
	s_and_saveexec_b32 s28, s2
	s_cbranch_execz .LBB367_14
; %bb.10:
	v_cmp_neq_f64_e64 s2, s[4:5], 0
	v_cmp_neq_f64_e64 s16, s[6:7], 0
	v_mov_b32_e32 v3, 0
	v_mov_b32_e32 v4, 0
	s_mul_i32 s17, s14, s13
	s_mul_hi_u32 s19, s14, s12
	s_delay_alu instid0(VALU_DEP_2)
	v_mov_b32_e32 v1, v3
	s_add_i32 s17, s19, s17
	v_mov_b32_e32 v2, v4
	s_or_b32 s2, s2, s16
	s_ashr_i32 s16, s14, 31
	s_and_not1_b32 vcc_lo, exec_lo, s2
	s_mul_i32 s16, s16, s12
	s_delay_alu instid0(SALU_CYCLE_1)
	s_add_i32 s17, s17, s16
	s_mul_i32 s16, s14, s12
	s_cbranch_vccnz .LBB367_12
; %bb.11:
	s_lshl_b64 s[30:31], s[16:17], 4
	s_delay_alu instid0(SALU_CYCLE_1)
	s_add_u32 s30, s15, s30
	s_addc_u32 s31, s18, s31
	s_load_b128 s[36:39], s[30:31], 0x0
	s_waitcnt lgkmcnt(0)
	v_mul_f64 v[1:2], s[6:7], s[38:39]
	v_mul_f64 v[3:4], s[4:5], s[38:39]
	s_delay_alu instid0(VALU_DEP_2) | instskip(NEXT) | instid1(VALU_DEP_2)
	v_fma_f64 v[1:2], s[4:5], s[36:37], -v[1:2]
	v_fma_f64 v[3:4], s[6:7], s[36:37], v[3:4]
.LBB367_12:
	s_mov_b32 s19, exec_lo
	s_or_b32 exec_lo, exec_lo, s28
	s_delay_alu instid0(SALU_CYCLE_1)
	s_and_b32 vcc_lo, exec_lo, s3
	s_cbranch_vccnz .LBB367_15
	s_branch .LBB367_34
.LBB367_13:
	s_mov_b32 s19, 0
                                        ; implicit-def: $vgpr3_vgpr4
                                        ; implicit-def: $sgpr16_sgpr17
	s_cbranch_execnz .LBB367_15
	s_branch .LBB367_34
.LBB367_14:
	s_or_b32 exec_lo, exec_lo, s28
	s_delay_alu instid0(SALU_CYCLE_1)
	s_and_b32 vcc_lo, exec_lo, s3
	s_cbranch_vccz .LBB367_34
.LBB367_15:
	s_load_b32 s3, s[0:1], 0x0
	s_mul_i32 s0, s14, s25
	s_mul_hi_u32 s2, s14, s24
	s_ashr_i32 s1, s14, 31
	s_add_i32 s0, s2, s0
	s_mul_i32 s2, s1, s24
	s_mul_i32 s16, s14, s24
	s_add_i32 s17, s0, s2
	s_mov_b32 s25, 0
	s_lshl_b64 s[16:17], s[16:17], 4
	s_mov_b32 s24, exec_lo
	s_add_u32 s0, s16, s26
	s_addc_u32 s16, s17, s27
	s_waitcnt lgkmcnt(0)
	v_cmp_gt_i32_e32 vcc_lo, s3, v0
	s_ashr_i32 s2, s3, 31
	s_delay_alu instid0(SALU_CYCLE_1) | instskip(NEXT) | instid1(SALU_CYCLE_1)
	s_lshr_b32 s2, s2, 22
	s_add_i32 s2, s3, s2
	v_cndmask_b32_e32 v1, 0, v0, vcc_lo
	s_and_b32 s2, s2, 0xfffffc00
	s_delay_alu instid0(VALU_DEP_1) | instskip(SKIP_2) | instid1(VALU_DEP_3)
	v_lshlrev_b32_e32 v3, 4, v1
	v_mov_b32_e32 v1, 0
	v_mov_b32_e32 v2, 0
	v_add_co_u32 v5, s0, s0, v3
	s_delay_alu instid0(VALU_DEP_1) | instskip(NEXT) | instid1(VALU_DEP_3)
	v_add_co_ci_u32_e64 v6, null, s16, 0, s0
	v_dual_mov_b32 v4, v2 :: v_dual_mov_b32 v3, v1
	v_cmpx_gt_i32_e64 s2, v0
	s_cbranch_execz .LBB367_19
; %bb.16:
	v_mad_u64_u32 v[1:2], null, s20, v0, 0
	v_mov_b32_e32 v8, v6
	s_lshl_b64 s[16:17], s[20:21], 14
	v_mov_b32_e32 v7, v5
	v_mov_b32_e32 v11, v0
	s_delay_alu instid0(VALU_DEP_4) | instskip(NEXT) | instid1(VALU_DEP_1)
	v_mad_u64_u32 v[3:4], null, s21, v0, v[2:3]
	v_mov_b32_e32 v2, v3
	s_delay_alu instid0(VALU_DEP_1) | instskip(SKIP_2) | instid1(VALU_DEP_3)
	v_lshlrev_b64 v[3:4], 4, v[1:2]
	v_mov_b32_e32 v1, 0
	v_mov_b32_e32 v2, 0
	v_add_co_u32 v9, vcc_lo, s22, v3
	s_delay_alu instid0(VALU_DEP_4) | instskip(NEXT) | instid1(VALU_DEP_3)
	v_add_co_ci_u32_e32 v10, vcc_lo, s23, v4, vcc_lo
	v_dual_mov_b32 v4, v2 :: v_dual_mov_b32 v3, v1
	.p2align	6
.LBB367_17:                             ; =>This Inner Loop Header: Depth=1
	flat_load_b128 v[12:15], v[7:8]
	flat_load_b128 v[16:19], v[9:10]
	v_add_nc_u32_e32 v11, 0x400, v11
	v_add_co_u32 v7, vcc_lo, 0x4000, v7
	v_add_co_ci_u32_e32 v8, vcc_lo, 0, v8, vcc_lo
	s_delay_alu instid0(VALU_DEP_3) | instskip(SKIP_1) | instid1(VALU_DEP_1)
	v_cmp_le_i32_e32 vcc_lo, s2, v11
	v_add_co_u32 v9, s0, v9, s16
	v_add_co_ci_u32_e64 v10, s0, s17, v10, s0
	s_or_b32 s25, vcc_lo, s25
	s_waitcnt vmcnt(0) lgkmcnt(0)
	v_mul_f64 v[20:21], v[14:15], v[18:19]
	v_mul_f64 v[18:19], v[12:13], v[18:19]
	s_delay_alu instid0(VALU_DEP_2) | instskip(NEXT) | instid1(VALU_DEP_2)
	v_fma_f64 v[12:13], v[12:13], v[16:17], -v[20:21]
	v_fma_f64 v[14:15], v[14:15], v[16:17], v[18:19]
	s_delay_alu instid0(VALU_DEP_2) | instskip(NEXT) | instid1(VALU_DEP_2)
	v_add_f64 v[3:4], v[3:4], v[12:13]
	v_add_f64 v[1:2], v[1:2], v[14:15]
	s_and_not1_b32 exec_lo, exec_lo, s25
	s_cbranch_execnz .LBB367_17
; %bb.18:
	s_or_b32 exec_lo, exec_lo, s25
.LBB367_19:
	s_delay_alu instid0(SALU_CYCLE_1) | instskip(SKIP_2) | instid1(VALU_DEP_1)
	s_or_b32 exec_lo, exec_lo, s24
	v_or_b32_e32 v7, s2, v0
	s_mov_b32 s0, exec_lo
	v_cmpx_gt_i32_e64 s3, v7
	s_cbranch_execz .LBB367_21
; %bb.20:
	v_ashrrev_i32_e32 v10, 31, v7
	v_mul_lo_u32 v11, v7, s21
	v_mad_u64_u32 v[8:9], null, v7, s20, 0
	s_ashr_i32 s3, s2, 31
	s_delay_alu instid0(VALU_DEP_3) | instskip(SKIP_1) | instid1(SALU_CYCLE_1)
	v_mul_lo_u32 v7, v10, s20
	s_lshl_b64 s[2:3], s[2:3], 4
	v_add_co_u32 v5, vcc_lo, v5, s2
	v_add_co_ci_u32_e32 v6, vcc_lo, s3, v6, vcc_lo
	s_delay_alu instid0(VALU_DEP_3) | instskip(NEXT) | instid1(VALU_DEP_1)
	v_add3_u32 v9, v9, v11, v7
	v_lshlrev_b64 v[7:8], 4, v[8:9]
	s_delay_alu instid0(VALU_DEP_1) | instskip(NEXT) | instid1(VALU_DEP_2)
	v_add_co_u32 v9, vcc_lo, s22, v7
	v_add_co_ci_u32_e32 v10, vcc_lo, s23, v8, vcc_lo
	flat_load_b128 v[5:8], v[5:6]
	flat_load_b128 v[9:12], v[9:10]
	s_waitcnt vmcnt(0) lgkmcnt(0)
	v_mul_f64 v[13:14], v[7:8], v[11:12]
	v_mul_f64 v[11:12], v[5:6], v[11:12]
	s_delay_alu instid0(VALU_DEP_2) | instskip(NEXT) | instid1(VALU_DEP_2)
	v_fma_f64 v[5:6], v[5:6], v[9:10], -v[13:14]
	v_fma_f64 v[7:8], v[7:8], v[9:10], v[11:12]
	s_delay_alu instid0(VALU_DEP_2) | instskip(NEXT) | instid1(VALU_DEP_2)
	v_add_f64 v[3:4], v[3:4], v[5:6]
	v_add_f64 v[1:2], v[1:2], v[7:8]
.LBB367_21:
	s_or_b32 exec_lo, exec_lo, s0
	v_and_b32_e32 v15, 31, v0
	v_cmp_gt_u32_e32 vcc_lo, 32, v0
	s_delay_alu instid0(VALU_DEP_2)
	v_lshlrev_b32_e32 v11, 4, v15
	s_and_saveexec_b32 s0, vcc_lo
	s_cbranch_execz .LBB367_23
; %bb.22:
	v_mov_b32_e32 v5, 0
	s_delay_alu instid0(VALU_DEP_1)
	v_mov_b32_e32 v6, v5
	v_mov_b32_e32 v7, v5
	;; [unrolled: 1-line block ×3, first 2 shown]
	ds_store_b128 v11, v[5:8]
.LBB367_23:
	s_or_b32 exec_lo, exec_lo, s0
	v_mbcnt_lo_u32_b32 v14, -1, 0
	s_mov_b32 s2, exec_lo
	s_waitcnt lgkmcnt(0)
	s_barrier
	buffer_gl0_inv
	v_cmp_gt_u32_e64 s0, 16, v14
	s_delay_alu instid0(VALU_DEP_1) | instskip(SKIP_1) | instid1(VALU_DEP_2)
	v_cndmask_b32_e64 v5, 0, 1, s0
	v_cmp_gt_u32_e64 s0, 24, v14
	v_lshlrev_b32_e32 v5, 4, v5
	s_delay_alu instid0(VALU_DEP_1)
	v_add_lshl_u32 v9, v5, v14, 2
	ds_bpermute_b32 v5, v9, v3
	ds_bpermute_b32 v6, v9, v4
	;; [unrolled: 1-line block ×4, first 2 shown]
	s_waitcnt lgkmcnt(2)
	v_add_f64 v[3:4], v[3:4], v[5:6]
	v_cndmask_b32_e64 v5, 0, 1, s0
	s_waitcnt lgkmcnt(0)
	v_add_f64 v[1:2], v[1:2], v[7:8]
	v_cmp_gt_u32_e64 s0, 28, v14
	s_delay_alu instid0(VALU_DEP_3) | instskip(NEXT) | instid1(VALU_DEP_1)
	v_lshlrev_b32_e32 v5, 3, v5
	v_add_lshl_u32 v10, v5, v14, 2
	ds_bpermute_b32 v5, v10, v3
	ds_bpermute_b32 v6, v10, v4
	;; [unrolled: 1-line block ×4, first 2 shown]
	s_waitcnt lgkmcnt(2)
	v_add_f64 v[3:4], v[3:4], v[5:6]
	v_cndmask_b32_e64 v5, 0, 1, s0
	s_waitcnt lgkmcnt(0)
	v_add_f64 v[1:2], v[1:2], v[7:8]
	v_cmp_gt_u32_e64 s0, 30, v14
	s_delay_alu instid0(VALU_DEP_3) | instskip(NEXT) | instid1(VALU_DEP_1)
	v_lshlrev_b32_e32 v5, 2, v5
	v_add_lshl_u32 v12, v5, v14, 2
	ds_bpermute_b32 v5, v12, v3
	ds_bpermute_b32 v6, v12, v4
	;; [unrolled: 1-line block ×4, first 2 shown]
	s_waitcnt lgkmcnt(2)
	v_add_f64 v[3:4], v[3:4], v[5:6]
	s_waitcnt lgkmcnt(0)
	v_add_f64 v[5:6], v[1:2], v[7:8]
	v_cndmask_b32_e64 v1, 0, 1, s0
	v_cmp_ne_u32_e64 s0, 31, v14
	s_delay_alu instid0(VALU_DEP_2) | instskip(NEXT) | instid1(VALU_DEP_1)
	v_lshlrev_b32_e32 v1, 1, v1
	v_add_lshl_u32 v13, v1, v14, 2
	ds_bpermute_b32 v1, v13, v3
	ds_bpermute_b32 v2, v13, v4
	;; [unrolled: 1-line block ×4, first 2 shown]
	s_waitcnt lgkmcnt(2)
	v_add_f64 v[1:2], v[3:4], v[1:2]
	v_add_co_ci_u32_e64 v3, s0, 0, v14, s0
	s_waitcnt lgkmcnt(0)
	v_add_f64 v[5:6], v[5:6], v[7:8]
	s_delay_alu instid0(VALU_DEP_2)
	v_lshlrev_b32_e32 v14, 2, v3
	ds_bpermute_b32 v3, v14, v1
	ds_bpermute_b32 v4, v14, v2
	ds_bpermute_b32 v7, v14, v5
	ds_bpermute_b32 v8, v14, v6
	v_cmpx_eq_u32_e32 0, v15
	s_cbranch_execz .LBB367_25
; %bb.24:
	s_waitcnt lgkmcnt(0)
	v_add_f64 v[5:6], v[5:6], v[7:8]
	v_add_f64 v[3:4], v[1:2], v[3:4]
	v_lshrrev_b32_e32 v1, 1, v0
	s_delay_alu instid0(VALU_DEP_1)
	v_and_b32_e32 v1, 0x1f0, v1
	ds_store_b128 v1, v[3:6]
.LBB367_25:
	s_or_b32 exec_lo, exec_lo, s2
	s_waitcnt lgkmcnt(0)
	v_mov_b32_e32 v7, 0
	v_mov_b32_e32 v8, 0
	s_delay_alu instid0(VALU_DEP_2)
	v_mov_b32_e32 v5, v7
	s_barrier
	buffer_gl0_inv
	v_mov_b32_e32 v6, v8
	s_and_saveexec_b32 s0, vcc_lo
	s_cbranch_execz .LBB367_27
; %bb.26:
	ds_load_b128 v[5:8], v11
.LBB367_27:
	s_or_b32 exec_lo, exec_lo, s0
	s_and_saveexec_b32 s0, vcc_lo
	s_cbranch_execz .LBB367_29
; %bb.28:
	s_waitcnt lgkmcnt(0)
	ds_bpermute_b32 v1, v9, v5
	ds_bpermute_b32 v2, v9, v6
	ds_bpermute_b32 v3, v9, v7
	ds_bpermute_b32 v4, v9, v8
	s_waitcnt lgkmcnt(2)
	v_add_f64 v[1:2], v[5:6], v[1:2]
	s_waitcnt lgkmcnt(0)
	v_add_f64 v[3:4], v[7:8], v[3:4]
	ds_bpermute_b32 v5, v10, v1
	ds_bpermute_b32 v6, v10, v2
	ds_bpermute_b32 v7, v10, v3
	ds_bpermute_b32 v8, v10, v4
	s_waitcnt lgkmcnt(2)
	v_add_f64 v[1:2], v[1:2], v[5:6]
	s_waitcnt lgkmcnt(0)
	v_add_f64 v[3:4], v[3:4], v[7:8]
	ds_bpermute_b32 v5, v12, v1
	ds_bpermute_b32 v6, v12, v2
	ds_bpermute_b32 v7, v12, v3
	ds_bpermute_b32 v8, v12, v4
	s_waitcnt lgkmcnt(2)
	v_add_f64 v[1:2], v[1:2], v[5:6]
	s_waitcnt lgkmcnt(0)
	v_add_f64 v[3:4], v[3:4], v[7:8]
	ds_bpermute_b32 v5, v13, v1
	ds_bpermute_b32 v6, v13, v2
	ds_bpermute_b32 v7, v13, v3
	ds_bpermute_b32 v8, v13, v4
	s_waitcnt lgkmcnt(2)
	v_add_f64 v[1:2], v[1:2], v[5:6]
	s_waitcnt lgkmcnt(0)
	v_add_f64 v[3:4], v[3:4], v[7:8]
	ds_bpermute_b32 v5, v14, v1
	ds_bpermute_b32 v6, v14, v2
	ds_bpermute_b32 v7, v14, v3
	ds_bpermute_b32 v8, v14, v4
	s_waitcnt lgkmcnt(2)
	v_add_f64 v[5:6], v[1:2], v[5:6]
	s_waitcnt lgkmcnt(0)
	v_add_f64 v[7:8], v[3:4], v[7:8]
.LBB367_29:
	s_or_b32 exec_lo, exec_lo, s0
	s_delay_alu instid0(SALU_CYCLE_1)
	s_mov_b32 s0, exec_lo
                                        ; implicit-def: $vgpr3_vgpr4
                                        ; implicit-def: $sgpr16_sgpr17
	v_cmpx_eq_u32_e32 0, v0
	s_cbranch_execz .LBB367_33
; %bb.30:
	s_waitcnt lgkmcnt(0)
	s_delay_alu instid0(VALU_DEP_2)
	v_mul_f64 v[0:1], s[10:11], v[7:8]
	v_mul_f64 v[3:4], s[8:9], v[7:8]
	v_cmp_neq_f64_e64 s2, s[4:5], 0
	v_cmp_neq_f64_e64 s3, s[6:7], 0
	s_mul_i32 s1, s1, s12
	s_mul_i32 s16, s14, s12
	s_delay_alu instid0(VALU_DEP_4) | instskip(NEXT) | instid1(VALU_DEP_4)
	v_fma_f64 v[1:2], s[8:9], v[5:6], -v[0:1]
	v_fma_f64 v[3:4], s[10:11], v[5:6], v[3:4]
	s_mul_hi_u32 s8, s14, s12
	s_delay_alu instid0(VALU_DEP_3) | instskip(SKIP_3) | instid1(SALU_CYCLE_1)
	s_or_b32 s2, s2, s3
	s_mul_i32 s3, s14, s13
	s_and_not1_b32 vcc_lo, exec_lo, s2
	s_add_i32 s3, s8, s3
	s_add_i32 s17, s3, s1
	s_cbranch_vccnz .LBB367_32
; %bb.31:
	s_lshl_b64 s[2:3], s[16:17], 4
	s_delay_alu instid0(SALU_CYCLE_1)
	s_add_u32 s2, s15, s2
	s_addc_u32 s3, s18, s3
	s_load_b128 s[8:11], s[2:3], 0x0
	s_waitcnt lgkmcnt(0)
	v_mul_f64 v[5:6], s[6:7], s[10:11]
	v_mul_f64 v[7:8], s[4:5], s[10:11]
	s_delay_alu instid0(VALU_DEP_2) | instskip(NEXT) | instid1(VALU_DEP_2)
	v_fma_f64 v[5:6], s[4:5], s[8:9], -v[5:6]
	v_fma_f64 v[7:8], s[6:7], s[8:9], v[7:8]
	s_delay_alu instid0(VALU_DEP_2) | instskip(NEXT) | instid1(VALU_DEP_2)
	v_add_f64 v[1:2], v[1:2], v[5:6]
	v_add_f64 v[3:4], v[3:4], v[7:8]
.LBB367_32:
	s_or_b32 s19, s19, exec_lo
.LBB367_33:
	s_or_b32 exec_lo, exec_lo, s0
.LBB367_34:
	s_and_saveexec_b32 s0, s19
	s_cbranch_execz .LBB367_36
; %bb.35:
	s_lshl_b64 s[0:1], s[16:17], 4
	v_mov_b32_e32 v0, 0
	s_add_u32 s0, s15, s0
	s_addc_u32 s1, s18, s1
	global_store_b128 v0, v[1:4], s[0:1]
.LBB367_36:
	s_nop 0
	s_sendmsg sendmsg(MSG_DEALLOC_VGPRS)
	s_endpgm
	.section	.rodata,"a",@progbits
	.p2align	6, 0x0
	.amdhsa_kernel _ZL32rocblas_gemvt_warp_reduce_kernelILb0ELi1024ElPK19rocblas_complex_numIdES1_KPS1_EviiT3_lPKT2_lT1_lS9_lSA_lS6_lPT4_lSA_li
		.amdhsa_group_segment_fixed_size 512
		.amdhsa_private_segment_fixed_size 0
		.amdhsa_kernarg_size 156
		.amdhsa_user_sgpr_count 14
		.amdhsa_user_sgpr_dispatch_ptr 0
		.amdhsa_user_sgpr_queue_ptr 0
		.amdhsa_user_sgpr_kernarg_segment_ptr 1
		.amdhsa_user_sgpr_dispatch_id 0
		.amdhsa_user_sgpr_private_segment_size 0
		.amdhsa_wavefront_size32 1
		.amdhsa_uses_dynamic_stack 0
		.amdhsa_enable_private_segment 0
		.amdhsa_system_sgpr_workgroup_id_x 1
		.amdhsa_system_sgpr_workgroup_id_y 0
		.amdhsa_system_sgpr_workgroup_id_z 1
		.amdhsa_system_sgpr_workgroup_info 0
		.amdhsa_system_vgpr_workitem_id 0
		.amdhsa_next_free_vgpr 22
		.amdhsa_next_free_sgpr 40
		.amdhsa_reserve_vcc 1
		.amdhsa_float_round_mode_32 0
		.amdhsa_float_round_mode_16_64 0
		.amdhsa_float_denorm_mode_32 3
		.amdhsa_float_denorm_mode_16_64 3
		.amdhsa_dx10_clamp 1
		.amdhsa_ieee_mode 1
		.amdhsa_fp16_overflow 0
		.amdhsa_workgroup_processor_mode 1
		.amdhsa_memory_ordered 1
		.amdhsa_forward_progress 0
		.amdhsa_shared_vgpr_count 0
		.amdhsa_exception_fp_ieee_invalid_op 0
		.amdhsa_exception_fp_denorm_src 0
		.amdhsa_exception_fp_ieee_div_zero 0
		.amdhsa_exception_fp_ieee_overflow 0
		.amdhsa_exception_fp_ieee_underflow 0
		.amdhsa_exception_fp_ieee_inexact 0
		.amdhsa_exception_int_div_zero 0
	.end_amdhsa_kernel
	.section	.text._ZL32rocblas_gemvt_warp_reduce_kernelILb0ELi1024ElPK19rocblas_complex_numIdES1_KPS1_EviiT3_lPKT2_lT1_lS9_lSA_lS6_lPT4_lSA_li,"axG",@progbits,_ZL32rocblas_gemvt_warp_reduce_kernelILb0ELi1024ElPK19rocblas_complex_numIdES1_KPS1_EviiT3_lPKT2_lT1_lS9_lSA_lS6_lPT4_lSA_li,comdat
.Lfunc_end367:
	.size	_ZL32rocblas_gemvt_warp_reduce_kernelILb0ELi1024ElPK19rocblas_complex_numIdES1_KPS1_EviiT3_lPKT2_lT1_lS9_lSA_lS6_lPT4_lSA_li, .Lfunc_end367-_ZL32rocblas_gemvt_warp_reduce_kernelILb0ELi1024ElPK19rocblas_complex_numIdES1_KPS1_EviiT3_lPKT2_lT1_lS9_lSA_lS6_lPT4_lSA_li
                                        ; -- End function
	.section	.AMDGPU.csdata,"",@progbits
; Kernel info:
; codeLenInByte = 2312
; NumSgprs: 42
; NumVgprs: 22
; ScratchSize: 0
; MemoryBound: 0
; FloatMode: 240
; IeeeMode: 1
; LDSByteSize: 512 bytes/workgroup (compile time only)
; SGPRBlocks: 5
; VGPRBlocks: 2
; NumSGPRsForWavesPerEU: 42
; NumVGPRsForWavesPerEU: 22
; Occupancy: 16
; WaveLimiterHint : 1
; COMPUTE_PGM_RSRC2:SCRATCH_EN: 0
; COMPUTE_PGM_RSRC2:USER_SGPR: 14
; COMPUTE_PGM_RSRC2:TRAP_HANDLER: 0
; COMPUTE_PGM_RSRC2:TGID_X_EN: 1
; COMPUTE_PGM_RSRC2:TGID_Y_EN: 0
; COMPUTE_PGM_RSRC2:TGID_Z_EN: 1
; COMPUTE_PGM_RSRC2:TIDIG_COMP_CNT: 0
	.section	.text._ZL22rocblas_gemvtsm_kernelILb1ELi256EPK19rocblas_complex_numIdES3_KPS1_EviiT2_lPKT1_lilS9_lilS6_lPT3_lil,"axG",@progbits,_ZL22rocblas_gemvtsm_kernelILb1ELi256EPK19rocblas_complex_numIdES3_KPS1_EviiT2_lPKT1_lilS9_lilS6_lPT3_lil,comdat
	.globl	_ZL22rocblas_gemvtsm_kernelILb1ELi256EPK19rocblas_complex_numIdES3_KPS1_EviiT2_lPKT1_lilS9_lilS6_lPT3_lil ; -- Begin function _ZL22rocblas_gemvtsm_kernelILb1ELi256EPK19rocblas_complex_numIdES3_KPS1_EviiT2_lPKT1_lilS9_lilS6_lPT3_lil
	.p2align	8
	.type	_ZL22rocblas_gemvtsm_kernelILb1ELi256EPK19rocblas_complex_numIdES3_KPS1_EviiT2_lPKT1_lilS9_lilS6_lPT3_lil,@function
_ZL22rocblas_gemvtsm_kernelILb1ELi256EPK19rocblas_complex_numIdES3_KPS1_EviiT2_lPKT1_lilS9_lilS6_lPT3_lil: ; @_ZL22rocblas_gemvtsm_kernelILb1ELi256EPK19rocblas_complex_numIdES3_KPS1_EviiT2_lPKT1_lilS9_lilS6_lPT3_lil
; %bb.0:
	s_mov_b32 s2, s15
	s_load_b256 s[8:15], s[0:1], 0x8
	s_mov_b64 s[20:21], 0
	s_mov_b32 s24, -1
	s_waitcnt lgkmcnt(0)
	s_mul_i32 s3, s2, s11
	s_mul_hi_u32 s5, s2, s10
	s_mul_i32 s4, s2, s10
	s_add_i32 s5, s5, s3
	s_delay_alu instid0(SALU_CYCLE_1) | instskip(NEXT) | instid1(SALU_CYCLE_1)
	s_lshl_b64 s[4:5], s[4:5], 4
	s_add_u32 s4, s8, s4
	s_addc_u32 s5, s9, s5
	s_load_b128 s[16:19], s[4:5], 0x0
	s_load_b256 s[4:11], s[0:1], 0x58
	s_waitcnt lgkmcnt(0)
	v_cmp_neq_f64_e64 s22, s[16:17], 0
	v_cmp_neq_f64_e64 s23, s[18:19], 0
	s_mul_i32 s3, s2, s7
	s_mul_hi_u32 s7, s2, s6
	s_mul_i32 s6, s2, s6
	s_add_i32 s7, s7, s3
	s_mov_b32 s3, 0
	s_lshl_b64 s[6:7], s[6:7], 4
	s_delay_alu instid0(SALU_CYCLE_1) | instskip(SKIP_2) | instid1(VALU_DEP_1)
	s_add_u32 s4, s4, s6
	s_addc_u32 s5, s5, s7
	s_load_b128 s[4:7], s[4:5], 0x0
	s_or_b32 s22, s22, s23
	s_mov_b32 s23, s3
	s_and_b32 vcc_lo, exec_lo, s22
	s_cbranch_vccz .LBB368_3
; %bb.1:
	s_and_not1_b32 vcc_lo, exec_lo, s24
	s_cbranch_vccz .LBB368_4
.LBB368_2:
	s_and_not1_b32 vcc_lo, exec_lo, s23
	s_cbranch_vccz .LBB368_5
	s_branch .LBB368_40
.LBB368_3:
	s_waitcnt lgkmcnt(0)
	v_cmp_neq_f64_e64 s23, s[4:5], 1.0
	v_cmp_neq_f64_e64 s24, s[6:7], 0
	s_delay_alu instid0(VALU_DEP_1)
	s_or_b32 s23, s23, s24
	s_cbranch_execnz .LBB368_2
.LBB368_4:
	s_lshl_b64 s[20:21], s[2:3], 3
	s_delay_alu instid0(SALU_CYCLE_1)
	s_add_u32 s12, s12, s20
	s_addc_u32 s13, s13, s21
	s_lshl_b64 s[14:15], s[14:15], 4
	s_load_b64 s[12:13], s[12:13], 0x0
	s_waitcnt lgkmcnt(0)
	s_add_u32 s20, s12, s14
	s_addc_u32 s21, s13, s15
.LBB368_5:
	v_cndmask_b32_e64 v1, 0, 1, s22
	s_xor_b32 s22, s22, -1
	s_mov_b64 s[14:15], 0
	s_delay_alu instid0(VALU_DEP_1)
	v_cmp_ne_u32_e32 vcc_lo, 1, v1
	s_cbranch_vccnz .LBB368_7
; %bb.6:
	s_load_b128 s[12:15], s[0:1], 0x38
	s_lshl_b64 s[24:25], s[2:3], 3
	s_waitcnt lgkmcnt(0)
	s_add_u32 s12, s12, s24
	s_addc_u32 s13, s13, s25
	s_lshl_b64 s[14:15], s[14:15], 4
	s_load_b64 s[12:13], s[12:13], 0x0
	s_waitcnt lgkmcnt(0)
	s_add_u32 s14, s12, s14
	s_addc_u32 s15, s13, s15
.LBB368_7:
	s_lshl_b64 s[2:3], s[2:3], 3
	s_delay_alu instid0(SALU_CYCLE_1)
	s_add_u32 s12, s8, s2
	s_addc_u32 s13, s9, s3
	s_clause 0x1
	s_load_b64 s[2:3], s[0:1], 0x0
	s_load_b32 s8, s[0:1], 0x78
	s_load_b64 s[12:13], s[12:13], 0x0
	s_and_not1_b32 vcc_lo, exec_lo, s22
	s_mov_b32 s9, -1
	s_cbranch_vccnz .LBB368_22
; %bb.8:
	s_waitcnt lgkmcnt(0)
	v_cmp_neq_f64_e64 s9, s[4:5], 0
	v_cmp_neq_f64_e64 s22, s[6:7], 0
	s_delay_alu instid0(VALU_DEP_1)
	s_or_b32 s9, s9, s22
	s_cmp_gt_i32 s3, 0
	s_cselect_b32 s24, -1, 0
	s_and_b32 vcc_lo, exec_lo, s9
	s_mov_b32 s9, -1
	s_cbranch_vccnz .LBB368_15
; %bb.9:
	s_and_not1_b32 vcc_lo, exec_lo, s24
	s_cbranch_vccnz .LBB368_14
; %bb.10:
	v_mad_i64_i32 v[1:2], null, s8, v0, 0
	s_lshl_b64 s[22:23], s[10:11], 4
	s_ashr_i32 s9, s8, 31
	s_add_u32 s22, s12, s22
	s_addc_u32 s23, s13, s23
	s_delay_alu instid0(VALU_DEP_1) | instskip(NEXT) | instid1(VALU_DEP_1)
	v_lshlrev_b64 v[1:2], 4, v[1:2]
	v_add_co_u32 v1, vcc_lo, s22, v1
	s_delay_alu instid0(VALU_DEP_2) | instskip(SKIP_1) | instid1(VALU_DEP_2)
	v_add_co_ci_u32_e32 v2, vcc_lo, s23, v2, vcc_lo
	s_lshl_b64 s[22:23], s[8:9], 12
	v_add_co_u32 v5, vcc_lo, v1, 8
	s_delay_alu instid0(VALU_DEP_2)
	v_add_co_ci_u32_e32 v6, vcc_lo, 0, v2, vcc_lo
	v_mov_b32_e32 v1, 0
	s_mov_b32 s9, 0
	s_branch .LBB368_12
	.p2align	6
.LBB368_11:                             ;   in Loop: Header=BB368_12 Depth=1
	s_or_b32 exec_lo, exec_lo, s25
	v_add_co_u32 v5, vcc_lo, v5, s22
	v_add_co_ci_u32_e32 v6, vcc_lo, s23, v6, vcc_lo
	s_addk_i32 s9, 0x100
	s_delay_alu instid0(SALU_CYCLE_1)
	s_cmp_ge_i32 s9, s3
	s_cbranch_scc1 .LBB368_14
.LBB368_12:                             ; =>This Inner Loop Header: Depth=1
	v_add_nc_u32_e32 v2, s9, v0
	s_mov_b32 s25, exec_lo
	s_delay_alu instid0(VALU_DEP_1)
	v_cmpx_gt_i32_e64 s3, v2
	s_cbranch_execz .LBB368_11
; %bb.13:                               ;   in Loop: Header=BB368_12 Depth=1
	v_mov_b32_e32 v2, v1
	v_mov_b32_e32 v3, v1
	;; [unrolled: 1-line block ×3, first 2 shown]
	global_store_b128 v[5:6], v[1:4], off offset:-8
	s_branch .LBB368_11
.LBB368_14:
	s_mov_b32 s9, 0
.LBB368_15:
	s_delay_alu instid0(SALU_CYCLE_1)
	s_and_not1_b32 vcc_lo, exec_lo, s9
	s_cbranch_vccnz .LBB368_21
; %bb.16:
	s_and_not1_b32 vcc_lo, exec_lo, s24
	s_cbranch_vccnz .LBB368_21
; %bb.17:
	v_mad_i64_i32 v[1:2], null, s8, v0, 0
	s_lshl_b64 s[22:23], s[10:11], 4
	s_ashr_i32 s9, s8, 31
	s_add_u32 s22, s12, s22
	s_addc_u32 s23, s13, s23
	s_delay_alu instid0(VALU_DEP_1) | instskip(NEXT) | instid1(VALU_DEP_1)
	v_lshlrev_b64 v[1:2], 4, v[1:2]
	v_add_co_u32 v1, vcc_lo, s22, v1
	s_delay_alu instid0(VALU_DEP_2) | instskip(SKIP_1) | instid1(VALU_DEP_2)
	v_add_co_ci_u32_e32 v2, vcc_lo, s23, v2, vcc_lo
	s_lshl_b64 s[22:23], s[8:9], 12
	v_add_co_u32 v1, vcc_lo, v1, 8
	s_delay_alu instid0(VALU_DEP_2)
	v_add_co_ci_u32_e32 v2, vcc_lo, 0, v2, vcc_lo
	s_mov_b32 s9, 0
	s_set_inst_prefetch_distance 0x1
	s_branch .LBB368_19
	.p2align	6
.LBB368_18:                             ;   in Loop: Header=BB368_19 Depth=1
	s_or_b32 exec_lo, exec_lo, s24
	v_add_co_u32 v1, vcc_lo, v1, s22
	v_add_co_ci_u32_e32 v2, vcc_lo, s23, v2, vcc_lo
	s_addk_i32 s9, 0x100
	s_delay_alu instid0(SALU_CYCLE_1)
	s_cmp_ge_i32 s9, s3
	s_cbranch_scc1 .LBB368_21
.LBB368_19:                             ; =>This Inner Loop Header: Depth=1
	v_add_nc_u32_e32 v3, s9, v0
	s_mov_b32 s24, exec_lo
	s_delay_alu instid0(VALU_DEP_1)
	v_cmpx_gt_i32_e64 s3, v3
	s_cbranch_execz .LBB368_18
; %bb.20:                               ;   in Loop: Header=BB368_19 Depth=1
	global_load_b128 v[3:6], v[1:2], off offset:-8
	s_waitcnt vmcnt(0)
	v_mul_f64 v[7:8], s[6:7], v[5:6]
	v_mul_f64 v[9:10], s[4:5], v[5:6]
	s_delay_alu instid0(VALU_DEP_2) | instskip(NEXT) | instid1(VALU_DEP_2)
	v_fma_f64 v[5:6], s[4:5], v[3:4], -v[7:8]
	v_fma_f64 v[7:8], s[6:7], v[3:4], v[9:10]
	global_store_b128 v[1:2], v[5:8], off offset:-8
	s_branch .LBB368_18
.LBB368_21:
	s_set_inst_prefetch_distance 0x2
	s_mov_b32 s9, 0
.LBB368_22:
	s_delay_alu instid0(SALU_CYCLE_1)
	s_and_not1_b32 vcc_lo, exec_lo, s9
	s_cbranch_vccnz .LBB368_40
; %bb.23:
	s_mov_b32 s9, exec_lo
	s_waitcnt lgkmcnt(0)
	v_cmpx_gt_i32_e64 s2, v0
	s_cbranch_execz .LBB368_25
; %bb.24:
	s_load_b32 s22, s[0:1], 0x48
	s_waitcnt lgkmcnt(0)
	v_mad_i64_i32 v[1:2], null, s22, v0, 0
	s_delay_alu instid0(VALU_DEP_1) | instskip(NEXT) | instid1(VALU_DEP_1)
	v_lshlrev_b64 v[1:2], 4, v[1:2]
	v_add_co_u32 v1, vcc_lo, s14, v1
	s_delay_alu instid0(VALU_DEP_2) | instskip(SKIP_4) | instid1(VALU_DEP_2)
	v_add_co_ci_u32_e32 v2, vcc_lo, s15, v2, vcc_lo
	flat_load_b128 v[1:4], v[1:2]
	s_waitcnt vmcnt(0) lgkmcnt(0)
	v_mul_f64 v[5:6], s[18:19], v[3:4]
	v_mul_f64 v[7:8], s[16:17], v[3:4]
	v_fma_f64 v[3:4], s[16:17], v[1:2], -v[5:6]
	s_delay_alu instid0(VALU_DEP_2)
	v_fma_f64 v[5:6], s[18:19], v[1:2], v[7:8]
	v_lshlrev_b32_e32 v1, 4, v0
	ds_store_b128 v1, v[3:6]
.LBB368_25:
	s_or_b32 exec_lo, exec_lo, s9
	s_cmp_lt_i32 s3, 1
	s_waitcnt lgkmcnt(0)
	s_waitcnt_vscnt null, 0x0
	s_barrier
	buffer_gl0_inv
	s_cbranch_scc1 .LBB368_40
; %bb.26:
	v_cmp_neq_f64_e64 s16, s[4:5], 0
	v_cmp_neq_f64_e64 s17, s[6:7], 0
	s_load_b32 s22, s[0:1], 0x28
	s_lshl_b64 s[10:11], s[10:11], 4
	s_mov_b32 s1, 0
	s_add_u32 s9, s12, s10
	s_addc_u32 s14, s13, s11
	s_ashr_i32 s15, s8, 31
	s_waitcnt lgkmcnt(0)
	v_mad_i64_i32 v[1:2], null, s22, v0, 0
	s_ashr_i32 s23, s22, 31
	s_delay_alu instid0(VALU_DEP_1) | instskip(NEXT) | instid1(VALU_DEP_1)
	v_lshlrev_b64 v[1:2], 4, v[1:2]
	v_add_co_u32 v5, vcc_lo, s20, v1
	s_delay_alu instid0(VALU_DEP_2)
	v_add_co_ci_u32_e32 v6, vcc_lo, s21, v2, vcc_lo
	s_or_b32 s16, s16, s17
	s_cmp_gt_i32 s2, 0
	s_mov_b32 s21, 0
	s_cselect_b32 s17, -1, 0
	s_and_b32 s18, s2, 7
	s_cmp_gt_u32 s2, 7
	s_cselect_b32 s19, -1, 0
	s_and_b32 s2, s2, 0x7ffffff8
	s_cmp_lg_u32 s18, 0
	s_cselect_b32 s20, -1, 0
	s_lshl_b64 s[10:11], s[22:23], 12
	s_branch .LBB368_29
.LBB368_27:                             ;   in Loop: Header=BB368_29 Depth=1
	s_delay_alu instid0(VALU_DEP_2)
	v_add_co_u32 v7, vcc_lo, s9, v7
	v_add_co_ci_u32_e32 v8, vcc_lo, s14, v8, vcc_lo
	global_store_b128 v[7:8], v[1:4], off
.LBB368_28:                             ;   in Loop: Header=BB368_29 Depth=1
	s_or_b32 exec_lo, exec_lo, s22
	v_add_co_u32 v5, vcc_lo, v5, s10
	v_add_co_ci_u32_e32 v6, vcc_lo, s11, v6, vcc_lo
	s_addk_i32 s21, 0x100
	s_delay_alu instid0(SALU_CYCLE_1)
	s_cmp_ge_i32 s21, s3
	s_cbranch_scc1 .LBB368_40
.LBB368_29:                             ; =>This Loop Header: Depth=1
                                        ;     Child Loop BB368_35 Depth 2
                                        ;     Child Loop BB368_39 Depth 2
	v_add_nc_u32_e32 v1, s21, v0
	s_mov_b32 s22, exec_lo
	s_delay_alu instid0(VALU_DEP_1)
	v_cmpx_gt_i32_e64 s3, v1
	s_cbranch_execz .LBB368_28
; %bb.30:                               ;   in Loop: Header=BB368_29 Depth=1
	v_mad_u64_u32 v[3:4], null, v1, s8, 0
	s_and_not1_b32 vcc_lo, exec_lo, s16
	s_delay_alu instid0(VALU_DEP_1) | instskip(NEXT) | instid1(VALU_DEP_1)
	v_mov_b32_e32 v2, v4
	v_mad_u64_u32 v[7:8], null, v1, s15, v[2:3]
	v_mov_b32_e32 v1, 0
	v_mov_b32_e32 v2, 0
	s_delay_alu instid0(VALU_DEP_3) | instskip(NEXT) | instid1(VALU_DEP_1)
	v_mov_b32_e32 v4, v7
	v_lshlrev_b64 v[7:8], 4, v[3:4]
	s_delay_alu instid0(VALU_DEP_3)
	v_dual_mov_b32 v4, v2 :: v_dual_mov_b32 v3, v1
	s_cbranch_vccnz .LBB368_32
; %bb.31:                               ;   in Loop: Header=BB368_29 Depth=1
	s_delay_alu instid0(VALU_DEP_2) | instskip(NEXT) | instid1(VALU_DEP_3)
	v_add_co_u32 v1, vcc_lo, s9, v7
	v_add_co_ci_u32_e32 v2, vcc_lo, s14, v8, vcc_lo
	global_load_b128 v[9:12], v[1:2], off
	s_waitcnt vmcnt(0)
	v_mul_f64 v[1:2], s[6:7], v[11:12]
	v_mul_f64 v[3:4], s[4:5], v[11:12]
	s_delay_alu instid0(VALU_DEP_2) | instskip(NEXT) | instid1(VALU_DEP_2)
	v_fma_f64 v[1:2], s[4:5], v[9:10], -v[1:2]
	v_fma_f64 v[3:4], s[6:7], v[9:10], v[3:4]
.LBB368_32:                             ;   in Loop: Header=BB368_29 Depth=1
	s_and_not1_b32 vcc_lo, exec_lo, s17
	s_cbranch_vccnz .LBB368_27
; %bb.33:                               ;   in Loop: Header=BB368_29 Depth=1
	s_and_not1_b32 vcc_lo, exec_lo, s19
	s_cbranch_vccnz .LBB368_37
; %bb.34:                               ;   in Loop: Header=BB368_29 Depth=1
	v_dual_mov_b32 v10, v6 :: v_dual_mov_b32 v9, v5
	s_mov_b32 s0, 0
	s_mov_b32 s12, 0
.LBB368_35:                             ;   Parent Loop BB368_29 Depth=1
                                        ; =>  This Inner Loop Header: Depth=2
	s_clause 0x7
	flat_load_b128 v[11:14], v[9:10]
	flat_load_b128 v[15:18], v[9:10] offset:16
	flat_load_b128 v[19:22], v[9:10] offset:32
	flat_load_b128 v[23:26], v[9:10] offset:48
	flat_load_b128 v[27:30], v[9:10] offset:64
	flat_load_b128 v[31:34], v[9:10] offset:80
	flat_load_b128 v[35:38], v[9:10] offset:96
	flat_load_b128 v[39:42], v[9:10] offset:112
	v_mov_b32_e32 v59, s0
	v_add_co_u32 v9, vcc_lo, 0x80, v9
	v_add_co_ci_u32_e32 v10, vcc_lo, 0, v10, vcc_lo
	ds_load_b128 v[43:46], v59
	ds_load_b128 v[47:50], v59 offset:16
	s_add_i32 s12, s12, 8
	s_addk_i32 s0, 0x80
	s_cmp_eq_u32 s2, s12
	s_waitcnt vmcnt(7) lgkmcnt(1)
	v_mul_f64 v[51:52], v[13:14], v[45:46]
	v_mul_f64 v[13:14], v[13:14], v[43:44]
	s_waitcnt vmcnt(6) lgkmcnt(0)
	v_mul_f64 v[53:54], v[17:18], v[49:50]
	v_mul_f64 v[17:18], v[17:18], v[47:48]
	s_delay_alu instid0(VALU_DEP_4) | instskip(NEXT) | instid1(VALU_DEP_4)
	v_fma_f64 v[51:52], v[11:12], v[43:44], v[51:52]
	v_fma_f64 v[55:56], v[11:12], v[45:46], -v[13:14]
	ds_load_b128 v[11:14], v59 offset:32
	ds_load_b128 v[43:46], v59 offset:48
	v_fma_f64 v[47:48], v[15:16], v[47:48], v[53:54]
	v_fma_f64 v[15:16], v[15:16], v[49:50], -v[17:18]
	s_waitcnt vmcnt(5) lgkmcnt(1)
	v_mul_f64 v[57:58], v[21:22], v[13:14]
	v_mul_f64 v[21:22], v[21:22], v[11:12]
	s_waitcnt vmcnt(4) lgkmcnt(0)
	v_mul_f64 v[17:18], v[25:26], v[45:46]
	v_mul_f64 v[25:26], v[25:26], v[43:44]
	v_add_f64 v[1:2], v[1:2], v[51:52]
	v_add_f64 v[3:4], v[3:4], v[55:56]
	v_fma_f64 v[49:50], v[19:20], v[11:12], v[57:58]
	v_fma_f64 v[19:20], v[19:20], v[13:14], -v[21:22]
	v_fma_f64 v[17:18], v[23:24], v[43:44], v[17:18]
	v_fma_f64 v[23:24], v[23:24], v[45:46], -v[25:26]
	v_add_f64 v[21:22], v[1:2], v[47:48]
	v_add_f64 v[15:16], v[3:4], v[15:16]
	ds_load_b128 v[1:4], v59 offset:64
	ds_load_b128 v[11:14], v59 offset:80
	s_waitcnt vmcnt(3) lgkmcnt(1)
	v_mul_f64 v[47:48], v[29:30], v[3:4]
	v_mul_f64 v[29:30], v[29:30], v[1:2]
	s_waitcnt vmcnt(2) lgkmcnt(0)
	v_mul_f64 v[25:26], v[33:34], v[11:12]
	v_add_f64 v[21:22], v[21:22], v[49:50]
	v_add_f64 v[15:16], v[15:16], v[19:20]
	v_mul_f64 v[19:20], v[33:34], v[13:14]
	v_fma_f64 v[33:34], v[27:28], v[1:2], v[47:48]
	v_fma_f64 v[27:28], v[27:28], v[3:4], -v[29:30]
	v_fma_f64 v[13:14], v[31:32], v[13:14], -v[25:26]
	v_add_f64 v[21:22], v[21:22], v[17:18]
	v_add_f64 v[23:24], v[15:16], v[23:24]
	ds_load_b128 v[1:4], v59 offset:96
	ds_load_b128 v[15:18], v59 offset:112
	v_fma_f64 v[11:12], v[31:32], v[11:12], v[19:20]
	s_waitcnt vmcnt(1) lgkmcnt(1)
	v_mul_f64 v[29:30], v[37:38], v[3:4]
	v_mul_f64 v[37:38], v[37:38], v[1:2]
	s_waitcnt vmcnt(0) lgkmcnt(0)
	v_mul_f64 v[25:26], v[41:42], v[15:16]
	v_add_f64 v[19:20], v[21:22], v[33:34]
	v_add_f64 v[21:22], v[23:24], v[27:28]
	v_mul_f64 v[23:24], v[41:42], v[17:18]
	v_fma_f64 v[1:2], v[35:36], v[1:2], v[29:30]
	v_fma_f64 v[3:4], v[35:36], v[3:4], -v[37:38]
	v_fma_f64 v[17:18], v[39:40], v[17:18], -v[25:26]
	v_add_f64 v[11:12], v[19:20], v[11:12]
	v_add_f64 v[13:14], v[21:22], v[13:14]
	v_fma_f64 v[15:16], v[39:40], v[15:16], v[23:24]
	s_delay_alu instid0(VALU_DEP_3) | instskip(NEXT) | instid1(VALU_DEP_3)
	v_add_f64 v[1:2], v[11:12], v[1:2]
	v_add_f64 v[3:4], v[13:14], v[3:4]
	s_delay_alu instid0(VALU_DEP_2) | instskip(NEXT) | instid1(VALU_DEP_2)
	v_add_f64 v[1:2], v[1:2], v[15:16]
	v_add_f64 v[3:4], v[3:4], v[17:18]
	s_cbranch_scc0 .LBB368_35
; %bb.36:                               ;   in Loop: Header=BB368_29 Depth=1
	s_mov_b32 s0, s2
	s_and_not1_b32 vcc_lo, exec_lo, s20
	s_cbranch_vccz .LBB368_38
	s_branch .LBB368_27
.LBB368_37:                             ;   in Loop: Header=BB368_29 Depth=1
	s_mov_b32 s0, 0
	s_and_not1_b32 vcc_lo, exec_lo, s20
	s_cbranch_vccnz .LBB368_27
.LBB368_38:                             ;   in Loop: Header=BB368_29 Depth=1
	s_lshl_b32 s23, s0, 4
	s_lshl_b64 s[12:13], s[0:1], 4
	s_mov_b32 s0, s18
	.p2align	6
.LBB368_39:                             ;   Parent Loop BB368_29 Depth=1
                                        ; =>  This Inner Loop Header: Depth=2
	v_add_co_u32 v9, vcc_lo, v5, s12
	v_add_co_ci_u32_e32 v10, vcc_lo, s13, v6, vcc_lo
	v_mov_b32_e32 v13, s23
	s_add_i32 s23, s23, 16
	s_add_u32 s12, s12, 16
	flat_load_b128 v[9:12], v[9:10]
	s_addc_u32 s13, s13, 0
	ds_load_b128 v[13:16], v13
	s_add_i32 s0, s0, -1
	s_delay_alu instid0(SALU_CYCLE_1) | instskip(SKIP_3) | instid1(VALU_DEP_2)
	s_cmp_lg_u32 s0, 0
	s_waitcnt vmcnt(0) lgkmcnt(0)
	v_mul_f64 v[17:18], v[11:12], v[15:16]
	v_mul_f64 v[11:12], v[11:12], v[13:14]
	v_fma_f64 v[13:14], v[9:10], v[13:14], v[17:18]
	s_delay_alu instid0(VALU_DEP_2) | instskip(NEXT) | instid1(VALU_DEP_2)
	v_fma_f64 v[9:10], v[9:10], v[15:16], -v[11:12]
	v_add_f64 v[1:2], v[1:2], v[13:14]
	s_delay_alu instid0(VALU_DEP_2)
	v_add_f64 v[3:4], v[3:4], v[9:10]
	s_cbranch_scc1 .LBB368_39
	s_branch .LBB368_27
.LBB368_40:
	s_nop 0
	s_sendmsg sendmsg(MSG_DEALLOC_VGPRS)
	s_endpgm
	.section	.rodata,"a",@progbits
	.p2align	6, 0x0
	.amdhsa_kernel _ZL22rocblas_gemvtsm_kernelILb1ELi256EPK19rocblas_complex_numIdES3_KPS1_EviiT2_lPKT1_lilS9_lilS6_lPT3_lil
		.amdhsa_group_segment_fixed_size 1024
		.amdhsa_private_segment_fixed_size 0
		.amdhsa_kernarg_size 136
		.amdhsa_user_sgpr_count 15
		.amdhsa_user_sgpr_dispatch_ptr 0
		.amdhsa_user_sgpr_queue_ptr 0
		.amdhsa_user_sgpr_kernarg_segment_ptr 1
		.amdhsa_user_sgpr_dispatch_id 0
		.amdhsa_user_sgpr_private_segment_size 0
		.amdhsa_wavefront_size32 1
		.amdhsa_uses_dynamic_stack 0
		.amdhsa_enable_private_segment 0
		.amdhsa_system_sgpr_workgroup_id_x 1
		.amdhsa_system_sgpr_workgroup_id_y 0
		.amdhsa_system_sgpr_workgroup_id_z 0
		.amdhsa_system_sgpr_workgroup_info 0
		.amdhsa_system_vgpr_workitem_id 0
		.amdhsa_next_free_vgpr 60
		.amdhsa_next_free_sgpr 26
		.amdhsa_reserve_vcc 1
		.amdhsa_float_round_mode_32 0
		.amdhsa_float_round_mode_16_64 0
		.amdhsa_float_denorm_mode_32 3
		.amdhsa_float_denorm_mode_16_64 3
		.amdhsa_dx10_clamp 1
		.amdhsa_ieee_mode 1
		.amdhsa_fp16_overflow 0
		.amdhsa_workgroup_processor_mode 1
		.amdhsa_memory_ordered 1
		.amdhsa_forward_progress 0
		.amdhsa_shared_vgpr_count 0
		.amdhsa_exception_fp_ieee_invalid_op 0
		.amdhsa_exception_fp_denorm_src 0
		.amdhsa_exception_fp_ieee_div_zero 0
		.amdhsa_exception_fp_ieee_overflow 0
		.amdhsa_exception_fp_ieee_underflow 0
		.amdhsa_exception_fp_ieee_inexact 0
		.amdhsa_exception_int_div_zero 0
	.end_amdhsa_kernel
	.section	.text._ZL22rocblas_gemvtsm_kernelILb1ELi256EPK19rocblas_complex_numIdES3_KPS1_EviiT2_lPKT1_lilS9_lilS6_lPT3_lil,"axG",@progbits,_ZL22rocblas_gemvtsm_kernelILb1ELi256EPK19rocblas_complex_numIdES3_KPS1_EviiT2_lPKT1_lilS9_lilS6_lPT3_lil,comdat
.Lfunc_end368:
	.size	_ZL22rocblas_gemvtsm_kernelILb1ELi256EPK19rocblas_complex_numIdES3_KPS1_EviiT2_lPKT1_lilS9_lilS6_lPT3_lil, .Lfunc_end368-_ZL22rocblas_gemvtsm_kernelILb1ELi256EPK19rocblas_complex_numIdES3_KPS1_EviiT2_lPKT1_lilS9_lilS6_lPT3_lil
                                        ; -- End function
	.section	.AMDGPU.csdata,"",@progbits
; Kernel info:
; codeLenInByte = 2156
; NumSgprs: 28
; NumVgprs: 60
; ScratchSize: 0
; MemoryBound: 0
; FloatMode: 240
; IeeeMode: 1
; LDSByteSize: 1024 bytes/workgroup (compile time only)
; SGPRBlocks: 3
; VGPRBlocks: 7
; NumSGPRsForWavesPerEU: 28
; NumVGPRsForWavesPerEU: 60
; Occupancy: 16
; WaveLimiterHint : 1
; COMPUTE_PGM_RSRC2:SCRATCH_EN: 0
; COMPUTE_PGM_RSRC2:USER_SGPR: 15
; COMPUTE_PGM_RSRC2:TRAP_HANDLER: 0
; COMPUTE_PGM_RSRC2:TGID_X_EN: 1
; COMPUTE_PGM_RSRC2:TGID_Y_EN: 0
; COMPUTE_PGM_RSRC2:TGID_Z_EN: 0
; COMPUTE_PGM_RSRC2:TIDIG_COMP_CNT: 0
	.section	.text._ZL22rocblas_gemvtsm_kernelILb1ELi256EPK19rocblas_complex_numIdES1_KPS1_EviiT2_lPKT1_lilS9_lilS6_lPT3_lil,"axG",@progbits,_ZL22rocblas_gemvtsm_kernelILb1ELi256EPK19rocblas_complex_numIdES1_KPS1_EviiT2_lPKT1_lilS9_lilS6_lPT3_lil,comdat
	.globl	_ZL22rocblas_gemvtsm_kernelILb1ELi256EPK19rocblas_complex_numIdES1_KPS1_EviiT2_lPKT1_lilS9_lilS6_lPT3_lil ; -- Begin function _ZL22rocblas_gemvtsm_kernelILb1ELi256EPK19rocblas_complex_numIdES1_KPS1_EviiT2_lPKT1_lilS9_lilS6_lPT3_lil
	.p2align	8
	.type	_ZL22rocblas_gemvtsm_kernelILb1ELi256EPK19rocblas_complex_numIdES1_KPS1_EviiT2_lPKT1_lilS9_lilS6_lPT3_lil,@function
_ZL22rocblas_gemvtsm_kernelILb1ELi256EPK19rocblas_complex_numIdES1_KPS1_EviiT2_lPKT1_lilS9_lilS6_lPT3_lil: ; @_ZL22rocblas_gemvtsm_kernelILb1ELi256EPK19rocblas_complex_numIdES1_KPS1_EviiT2_lPKT1_lilS9_lilS6_lPT3_lil
; %bb.0:
	s_clause 0x1
	s_load_b128 s[8:11], s[0:1], 0x8
	s_load_b128 s[4:7], s[0:1], 0x60
	s_mov_b32 s2, s15
	s_waitcnt lgkmcnt(0)
	v_cmp_neq_f64_e64 s3, s[8:9], 0
	v_cmp_neq_f64_e64 s12, s[10:11], 0
	s_delay_alu instid0(VALU_DEP_1)
	s_or_b32 s12, s3, s12
	s_mov_b32 s3, -1
	s_and_b32 vcc_lo, exec_lo, s12
	s_cbranch_vccnz .LBB369_2
; %bb.1:
	v_cmp_neq_f64_e64 s3, s[4:5], 1.0
	v_cmp_neq_f64_e64 s13, s[6:7], 0
	s_delay_alu instid0(VALU_DEP_1)
	s_or_b32 s3, s3, s13
.LBB369_2:
	s_delay_alu instid0(SALU_CYCLE_1)
	s_and_not1_b32 vcc_lo, exec_lo, s3
	s_cbranch_vccnz .LBB369_42
; %bb.3:
	s_xor_b32 s3, s12, -1
	s_delay_alu instid0(SALU_CYCLE_1)
	v_cndmask_b32_e64 v1, 0, 1, s3
	s_and_not1_b32 vcc_lo, exec_lo, s3
	s_cbranch_vccnz .LBB369_5
; %bb.4:
	s_mov_b32 s3, 0
	s_mov_b64 s[16:17], 0
	s_cbranch_execz .LBB369_6
	s_branch .LBB369_7
.LBB369_5:
	s_mov_b32 s3, -1
                                        ; implicit-def: $sgpr16_sgpr17
.LBB369_6:
	s_load_b128 s[16:19], s[0:1], 0x20
	s_mov_b32 s3, 0
	s_delay_alu instid0(SALU_CYCLE_1)
	s_lshl_b64 s[14:15], s[2:3], 3
	s_waitcnt lgkmcnt(0)
	s_add_u32 s14, s16, s14
	s_addc_u32 s15, s17, s15
	s_lshl_b64 s[16:17], s[18:19], 4
	s_load_b64 s[14:15], s[14:15], 0x0
	s_waitcnt lgkmcnt(0)
	s_add_u32 s16, s14, s16
	s_addc_u32 s17, s15, s17
.LBB369_7:
	s_and_not1_b32 vcc_lo, exec_lo, s12
	s_mov_b64 s[20:21], 0
	s_cbranch_vccnz .LBB369_9
; %bb.8:
	s_load_b128 s[12:15], s[0:1], 0x40
	s_lshl_b64 s[18:19], s[2:3], 3
	s_waitcnt lgkmcnt(0)
	s_add_u32 s12, s12, s18
	s_addc_u32 s13, s13, s19
	s_lshl_b64 s[14:15], s[14:15], 4
	s_load_b64 s[12:13], s[12:13], 0x0
	s_waitcnt lgkmcnt(0)
	s_add_u32 s20, s12, s14
	s_addc_u32 s21, s13, s15
.LBB369_9:
	s_load_b128 s[12:15], s[0:1], 0x78
	s_lshl_b64 s[18:19], s[2:3], 3
	s_load_b64 s[2:3], s[0:1], 0x0
	v_cmp_ne_u32_e32 vcc_lo, 1, v1
	s_waitcnt lgkmcnt(0)
	s_add_u32 s18, s12, s18
	s_addc_u32 s19, s13, s19
	s_load_b32 s12, s[0:1], 0x88
	s_load_b64 s[18:19], s[18:19], 0x0
	s_mov_b32 s13, -1
	s_cbranch_vccnz .LBB369_24
; %bb.10:
	v_cmp_neq_f64_e64 s13, s[4:5], 0
	v_cmp_neq_f64_e64 s22, s[6:7], 0
	s_delay_alu instid0(VALU_DEP_1)
	s_or_b32 s13, s13, s22
	s_cmp_gt_i32 s3, 0
	s_cselect_b32 s24, -1, 0
	s_and_b32 vcc_lo, exec_lo, s13
	s_mov_b32 s13, -1
	s_cbranch_vccnz .LBB369_17
; %bb.11:
	s_and_not1_b32 vcc_lo, exec_lo, s24
	s_cbranch_vccnz .LBB369_16
; %bb.12:
	s_waitcnt lgkmcnt(0)
	v_mad_i64_i32 v[1:2], null, s12, v0, 0
	s_lshl_b64 s[22:23], s[14:15], 4
	s_ashr_i32 s13, s12, 31
	s_add_u32 s22, s18, s22
	s_addc_u32 s23, s19, s23
	s_delay_alu instid0(VALU_DEP_1) | instskip(NEXT) | instid1(VALU_DEP_1)
	v_lshlrev_b64 v[1:2], 4, v[1:2]
	v_add_co_u32 v1, vcc_lo, s22, v1
	s_delay_alu instid0(VALU_DEP_2) | instskip(SKIP_1) | instid1(VALU_DEP_2)
	v_add_co_ci_u32_e32 v2, vcc_lo, s23, v2, vcc_lo
	s_lshl_b64 s[22:23], s[12:13], 12
	v_add_co_u32 v5, vcc_lo, v1, 8
	s_delay_alu instid0(VALU_DEP_2)
	v_add_co_ci_u32_e32 v6, vcc_lo, 0, v2, vcc_lo
	v_mov_b32_e32 v1, 0
	s_mov_b32 s13, 0
	s_branch .LBB369_14
	.p2align	6
.LBB369_13:                             ;   in Loop: Header=BB369_14 Depth=1
	s_or_b32 exec_lo, exec_lo, s25
	v_add_co_u32 v5, vcc_lo, v5, s22
	v_add_co_ci_u32_e32 v6, vcc_lo, s23, v6, vcc_lo
	s_addk_i32 s13, 0x100
	s_delay_alu instid0(SALU_CYCLE_1)
	s_cmp_ge_i32 s13, s3
	s_cbranch_scc1 .LBB369_16
.LBB369_14:                             ; =>This Inner Loop Header: Depth=1
	v_add_nc_u32_e32 v2, s13, v0
	s_mov_b32 s25, exec_lo
	s_delay_alu instid0(VALU_DEP_1)
	v_cmpx_gt_i32_e64 s3, v2
	s_cbranch_execz .LBB369_13
; %bb.15:                               ;   in Loop: Header=BB369_14 Depth=1
	v_mov_b32_e32 v2, v1
	v_mov_b32_e32 v3, v1
	;; [unrolled: 1-line block ×3, first 2 shown]
	global_store_b128 v[5:6], v[1:4], off offset:-8
	s_branch .LBB369_13
.LBB369_16:
	s_mov_b32 s13, 0
.LBB369_17:
	s_delay_alu instid0(SALU_CYCLE_1)
	s_and_not1_b32 vcc_lo, exec_lo, s13
	s_cbranch_vccnz .LBB369_23
; %bb.18:
	s_and_not1_b32 vcc_lo, exec_lo, s24
	s_cbranch_vccnz .LBB369_23
; %bb.19:
	s_waitcnt lgkmcnt(0)
	v_mad_i64_i32 v[1:2], null, s12, v0, 0
	s_lshl_b64 s[22:23], s[14:15], 4
	s_ashr_i32 s13, s12, 31
	s_add_u32 s22, s18, s22
	s_addc_u32 s23, s19, s23
	s_delay_alu instid0(VALU_DEP_1) | instskip(NEXT) | instid1(VALU_DEP_1)
	v_lshlrev_b64 v[1:2], 4, v[1:2]
	v_add_co_u32 v1, vcc_lo, s22, v1
	s_delay_alu instid0(VALU_DEP_2) | instskip(SKIP_1) | instid1(VALU_DEP_2)
	v_add_co_ci_u32_e32 v2, vcc_lo, s23, v2, vcc_lo
	s_lshl_b64 s[22:23], s[12:13], 12
	v_add_co_u32 v1, vcc_lo, v1, 8
	s_delay_alu instid0(VALU_DEP_2)
	v_add_co_ci_u32_e32 v2, vcc_lo, 0, v2, vcc_lo
	s_mov_b32 s13, 0
	s_set_inst_prefetch_distance 0x1
	s_branch .LBB369_21
	.p2align	6
.LBB369_20:                             ;   in Loop: Header=BB369_21 Depth=1
	s_or_b32 exec_lo, exec_lo, s24
	v_add_co_u32 v1, vcc_lo, v1, s22
	v_add_co_ci_u32_e32 v2, vcc_lo, s23, v2, vcc_lo
	s_addk_i32 s13, 0x100
	s_delay_alu instid0(SALU_CYCLE_1)
	s_cmp_ge_i32 s13, s3
	s_cbranch_scc1 .LBB369_23
.LBB369_21:                             ; =>This Inner Loop Header: Depth=1
	v_add_nc_u32_e32 v3, s13, v0
	s_mov_b32 s24, exec_lo
	s_delay_alu instid0(VALU_DEP_1)
	v_cmpx_gt_i32_e64 s3, v3
	s_cbranch_execz .LBB369_20
; %bb.22:                               ;   in Loop: Header=BB369_21 Depth=1
	global_load_b128 v[3:6], v[1:2], off offset:-8
	s_waitcnt vmcnt(0)
	v_mul_f64 v[7:8], s[6:7], v[5:6]
	v_mul_f64 v[9:10], s[4:5], v[5:6]
	s_delay_alu instid0(VALU_DEP_2) | instskip(NEXT) | instid1(VALU_DEP_2)
	v_fma_f64 v[5:6], s[4:5], v[3:4], -v[7:8]
	v_fma_f64 v[7:8], s[6:7], v[3:4], v[9:10]
	global_store_b128 v[1:2], v[5:8], off offset:-8
	s_branch .LBB369_20
.LBB369_23:
	s_set_inst_prefetch_distance 0x2
	s_mov_b32 s13, 0
.LBB369_24:
	s_delay_alu instid0(SALU_CYCLE_1)
	s_and_not1_b32 vcc_lo, exec_lo, s13
	s_cbranch_vccnz .LBB369_42
; %bb.25:
	s_mov_b32 s13, exec_lo
	v_cmpx_gt_i32_e64 s2, v0
	s_cbranch_execz .LBB369_27
; %bb.26:
	s_load_b32 s22, s[0:1], 0x50
	s_waitcnt lgkmcnt(0)
	v_mad_i64_i32 v[1:2], null, s22, v0, 0
	s_delay_alu instid0(VALU_DEP_1) | instskip(NEXT) | instid1(VALU_DEP_1)
	v_lshlrev_b64 v[1:2], 4, v[1:2]
	v_add_co_u32 v1, vcc_lo, s20, v1
	s_delay_alu instid0(VALU_DEP_2) | instskip(SKIP_4) | instid1(VALU_DEP_2)
	v_add_co_ci_u32_e32 v2, vcc_lo, s21, v2, vcc_lo
	flat_load_b128 v[1:4], v[1:2]
	s_waitcnt vmcnt(0) lgkmcnt(0)
	v_mul_f64 v[5:6], s[10:11], v[3:4]
	v_mul_f64 v[7:8], s[8:9], v[3:4]
	v_fma_f64 v[3:4], s[8:9], v[1:2], -v[5:6]
	s_delay_alu instid0(VALU_DEP_2)
	v_fma_f64 v[5:6], s[10:11], v[1:2], v[7:8]
	v_lshlrev_b32_e32 v1, 4, v0
	ds_store_b128 v1, v[3:6]
.LBB369_27:
	s_or_b32 exec_lo, exec_lo, s13
	s_cmp_lt_i32 s3, 1
	s_waitcnt lgkmcnt(0)
	s_waitcnt_vscnt null, 0x0
	s_barrier
	buffer_gl0_inv
	s_cbranch_scc1 .LBB369_42
; %bb.28:
	v_cmp_neq_f64_e64 s20, s[4:5], 0
	v_cmp_neq_f64_e64 s21, s[6:7], 0
	s_load_b32 s8, s[0:1], 0x30
	s_lshl_b64 s[10:11], s[14:15], 4
	s_mov_b32 s1, 0
	s_add_u32 s13, s18, s10
	s_addc_u32 s14, s19, s11
	s_ashr_i32 s15, s12, 31
	s_waitcnt lgkmcnt(0)
	v_mad_i64_i32 v[1:2], null, s8, v0, 0
	s_ashr_i32 s9, s8, 31
	s_delay_alu instid0(VALU_DEP_1) | instskip(NEXT) | instid1(VALU_DEP_1)
	v_lshlrev_b64 v[1:2], 4, v[1:2]
	v_add_co_u32 v5, vcc_lo, s16, v1
	s_delay_alu instid0(VALU_DEP_2)
	v_add_co_ci_u32_e32 v6, vcc_lo, s17, v2, vcc_lo
	s_or_b32 s16, s20, s21
	s_cmp_gt_i32 s2, 0
	s_mov_b32 s21, 0
	s_cselect_b32 s17, -1, 0
	s_and_b32 s18, s2, 7
	s_cmp_gt_u32 s2, 7
	s_cselect_b32 s19, -1, 0
	s_and_b32 s2, s2, 0x7ffffff8
	s_cmp_lg_u32 s18, 0
	s_cselect_b32 s20, -1, 0
	s_lshl_b64 s[8:9], s[8:9], 12
	s_branch .LBB369_31
.LBB369_29:                             ;   in Loop: Header=BB369_31 Depth=1
	s_delay_alu instid0(VALU_DEP_2)
	v_add_co_u32 v7, vcc_lo, s13, v7
	v_add_co_ci_u32_e32 v8, vcc_lo, s14, v8, vcc_lo
	global_store_b128 v[7:8], v[1:4], off
.LBB369_30:                             ;   in Loop: Header=BB369_31 Depth=1
	s_or_b32 exec_lo, exec_lo, s22
	v_add_co_u32 v5, vcc_lo, v5, s8
	v_add_co_ci_u32_e32 v6, vcc_lo, s9, v6, vcc_lo
	s_addk_i32 s21, 0x100
	s_delay_alu instid0(SALU_CYCLE_1)
	s_cmp_ge_i32 s21, s3
	s_cbranch_scc1 .LBB369_42
.LBB369_31:                             ; =>This Loop Header: Depth=1
                                        ;     Child Loop BB369_37 Depth 2
                                        ;     Child Loop BB369_41 Depth 2
	v_add_nc_u32_e32 v1, s21, v0
	s_mov_b32 s22, exec_lo
	s_delay_alu instid0(VALU_DEP_1)
	v_cmpx_gt_i32_e64 s3, v1
	s_cbranch_execz .LBB369_30
; %bb.32:                               ;   in Loop: Header=BB369_31 Depth=1
	v_mad_u64_u32 v[3:4], null, v1, s12, 0
	s_and_not1_b32 vcc_lo, exec_lo, s16
	s_delay_alu instid0(VALU_DEP_1) | instskip(NEXT) | instid1(VALU_DEP_1)
	v_mov_b32_e32 v2, v4
	v_mad_u64_u32 v[7:8], null, v1, s15, v[2:3]
	v_mov_b32_e32 v1, 0
	v_mov_b32_e32 v2, 0
	s_delay_alu instid0(VALU_DEP_3) | instskip(NEXT) | instid1(VALU_DEP_1)
	v_mov_b32_e32 v4, v7
	v_lshlrev_b64 v[7:8], 4, v[3:4]
	s_delay_alu instid0(VALU_DEP_3)
	v_dual_mov_b32 v4, v2 :: v_dual_mov_b32 v3, v1
	s_cbranch_vccnz .LBB369_34
; %bb.33:                               ;   in Loop: Header=BB369_31 Depth=1
	s_delay_alu instid0(VALU_DEP_2) | instskip(NEXT) | instid1(VALU_DEP_3)
	v_add_co_u32 v1, vcc_lo, s13, v7
	v_add_co_ci_u32_e32 v2, vcc_lo, s14, v8, vcc_lo
	global_load_b128 v[9:12], v[1:2], off
	s_waitcnt vmcnt(0)
	v_mul_f64 v[1:2], s[6:7], v[11:12]
	v_mul_f64 v[3:4], s[4:5], v[11:12]
	s_delay_alu instid0(VALU_DEP_2) | instskip(NEXT) | instid1(VALU_DEP_2)
	v_fma_f64 v[1:2], s[4:5], v[9:10], -v[1:2]
	v_fma_f64 v[3:4], s[6:7], v[9:10], v[3:4]
.LBB369_34:                             ;   in Loop: Header=BB369_31 Depth=1
	s_and_not1_b32 vcc_lo, exec_lo, s17
	s_cbranch_vccnz .LBB369_29
; %bb.35:                               ;   in Loop: Header=BB369_31 Depth=1
	s_and_not1_b32 vcc_lo, exec_lo, s19
	s_cbranch_vccnz .LBB369_39
; %bb.36:                               ;   in Loop: Header=BB369_31 Depth=1
	v_dual_mov_b32 v10, v6 :: v_dual_mov_b32 v9, v5
	s_mov_b32 s0, 0
	s_mov_b32 s10, 0
.LBB369_37:                             ;   Parent Loop BB369_31 Depth=1
                                        ; =>  This Inner Loop Header: Depth=2
	s_clause 0x7
	flat_load_b128 v[11:14], v[9:10]
	flat_load_b128 v[15:18], v[9:10] offset:16
	flat_load_b128 v[19:22], v[9:10] offset:32
	;; [unrolled: 1-line block ×7, first 2 shown]
	v_mov_b32_e32 v59, s0
	v_add_co_u32 v9, vcc_lo, 0x80, v9
	v_add_co_ci_u32_e32 v10, vcc_lo, 0, v10, vcc_lo
	ds_load_b128 v[43:46], v59
	ds_load_b128 v[47:50], v59 offset:16
	s_add_i32 s10, s10, 8
	s_addk_i32 s0, 0x80
	s_cmp_eq_u32 s2, s10
	s_waitcnt vmcnt(7) lgkmcnt(1)
	v_mul_f64 v[51:52], v[13:14], v[45:46]
	v_mul_f64 v[13:14], v[13:14], v[43:44]
	s_waitcnt vmcnt(6) lgkmcnt(0)
	v_mul_f64 v[53:54], v[17:18], v[49:50]
	v_mul_f64 v[17:18], v[17:18], v[47:48]
	s_delay_alu instid0(VALU_DEP_4) | instskip(NEXT) | instid1(VALU_DEP_4)
	v_fma_f64 v[51:52], v[11:12], v[43:44], v[51:52]
	v_fma_f64 v[55:56], v[11:12], v[45:46], -v[13:14]
	ds_load_b128 v[11:14], v59 offset:32
	ds_load_b128 v[43:46], v59 offset:48
	v_fma_f64 v[47:48], v[15:16], v[47:48], v[53:54]
	v_fma_f64 v[15:16], v[15:16], v[49:50], -v[17:18]
	s_waitcnt vmcnt(5) lgkmcnt(1)
	v_mul_f64 v[57:58], v[21:22], v[13:14]
	v_mul_f64 v[21:22], v[21:22], v[11:12]
	s_waitcnt vmcnt(4) lgkmcnt(0)
	v_mul_f64 v[17:18], v[25:26], v[45:46]
	v_mul_f64 v[25:26], v[25:26], v[43:44]
	v_add_f64 v[1:2], v[1:2], v[51:52]
	v_add_f64 v[3:4], v[3:4], v[55:56]
	v_fma_f64 v[49:50], v[19:20], v[11:12], v[57:58]
	v_fma_f64 v[19:20], v[19:20], v[13:14], -v[21:22]
	v_fma_f64 v[17:18], v[23:24], v[43:44], v[17:18]
	v_fma_f64 v[23:24], v[23:24], v[45:46], -v[25:26]
	v_add_f64 v[21:22], v[1:2], v[47:48]
	v_add_f64 v[15:16], v[3:4], v[15:16]
	ds_load_b128 v[1:4], v59 offset:64
	ds_load_b128 v[11:14], v59 offset:80
	s_waitcnt vmcnt(3) lgkmcnt(1)
	v_mul_f64 v[47:48], v[29:30], v[3:4]
	v_mul_f64 v[29:30], v[29:30], v[1:2]
	s_waitcnt vmcnt(2) lgkmcnt(0)
	v_mul_f64 v[25:26], v[33:34], v[11:12]
	v_add_f64 v[21:22], v[21:22], v[49:50]
	v_add_f64 v[15:16], v[15:16], v[19:20]
	v_mul_f64 v[19:20], v[33:34], v[13:14]
	v_fma_f64 v[33:34], v[27:28], v[1:2], v[47:48]
	v_fma_f64 v[27:28], v[27:28], v[3:4], -v[29:30]
	v_fma_f64 v[13:14], v[31:32], v[13:14], -v[25:26]
	v_add_f64 v[21:22], v[21:22], v[17:18]
	v_add_f64 v[23:24], v[15:16], v[23:24]
	ds_load_b128 v[1:4], v59 offset:96
	ds_load_b128 v[15:18], v59 offset:112
	v_fma_f64 v[11:12], v[31:32], v[11:12], v[19:20]
	s_waitcnt vmcnt(1) lgkmcnt(1)
	v_mul_f64 v[29:30], v[37:38], v[3:4]
	v_mul_f64 v[37:38], v[37:38], v[1:2]
	s_waitcnt vmcnt(0) lgkmcnt(0)
	v_mul_f64 v[25:26], v[41:42], v[15:16]
	v_add_f64 v[19:20], v[21:22], v[33:34]
	v_add_f64 v[21:22], v[23:24], v[27:28]
	v_mul_f64 v[23:24], v[41:42], v[17:18]
	v_fma_f64 v[1:2], v[35:36], v[1:2], v[29:30]
	v_fma_f64 v[3:4], v[35:36], v[3:4], -v[37:38]
	v_fma_f64 v[17:18], v[39:40], v[17:18], -v[25:26]
	v_add_f64 v[11:12], v[19:20], v[11:12]
	v_add_f64 v[13:14], v[21:22], v[13:14]
	v_fma_f64 v[15:16], v[39:40], v[15:16], v[23:24]
	s_delay_alu instid0(VALU_DEP_3) | instskip(NEXT) | instid1(VALU_DEP_3)
	v_add_f64 v[1:2], v[11:12], v[1:2]
	v_add_f64 v[3:4], v[13:14], v[3:4]
	s_delay_alu instid0(VALU_DEP_2) | instskip(NEXT) | instid1(VALU_DEP_2)
	v_add_f64 v[1:2], v[1:2], v[15:16]
	v_add_f64 v[3:4], v[3:4], v[17:18]
	s_cbranch_scc0 .LBB369_37
; %bb.38:                               ;   in Loop: Header=BB369_31 Depth=1
	s_mov_b32 s0, s2
	s_and_not1_b32 vcc_lo, exec_lo, s20
	s_cbranch_vccz .LBB369_40
	s_branch .LBB369_29
.LBB369_39:                             ;   in Loop: Header=BB369_31 Depth=1
	s_mov_b32 s0, 0
	s_and_not1_b32 vcc_lo, exec_lo, s20
	s_cbranch_vccnz .LBB369_29
.LBB369_40:                             ;   in Loop: Header=BB369_31 Depth=1
	s_lshl_b32 s23, s0, 4
	s_lshl_b64 s[10:11], s[0:1], 4
	s_mov_b32 s0, s18
	.p2align	6
.LBB369_41:                             ;   Parent Loop BB369_31 Depth=1
                                        ; =>  This Inner Loop Header: Depth=2
	v_add_co_u32 v9, vcc_lo, v5, s10
	v_add_co_ci_u32_e32 v10, vcc_lo, s11, v6, vcc_lo
	v_mov_b32_e32 v13, s23
	s_add_i32 s23, s23, 16
	s_add_u32 s10, s10, 16
	flat_load_b128 v[9:12], v[9:10]
	s_addc_u32 s11, s11, 0
	ds_load_b128 v[13:16], v13
	s_add_i32 s0, s0, -1
	s_delay_alu instid0(SALU_CYCLE_1) | instskip(SKIP_3) | instid1(VALU_DEP_2)
	s_cmp_lg_u32 s0, 0
	s_waitcnt vmcnt(0) lgkmcnt(0)
	v_mul_f64 v[17:18], v[11:12], v[15:16]
	v_mul_f64 v[11:12], v[11:12], v[13:14]
	v_fma_f64 v[13:14], v[9:10], v[13:14], v[17:18]
	s_delay_alu instid0(VALU_DEP_2) | instskip(NEXT) | instid1(VALU_DEP_2)
	v_fma_f64 v[9:10], v[9:10], v[15:16], -v[11:12]
	v_add_f64 v[1:2], v[1:2], v[13:14]
	s_delay_alu instid0(VALU_DEP_2)
	v_add_f64 v[3:4], v[3:4], v[9:10]
	s_cbranch_scc1 .LBB369_41
	s_branch .LBB369_29
.LBB369_42:
	s_nop 0
	s_sendmsg sendmsg(MSG_DEALLOC_VGPRS)
	s_endpgm
	.section	.rodata,"a",@progbits
	.p2align	6, 0x0
	.amdhsa_kernel _ZL22rocblas_gemvtsm_kernelILb1ELi256EPK19rocblas_complex_numIdES1_KPS1_EviiT2_lPKT1_lilS9_lilS6_lPT3_lil
		.amdhsa_group_segment_fixed_size 1024
		.amdhsa_private_segment_fixed_size 0
		.amdhsa_kernarg_size 152
		.amdhsa_user_sgpr_count 15
		.amdhsa_user_sgpr_dispatch_ptr 0
		.amdhsa_user_sgpr_queue_ptr 0
		.amdhsa_user_sgpr_kernarg_segment_ptr 1
		.amdhsa_user_sgpr_dispatch_id 0
		.amdhsa_user_sgpr_private_segment_size 0
		.amdhsa_wavefront_size32 1
		.amdhsa_uses_dynamic_stack 0
		.amdhsa_enable_private_segment 0
		.amdhsa_system_sgpr_workgroup_id_x 1
		.amdhsa_system_sgpr_workgroup_id_y 0
		.amdhsa_system_sgpr_workgroup_id_z 0
		.amdhsa_system_sgpr_workgroup_info 0
		.amdhsa_system_vgpr_workitem_id 0
		.amdhsa_next_free_vgpr 60
		.amdhsa_next_free_sgpr 26
		.amdhsa_reserve_vcc 1
		.amdhsa_float_round_mode_32 0
		.amdhsa_float_round_mode_16_64 0
		.amdhsa_float_denorm_mode_32 3
		.amdhsa_float_denorm_mode_16_64 3
		.amdhsa_dx10_clamp 1
		.amdhsa_ieee_mode 1
		.amdhsa_fp16_overflow 0
		.amdhsa_workgroup_processor_mode 1
		.amdhsa_memory_ordered 1
		.amdhsa_forward_progress 0
		.amdhsa_shared_vgpr_count 0
		.amdhsa_exception_fp_ieee_invalid_op 0
		.amdhsa_exception_fp_denorm_src 0
		.amdhsa_exception_fp_ieee_div_zero 0
		.amdhsa_exception_fp_ieee_overflow 0
		.amdhsa_exception_fp_ieee_underflow 0
		.amdhsa_exception_fp_ieee_inexact 0
		.amdhsa_exception_int_div_zero 0
	.end_amdhsa_kernel
	.section	.text._ZL22rocblas_gemvtsm_kernelILb1ELi256EPK19rocblas_complex_numIdES1_KPS1_EviiT2_lPKT1_lilS9_lilS6_lPT3_lil,"axG",@progbits,_ZL22rocblas_gemvtsm_kernelILb1ELi256EPK19rocblas_complex_numIdES1_KPS1_EviiT2_lPKT1_lilS9_lilS6_lPT3_lil,comdat
.Lfunc_end369:
	.size	_ZL22rocblas_gemvtsm_kernelILb1ELi256EPK19rocblas_complex_numIdES1_KPS1_EviiT2_lPKT1_lilS9_lilS6_lPT3_lil, .Lfunc_end369-_ZL22rocblas_gemvtsm_kernelILb1ELi256EPK19rocblas_complex_numIdES1_KPS1_EviiT2_lPKT1_lilS9_lilS6_lPT3_lil
                                        ; -- End function
	.section	.AMDGPU.csdata,"",@progbits
; Kernel info:
; codeLenInByte = 2100
; NumSgprs: 28
; NumVgprs: 60
; ScratchSize: 0
; MemoryBound: 0
; FloatMode: 240
; IeeeMode: 1
; LDSByteSize: 1024 bytes/workgroup (compile time only)
; SGPRBlocks: 3
; VGPRBlocks: 7
; NumSGPRsForWavesPerEU: 28
; NumVGPRsForWavesPerEU: 60
; Occupancy: 16
; WaveLimiterHint : 1
; COMPUTE_PGM_RSRC2:SCRATCH_EN: 0
; COMPUTE_PGM_RSRC2:USER_SGPR: 15
; COMPUTE_PGM_RSRC2:TRAP_HANDLER: 0
; COMPUTE_PGM_RSRC2:TGID_X_EN: 1
; COMPUTE_PGM_RSRC2:TGID_Y_EN: 0
; COMPUTE_PGM_RSRC2:TGID_Z_EN: 0
; COMPUTE_PGM_RSRC2:TIDIG_COMP_CNT: 0
	.section	.text._ZL23rocblas_gemvt_sn_kernelILb1ELi256ELi4EiPK19rocblas_complex_numIdES3_S1_EviiT4_lPKT3_lilS7_lilPT5_i,"axG",@progbits,_ZL23rocblas_gemvt_sn_kernelILb1ELi256ELi4EiPK19rocblas_complex_numIdES3_S1_EviiT4_lPKT3_lilS7_lilPT5_i,comdat
	.globl	_ZL23rocblas_gemvt_sn_kernelILb1ELi256ELi4EiPK19rocblas_complex_numIdES3_S1_EviiT4_lPKT3_lilS7_lilPT5_i ; -- Begin function _ZL23rocblas_gemvt_sn_kernelILb1ELi256ELi4EiPK19rocblas_complex_numIdES3_S1_EviiT4_lPKT3_lilS7_lilPT5_i
	.p2align	8
	.type	_ZL23rocblas_gemvt_sn_kernelILb1ELi256ELi4EiPK19rocblas_complex_numIdES3_S1_EviiT4_lPKT3_lilS7_lilPT5_i,@function
_ZL23rocblas_gemvt_sn_kernelILb1ELi256ELi4EiPK19rocblas_complex_numIdES3_S1_EviiT4_lPKT3_lilS7_lilPT5_i: ; @_ZL23rocblas_gemvt_sn_kernelILb1ELi256ELi4EiPK19rocblas_complex_numIdES3_S1_EviiT4_lPKT3_lilS7_lilPT5_i
; %bb.0:
	s_load_b256 s[4:11], s[0:1], 0x8
	s_mov_b32 s12, s15
	s_mov_b32 s13, 0
	s_waitcnt lgkmcnt(0)
	s_mul_i32 s3, s15, s7
	s_mul_hi_u32 s7, s15, s6
	s_mul_i32 s2, s15, s6
	s_add_i32 s3, s7, s3
	s_mov_b64 s[6:7], 0
	s_lshl_b64 s[2:3], s[2:3], 4
	s_delay_alu instid0(SALU_CYCLE_1)
	s_add_u32 s2, s4, s2
	s_addc_u32 s3, s5, s3
	s_mov_b64 s[4:5], 0
	s_load_b128 s[16:19], s[2:3], 0x0
	s_waitcnt lgkmcnt(0)
	v_cmp_neq_f64_e64 s2, s[16:17], 0
	v_cmp_neq_f64_e64 s3, s[18:19], 0
	s_delay_alu instid0(VALU_DEP_1) | instskip(NEXT) | instid1(SALU_CYCLE_1)
	s_or_b32 s2, s2, s3
	s_xor_b32 s3, s2, -1
	s_delay_alu instid0(SALU_CYCLE_1)
	s_and_b32 vcc_lo, exec_lo, s3
	s_cbranch_vccnz .LBB370_2
; %bb.1:
	s_lshl_b64 s[4:5], s[12:13], 3
	s_delay_alu instid0(SALU_CYCLE_1)
	s_add_u32 s4, s8, s4
	s_addc_u32 s5, s9, s5
	s_lshl_b64 s[8:9], s[10:11], 4
	s_load_b64 s[4:5], s[4:5], 0x0
	s_waitcnt lgkmcnt(0)
	s_add_u32 s4, s4, s8
	s_addc_u32 s5, s5, s9
.LBB370_2:
	s_and_not1_b32 vcc_lo, exec_lo, s2
	s_cbranch_vccnz .LBB370_4
; %bb.3:
	s_load_b128 s[8:11], s[0:1], 0x38
	s_lshl_b64 s[6:7], s[12:13], 3
	s_waitcnt lgkmcnt(0)
	s_add_u32 s6, s8, s6
	s_addc_u32 s7, s9, s7
	s_lshl_b64 s[8:9], s[10:11], 4
	s_load_b64 s[6:7], s[6:7], 0x0
	s_waitcnt lgkmcnt(0)
	s_add_u32 s6, s6, s8
	s_addc_u32 s7, s7, s9
.LBB370_4:
	s_clause 0x2
	s_load_b64 s[8:9], s[0:1], 0x0
	s_load_b32 s10, s[0:1], 0x68
	s_load_b64 s[20:21], s[0:1], 0x58
	s_and_not1_b32 vcc_lo, exec_lo, s3
	v_cmp_eq_u32_e64 s2, 0, v0
	s_mov_b32 s11, 0
	s_waitcnt lgkmcnt(0)
	s_ashr_i32 s24, s9, 31
	s_mul_hi_u32 s3, s9, s12
	s_mul_i32 s13, s24, s12
	s_mul_i32 s12, s9, s12
	s_add_i32 s3, s3, s13
	s_mul_hi_u32 s13, s12, s10
	s_mul_i32 s3, s3, s10
	s_mul_i32 s12, s12, s10
	s_add_i32 s13, s13, s3
	s_mov_b32 s3, -1
	s_cbranch_vccnz .LBB370_9
; %bb.5:
	s_cmp_gt_i32 s9, 0
	s_cselect_b32 s3, -1, 0
	s_delay_alu instid0(SALU_CYCLE_1) | instskip(NEXT) | instid1(SALU_CYCLE_1)
	s_and_b32 s2, s2, s3
	s_and_saveexec_b32 s25, s2
	s_cbranch_execz .LBB370_8
; %bb.6:
	s_mov_b32 s15, 0
	v_mov_b32_e32 v1, 0
	s_lshl_b64 s[2:3], s[12:13], 4
	s_lshl_b64 s[22:23], s[14:15], 4
	s_delay_alu instid0(SALU_CYCLE_1)
	s_add_u32 s2, s2, s22
	s_addc_u32 s3, s3, s23
	s_add_u32 s2, s2, s20
	v_mov_b32_e32 v2, v1
	v_mov_b32_e32 v3, v1
	;; [unrolled: 1-line block ×3, first 2 shown]
	s_addc_u32 s3, s3, s21
	s_add_u32 s2, s2, 8
	s_addc_u32 s3, s3, 0
	s_lshl_b64 s[22:23], s[10:11], 4
	s_mov_b32 s11, s9
.LBB370_7:                              ; =>This Inner Loop Header: Depth=1
	s_delay_alu instid0(SALU_CYCLE_1)
	s_add_i32 s11, s11, -1
	global_store_b128 v1, v[1:4], s[2:3] offset:-8
	s_add_u32 s2, s2, s22
	s_addc_u32 s3, s3, s23
	s_cmp_eq_u32 s11, 0
	s_cbranch_scc0 .LBB370_7
.LBB370_8:
	s_or_b32 exec_lo, exec_lo, s25
	s_mov_b32 s3, 0
.LBB370_9:
	s_delay_alu instid0(SALU_CYCLE_1)
	s_and_not1_b32 vcc_lo, exec_lo, s3
	s_cbranch_vccnz .LBB370_80
; %bb.10:
	s_lshl_b64 s[2:3], s[12:13], 4
	s_clause 0x1
	s_load_b32 s11, s[0:1], 0x28
	s_load_b32 s28, s[0:1], 0x48
	s_add_u32 s33, s20, s2
	s_addc_u32 s31, s21, s3
	s_lshl_b32 s2, s14, 10
	s_ashr_i32 s0, s8, 31
	v_lshl_or_b32 v1, v0, 2, s2
	s_lshr_b32 s0, s0, 30
	s_lshr_b32 s1, s24, 30
	s_add_i32 s0, s8, s0
	s_add_i32 s1, s9, s1
	v_ashrrev_i32_e32 v2, 31, v1
	s_and_b32 s0, s0, -4
	s_and_b32 s15, s1, -4
	s_sub_i32 s29, s8, s0
	v_add_nc_u32_e32 v42, 4, v1
	v_lshlrev_b64 v[2:3], 4, v[1:2]
	v_add_nc_u32_e32 v43, s29, v1
	v_and_b32_e32 v40, 31, v0
	v_cmp_gt_u32_e64 s0, 32, v0
	v_mbcnt_lo_u32_b32 v41, -1, 0
	s_waitcnt lgkmcnt(0)
	v_mul_lo_u32 v21, v1, s28
	v_add_co_u32 v33, vcc_lo, s4, v2
	v_add_co_ci_u32_e32 v34, vcc_lo, s5, v3, vcc_lo
	v_cmp_gt_u32_e64 s1, 8, v0
	v_lshrrev_b32_e32 v39, 1, v0
	v_add_nc_u32_e64 v35, 0, 16
	v_add_nc_u32_e64 v36, 0, 32
	;; [unrolled: 1-line block ×3, first 2 shown]
	v_or_b32_e64 v38, 0, 8
	s_cmp_lt_i32 s15, 1
	s_cbranch_scc1 .LBB370_57
; %bb.11:
	v_cmp_gt_u32_e32 vcc_lo, 16, v41
	v_mul_lo_u32 v22, v1, s28
	v_cmp_ge_i32_e64 s2, s8, v42
	v_cmp_ge_i32_e64 s3, s8, v43
	v_cmp_eq_u32_e64 s4, 0, v40
	v_cndmask_b32_e64 v2, 0, 1, vcc_lo
	v_cmp_gt_u32_e32 vcc_lo, 24, v41
	v_lshlrev_b32_e32 v49, 4, v40
	v_and_b32_e32 v50, 0x70, v39
	v_ashrrev_i32_e32 v23, 31, v22
	v_lshlrev_b32_e32 v2, 4, v2
	v_cndmask_b32_e64 v3, 0, 1, vcc_lo
	v_cmp_gt_u32_e32 vcc_lo, 28, v41
	v_cmp_eq_u32_e64 s5, 0, v0
	v_or_b32_e64 v51, 0, 8
	v_add_lshl_u32 v44, v2, v41, 2
	v_lshlrev_b32_e32 v2, 3, v3
	v_cndmask_b32_e64 v4, 0, 1, vcc_lo
	v_cmp_gt_u32_e32 vcc_lo, 30, v41
	s_cmp_gt_i32 s29, 0
	s_mov_b32 s13, 0
	v_add_lshl_u32 v45, v2, v41, 2
	v_lshlrev_b32_e32 v3, 2, v4
	v_cndmask_b32_e64 v5, 0, 1, vcc_lo
	v_cmp_ne_u32_e32 vcc_lo, 31, v41
	s_cselect_b32 s34, -1, 0
	s_lshl_b32 s35, s11, 2
	v_add_lshl_u32 v46, v3, v41, 2
	v_lshlrev_b32_e32 v1, 1, v5
	v_add_co_ci_u32_e32 v4, vcc_lo, 0, v41, vcc_lo
	v_lshlrev_b64 v[5:6], 4, v[22:23]
	s_lshl_b32 s36, s11, 1
	s_delay_alu instid0(VALU_DEP_3) | instskip(SKIP_4) | instid1(VALU_DEP_3)
	v_add_lshl_u32 v47, v1, v41, 2
	v_add_nc_u32_e32 v1, s28, v22
	v_lshlrev_b32_e32 v48, 2, v4
	s_mul_i32 s37, s11, 3
	v_add_co_u32 v23, vcc_lo, s6, v5
	v_add_nc_u32_e32 v3, s28, v1
	v_ashrrev_i32_e32 v2, 31, v1
	v_add_co_ci_u32_e32 v24, vcc_lo, s7, v6, vcc_lo
	s_mov_b32 s20, s13
	s_delay_alu instid0(VALU_DEP_3) | instskip(NEXT) | instid1(VALU_DEP_3)
	v_add_nc_u32_e32 v7, s28, v3
	v_lshlrev_b64 v[1:2], 4, v[1:2]
	v_ashrrev_i32_e32 v4, 31, v3
	s_mov_b32 s38, s11
	s_mov_b32 s30, 0
	v_ashrrev_i32_e32 v8, 31, v7
	s_delay_alu instid0(VALU_DEP_2) | instskip(SKIP_2) | instid1(VALU_DEP_4)
	v_lshlrev_b64 v[3:4], 4, v[3:4]
	v_add_co_u32 v25, vcc_lo, s6, v1
	v_add_co_ci_u32_e32 v26, vcc_lo, s7, v2, vcc_lo
	v_lshlrev_b64 v[1:2], 4, v[7:8]
	s_delay_alu instid0(VALU_DEP_4) | instskip(SKIP_1) | instid1(VALU_DEP_3)
	v_add_co_u32 v27, vcc_lo, s6, v3
	v_add_co_ci_u32_e32 v28, vcc_lo, s7, v4, vcc_lo
	v_add_co_u32 v29, vcc_lo, s6, v1
	v_mov_b32_e32 v1, 0
	v_add_co_ci_u32_e32 v30, vcc_lo, s7, v2, vcc_lo
	s_branch .LBB370_13
.LBB370_12:                             ;   in Loop: Header=BB370_13 Depth=1
	s_or_b32 exec_lo, exec_lo, s21
	s_add_i32 s30, s30, 4
	s_add_i32 s38, s38, s35
	s_add_i32 s36, s36, s35
	s_add_i32 s37, s37, s35
	s_add_i32 s20, s20, s35
	s_cmp_ge_i32 s30, s15
	s_cbranch_scc1 .LBB370_58
.LBB370_13:                             ; =>This Loop Header: Depth=1
                                        ;     Child Loop BB370_44 Depth 2
                                        ;     Child Loop BB370_46 Depth 2
                                        ; implicit-def: $vgpr17_vgpr18
                                        ; implicit-def: $vgpr19_vgpr20
                                        ; implicit-def: $vgpr13_vgpr14
                                        ; implicit-def: $vgpr15_vgpr16
                                        ; implicit-def: $vgpr9_vgpr10
                                        ; implicit-def: $vgpr11_vgpr12
                                        ; implicit-def: $vgpr7_vgpr8
                                        ; implicit-def: $vgpr5_vgpr6
	s_and_saveexec_b32 s12, s2
	s_delay_alu instid0(SALU_CYCLE_1)
	s_xor_b32 s12, exec_lo, s12
	s_cbranch_execnz .LBB370_40
; %bb.14:                               ;   in Loop: Header=BB370_13 Depth=1
	s_and_not1_saveexec_b32 s12, s12
	s_cbranch_execnz .LBB370_41
.LBB370_15:                             ;   in Loop: Header=BB370_13 Depth=1
	s_or_b32 exec_lo, exec_lo, s12
	s_and_saveexec_b32 s12, s0
	s_cbranch_execz .LBB370_17
.LBB370_16:                             ;   in Loop: Header=BB370_13 Depth=1
	v_mov_b32_e32 v2, v1
	v_mov_b32_e32 v3, v1
	;; [unrolled: 1-line block ×3, first 2 shown]
	ds_store_b128 v49, v[1:4]
.LBB370_17:                             ;   in Loop: Header=BB370_13 Depth=1
	s_or_b32 exec_lo, exec_lo, s12
	ds_bpermute_b32 v2, v44, v7
	ds_bpermute_b32 v3, v44, v8
	;; [unrolled: 1-line block ×4, first 2 shown]
	s_waitcnt lgkmcnt(0)
	s_waitcnt_vscnt null, 0x0
	s_barrier
	buffer_gl0_inv
	v_add_f64 v[2:3], v[7:8], v[2:3]
	v_add_f64 v[4:5], v[5:6], v[31:32]
	ds_bpermute_b32 v6, v45, v2
	ds_bpermute_b32 v7, v45, v3
	ds_bpermute_b32 v31, v45, v4
	ds_bpermute_b32 v32, v45, v5
	s_waitcnt lgkmcnt(2)
	v_add_f64 v[2:3], v[2:3], v[6:7]
	s_waitcnt lgkmcnt(0)
	v_add_f64 v[4:5], v[4:5], v[31:32]
	ds_bpermute_b32 v6, v46, v2
	ds_bpermute_b32 v7, v46, v3
	ds_bpermute_b32 v31, v46, v4
	ds_bpermute_b32 v32, v46, v5
	s_waitcnt lgkmcnt(2)
	v_add_f64 v[2:3], v[2:3], v[6:7]
	s_waitcnt lgkmcnt(0)
	;; [unrolled: 8-line block ×3, first 2 shown]
	v_add_f64 v[6:7], v[4:5], v[31:32]
	ds_bpermute_b32 v4, v48, v2
	ds_bpermute_b32 v5, v48, v3
	;; [unrolled: 1-line block ×4, first 2 shown]
	s_and_saveexec_b32 s12, s4
	s_cbranch_execz .LBB370_19
; %bb.18:                               ;   in Loop: Header=BB370_13 Depth=1
	s_waitcnt lgkmcnt(0)
	v_add_f64 v[6:7], v[6:7], v[31:32]
	v_add_f64 v[4:5], v[2:3], v[4:5]
	ds_store_b128 v50, v[4:7]
.LBB370_19:                             ;   in Loop: Header=BB370_13 Depth=1
	s_or_b32 exec_lo, exec_lo, s12
	v_mov_b32_e32 v7, 0
	v_mov_b32_e32 v8, 0
	s_waitcnt lgkmcnt(2)
	s_delay_alu instid0(VALU_DEP_2)
	v_mov_b32_e32 v5, v7
	s_waitcnt lgkmcnt(0)
	s_barrier
	buffer_gl0_inv
	v_mov_b32_e32 v6, v8
	s_and_saveexec_b32 s12, s1
	s_cbranch_execnz .LBB370_48
; %bb.20:                               ;   in Loop: Header=BB370_13 Depth=1
	s_or_b32 exec_lo, exec_lo, s12
	s_and_saveexec_b32 s12, s0
	s_cbranch_execnz .LBB370_49
.LBB370_21:                             ;   in Loop: Header=BB370_13 Depth=1
	s_or_b32 exec_lo, exec_lo, s12
	s_and_saveexec_b32 s12, s0
	s_cbranch_execz .LBB370_23
.LBB370_22:                             ;   in Loop: Header=BB370_13 Depth=1
	v_mov_b32_e32 v2, v1
	v_mov_b32_e32 v3, v1
	;; [unrolled: 1-line block ×3, first 2 shown]
	ds_store_b128 v49, v[1:4]
.LBB370_23:                             ;   in Loop: Header=BB370_13 Depth=1
	s_or_b32 exec_lo, exec_lo, s12
	ds_bpermute_b32 v2, v44, v9
	ds_bpermute_b32 v3, v44, v10
	;; [unrolled: 1-line block ×4, first 2 shown]
	s_waitcnt lgkmcnt(0)
	s_barrier
	buffer_gl0_inv
	v_add_f64 v[2:3], v[9:10], v[2:3]
	v_add_f64 v[9:10], v[11:12], v[31:32]
	ds_bpermute_b32 v11, v45, v2
	ds_bpermute_b32 v12, v45, v3
	ds_bpermute_b32 v31, v45, v9
	ds_bpermute_b32 v32, v45, v10
	s_waitcnt lgkmcnt(2)
	v_add_f64 v[2:3], v[2:3], v[11:12]
	s_waitcnt lgkmcnt(0)
	v_add_f64 v[9:10], v[9:10], v[31:32]
	ds_bpermute_b32 v11, v46, v2
	ds_bpermute_b32 v12, v46, v3
	ds_bpermute_b32 v31, v46, v9
	ds_bpermute_b32 v32, v46, v10
	s_waitcnt lgkmcnt(2)
	v_add_f64 v[2:3], v[2:3], v[11:12]
	s_waitcnt lgkmcnt(0)
	;; [unrolled: 8-line block ×3, first 2 shown]
	v_add_f64 v[11:12], v[9:10], v[31:32]
	ds_bpermute_b32 v9, v48, v2
	ds_bpermute_b32 v10, v48, v3
	;; [unrolled: 1-line block ×4, first 2 shown]
	s_and_saveexec_b32 s12, s4
	s_cbranch_execz .LBB370_25
; %bb.24:                               ;   in Loop: Header=BB370_13 Depth=1
	s_waitcnt lgkmcnt(0)
	v_add_f64 v[11:12], v[11:12], v[31:32]
	v_add_f64 v[9:10], v[2:3], v[9:10]
	ds_store_b128 v50, v[9:12]
.LBB370_25:                             ;   in Loop: Header=BB370_13 Depth=1
	s_or_b32 exec_lo, exec_lo, s12
	v_mov_b32_e32 v11, 0
	v_mov_b32_e32 v12, 0
	s_waitcnt lgkmcnt(2)
	s_delay_alu instid0(VALU_DEP_2)
	v_mov_b32_e32 v9, v11
	s_waitcnt lgkmcnt(0)
	s_barrier
	buffer_gl0_inv
	v_mov_b32_e32 v10, v12
	s_and_saveexec_b32 s12, s1
	s_cbranch_execnz .LBB370_50
; %bb.26:                               ;   in Loop: Header=BB370_13 Depth=1
	s_or_b32 exec_lo, exec_lo, s12
	s_and_saveexec_b32 s12, s0
	s_cbranch_execnz .LBB370_51
.LBB370_27:                             ;   in Loop: Header=BB370_13 Depth=1
	s_or_b32 exec_lo, exec_lo, s12
	s_and_saveexec_b32 s12, s0
	s_cbranch_execz .LBB370_29
.LBB370_28:                             ;   in Loop: Header=BB370_13 Depth=1
	v_mov_b32_e32 v2, v1
	v_mov_b32_e32 v3, v1
	;; [unrolled: 1-line block ×3, first 2 shown]
	ds_store_b128 v49, v[1:4]
.LBB370_29:                             ;   in Loop: Header=BB370_13 Depth=1
	s_or_b32 exec_lo, exec_lo, s12
	ds_bpermute_b32 v2, v44, v13
	ds_bpermute_b32 v3, v44, v14
	;; [unrolled: 1-line block ×4, first 2 shown]
	s_waitcnt lgkmcnt(0)
	s_barrier
	buffer_gl0_inv
	v_add_f64 v[2:3], v[13:14], v[2:3]
	v_add_f64 v[13:14], v[15:16], v[31:32]
	ds_bpermute_b32 v15, v45, v2
	ds_bpermute_b32 v16, v45, v3
	ds_bpermute_b32 v31, v45, v13
	ds_bpermute_b32 v32, v45, v14
	s_waitcnt lgkmcnt(2)
	v_add_f64 v[2:3], v[2:3], v[15:16]
	s_waitcnt lgkmcnt(0)
	v_add_f64 v[13:14], v[13:14], v[31:32]
	ds_bpermute_b32 v15, v46, v2
	ds_bpermute_b32 v16, v46, v3
	ds_bpermute_b32 v31, v46, v13
	ds_bpermute_b32 v32, v46, v14
	s_waitcnt lgkmcnt(2)
	v_add_f64 v[2:3], v[2:3], v[15:16]
	s_waitcnt lgkmcnt(0)
	;; [unrolled: 8-line block ×3, first 2 shown]
	v_add_f64 v[15:16], v[13:14], v[31:32]
	ds_bpermute_b32 v13, v48, v2
	ds_bpermute_b32 v14, v48, v3
	;; [unrolled: 1-line block ×4, first 2 shown]
	s_and_saveexec_b32 s12, s4
	s_cbranch_execz .LBB370_31
; %bb.30:                               ;   in Loop: Header=BB370_13 Depth=1
	s_waitcnt lgkmcnt(0)
	v_add_f64 v[15:16], v[15:16], v[31:32]
	v_add_f64 v[13:14], v[2:3], v[13:14]
	ds_store_b128 v50, v[13:16]
.LBB370_31:                             ;   in Loop: Header=BB370_13 Depth=1
	s_or_b32 exec_lo, exec_lo, s12
	v_mov_b32_e32 v15, 0
	v_mov_b32_e32 v16, 0
	s_waitcnt lgkmcnt(2)
	s_delay_alu instid0(VALU_DEP_2)
	v_mov_b32_e32 v13, v15
	s_waitcnt lgkmcnt(0)
	s_barrier
	buffer_gl0_inv
	v_mov_b32_e32 v14, v16
	s_and_saveexec_b32 s12, s1
	s_cbranch_execnz .LBB370_52
; %bb.32:                               ;   in Loop: Header=BB370_13 Depth=1
	s_or_b32 exec_lo, exec_lo, s12
	s_and_saveexec_b32 s12, s0
	s_cbranch_execnz .LBB370_53
.LBB370_33:                             ;   in Loop: Header=BB370_13 Depth=1
	s_or_b32 exec_lo, exec_lo, s12
	s_and_saveexec_b32 s12, s0
	s_cbranch_execz .LBB370_35
.LBB370_34:                             ;   in Loop: Header=BB370_13 Depth=1
	v_mov_b32_e32 v2, v1
	v_mov_b32_e32 v3, v1
	;; [unrolled: 1-line block ×3, first 2 shown]
	ds_store_b128 v49, v[1:4]
.LBB370_35:                             ;   in Loop: Header=BB370_13 Depth=1
	s_or_b32 exec_lo, exec_lo, s12
	ds_bpermute_b32 v2, v44, v17
	ds_bpermute_b32 v3, v44, v18
	;; [unrolled: 1-line block ×4, first 2 shown]
	s_waitcnt lgkmcnt(0)
	s_barrier
	buffer_gl0_inv
	v_add_f64 v[2:3], v[17:18], v[2:3]
	v_add_f64 v[17:18], v[19:20], v[31:32]
	ds_bpermute_b32 v19, v45, v2
	ds_bpermute_b32 v20, v45, v3
	ds_bpermute_b32 v31, v45, v17
	ds_bpermute_b32 v32, v45, v18
	s_waitcnt lgkmcnt(2)
	v_add_f64 v[2:3], v[2:3], v[19:20]
	s_waitcnt lgkmcnt(0)
	v_add_f64 v[17:18], v[17:18], v[31:32]
	ds_bpermute_b32 v19, v46, v2
	ds_bpermute_b32 v20, v46, v3
	ds_bpermute_b32 v31, v46, v17
	ds_bpermute_b32 v32, v46, v18
	s_waitcnt lgkmcnt(2)
	v_add_f64 v[2:3], v[2:3], v[19:20]
	s_waitcnt lgkmcnt(0)
	;; [unrolled: 8-line block ×3, first 2 shown]
	v_add_f64 v[19:20], v[17:18], v[31:32]
	ds_bpermute_b32 v17, v48, v2
	ds_bpermute_b32 v18, v48, v3
	;; [unrolled: 1-line block ×4, first 2 shown]
	s_and_saveexec_b32 s12, s4
	s_cbranch_execz .LBB370_37
; %bb.36:                               ;   in Loop: Header=BB370_13 Depth=1
	s_waitcnt lgkmcnt(0)
	v_add_f64 v[19:20], v[19:20], v[31:32]
	v_add_f64 v[17:18], v[2:3], v[17:18]
	ds_store_b128 v50, v[17:20]
.LBB370_37:                             ;   in Loop: Header=BB370_13 Depth=1
	s_or_b32 exec_lo, exec_lo, s12
	v_mov_b32_e32 v19, 0
	v_mov_b32_e32 v20, 0
	s_waitcnt lgkmcnt(2)
	s_delay_alu instid0(VALU_DEP_2)
	v_mov_b32_e32 v17, v19
	s_waitcnt lgkmcnt(0)
	s_barrier
	buffer_gl0_inv
	v_mov_b32_e32 v18, v20
	s_and_saveexec_b32 s12, s1
	s_cbranch_execnz .LBB370_54
; %bb.38:                               ;   in Loop: Header=BB370_13 Depth=1
	s_or_b32 exec_lo, exec_lo, s12
	s_and_saveexec_b32 s12, s0
	s_cbranch_execnz .LBB370_55
.LBB370_39:                             ;   in Loop: Header=BB370_13 Depth=1
	s_or_b32 exec_lo, exec_lo, s12
	s_and_saveexec_b32 s21, s5
	s_cbranch_execz .LBB370_12
	s_branch .LBB370_56
.LBB370_40:                             ;   in Loop: Header=BB370_13 Depth=1
	s_clause 0x1
	flat_load_b128 v[2:5], v[23:24]
	flat_load_b128 v[6:9], v[25:26]
	s_mul_i32 s22, s30, s11
	s_delay_alu instid0(SALU_CYCLE_1) | instskip(NEXT) | instid1(SALU_CYCLE_1)
	s_ashr_i32 s23, s22, 31
	s_lshl_b64 s[24:25], s[22:23], 4
	s_add_i32 s22, s22, s11
	v_add_co_u32 v10, vcc_lo, v33, s24
	v_add_co_ci_u32_e32 v11, vcc_lo, s25, v34, vcc_lo
	s_ashr_i32 s23, s22, 31
	s_delay_alu instid0(SALU_CYCLE_1) | instskip(SKIP_4) | instid1(SALU_CYCLE_1)
	s_lshl_b64 s[24:25], s[22:23], 4
	s_add_i32 s22, s22, s11
	v_add_co_u32 v31, vcc_lo, v33, s24
	v_add_co_ci_u32_e32 v32, vcc_lo, s25, v34, vcc_lo
	s_ashr_i32 s23, s22, 31
	s_lshl_b64 s[24:25], s[22:23], 4
	s_add_i32 s22, s22, s11
	v_add_co_u32 v52, vcc_lo, v33, s24
	v_add_co_ci_u32_e32 v53, vcc_lo, s25, v34, vcc_lo
	s_ashr_i32 s23, s22, 31
	s_delay_alu instid0(SALU_CYCLE_1) | instskip(NEXT) | instid1(SALU_CYCLE_1)
	s_lshl_b64 s[22:23], s[22:23], 4
	v_add_co_u32 v58, vcc_lo, v33, s22
	v_add_co_ci_u32_e32 v59, vcc_lo, s23, v34, vcc_lo
	s_waitcnt vmcnt(1) lgkmcnt(1)
	scratch_store_b128 off, v[2:5], off
	s_waitcnt vmcnt(0) lgkmcnt(0)
	scratch_store_b128 v35, v[6:9], off
	flat_load_b128 v[6:9], v[27:28]
	s_waitcnt vmcnt(0) lgkmcnt(0)
	scratch_store_b128 v36, v[6:9], off
	flat_load_b128 v[6:9], v[29:30]
	;; [unrolled: 3-line block ×3, first 2 shown]
	s_waitcnt vmcnt(0) lgkmcnt(0)
	v_mul_f64 v[12:13], v[4:5], v[8:9]
	v_mul_f64 v[8:9], v[2:3], v[8:9]
	s_delay_alu instid0(VALU_DEP_2) | instskip(NEXT) | instid1(VALU_DEP_2)
	v_fma_f64 v[12:13], v[2:3], v[6:7], v[12:13]
	v_fma_f64 v[6:7], v[4:5], v[6:7], -v[8:9]
	s_delay_alu instid0(VALU_DEP_2) | instskip(NEXT) | instid1(VALU_DEP_2)
	v_add_f64 v[12:13], v[12:13], 0
	v_add_f64 v[14:15], v[6:7], 0
	flat_load_b128 v[6:9], v[31:32]
	s_waitcnt vmcnt(0) lgkmcnt(0)
	v_mul_f64 v[16:17], v[4:5], v[8:9]
	v_mul_f64 v[8:9], v[2:3], v[8:9]
	s_delay_alu instid0(VALU_DEP_2) | instskip(NEXT) | instid1(VALU_DEP_2)
	v_fma_f64 v[16:17], v[2:3], v[6:7], v[16:17]
	v_fma_f64 v[6:7], v[4:5], v[6:7], -v[8:9]
	s_delay_alu instid0(VALU_DEP_2) | instskip(NEXT) | instid1(VALU_DEP_2)
	v_add_f64 v[16:17], v[16:17], 0
	v_add_f64 v[18:19], v[6:7], 0
	flat_load_b128 v[6:9], v[52:53]
	;; [unrolled: 10-line block ×3, first 2 shown]
	s_waitcnt vmcnt(0) lgkmcnt(0)
	v_mul_f64 v[60:61], v[4:5], v[8:9]
	s_delay_alu instid0(VALU_DEP_1) | instskip(SKIP_1) | instid1(VALU_DEP_2)
	v_fma_f64 v[60:61], v[2:3], v[6:7], v[60:61]
	v_mul_f64 v[2:3], v[2:3], v[8:9]
	v_add_f64 v[60:61], v[60:61], 0
	s_delay_alu instid0(VALU_DEP_2) | instskip(NEXT) | instid1(VALU_DEP_1)
	v_fma_f64 v[2:3], v[4:5], v[6:7], -v[2:3]
	v_add_f64 v[62:63], v[2:3], 0
	scratch_load_b128 v[2:5], off, off offset:16
	flat_load_b128 v[6:9], v[10:11] offset:16
	s_waitcnt vmcnt(0) lgkmcnt(0)
	v_mul_f64 v[64:65], v[4:5], v[8:9]
	v_mul_f64 v[8:9], v[2:3], v[8:9]
	s_delay_alu instid0(VALU_DEP_2) | instskip(NEXT) | instid1(VALU_DEP_2)
	v_fma_f64 v[64:65], v[2:3], v[6:7], v[64:65]
	v_fma_f64 v[6:7], v[4:5], v[6:7], -v[8:9]
	s_delay_alu instid0(VALU_DEP_2) | instskip(NEXT) | instid1(VALU_DEP_2)
	v_add_f64 v[12:13], v[12:13], v[64:65]
	v_add_f64 v[14:15], v[14:15], v[6:7]
	flat_load_b128 v[6:9], v[31:32] offset:16
	s_waitcnt vmcnt(0) lgkmcnt(0)
	v_mul_f64 v[64:65], v[4:5], v[8:9]
	v_mul_f64 v[8:9], v[2:3], v[8:9]
	s_delay_alu instid0(VALU_DEP_2) | instskip(NEXT) | instid1(VALU_DEP_2)
	v_fma_f64 v[64:65], v[2:3], v[6:7], v[64:65]
	v_fma_f64 v[6:7], v[4:5], v[6:7], -v[8:9]
	s_delay_alu instid0(VALU_DEP_2) | instskip(NEXT) | instid1(VALU_DEP_2)
	v_add_f64 v[16:17], v[16:17], v[64:65]
	v_add_f64 v[18:19], v[18:19], v[6:7]
	;; [unrolled: 10-line block ×3, first 2 shown]
	flat_load_b128 v[6:9], v[58:59] offset:16
	s_waitcnt vmcnt(0) lgkmcnt(0)
	v_mul_f64 v[64:65], v[4:5], v[8:9]
	s_delay_alu instid0(VALU_DEP_1) | instskip(SKIP_1) | instid1(VALU_DEP_2)
	v_fma_f64 v[64:65], v[2:3], v[6:7], v[64:65]
	v_mul_f64 v[2:3], v[2:3], v[8:9]
	v_add_f64 v[60:61], v[60:61], v[64:65]
	s_delay_alu instid0(VALU_DEP_2) | instskip(NEXT) | instid1(VALU_DEP_1)
	v_fma_f64 v[2:3], v[4:5], v[6:7], -v[2:3]
	v_add_f64 v[62:63], v[62:63], v[2:3]
	scratch_load_b128 v[2:5], off, off offset:32
	flat_load_b128 v[6:9], v[10:11] offset:32
	s_waitcnt vmcnt(0) lgkmcnt(0)
	v_mul_f64 v[64:65], v[4:5], v[8:9]
	v_mul_f64 v[8:9], v[2:3], v[8:9]
	s_delay_alu instid0(VALU_DEP_2) | instskip(NEXT) | instid1(VALU_DEP_2)
	v_fma_f64 v[64:65], v[2:3], v[6:7], v[64:65]
	v_fma_f64 v[6:7], v[4:5], v[6:7], -v[8:9]
	s_delay_alu instid0(VALU_DEP_2) | instskip(NEXT) | instid1(VALU_DEP_2)
	v_add_f64 v[12:13], v[12:13], v[64:65]
	v_add_f64 v[14:15], v[14:15], v[6:7]
	flat_load_b128 v[6:9], v[31:32] offset:32
	s_waitcnt vmcnt(0) lgkmcnt(0)
	v_mul_f64 v[64:65], v[4:5], v[8:9]
	v_mul_f64 v[8:9], v[2:3], v[8:9]
	s_delay_alu instid0(VALU_DEP_2) | instskip(NEXT) | instid1(VALU_DEP_2)
	v_fma_f64 v[64:65], v[2:3], v[6:7], v[64:65]
	v_fma_f64 v[6:7], v[4:5], v[6:7], -v[8:9]
	s_delay_alu instid0(VALU_DEP_2) | instskip(NEXT) | instid1(VALU_DEP_2)
	v_add_f64 v[64:65], v[16:17], v[64:65]
	v_add_f64 v[66:67], v[18:19], v[6:7]
	;; [unrolled: 10-line block ×3, first 2 shown]
	flat_load_b128 v[6:9], v[58:59] offset:32
	s_waitcnt vmcnt(0) lgkmcnt(0)
	v_mul_f64 v[16:17], v[4:5], v[8:9]
	s_delay_alu instid0(VALU_DEP_1) | instskip(SKIP_1) | instid1(VALU_DEP_2)
	v_fma_f64 v[16:17], v[2:3], v[6:7], v[16:17]
	v_mul_f64 v[2:3], v[2:3], v[8:9]
	v_add_f64 v[60:61], v[60:61], v[16:17]
	s_delay_alu instid0(VALU_DEP_2) | instskip(NEXT) | instid1(VALU_DEP_1)
	v_fma_f64 v[2:3], v[4:5], v[6:7], -v[2:3]
	v_add_f64 v[62:63], v[62:63], v[2:3]
	scratch_load_b128 v[17:20], off, off offset:48
	flat_load_b128 v[2:5], v[10:11] offset:48
	s_waitcnt vmcnt(0) lgkmcnt(0)
	v_mul_f64 v[6:7], v[19:20], v[4:5]
	v_mul_f64 v[4:5], v[17:18], v[4:5]
	s_delay_alu instid0(VALU_DEP_2) | instskip(NEXT) | instid1(VALU_DEP_2)
	v_fma_f64 v[6:7], v[17:18], v[2:3], v[6:7]
	v_fma_f64 v[2:3], v[19:20], v[2:3], -v[4:5]
	s_delay_alu instid0(VALU_DEP_2)
	v_add_f64 v[7:8], v[12:13], v[6:7]
	flat_load_b128 v[9:12], v[31:32] offset:48
	v_add_f64 v[5:6], v[14:15], v[2:3]
	flat_load_b128 v[13:16], v[52:53] offset:48
	s_waitcnt vmcnt(1) lgkmcnt(1)
	v_mul_f64 v[2:3], v[19:20], v[11:12]
	v_mul_f64 v[11:12], v[17:18], v[11:12]
	s_delay_alu instid0(VALU_DEP_2) | instskip(NEXT) | instid1(VALU_DEP_2)
	v_fma_f64 v[2:3], v[17:18], v[9:10], v[2:3]
	v_fma_f64 v[11:12], v[19:20], v[9:10], -v[11:12]
	s_delay_alu instid0(VALU_DEP_2) | instskip(SKIP_3) | instid1(VALU_DEP_4)
	v_add_f64 v[9:10], v[64:65], v[2:3]
	s_waitcnt vmcnt(0) lgkmcnt(0)
	v_mul_f64 v[2:3], v[19:20], v[15:16]
	v_mul_f64 v[15:16], v[17:18], v[15:16]
	v_add_f64 v[11:12], v[66:67], v[11:12]
	s_delay_alu instid0(VALU_DEP_3) | instskip(NEXT) | instid1(VALU_DEP_3)
	v_fma_f64 v[2:3], v[17:18], v[13:14], v[2:3]
	v_fma_f64 v[15:16], v[19:20], v[13:14], -v[15:16]
	s_delay_alu instid0(VALU_DEP_2) | instskip(SKIP_4) | instid1(VALU_DEP_1)
	v_add_f64 v[13:14], v[54:55], v[2:3]
	flat_load_b128 v[52:55], v[58:59] offset:48
	v_add_f64 v[15:16], v[56:57], v[15:16]
	s_waitcnt vmcnt(0) lgkmcnt(0)
	v_mul_f64 v[2:3], v[19:20], v[54:55]
	v_fma_f64 v[2:3], v[17:18], v[52:53], v[2:3]
	v_mul_f64 v[17:18], v[17:18], v[54:55]
	s_delay_alu instid0(VALU_DEP_1) | instskip(NEXT) | instid1(VALU_DEP_3)
	v_fma_f64 v[19:20], v[19:20], v[52:53], -v[17:18]
	v_add_f64 v[17:18], v[60:61], v[2:3]
	s_delay_alu instid0(VALU_DEP_2)
	v_add_f64 v[19:20], v[62:63], v[19:20]
	s_and_not1_saveexec_b32 s12, s12
	s_cbranch_execz .LBB370_15
.LBB370_41:                             ;   in Loop: Header=BB370_13 Depth=1
	s_waitcnt lgkmcnt(0)
	v_mov_b32_e32 v17, 0
	v_mov_b32_e32 v18, 0
	s_delay_alu instid0(VALU_DEP_2) | instskip(SKIP_2) | instid1(VALU_DEP_4)
	v_mov_b32_e32 v13, v17
	v_mov_b32_e32 v15, v17
	;; [unrolled: 1-line block ×3, first 2 shown]
	v_dual_mov_b32 v11, v17 :: v_dual_mov_b32 v12, v18
	v_dual_mov_b32 v20, v18 :: v_dual_mov_b32 v19, v17
	v_mov_b32_e32 v14, v18
	v_mov_b32_e32 v16, v18
	v_dual_mov_b32 v10, v18 :: v_dual_mov_b32 v7, v17
	v_dual_mov_b32 v8, v18 :: v_dual_mov_b32 v5, v17
	v_mov_b32_e32 v6, v18
	s_and_saveexec_b32 s39, s3
	s_cbranch_execz .LBB370_47
; %bb.42:                               ;   in Loop: Header=BB370_13 Depth=1
	v_mov_b32_e32 v17, 0
	v_mov_b32_e32 v18, 0
	s_delay_alu instid0(VALU_DEP_2) | instskip(SKIP_2) | instid1(VALU_DEP_4)
	v_mov_b32_e32 v13, v17
	v_mov_b32_e32 v15, v17
	;; [unrolled: 1-line block ×3, first 2 shown]
	v_dual_mov_b32 v11, v17 :: v_dual_mov_b32 v12, v18
	v_dual_mov_b32 v20, v18 :: v_dual_mov_b32 v19, v17
	v_mov_b32_e32 v14, v18
	v_mov_b32_e32 v16, v18
	v_dual_mov_b32 v10, v18 :: v_dual_mov_b32 v7, v17
	v_dual_mov_b32 v8, v18 :: v_dual_mov_b32 v5, v17
	v_mov_b32_e32 v6, v18
	s_and_not1_b32 vcc_lo, exec_lo, s34
	s_cbranch_vccnz .LBB370_47
; %bb.43:                               ;   in Loop: Header=BB370_13 Depth=1
	v_mov_b32_e32 v4, 0
	v_mov_b32_e32 v2, v22
	s_mov_b32 s21, s29
.LBB370_44:                             ;   Parent Loop BB370_13 Depth=1
                                        ; =>  This Inner Loop Header: Depth=2
	s_delay_alu instid0(VALU_DEP_1) | instskip(SKIP_1) | instid1(SALU_CYCLE_1)
	v_ashrrev_i32_e32 v3, 31, v2
	s_add_i32 s21, s21, -1
	s_cmp_eq_u32 s21, 0
	s_delay_alu instid0(VALU_DEP_1) | instskip(SKIP_1) | instid1(VALU_DEP_2)
	v_lshlrev_b64 v[5:6], 4, v[2:3]
	v_add_nc_u32_e32 v2, s28, v2
	v_add_co_u32 v5, vcc_lo, s6, v5
	s_delay_alu instid0(VALU_DEP_3)
	v_add_co_ci_u32_e32 v6, vcc_lo, s7, v6, vcc_lo
	flat_load_b128 v[5:8], v[5:6]
	s_waitcnt vmcnt(0) lgkmcnt(0)
	scratch_store_b128 v4, v[5:8], off
	v_add_nc_u32_e32 v4, 16, v4
	s_cbranch_scc0 .LBB370_44
; %bb.45:                               ;   in Loop: Header=BB370_13 Depth=1
	s_ashr_i32 s21, s20, 31
	v_dual_mov_b32 v5, 0 :: v_dual_mov_b32 v4, v51
	v_mov_b32_e32 v6, 0
	s_lshl_b64 s[22:23], s[20:21], 4
	s_mov_b32 s24, s36
	v_add_co_u32 v2, vcc_lo, v33, s22
	v_add_co_ci_u32_e32 v3, vcc_lo, s23, v34, vcc_lo
	v_dual_mov_b32 v8, v6 :: v_dual_mov_b32 v7, v5
	v_dual_mov_b32 v12, v6 :: v_dual_mov_b32 v11, v5
	v_dual_mov_b32 v10, v6 :: v_dual_mov_b32 v9, v5
	v_dual_mov_b32 v16, v6 :: v_dual_mov_b32 v15, v5
	v_dual_mov_b32 v14, v6 :: v_dual_mov_b32 v13, v5
	v_dual_mov_b32 v20, v6 :: v_dual_mov_b32 v19, v5
	v_dual_mov_b32 v18, v6 :: v_dual_mov_b32 v17, v5
	s_mov_b32 s22, s37
	s_mov_b32 s26, s38
	;; [unrolled: 1-line block ×3, first 2 shown]
.LBB370_46:                             ;   Parent Loop BB370_13 Depth=1
                                        ; =>  This Inner Loop Header: Depth=2
	s_ashr_i32 s27, s26, 31
	s_ashr_i32 s25, s24, 31
	s_lshl_b64 s[40:41], s[26:27], 4
	s_lshl_b64 s[42:43], s[24:25], 4
	v_add_co_u32 v31, vcc_lo, v33, s40
	s_ashr_i32 s23, s22, 31
	v_add_co_ci_u32_e32 v32, vcc_lo, s41, v34, vcc_lo
	v_add_co_u32 v64, vcc_lo, v33, s42
	s_lshl_b64 s[44:45], s[22:23], 4
	v_add_co_ci_u32_e32 v65, vcc_lo, s43, v34, vcc_lo
	v_add_co_u32 v68, vcc_lo, v33, s44
	v_add_co_ci_u32_e32 v69, vcc_lo, s45, v34, vcc_lo
	scratch_load_b128 v[52:55], v4, off offset:-8
	flat_load_b128 v[56:59], v[2:3]
	s_clause 0x2
	flat_load_b128 v[60:63], v[31:32]
	flat_load_b128 v[64:67], v[64:65]
	;; [unrolled: 1-line block ×3, first 2 shown]
	v_add_co_u32 v2, vcc_lo, v2, 16
	v_add_nc_u32_e32 v4, 16, v4
	v_add_co_ci_u32_e32 v3, vcc_lo, 0, v3, vcc_lo
	s_add_i32 s21, s21, -1
	s_add_i32 s26, s26, 1
	s_add_i32 s24, s24, 1
	;; [unrolled: 1-line block ×3, first 2 shown]
	s_cmp_lg_u32 s21, 0
	s_waitcnt vmcnt(2) lgkmcnt(2)
	v_mul_f64 v[72:73], v[54:55], v[62:63]
	v_mul_f64 v[31:32], v[54:55], v[58:59]
	;; [unrolled: 1-line block ×4, first 2 shown]
	s_waitcnt vmcnt(1) lgkmcnt(1)
	v_mul_f64 v[74:75], v[54:55], v[66:67]
	v_mul_f64 v[66:67], v[52:53], v[66:67]
	s_waitcnt vmcnt(0) lgkmcnt(0)
	v_mul_f64 v[76:77], v[54:55], v[70:71]
	v_mul_f64 v[70:71], v[52:53], v[70:71]
	v_fma_f64 v[31:32], v[52:53], v[56:57], v[31:32]
	v_fma_f64 v[56:57], v[54:55], v[56:57], -v[58:59]
	v_fma_f64 v[58:59], v[52:53], v[60:61], v[72:73]
	v_fma_f64 v[60:61], v[54:55], v[60:61], -v[62:63]
	;; [unrolled: 2-line block ×4, first 2 shown]
	v_add_f64 v[7:8], v[7:8], v[31:32]
	v_add_f64 v[5:6], v[5:6], v[56:57]
	;; [unrolled: 1-line block ×8, first 2 shown]
	s_cbranch_scc1 .LBB370_46
.LBB370_47:                             ;   in Loop: Header=BB370_13 Depth=1
	s_or_b32 exec_lo, exec_lo, s39
	s_delay_alu instid0(SALU_CYCLE_1)
	s_or_b32 exec_lo, exec_lo, s12
	s_and_saveexec_b32 s12, s0
	s_cbranch_execnz .LBB370_16
	s_branch .LBB370_17
.LBB370_48:                             ;   in Loop: Header=BB370_13 Depth=1
	ds_load_b128 v[5:8], v49
	s_or_b32 exec_lo, exec_lo, s12
	s_and_saveexec_b32 s12, s0
	s_cbranch_execz .LBB370_21
.LBB370_49:                             ;   in Loop: Header=BB370_13 Depth=1
	s_waitcnt lgkmcnt(0)
	ds_bpermute_b32 v2, v46, v5
	ds_bpermute_b32 v3, v46, v6
	ds_bpermute_b32 v31, v46, v7
	ds_bpermute_b32 v32, v46, v8
	s_waitcnt lgkmcnt(2)
	v_add_f64 v[2:3], v[5:6], v[2:3]
	s_waitcnt lgkmcnt(0)
	v_add_f64 v[4:5], v[7:8], v[31:32]
	ds_bpermute_b32 v6, v47, v2
	ds_bpermute_b32 v7, v47, v3
	ds_bpermute_b32 v31, v47, v4
	ds_bpermute_b32 v32, v47, v5
	s_waitcnt lgkmcnt(2)
	v_add_f64 v[2:3], v[2:3], v[6:7]
	s_waitcnt lgkmcnt(0)
	v_add_f64 v[7:8], v[4:5], v[31:32]
	;; [unrolled: 8-line block ×3, first 2 shown]
	s_or_b32 exec_lo, exec_lo, s12
	s_and_saveexec_b32 s12, s0
	s_cbranch_execnz .LBB370_22
	s_branch .LBB370_23
.LBB370_50:                             ;   in Loop: Header=BB370_13 Depth=1
	ds_load_b128 v[9:12], v49
	s_or_b32 exec_lo, exec_lo, s12
	s_and_saveexec_b32 s12, s0
	s_cbranch_execz .LBB370_27
.LBB370_51:                             ;   in Loop: Header=BB370_13 Depth=1
	s_waitcnt lgkmcnt(0)
	ds_bpermute_b32 v2, v46, v9
	ds_bpermute_b32 v3, v46, v10
	ds_bpermute_b32 v31, v46, v11
	ds_bpermute_b32 v32, v46, v12
	s_waitcnt lgkmcnt(2)
	v_add_f64 v[2:3], v[9:10], v[2:3]
	s_waitcnt lgkmcnt(0)
	v_add_f64 v[9:10], v[11:12], v[31:32]
	ds_bpermute_b32 v11, v47, v2
	ds_bpermute_b32 v12, v47, v3
	ds_bpermute_b32 v31, v47, v9
	ds_bpermute_b32 v32, v47, v10
	s_waitcnt lgkmcnt(2)
	v_add_f64 v[2:3], v[2:3], v[11:12]
	s_waitcnt lgkmcnt(0)
	v_add_f64 v[11:12], v[9:10], v[31:32]
	;; [unrolled: 8-line block ×3, first 2 shown]
	s_or_b32 exec_lo, exec_lo, s12
	s_and_saveexec_b32 s12, s0
	s_cbranch_execnz .LBB370_28
	s_branch .LBB370_29
.LBB370_52:                             ;   in Loop: Header=BB370_13 Depth=1
	ds_load_b128 v[13:16], v49
	s_or_b32 exec_lo, exec_lo, s12
	s_and_saveexec_b32 s12, s0
	s_cbranch_execz .LBB370_33
.LBB370_53:                             ;   in Loop: Header=BB370_13 Depth=1
	s_waitcnt lgkmcnt(0)
	ds_bpermute_b32 v2, v46, v13
	ds_bpermute_b32 v3, v46, v14
	ds_bpermute_b32 v31, v46, v15
	ds_bpermute_b32 v32, v46, v16
	s_waitcnt lgkmcnt(2)
	v_add_f64 v[2:3], v[13:14], v[2:3]
	s_waitcnt lgkmcnt(0)
	v_add_f64 v[13:14], v[15:16], v[31:32]
	ds_bpermute_b32 v15, v47, v2
	ds_bpermute_b32 v16, v47, v3
	ds_bpermute_b32 v31, v47, v13
	ds_bpermute_b32 v32, v47, v14
	s_waitcnt lgkmcnt(2)
	v_add_f64 v[2:3], v[2:3], v[15:16]
	s_waitcnt lgkmcnt(0)
	v_add_f64 v[15:16], v[13:14], v[31:32]
	;; [unrolled: 8-line block ×3, first 2 shown]
	s_or_b32 exec_lo, exec_lo, s12
	s_and_saveexec_b32 s12, s0
	s_cbranch_execnz .LBB370_34
	s_branch .LBB370_35
.LBB370_54:                             ;   in Loop: Header=BB370_13 Depth=1
	ds_load_b128 v[17:20], v49
	s_or_b32 exec_lo, exec_lo, s12
	s_and_saveexec_b32 s12, s0
	s_cbranch_execz .LBB370_39
.LBB370_55:                             ;   in Loop: Header=BB370_13 Depth=1
	s_waitcnt lgkmcnt(0)
	ds_bpermute_b32 v2, v46, v17
	ds_bpermute_b32 v3, v46, v18
	ds_bpermute_b32 v31, v46, v19
	ds_bpermute_b32 v32, v46, v20
	s_waitcnt lgkmcnt(2)
	v_add_f64 v[2:3], v[17:18], v[2:3]
	s_waitcnt lgkmcnt(0)
	v_add_f64 v[17:18], v[19:20], v[31:32]
	ds_bpermute_b32 v19, v47, v2
	ds_bpermute_b32 v20, v47, v3
	ds_bpermute_b32 v31, v47, v17
	ds_bpermute_b32 v32, v47, v18
	s_waitcnt lgkmcnt(2)
	v_add_f64 v[2:3], v[2:3], v[19:20]
	s_waitcnt lgkmcnt(0)
	v_add_f64 v[19:20], v[17:18], v[31:32]
	;; [unrolled: 8-line block ×3, first 2 shown]
	s_or_b32 exec_lo, exec_lo, s12
	s_and_saveexec_b32 s21, s5
	s_cbranch_execz .LBB370_12
.LBB370_56:                             ;   in Loop: Header=BB370_13 Depth=1
	v_mul_f64 v[2:3], s[18:19], v[7:8]
	v_mul_f64 v[7:8], s[16:17], v[7:8]
	;; [unrolled: 1-line block ×6, first 2 shown]
	s_waitcnt lgkmcnt(0)
	v_mul_f64 v[54:55], s[18:19], v[19:20]
	v_mul_f64 v[19:20], s[16:17], v[19:20]
	s_mul_i32 s12, s30, s10
	s_delay_alu instid0(SALU_CYCLE_1) | instskip(NEXT) | instid1(SALU_CYCLE_1)
	s_add_i32 s12, s12, s14
	s_lshl_b64 s[22:23], s[12:13], 4
	s_delay_alu instid0(SALU_CYCLE_1) | instskip(SKIP_2) | instid1(SALU_CYCLE_1)
	s_add_u32 s22, s33, s22
	s_addc_u32 s23, s31, s23
	s_add_i32 s12, s12, s10
	s_lshl_b64 s[24:25], s[12:13], 4
	s_delay_alu instid0(SALU_CYCLE_1) | instskip(SKIP_2) | instid1(SALU_CYCLE_1)
	s_add_u32 s24, s33, s24
	s_addc_u32 s25, s31, s25
	s_add_i32 s12, s12, s10
	s_lshl_b64 s[26:27], s[12:13], 4
	s_delay_alu instid0(SALU_CYCLE_1) | instskip(SKIP_2) | instid1(SALU_CYCLE_1)
	s_add_u32 s26, s33, s26
	s_addc_u32 s27, s31, s27
	s_add_i32 s12, s12, s10
	s_lshl_b64 s[40:41], s[12:13], 4
	s_delay_alu instid0(SALU_CYCLE_1)
	s_add_u32 s40, s33, s40
	s_addc_u32 s41, s31, s41
	v_fma_f64 v[2:3], s[16:17], v[5:6], -v[2:3]
	v_fma_f64 v[4:5], s[18:19], v[5:6], v[7:8]
	v_fma_f64 v[6:7], s[16:17], v[9:10], -v[31:32]
	v_fma_f64 v[8:9], s[18:19], v[9:10], v[11:12]
	;; [unrolled: 2-line block ×4, first 2 shown]
	s_clause 0x3
	global_store_b128 v1, v[2:5], s[22:23]
	global_store_b128 v1, v[6:9], s[24:25]
	;; [unrolled: 1-line block ×4, first 2 shown]
	s_branch .LBB370_12
.LBB370_57:
	s_mov_b32 s30, 0
.LBB370_58:
	s_delay_alu instid0(SALU_CYCLE_1)
	s_cmp_ge_i32 s30, s9
	s_cbranch_scc1 .LBB370_80
; %bb.59:
	v_cmp_gt_u32_e64 s1, 16, v41
	v_ashrrev_i32_e32 v22, 31, v21
	v_cmp_gt_u32_e64 s0, 32, v0
	v_cmp_gt_u32_e64 s2, 8, v0
	v_cmp_eq_u32_e64 s3, 0, v0
	v_cndmask_b32_e64 v1, 0, 1, s1
	v_cmp_gt_u32_e64 s1, 24, v41
	v_cmp_ge_i32_e64 s4, s8, v43
	s_cmp_gt_i32 s29, 0
	s_mov_b32 s15, 0
	v_lshlrev_b32_e32 v1, 4, v1
	v_cndmask_b32_e64 v2, 0, 1, s1
	v_cmp_gt_u32_e64 s1, 28, v41
	v_cmp_ge_i32_e32 vcc_lo, s8, v42
	s_cselect_b32 s20, -1, 0
	s_waitcnt lgkmcnt(0)
	v_add_lshl_u32 v18, v1, v41, 2
	v_lshlrev_b32_e32 v2, 3, v2
	v_cndmask_b32_e64 v3, 0, 1, s1
	v_cmp_gt_u32_e64 s1, 30, v41
	v_add_nc_u32_e32 v1, s28, v21
	v_lshlrev_b32_e32 v17, 4, v40
	v_add_lshl_u32 v19, v2, v41, 2
	v_lshlrev_b32_e32 v3, 2, v3
	v_cndmask_b32_e64 v4, 0, 1, s1
	v_cmp_ne_u32_e64 s1, 31, v41
	v_ashrrev_i32_e32 v2, 31, v1
	v_add_nc_u32_e32 v0, s28, v1
	v_add_lshl_u32 v20, v3, v41, 2
	v_lshlrev_b32_e32 v4, 1, v4
	v_add_co_ci_u32_e64 v5, s1, 0, v41, s1
	v_lshlrev_b64 v[7:8], 4, v[1:2]
	v_add_nc_u32_e32 v2, s28, v0
	s_delay_alu instid0(VALU_DEP_4)
	v_add_lshl_u32 v23, v4, v41, 2
	v_lshlrev_b64 v[3:4], 4, v[21:22]
	v_ashrrev_i32_e32 v1, 31, v0
	v_lshlrev_b32_e32 v24, 2, v5
	v_cmp_eq_u32_e64 s1, 0, v40
	v_and_b32_e32 v25, 0x70, v39
	s_lshl_b64 s[12:13], s[14:15], 4
	v_add_co_u32 v5, s5, s6, v3
	v_ashrrev_i32_e32 v3, 31, v2
	v_lshlrev_b64 v[0:1], 4, v[0:1]
	v_add_co_ci_u32_e64 v6, s5, s7, v4, s5
	v_add_co_u32 v7, s5, s6, v7
	s_delay_alu instid0(VALU_DEP_4)
	v_lshlrev_b64 v[2:3], 4, v[2:3]
	v_add_co_ci_u32_e64 v8, s5, s7, v8, s5
	v_add_co_u32 v9, s5, s6, v0
	v_mov_b32_e32 v0, 0
	v_add_co_ci_u32_e64 v10, s5, s7, v1, s5
	v_add_co_u32 v11, s5, s6, v2
	s_delay_alu instid0(VALU_DEP_1)
	v_add_co_ci_u32_e64 v12, s5, s7, v3, s5
	s_add_u32 s8, s33, s12
	s_addc_u32 s5, s31, s13
	s_and_b32 s14, s20, s4
	s_mul_i32 s12, s30, s11
	s_branch .LBB370_61
.LBB370_60:                             ;   in Loop: Header=BB370_61 Depth=1
	s_or_b32 exec_lo, exec_lo, s4
	s_add_i32 s30, s30, 1
	s_add_i32 s12, s12, s11
	s_cmp_lt_i32 s30, s9
	s_cbranch_scc0 .LBB370_80
.LBB370_61:                             ; =>This Loop Header: Depth=1
                                        ;     Child Loop BB370_73 Depth 2
                                        ;     Child Loop BB370_75 Depth 2
                                        ; implicit-def: $vgpr13_vgpr14
                                        ; implicit-def: $vgpr15_vgpr16
	s_and_saveexec_b32 s4, vcc_lo
	s_delay_alu instid0(SALU_CYCLE_1)
	s_xor_b32 s13, exec_lo, s4
	s_cbranch_execnz .LBB370_70
; %bb.62:                               ;   in Loop: Header=BB370_61 Depth=1
	s_and_not1_saveexec_b32 s15, s13
	s_cbranch_execnz .LBB370_71
.LBB370_63:                             ;   in Loop: Header=BB370_61 Depth=1
	s_or_b32 exec_lo, exec_lo, s15
	s_and_saveexec_b32 s4, s0
	s_cbranch_execz .LBB370_65
.LBB370_64:                             ;   in Loop: Header=BB370_61 Depth=1
	s_waitcnt lgkmcnt(0)
	v_mov_b32_e32 v1, v0
	v_mov_b32_e32 v2, v0
	;; [unrolled: 1-line block ×3, first 2 shown]
	ds_store_b128 v17, v[0:3]
.LBB370_65:                             ;   in Loop: Header=BB370_61 Depth=1
	s_or_b32 exec_lo, exec_lo, s4
	s_waitcnt lgkmcnt(0)
	ds_bpermute_b32 v1, v18, v13
	ds_bpermute_b32 v2, v18, v14
	;; [unrolled: 1-line block ×4, first 2 shown]
	s_waitcnt lgkmcnt(0)
	s_waitcnt_vscnt null, 0x0
	s_barrier
	buffer_gl0_inv
	v_add_f64 v[1:2], v[13:14], v[1:2]
	v_add_f64 v[3:4], v[15:16], v[3:4]
	ds_bpermute_b32 v13, v19, v1
	ds_bpermute_b32 v14, v19, v2
	ds_bpermute_b32 v15, v19, v3
	ds_bpermute_b32 v16, v19, v4
	s_waitcnt lgkmcnt(2)
	v_add_f64 v[1:2], v[1:2], v[13:14]
	s_waitcnt lgkmcnt(0)
	v_add_f64 v[3:4], v[3:4], v[15:16]
	ds_bpermute_b32 v13, v20, v1
	ds_bpermute_b32 v14, v20, v2
	ds_bpermute_b32 v15, v20, v3
	ds_bpermute_b32 v16, v20, v4
	s_waitcnt lgkmcnt(2)
	v_add_f64 v[1:2], v[1:2], v[13:14]
	s_waitcnt lgkmcnt(0)
	;; [unrolled: 8-line block ×3, first 2 shown]
	v_add_f64 v[13:14], v[3:4], v[15:16]
	ds_bpermute_b32 v3, v24, v1
	ds_bpermute_b32 v4, v24, v2
	;; [unrolled: 1-line block ×4, first 2 shown]
	s_and_saveexec_b32 s4, s1
	s_cbranch_execz .LBB370_67
; %bb.66:                               ;   in Loop: Header=BB370_61 Depth=1
	s_waitcnt lgkmcnt(0)
	v_add_f64 v[15:16], v[13:14], v[15:16]
	v_add_f64 v[13:14], v[1:2], v[3:4]
	ds_store_b128 v25, v[13:16]
.LBB370_67:                             ;   in Loop: Header=BB370_61 Depth=1
	s_or_b32 exec_lo, exec_lo, s4
	s_waitcnt lgkmcnt(2)
	v_mov_b32_e32 v3, 0
	v_mov_b32_e32 v4, 0
	s_delay_alu instid0(VALU_DEP_2)
	v_mov_b32_e32 v1, v3
	s_waitcnt lgkmcnt(0)
	s_barrier
	buffer_gl0_inv
	v_mov_b32_e32 v2, v4
	s_and_saveexec_b32 s4, s2
	s_cbranch_execnz .LBB370_77
; %bb.68:                               ;   in Loop: Header=BB370_61 Depth=1
	s_or_b32 exec_lo, exec_lo, s4
	s_and_saveexec_b32 s4, s0
	s_cbranch_execnz .LBB370_78
.LBB370_69:                             ;   in Loop: Header=BB370_61 Depth=1
	s_or_b32 exec_lo, exec_lo, s4
	s_and_saveexec_b32 s4, s3
	s_cbranch_execz .LBB370_60
	s_branch .LBB370_79
.LBB370_70:                             ;   in Loop: Header=BB370_61 Depth=1
	s_waitcnt lgkmcnt(0)
	s_clause 0x2
	flat_load_b128 v[1:4], v[7:8]
	flat_load_b128 v[13:16], v[9:10]
	flat_load_b128 v[26:29], v[11:12]
	s_mul_i32 s20, s30, s11
	s_delay_alu instid0(SALU_CYCLE_1) | instskip(NEXT) | instid1(SALU_CYCLE_1)
	s_ashr_i32 s21, s20, 31
	s_lshl_b64 s[20:21], s[20:21], 4
	s_delay_alu instid0(SALU_CYCLE_1) | instskip(NEXT) | instid1(VALU_DEP_1)
	v_add_co_u32 v30, s4, v33, s20
	v_add_co_ci_u32_e64 v31, s4, s21, v34, s4
	flat_load_b128 v[39:42], v[5:6]
	s_clause 0x1
	flat_load_b128 v[43:46], v[30:31]
	flat_load_b128 v[47:50], v[30:31] offset:16
	s_waitcnt vmcnt(5) lgkmcnt(5)
	scratch_store_b128 v35, v[1:4], off
	s_waitcnt vmcnt(4) lgkmcnt(4)
	scratch_store_b128 v36, v[13:16], off
	s_clause 0x1
	scratch_load_b128 v[1:4], off, off offset:16
	scratch_load_b128 v[13:16], off, off offset:32
	s_clause 0x1
	flat_load_b128 v[51:54], v[30:31] offset:32
	flat_load_b128 v[55:58], v[30:31] offset:48
	s_waitcnt vmcnt(7) lgkmcnt(5)
	scratch_store_b128 v37, v[26:29], off
	scratch_load_b128 v[26:29], off, off offset:48
	s_waitcnt vmcnt(7) lgkmcnt(4)
	scratch_store_b128 off, v[39:42], off
	s_waitcnt vmcnt(6) lgkmcnt(3)
	v_mul_f64 v[30:31], v[45:46], v[41:42]
	v_mul_f64 v[45:46], v[45:46], v[39:40]
	s_delay_alu instid0(VALU_DEP_2) | instskip(NEXT) | instid1(VALU_DEP_2)
	v_fma_f64 v[30:31], v[43:44], v[39:40], v[30:31]
	v_fma_f64 v[43:44], v[43:44], v[41:42], -v[45:46]
	s_delay_alu instid0(VALU_DEP_2) | instskip(NEXT) | instid1(VALU_DEP_2)
	v_add_f64 v[30:31], v[30:31], 0
	v_add_f64 v[43:44], v[43:44], 0
	s_waitcnt vmcnt(4) lgkmcnt(2)
	v_mul_f64 v[45:46], v[49:50], v[3:4]
	v_mul_f64 v[49:50], v[49:50], v[1:2]
	s_waitcnt vmcnt(2) lgkmcnt(1)
	v_mul_f64 v[59:60], v[53:54], v[15:16]
	v_mul_f64 v[53:54], v[53:54], v[13:14]
	s_delay_alu instid0(VALU_DEP_4) | instskip(NEXT) | instid1(VALU_DEP_4)
	v_fma_f64 v[1:2], v[47:48], v[1:2], v[45:46]
	v_fma_f64 v[3:4], v[47:48], v[3:4], -v[49:50]
	s_waitcnt vmcnt(0) lgkmcnt(0)
	v_mul_f64 v[45:46], v[57:58], v[28:29]
	v_mul_f64 v[47:48], v[57:58], v[26:27]
	v_fma_f64 v[13:14], v[51:52], v[13:14], v[59:60]
	v_fma_f64 v[15:16], v[51:52], v[15:16], -v[53:54]
	v_add_f64 v[1:2], v[30:31], v[1:2]
	v_add_f64 v[3:4], v[43:44], v[3:4]
	v_fma_f64 v[26:27], v[55:56], v[26:27], v[45:46]
	v_fma_f64 v[28:29], v[55:56], v[28:29], -v[47:48]
	s_delay_alu instid0(VALU_DEP_4) | instskip(NEXT) | instid1(VALU_DEP_4)
	v_add_f64 v[1:2], v[1:2], v[13:14]
	v_add_f64 v[3:4], v[3:4], v[15:16]
	s_delay_alu instid0(VALU_DEP_2) | instskip(NEXT) | instid1(VALU_DEP_2)
	v_add_f64 v[13:14], v[1:2], v[26:27]
	v_add_f64 v[15:16], v[3:4], v[28:29]
	s_and_not1_saveexec_b32 s15, s13
	s_cbranch_execz .LBB370_63
.LBB370_71:                             ;   in Loop: Header=BB370_61 Depth=1
	v_mov_b32_e32 v13, 0
	v_mov_b32_e32 v14, 0
	s_delay_alu instid0(VALU_DEP_1)
	v_dual_mov_b32 v16, v14 :: v_dual_mov_b32 v15, v13
	s_and_saveexec_b32 s20, s14
	s_cbranch_execz .LBB370_76
; %bb.72:                               ;   in Loop: Header=BB370_61 Depth=1
	s_waitcnt lgkmcnt(0)
	v_mov_b32_e32 v3, 0
	v_mov_b32_e32 v1, v21
	s_mov_b32 s13, s29
.LBB370_73:                             ;   Parent Loop BB370_61 Depth=1
                                        ; =>  This Inner Loop Header: Depth=2
	s_delay_alu instid0(VALU_DEP_1) | instskip(SKIP_1) | instid1(SALU_CYCLE_1)
	v_ashrrev_i32_e32 v2, 31, v1
	s_add_i32 s13, s13, -1
	s_cmp_eq_u32 s13, 0
	s_delay_alu instid0(VALU_DEP_1) | instskip(SKIP_1) | instid1(VALU_DEP_2)
	v_lshlrev_b64 v[13:14], 4, v[1:2]
	v_add_nc_u32_e32 v1, s28, v1
	v_add_co_u32 v13, s4, s6, v13
	s_delay_alu instid0(VALU_DEP_1)
	v_add_co_ci_u32_e64 v14, s4, s7, v14, s4
	flat_load_b128 v[13:16], v[13:14]
	s_waitcnt vmcnt(0) lgkmcnt(0)
	scratch_store_b128 v3, v[13:16], off
	v_add_nc_u32_e32 v3, 16, v3
	s_cbranch_scc0 .LBB370_73
; %bb.74:                               ;   in Loop: Header=BB370_61 Depth=1
	s_ashr_i32 s13, s12, 31
	v_mov_b32_e32 v13, 0
	v_dual_mov_b32 v14, 0 :: v_dual_mov_b32 v3, v38
	s_lshl_b64 s[22:23], s[12:13], 4
	s_mov_b32 s13, s29
	v_add_co_u32 v1, s4, v33, s22
	s_delay_alu instid0(VALU_DEP_1)
	v_add_co_ci_u32_e64 v2, s4, s23, v34, s4
	v_dual_mov_b32 v16, v14 :: v_dual_mov_b32 v15, v13
	.p2align	6
.LBB370_75:                             ;   Parent Loop BB370_61 Depth=1
                                        ; =>  This Inner Loop Header: Depth=2
	flat_load_b128 v[26:29], v[1:2]
	scratch_load_b128 v[39:42], v3, off offset:-8
	v_add_co_u32 v1, s4, v1, 16
	v_add_nc_u32_e32 v3, 16, v3
	v_add_co_ci_u32_e64 v2, s4, 0, v2, s4
	s_add_i32 s13, s13, -1
	s_delay_alu instid0(SALU_CYCLE_1) | instskip(SKIP_3) | instid1(VALU_DEP_2)
	s_cmp_lg_u32 s13, 0
	s_waitcnt vmcnt(0) lgkmcnt(0)
	v_mul_f64 v[30:31], v[28:29], v[41:42]
	v_mul_f64 v[28:29], v[28:29], v[39:40]
	v_fma_f64 v[30:31], v[26:27], v[39:40], v[30:31]
	s_delay_alu instid0(VALU_DEP_2) | instskip(NEXT) | instid1(VALU_DEP_2)
	v_fma_f64 v[26:27], v[26:27], v[41:42], -v[28:29]
	v_add_f64 v[13:14], v[13:14], v[30:31]
	s_delay_alu instid0(VALU_DEP_2)
	v_add_f64 v[15:16], v[15:16], v[26:27]
	s_cbranch_scc1 .LBB370_75
.LBB370_76:                             ;   in Loop: Header=BB370_61 Depth=1
	s_or_b32 exec_lo, exec_lo, s20
	s_delay_alu instid0(SALU_CYCLE_1)
	s_or_b32 exec_lo, exec_lo, s15
	s_and_saveexec_b32 s4, s0
	s_cbranch_execnz .LBB370_64
	s_branch .LBB370_65
.LBB370_77:                             ;   in Loop: Header=BB370_61 Depth=1
	ds_load_b128 v[1:4], v17
	s_or_b32 exec_lo, exec_lo, s4
	s_and_saveexec_b32 s4, s0
	s_cbranch_execz .LBB370_69
.LBB370_78:                             ;   in Loop: Header=BB370_61 Depth=1
	s_waitcnt lgkmcnt(0)
	ds_bpermute_b32 v13, v20, v1
	ds_bpermute_b32 v14, v20, v2
	ds_bpermute_b32 v15, v20, v3
	ds_bpermute_b32 v16, v20, v4
	s_waitcnt lgkmcnt(2)
	v_add_f64 v[1:2], v[1:2], v[13:14]
	s_waitcnt lgkmcnt(0)
	v_add_f64 v[3:4], v[3:4], v[15:16]
	ds_bpermute_b32 v13, v23, v1
	ds_bpermute_b32 v14, v23, v2
	ds_bpermute_b32 v15, v23, v3
	ds_bpermute_b32 v16, v23, v4
	s_waitcnt lgkmcnt(2)
	v_add_f64 v[1:2], v[1:2], v[13:14]
	s_waitcnt lgkmcnt(0)
	v_add_f64 v[3:4], v[3:4], v[15:16]
	;; [unrolled: 8-line block ×3, first 2 shown]
	s_or_b32 exec_lo, exec_lo, s4
	s_and_saveexec_b32 s4, s3
	s_cbranch_execz .LBB370_60
.LBB370_79:                             ;   in Loop: Header=BB370_61 Depth=1
	s_waitcnt lgkmcnt(0)
	s_delay_alu instid0(VALU_DEP_1) | instskip(SKIP_3) | instid1(SALU_CYCLE_1)
	v_mul_f64 v[13:14], s[18:19], v[3:4]
	v_mul_f64 v[3:4], s[16:17], v[3:4]
	s_mul_hi_u32 s21, s30, s10
	s_mul_i32 s20, s30, s10
	s_lshl_b64 s[20:21], s[20:21], 4
	s_delay_alu instid0(SALU_CYCLE_1) | instskip(SKIP_1) | instid1(VALU_DEP_2)
	s_add_u32 s20, s8, s20
	s_addc_u32 s21, s5, s21
	v_fma_f64 v[13:14], s[16:17], v[1:2], -v[13:14]
	s_delay_alu instid0(VALU_DEP_2)
	v_fma_f64 v[15:16], s[18:19], v[1:2], v[3:4]
	global_store_b128 v0, v[13:16], s[20:21]
	s_branch .LBB370_60
.LBB370_80:
	s_nop 0
	s_sendmsg sendmsg(MSG_DEALLOC_VGPRS)
	s_endpgm
	.section	.rodata,"a",@progbits
	.p2align	6, 0x0
	.amdhsa_kernel _ZL23rocblas_gemvt_sn_kernelILb1ELi256ELi4EiPK19rocblas_complex_numIdES3_S1_EviiT4_lPKT3_lilS7_lilPT5_i
		.amdhsa_group_segment_fixed_size 512
		.amdhsa_private_segment_fixed_size 80
		.amdhsa_kernarg_size 360
		.amdhsa_user_sgpr_count 14
		.amdhsa_user_sgpr_dispatch_ptr 0
		.amdhsa_user_sgpr_queue_ptr 0
		.amdhsa_user_sgpr_kernarg_segment_ptr 1
		.amdhsa_user_sgpr_dispatch_id 0
		.amdhsa_user_sgpr_private_segment_size 0
		.amdhsa_wavefront_size32 1
		.amdhsa_uses_dynamic_stack 0
		.amdhsa_enable_private_segment 1
		.amdhsa_system_sgpr_workgroup_id_x 1
		.amdhsa_system_sgpr_workgroup_id_y 0
		.amdhsa_system_sgpr_workgroup_id_z 1
		.amdhsa_system_sgpr_workgroup_info 0
		.amdhsa_system_vgpr_workitem_id 0
		.amdhsa_next_free_vgpr 78
		.amdhsa_next_free_sgpr 46
		.amdhsa_reserve_vcc 1
		.amdhsa_float_round_mode_32 0
		.amdhsa_float_round_mode_16_64 0
		.amdhsa_float_denorm_mode_32 3
		.amdhsa_float_denorm_mode_16_64 3
		.amdhsa_dx10_clamp 1
		.amdhsa_ieee_mode 1
		.amdhsa_fp16_overflow 0
		.amdhsa_workgroup_processor_mode 1
		.amdhsa_memory_ordered 1
		.amdhsa_forward_progress 0
		.amdhsa_shared_vgpr_count 0
		.amdhsa_exception_fp_ieee_invalid_op 0
		.amdhsa_exception_fp_denorm_src 0
		.amdhsa_exception_fp_ieee_div_zero 0
		.amdhsa_exception_fp_ieee_overflow 0
		.amdhsa_exception_fp_ieee_underflow 0
		.amdhsa_exception_fp_ieee_inexact 0
		.amdhsa_exception_int_div_zero 0
	.end_amdhsa_kernel
	.section	.text._ZL23rocblas_gemvt_sn_kernelILb1ELi256ELi4EiPK19rocblas_complex_numIdES3_S1_EviiT4_lPKT3_lilS7_lilPT5_i,"axG",@progbits,_ZL23rocblas_gemvt_sn_kernelILb1ELi256ELi4EiPK19rocblas_complex_numIdES3_S1_EviiT4_lPKT3_lilS7_lilPT5_i,comdat
.Lfunc_end370:
	.size	_ZL23rocblas_gemvt_sn_kernelILb1ELi256ELi4EiPK19rocblas_complex_numIdES3_S1_EviiT4_lPKT3_lilS7_lilPT5_i, .Lfunc_end370-_ZL23rocblas_gemvt_sn_kernelILb1ELi256ELi4EiPK19rocblas_complex_numIdES3_S1_EviiT4_lPKT3_lilS7_lilPT5_i
                                        ; -- End function
	.section	.AMDGPU.csdata,"",@progbits
; Kernel info:
; codeLenInByte = 7656
; NumSgprs: 48
; NumVgprs: 78
; ScratchSize: 80
; MemoryBound: 0
; FloatMode: 240
; IeeeMode: 1
; LDSByteSize: 512 bytes/workgroup (compile time only)
; SGPRBlocks: 5
; VGPRBlocks: 9
; NumSGPRsForWavesPerEU: 48
; NumVGPRsForWavesPerEU: 78
; Occupancy: 16
; WaveLimiterHint : 0
; COMPUTE_PGM_RSRC2:SCRATCH_EN: 1
; COMPUTE_PGM_RSRC2:USER_SGPR: 14
; COMPUTE_PGM_RSRC2:TRAP_HANDLER: 0
; COMPUTE_PGM_RSRC2:TGID_X_EN: 1
; COMPUTE_PGM_RSRC2:TGID_Y_EN: 0
; COMPUTE_PGM_RSRC2:TGID_Z_EN: 1
; COMPUTE_PGM_RSRC2:TIDIG_COMP_CNT: 0
	.section	.text._ZL23rocblas_gemvt_sn_kernelILb1ELi256ELi4ElPK19rocblas_complex_numIdES3_S1_EviiT4_lPKT3_lilS7_lilPT5_i,"axG",@progbits,_ZL23rocblas_gemvt_sn_kernelILb1ELi256ELi4ElPK19rocblas_complex_numIdES3_S1_EviiT4_lPKT3_lilS7_lilPT5_i,comdat
	.globl	_ZL23rocblas_gemvt_sn_kernelILb1ELi256ELi4ElPK19rocblas_complex_numIdES3_S1_EviiT4_lPKT3_lilS7_lilPT5_i ; -- Begin function _ZL23rocblas_gemvt_sn_kernelILb1ELi256ELi4ElPK19rocblas_complex_numIdES3_S1_EviiT4_lPKT3_lilS7_lilPT5_i
	.p2align	8
	.type	_ZL23rocblas_gemvt_sn_kernelILb1ELi256ELi4ElPK19rocblas_complex_numIdES3_S1_EviiT4_lPKT3_lilS7_lilPT5_i,@function
_ZL23rocblas_gemvt_sn_kernelILb1ELi256ELi4ElPK19rocblas_complex_numIdES3_S1_EviiT4_lPKT3_lilS7_lilPT5_i: ; @_ZL23rocblas_gemvt_sn_kernelILb1ELi256ELi4ElPK19rocblas_complex_numIdES3_S1_EviiT4_lPKT3_lilS7_lilPT5_i
; %bb.0:
	s_load_b256 s[4:11], s[0:1], 0x8
	s_mov_b32 s22, s15
	s_mov_b32 s23, 0
	s_mov_b64 s[20:21], 0
	s_mov_b64 s[12:13], 0
	s_waitcnt lgkmcnt(0)
	s_mul_i32 s3, s15, s7
	s_mul_hi_u32 s7, s15, s6
	s_mul_i32 s2, s15, s6
	s_add_i32 s3, s7, s3
	s_delay_alu instid0(SALU_CYCLE_1) | instskip(NEXT) | instid1(SALU_CYCLE_1)
	s_lshl_b64 s[2:3], s[2:3], 4
	s_add_u32 s2, s4, s2
	s_addc_u32 s3, s5, s3
	s_load_b128 s[16:19], s[2:3], 0x0
	s_waitcnt lgkmcnt(0)
	v_cmp_neq_f64_e64 s2, s[16:17], 0
	v_cmp_neq_f64_e64 s3, s[18:19], 0
	s_delay_alu instid0(VALU_DEP_1) | instskip(NEXT) | instid1(SALU_CYCLE_1)
	s_or_b32 s2, s2, s3
	s_xor_b32 s3, s2, -1
	s_delay_alu instid0(SALU_CYCLE_1)
	s_and_b32 vcc_lo, exec_lo, s3
	s_cbranch_vccnz .LBB371_2
; %bb.1:
	s_lshl_b64 s[4:5], s[22:23], 3
	s_delay_alu instid0(SALU_CYCLE_1)
	s_add_u32 s4, s8, s4
	s_addc_u32 s5, s9, s5
	s_lshl_b64 s[6:7], s[10:11], 4
	s_load_b64 s[4:5], s[4:5], 0x0
	s_waitcnt lgkmcnt(0)
	s_add_u32 s12, s4, s6
	s_addc_u32 s13, s5, s7
.LBB371_2:
	s_and_not1_b32 vcc_lo, exec_lo, s2
	s_cbranch_vccnz .LBB371_4
; %bb.3:
	s_load_b128 s[4:7], s[0:1], 0x38
	s_lshl_b64 s[8:9], s[22:23], 3
	s_waitcnt lgkmcnt(0)
	s_add_u32 s4, s4, s8
	s_addc_u32 s5, s5, s9
	s_lshl_b64 s[6:7], s[6:7], 4
	s_load_b64 s[4:5], s[4:5], 0x0
	s_waitcnt lgkmcnt(0)
	s_add_u32 s20, s4, s6
	s_addc_u32 s21, s5, s7
.LBB371_4:
	s_clause 0x2
	s_load_b64 s[6:7], s[0:1], 0x0
	s_load_b32 s8, s[0:1], 0x68
	s_load_b64 s[4:5], s[0:1], 0x58
	s_and_not1_b32 vcc_lo, exec_lo, s3
	v_cmp_eq_u32_e64 s2, 0, v0
	s_mov_b32 s9, 0
	s_waitcnt lgkmcnt(0)
	s_ashr_i32 s26, s7, 31
	s_mul_hi_u32 s3, s7, s22
	s_mul_i32 s10, s26, s22
	s_mul_i32 s11, s7, s22
	s_add_i32 s3, s3, s10
	s_mul_hi_u32 s10, s11, s8
	s_mul_i32 s3, s3, s8
	s_mul_i32 s24, s11, s8
	s_add_i32 s25, s10, s3
	s_mov_b32 s3, -1
	s_cbranch_vccnz .LBB371_9
; %bb.5:
	s_cmp_gt_i32 s7, 0
	s_cselect_b32 s3, -1, 0
	s_delay_alu instid0(SALU_CYCLE_1) | instskip(NEXT) | instid1(SALU_CYCLE_1)
	s_and_b32 s2, s2, s3
	s_and_saveexec_b32 s22, s2
	s_cbranch_execz .LBB371_8
; %bb.6:
	s_mov_b32 s15, 0
	v_mov_b32_e32 v1, 0
	s_lshl_b64 s[2:3], s[24:25], 4
	s_lshl_b64 s[10:11], s[14:15], 4
	s_delay_alu instid0(SALU_CYCLE_1)
	s_add_u32 s2, s2, s10
	s_addc_u32 s3, s3, s11
	s_add_u32 s2, s2, s4
	v_mov_b32_e32 v2, v1
	v_mov_b32_e32 v3, v1
	;; [unrolled: 1-line block ×3, first 2 shown]
	s_addc_u32 s3, s3, s5
	s_add_u32 s2, s2, 8
	s_addc_u32 s3, s3, 0
	s_lshl_b64 s[10:11], s[8:9], 4
	s_mov_b32 s9, s7
.LBB371_7:                              ; =>This Inner Loop Header: Depth=1
	s_delay_alu instid0(SALU_CYCLE_1)
	s_add_i32 s9, s9, -1
	global_store_b128 v1, v[1:4], s[2:3] offset:-8
	s_add_u32 s2, s2, s10
	s_addc_u32 s3, s3, s11
	s_cmp_eq_u32 s9, 0
	s_cbranch_scc0 .LBB371_7
.LBB371_8:
	s_or_b32 exec_lo, exec_lo, s22
	s_mov_b32 s3, 0
.LBB371_9:
	s_delay_alu instid0(SALU_CYCLE_1)
	s_and_not1_b32 vcc_lo, exec_lo, s3
	s_cbranch_vccnz .LBB371_80
; %bb.10:
	s_clause 0x1
	s_load_b32 s10, s[0:1], 0x28
	s_load_b32 s22, s[0:1], 0x48
	s_lshl_b64 s[2:3], s[24:25], 4
	v_and_b32_e32 v44, 31, v0
	v_cmp_gt_u32_e64 s0, 32, v0
	v_mbcnt_lo_u32_b32 v46, -1, 0
	v_cmp_gt_u32_e64 s1, 8, v0
	v_lshrrev_b32_e32 v45, 1, v0
	v_add_nc_u32_e64 v38, 0, 16
	v_add_nc_u32_e64 v39, 0, 32
	;; [unrolled: 1-line block ×3, first 2 shown]
	v_or_b32_e64 v41, 0, 8
	s_waitcnt lgkmcnt(0)
	s_ashr_i32 s11, s10, 31
	s_ashr_i32 s23, s22, 31
	s_add_u32 s30, s4, s2
	s_addc_u32 s31, s5, s3
	s_lshl_b32 s2, s14, 10
	s_ashr_i32 s3, s6, 31
	v_lshl_or_b32 v25, v0, 2, s2
	s_lshr_b32 s2, s26, 30
	s_lshr_b32 s3, s3, 30
	s_add_i32 s2, s7, s2
	s_add_i32 s3, s6, s3
	v_ashrrev_i32_e32 v26, 31, v25
	s_and_b32 s33, s2, -4
	s_and_b32 s2, s3, -4
	v_add_nc_u32_e32 v48, 4, v25
	s_sub_i32 s9, s6, s2
	v_lshlrev_b64 v[23:24], 4, v[25:26]
	v_or_b32_e32 v47, 1, v25
	v_or_b32_e32 v43, 2, v25
	;; [unrolled: 1-line block ×3, first 2 shown]
	v_add_nc_u32_e32 v49, s9, v25
	s_cmp_lt_i32 s33, 1
	v_add_co_u32 v21, vcc_lo, s12, v23
	v_add_co_ci_u32_e32 v22, vcc_lo, s13, v24, vcc_lo
	s_cbranch_scc1 .LBB371_57
; %bb.11:
	v_cmp_gt_u32_e32 vcc_lo, 16, v46
	v_mad_i64_i32 v[7:8], null, s22, v42, 0
	s_mov_b32 s15, 0
	s_cmp_gt_i32 s9, 0
	v_cndmask_b32_e64 v1, 0, 1, vcc_lo
	v_cmp_gt_u32_e32 vcc_lo, 24, v46
	v_cmp_ge_i32_e64 s2, s6, v48
	v_cmp_ge_i32_e64 s3, s6, v49
	s_cselect_b32 s34, -1, 0
	v_lshlrev_b32_e32 v1, 4, v1
	v_cndmask_b32_e64 v2, 0, 1, vcc_lo
	v_cmp_gt_u32_e32 vcc_lo, 28, v46
	v_cmp_eq_u32_e64 s4, 0, v44
	v_lshlrev_b32_e32 v55, 4, v44
	v_and_b32_e32 v56, 0x70, v45
	v_lshlrev_b32_e32 v2, 3, v2
	v_cndmask_b32_e64 v3, 0, 1, vcc_lo
	v_cmp_gt_u32_e32 vcc_lo, 30, v46
	s_lshl_b64 s[24:25], s[14:15], 4
	v_cmp_eq_u32_e64 s5, 0, v0
	v_add_lshl_u32 v51, v2, v46, 2
	v_lshlrev_b32_e32 v3, 2, v3
	v_cndmask_b32_e64 v4, 0, 1, vcc_lo
	v_cmp_ne_u32_e32 vcc_lo, 31, v46
	v_dual_mov_b32 v35, v22 :: v_dual_mov_b32 v34, v21
	v_add_lshl_u32 v50, v1, v46, 2
	s_delay_alu instid0(VALU_DEP_4) | instskip(SKIP_3) | instid1(VALU_DEP_4)
	v_lshlrev_b32_e32 v4, 1, v4
	v_mad_i64_i32 v[1:2], null, s22, v25, 0
	v_add_co_ci_u32_e32 v5, vcc_lo, 0, v46, vcc_lo
	v_add_lshl_u32 v52, v3, v46, 2
	v_add_lshl_u32 v53, v4, v46, 2
	v_mad_i64_i32 v[3:4], null, s22, v47, 0
	s_delay_alu instid0(VALU_DEP_4)
	v_lshlrev_b32_e32 v54, 2, v5
	v_lshlrev_b64 v[1:2], 4, v[1:2]
	v_mad_i64_i32 v[5:6], null, s22, v43, 0
	v_or_b32_e64 v57, 0, 8
	s_add_u32 s35, s30, s24
	v_lshlrev_b64 v[3:4], 4, v[3:4]
	s_delay_alu instid0(VALU_DEP_4) | instskip(SKIP_2) | instid1(VALU_DEP_4)
	v_add_co_u32 v26, vcc_lo, s20, v1
	v_add_co_ci_u32_e32 v27, vcc_lo, s21, v2, vcc_lo
	v_lshlrev_b64 v[1:2], 4, v[5:6]
	v_add_co_u32 v28, vcc_lo, s20, v3
	v_add_co_ci_u32_e32 v29, vcc_lo, s21, v4, vcc_lo
	v_lshlrev_b64 v[3:4], 4, v[7:8]
	s_delay_alu instid0(VALU_DEP_4) | instskip(SKIP_2) | instid1(VALU_DEP_4)
	v_add_co_u32 v30, vcc_lo, s20, v1
	v_add_co_ci_u32_e32 v31, vcc_lo, s21, v2, vcc_lo
	v_mov_b32_e32 v1, 0
	v_add_co_u32 v32, vcc_lo, s20, v3
	v_add_co_ci_u32_e32 v33, vcc_lo, s21, v4, vcc_lo
	s_addc_u32 s36, s31, s25
	s_lshl_b64 s[24:25], s[22:23], 4
	s_lshl_b64 s[26:27], s[10:11], 6
	;; [unrolled: 1-line block ×3, first 2 shown]
	s_branch .LBB371_13
.LBB371_12:                             ;   in Loop: Header=BB371_13 Depth=1
	s_or_b32 exec_lo, exec_lo, s37
	v_add_co_u32 v34, vcc_lo, v34, s26
	v_add_co_ci_u32_e32 v35, vcc_lo, s27, v35, vcc_lo
	s_add_i32 s15, s15, 4
	s_delay_alu instid0(SALU_CYCLE_1)
	s_cmp_ge_i32 s15, s33
	s_cbranch_scc1 .LBB371_58
.LBB371_13:                             ; =>This Loop Header: Depth=1
                                        ;     Child Loop BB371_44 Depth 2
                                        ;     Child Loop BB371_46 Depth 2
                                        ; implicit-def: $vgpr17_vgpr18
                                        ; implicit-def: $vgpr19_vgpr20
                                        ; implicit-def: $vgpr13_vgpr14
                                        ; implicit-def: $vgpr15_vgpr16
                                        ; implicit-def: $vgpr9_vgpr10
                                        ; implicit-def: $vgpr11_vgpr12
                                        ; implicit-def: $vgpr7_vgpr8
                                        ; implicit-def: $vgpr5_vgpr6
	s_and_saveexec_b32 s37, s2
	s_delay_alu instid0(SALU_CYCLE_1)
	s_xor_b32 s37, exec_lo, s37
	s_cbranch_execnz .LBB371_40
; %bb.14:                               ;   in Loop: Header=BB371_13 Depth=1
	s_and_not1_saveexec_b32 s37, s37
	s_cbranch_execnz .LBB371_41
.LBB371_15:                             ;   in Loop: Header=BB371_13 Depth=1
	s_or_b32 exec_lo, exec_lo, s37
	s_and_saveexec_b32 s37, s0
	s_cbranch_execz .LBB371_17
.LBB371_16:                             ;   in Loop: Header=BB371_13 Depth=1
	v_mov_b32_e32 v2, v1
	v_mov_b32_e32 v3, v1
	;; [unrolled: 1-line block ×3, first 2 shown]
	ds_store_b128 v55, v[1:4]
.LBB371_17:                             ;   in Loop: Header=BB371_13 Depth=1
	s_or_b32 exec_lo, exec_lo, s37
	ds_bpermute_b32 v2, v50, v7
	ds_bpermute_b32 v3, v50, v8
	;; [unrolled: 1-line block ×4, first 2 shown]
	s_waitcnt lgkmcnt(0)
	s_waitcnt_vscnt null, 0x0
	s_barrier
	buffer_gl0_inv
	v_add_f64 v[2:3], v[7:8], v[2:3]
	v_add_f64 v[4:5], v[5:6], v[36:37]
	ds_bpermute_b32 v6, v51, v2
	ds_bpermute_b32 v7, v51, v3
	ds_bpermute_b32 v36, v51, v4
	ds_bpermute_b32 v37, v51, v5
	s_waitcnt lgkmcnt(2)
	v_add_f64 v[2:3], v[2:3], v[6:7]
	s_waitcnt lgkmcnt(0)
	v_add_f64 v[4:5], v[4:5], v[36:37]
	ds_bpermute_b32 v6, v52, v2
	ds_bpermute_b32 v7, v52, v3
	ds_bpermute_b32 v36, v52, v4
	ds_bpermute_b32 v37, v52, v5
	s_waitcnt lgkmcnt(2)
	v_add_f64 v[2:3], v[2:3], v[6:7]
	s_waitcnt lgkmcnt(0)
	;; [unrolled: 8-line block ×3, first 2 shown]
	v_add_f64 v[6:7], v[4:5], v[36:37]
	ds_bpermute_b32 v4, v54, v2
	ds_bpermute_b32 v5, v54, v3
	;; [unrolled: 1-line block ×4, first 2 shown]
	s_and_saveexec_b32 s37, s4
	s_cbranch_execz .LBB371_19
; %bb.18:                               ;   in Loop: Header=BB371_13 Depth=1
	s_waitcnt lgkmcnt(0)
	v_add_f64 v[6:7], v[6:7], v[36:37]
	v_add_f64 v[4:5], v[2:3], v[4:5]
	ds_store_b128 v56, v[4:7]
.LBB371_19:                             ;   in Loop: Header=BB371_13 Depth=1
	s_or_b32 exec_lo, exec_lo, s37
	v_mov_b32_e32 v7, 0
	v_mov_b32_e32 v8, 0
	s_waitcnt lgkmcnt(2)
	s_delay_alu instid0(VALU_DEP_2)
	v_mov_b32_e32 v5, v7
	s_waitcnt lgkmcnt(0)
	s_barrier
	buffer_gl0_inv
	v_mov_b32_e32 v6, v8
	s_and_saveexec_b32 s37, s1
	s_cbranch_execnz .LBB371_48
; %bb.20:                               ;   in Loop: Header=BB371_13 Depth=1
	s_or_b32 exec_lo, exec_lo, s37
	s_and_saveexec_b32 s37, s0
	s_cbranch_execnz .LBB371_49
.LBB371_21:                             ;   in Loop: Header=BB371_13 Depth=1
	s_or_b32 exec_lo, exec_lo, s37
	s_and_saveexec_b32 s37, s0
	s_cbranch_execz .LBB371_23
.LBB371_22:                             ;   in Loop: Header=BB371_13 Depth=1
	v_mov_b32_e32 v2, v1
	v_mov_b32_e32 v3, v1
	;; [unrolled: 1-line block ×3, first 2 shown]
	ds_store_b128 v55, v[1:4]
.LBB371_23:                             ;   in Loop: Header=BB371_13 Depth=1
	s_or_b32 exec_lo, exec_lo, s37
	ds_bpermute_b32 v2, v50, v9
	ds_bpermute_b32 v3, v50, v10
	;; [unrolled: 1-line block ×4, first 2 shown]
	s_waitcnt lgkmcnt(0)
	s_barrier
	buffer_gl0_inv
	v_add_f64 v[2:3], v[9:10], v[2:3]
	v_add_f64 v[9:10], v[11:12], v[36:37]
	ds_bpermute_b32 v11, v51, v2
	ds_bpermute_b32 v12, v51, v3
	ds_bpermute_b32 v36, v51, v9
	ds_bpermute_b32 v37, v51, v10
	s_waitcnt lgkmcnt(2)
	v_add_f64 v[2:3], v[2:3], v[11:12]
	s_waitcnt lgkmcnt(0)
	v_add_f64 v[9:10], v[9:10], v[36:37]
	ds_bpermute_b32 v11, v52, v2
	ds_bpermute_b32 v12, v52, v3
	ds_bpermute_b32 v36, v52, v9
	ds_bpermute_b32 v37, v52, v10
	s_waitcnt lgkmcnt(2)
	v_add_f64 v[2:3], v[2:3], v[11:12]
	s_waitcnt lgkmcnt(0)
	;; [unrolled: 8-line block ×3, first 2 shown]
	v_add_f64 v[11:12], v[9:10], v[36:37]
	ds_bpermute_b32 v9, v54, v2
	ds_bpermute_b32 v10, v54, v3
	;; [unrolled: 1-line block ×4, first 2 shown]
	s_and_saveexec_b32 s37, s4
	s_cbranch_execz .LBB371_25
; %bb.24:                               ;   in Loop: Header=BB371_13 Depth=1
	s_waitcnt lgkmcnt(0)
	v_add_f64 v[11:12], v[11:12], v[36:37]
	v_add_f64 v[9:10], v[2:3], v[9:10]
	ds_store_b128 v56, v[9:12]
.LBB371_25:                             ;   in Loop: Header=BB371_13 Depth=1
	s_or_b32 exec_lo, exec_lo, s37
	v_mov_b32_e32 v11, 0
	v_mov_b32_e32 v12, 0
	s_waitcnt lgkmcnt(2)
	s_delay_alu instid0(VALU_DEP_2)
	v_mov_b32_e32 v9, v11
	s_waitcnt lgkmcnt(0)
	s_barrier
	buffer_gl0_inv
	v_mov_b32_e32 v10, v12
	s_and_saveexec_b32 s37, s1
	s_cbranch_execnz .LBB371_50
; %bb.26:                               ;   in Loop: Header=BB371_13 Depth=1
	s_or_b32 exec_lo, exec_lo, s37
	s_and_saveexec_b32 s37, s0
	s_cbranch_execnz .LBB371_51
.LBB371_27:                             ;   in Loop: Header=BB371_13 Depth=1
	s_or_b32 exec_lo, exec_lo, s37
	s_and_saveexec_b32 s37, s0
	s_cbranch_execz .LBB371_29
.LBB371_28:                             ;   in Loop: Header=BB371_13 Depth=1
	v_mov_b32_e32 v2, v1
	v_mov_b32_e32 v3, v1
	;; [unrolled: 1-line block ×3, first 2 shown]
	ds_store_b128 v55, v[1:4]
.LBB371_29:                             ;   in Loop: Header=BB371_13 Depth=1
	s_or_b32 exec_lo, exec_lo, s37
	ds_bpermute_b32 v2, v50, v13
	ds_bpermute_b32 v3, v50, v14
	;; [unrolled: 1-line block ×4, first 2 shown]
	s_waitcnt lgkmcnt(0)
	s_barrier
	buffer_gl0_inv
	v_add_f64 v[2:3], v[13:14], v[2:3]
	v_add_f64 v[13:14], v[15:16], v[36:37]
	ds_bpermute_b32 v15, v51, v2
	ds_bpermute_b32 v16, v51, v3
	ds_bpermute_b32 v36, v51, v13
	ds_bpermute_b32 v37, v51, v14
	s_waitcnt lgkmcnt(2)
	v_add_f64 v[2:3], v[2:3], v[15:16]
	s_waitcnt lgkmcnt(0)
	v_add_f64 v[13:14], v[13:14], v[36:37]
	ds_bpermute_b32 v15, v52, v2
	ds_bpermute_b32 v16, v52, v3
	ds_bpermute_b32 v36, v52, v13
	ds_bpermute_b32 v37, v52, v14
	s_waitcnt lgkmcnt(2)
	v_add_f64 v[2:3], v[2:3], v[15:16]
	s_waitcnt lgkmcnt(0)
	;; [unrolled: 8-line block ×3, first 2 shown]
	v_add_f64 v[15:16], v[13:14], v[36:37]
	ds_bpermute_b32 v13, v54, v2
	ds_bpermute_b32 v14, v54, v3
	;; [unrolled: 1-line block ×4, first 2 shown]
	s_and_saveexec_b32 s37, s4
	s_cbranch_execz .LBB371_31
; %bb.30:                               ;   in Loop: Header=BB371_13 Depth=1
	s_waitcnt lgkmcnt(0)
	v_add_f64 v[15:16], v[15:16], v[36:37]
	v_add_f64 v[13:14], v[2:3], v[13:14]
	ds_store_b128 v56, v[13:16]
.LBB371_31:                             ;   in Loop: Header=BB371_13 Depth=1
	s_or_b32 exec_lo, exec_lo, s37
	v_mov_b32_e32 v15, 0
	v_mov_b32_e32 v16, 0
	s_waitcnt lgkmcnt(2)
	s_delay_alu instid0(VALU_DEP_2)
	v_mov_b32_e32 v13, v15
	s_waitcnt lgkmcnt(0)
	s_barrier
	buffer_gl0_inv
	v_mov_b32_e32 v14, v16
	s_and_saveexec_b32 s37, s1
	s_cbranch_execnz .LBB371_52
; %bb.32:                               ;   in Loop: Header=BB371_13 Depth=1
	s_or_b32 exec_lo, exec_lo, s37
	s_and_saveexec_b32 s37, s0
	s_cbranch_execnz .LBB371_53
.LBB371_33:                             ;   in Loop: Header=BB371_13 Depth=1
	s_or_b32 exec_lo, exec_lo, s37
	s_and_saveexec_b32 s37, s0
	s_cbranch_execz .LBB371_35
.LBB371_34:                             ;   in Loop: Header=BB371_13 Depth=1
	v_mov_b32_e32 v2, v1
	v_mov_b32_e32 v3, v1
	;; [unrolled: 1-line block ×3, first 2 shown]
	ds_store_b128 v55, v[1:4]
.LBB371_35:                             ;   in Loop: Header=BB371_13 Depth=1
	s_or_b32 exec_lo, exec_lo, s37
	ds_bpermute_b32 v2, v50, v17
	ds_bpermute_b32 v3, v50, v18
	;; [unrolled: 1-line block ×4, first 2 shown]
	s_waitcnt lgkmcnt(0)
	s_barrier
	buffer_gl0_inv
	v_add_f64 v[2:3], v[17:18], v[2:3]
	v_add_f64 v[17:18], v[19:20], v[36:37]
	ds_bpermute_b32 v19, v51, v2
	ds_bpermute_b32 v20, v51, v3
	ds_bpermute_b32 v36, v51, v17
	ds_bpermute_b32 v37, v51, v18
	s_waitcnt lgkmcnt(2)
	v_add_f64 v[2:3], v[2:3], v[19:20]
	s_waitcnt lgkmcnt(0)
	v_add_f64 v[17:18], v[17:18], v[36:37]
	ds_bpermute_b32 v19, v52, v2
	ds_bpermute_b32 v20, v52, v3
	ds_bpermute_b32 v36, v52, v17
	ds_bpermute_b32 v37, v52, v18
	s_waitcnt lgkmcnt(2)
	v_add_f64 v[2:3], v[2:3], v[19:20]
	s_waitcnt lgkmcnt(0)
	;; [unrolled: 8-line block ×3, first 2 shown]
	v_add_f64 v[19:20], v[17:18], v[36:37]
	ds_bpermute_b32 v17, v54, v2
	ds_bpermute_b32 v18, v54, v3
	;; [unrolled: 1-line block ×4, first 2 shown]
	s_and_saveexec_b32 s37, s4
	s_cbranch_execz .LBB371_37
; %bb.36:                               ;   in Loop: Header=BB371_13 Depth=1
	s_waitcnt lgkmcnt(0)
	v_add_f64 v[19:20], v[19:20], v[36:37]
	v_add_f64 v[17:18], v[2:3], v[17:18]
	ds_store_b128 v56, v[17:20]
.LBB371_37:                             ;   in Loop: Header=BB371_13 Depth=1
	s_or_b32 exec_lo, exec_lo, s37
	v_mov_b32_e32 v19, 0
	v_mov_b32_e32 v20, 0
	s_waitcnt lgkmcnt(2)
	s_delay_alu instid0(VALU_DEP_2)
	v_mov_b32_e32 v17, v19
	s_waitcnt lgkmcnt(0)
	s_barrier
	buffer_gl0_inv
	v_mov_b32_e32 v18, v20
	s_and_saveexec_b32 s37, s1
	s_cbranch_execnz .LBB371_54
; %bb.38:                               ;   in Loop: Header=BB371_13 Depth=1
	s_or_b32 exec_lo, exec_lo, s37
	s_and_saveexec_b32 s37, s0
	s_cbranch_execnz .LBB371_55
.LBB371_39:                             ;   in Loop: Header=BB371_13 Depth=1
	s_or_b32 exec_lo, exec_lo, s37
	s_and_saveexec_b32 s37, s5
	s_cbranch_execz .LBB371_12
	s_branch .LBB371_56
.LBB371_40:                             ;   in Loop: Header=BB371_13 Depth=1
	s_clause 0x1
	flat_load_b128 v[2:5], v[26:27]
	flat_load_b128 v[6:9], v[28:29]
	s_mul_i32 s38, s15, s11
	s_mul_hi_u32 s39, s15, s10
	s_delay_alu instid0(SALU_CYCLE_1) | instskip(SKIP_1) | instid1(SALU_CYCLE_1)
	s_add_i32 s39, s39, s38
	s_mul_i32 s38, s15, s10
	s_lshl_b64 s[38:39], s[38:39], 4
	s_delay_alu instid0(SALU_CYCLE_1) | instskip(SKIP_2) | instid1(SALU_CYCLE_1)
	v_add_co_u32 v10, vcc_lo, v21, s38
	v_add_co_ci_u32_e32 v11, vcc_lo, s39, v22, vcc_lo
	s_or_b32 s38, s15, 1
	s_mul_i32 s39, s38, s11
	s_mul_hi_u32 s40, s38, s10
	s_mul_i32 s38, s38, s10
	s_add_i32 s39, s40, s39
	s_delay_alu instid0(SALU_CYCLE_1) | instskip(NEXT) | instid1(SALU_CYCLE_1)
	s_lshl_b64 s[38:39], s[38:39], 4
	v_add_co_u32 v36, vcc_lo, v21, s38
	v_add_co_ci_u32_e32 v37, vcc_lo, s39, v22, vcc_lo
	s_or_b32 s38, s15, 2
	s_delay_alu instid0(SALU_CYCLE_1) | instskip(SKIP_3) | instid1(SALU_CYCLE_1)
	s_mul_i32 s39, s38, s11
	s_mul_hi_u32 s40, s38, s10
	s_mul_i32 s38, s38, s10
	s_add_i32 s39, s40, s39
	s_lshl_b64 s[38:39], s[38:39], 4
	s_delay_alu instid0(SALU_CYCLE_1) | instskip(SKIP_2) | instid1(SALU_CYCLE_1)
	v_add_co_u32 v58, vcc_lo, v21, s38
	v_add_co_ci_u32_e32 v59, vcc_lo, s39, v22, vcc_lo
	s_or_b32 s38, s15, 3
	s_mul_i32 s39, s38, s11
	s_mul_hi_u32 s40, s38, s10
	s_mul_i32 s38, s38, s10
	s_add_i32 s39, s40, s39
	s_delay_alu instid0(SALU_CYCLE_1) | instskip(NEXT) | instid1(SALU_CYCLE_1)
	s_lshl_b64 s[38:39], s[38:39], 4
	v_add_co_u32 v64, vcc_lo, v21, s38
	v_add_co_ci_u32_e32 v65, vcc_lo, s39, v22, vcc_lo
	s_waitcnt vmcnt(1) lgkmcnt(1)
	scratch_store_b128 off, v[2:5], off
	s_waitcnt vmcnt(0) lgkmcnt(0)
	scratch_store_b128 v38, v[6:9], off
	flat_load_b128 v[6:9], v[30:31]
	s_waitcnt vmcnt(0) lgkmcnt(0)
	scratch_store_b128 v39, v[6:9], off
	flat_load_b128 v[6:9], v[32:33]
	s_waitcnt vmcnt(0) lgkmcnt(0)
	scratch_store_b128 v40, v[6:9], off
	flat_load_b128 v[6:9], v[10:11]
	s_waitcnt vmcnt(0) lgkmcnt(0)
	v_mul_f64 v[12:13], v[4:5], v[8:9]
	v_mul_f64 v[8:9], v[2:3], v[8:9]
	s_delay_alu instid0(VALU_DEP_2) | instskip(NEXT) | instid1(VALU_DEP_2)
	v_fma_f64 v[12:13], v[2:3], v[6:7], v[12:13]
	v_fma_f64 v[6:7], v[4:5], v[6:7], -v[8:9]
	s_delay_alu instid0(VALU_DEP_2) | instskip(NEXT) | instid1(VALU_DEP_2)
	v_add_f64 v[12:13], v[12:13], 0
	v_add_f64 v[14:15], v[6:7], 0
	flat_load_b128 v[6:9], v[36:37]
	s_waitcnt vmcnt(0) lgkmcnt(0)
	v_mul_f64 v[16:17], v[4:5], v[8:9]
	v_mul_f64 v[8:9], v[2:3], v[8:9]
	s_delay_alu instid0(VALU_DEP_2) | instskip(NEXT) | instid1(VALU_DEP_2)
	v_fma_f64 v[16:17], v[2:3], v[6:7], v[16:17]
	v_fma_f64 v[6:7], v[4:5], v[6:7], -v[8:9]
	s_delay_alu instid0(VALU_DEP_2) | instskip(NEXT) | instid1(VALU_DEP_2)
	v_add_f64 v[16:17], v[16:17], 0
	v_add_f64 v[18:19], v[6:7], 0
	flat_load_b128 v[6:9], v[58:59]
	;; [unrolled: 10-line block ×3, first 2 shown]
	s_waitcnt vmcnt(0) lgkmcnt(0)
	v_mul_f64 v[66:67], v[4:5], v[8:9]
	s_delay_alu instid0(VALU_DEP_1) | instskip(SKIP_1) | instid1(VALU_DEP_2)
	v_fma_f64 v[66:67], v[2:3], v[6:7], v[66:67]
	v_mul_f64 v[2:3], v[2:3], v[8:9]
	v_add_f64 v[66:67], v[66:67], 0
	s_delay_alu instid0(VALU_DEP_2) | instskip(NEXT) | instid1(VALU_DEP_1)
	v_fma_f64 v[2:3], v[4:5], v[6:7], -v[2:3]
	v_add_f64 v[68:69], v[2:3], 0
	scratch_load_b128 v[2:5], off, off offset:16
	flat_load_b128 v[6:9], v[10:11] offset:16
	s_waitcnt vmcnt(0) lgkmcnt(0)
	v_mul_f64 v[70:71], v[4:5], v[8:9]
	v_mul_f64 v[8:9], v[2:3], v[8:9]
	s_delay_alu instid0(VALU_DEP_2) | instskip(NEXT) | instid1(VALU_DEP_2)
	v_fma_f64 v[70:71], v[2:3], v[6:7], v[70:71]
	v_fma_f64 v[6:7], v[4:5], v[6:7], -v[8:9]
	s_delay_alu instid0(VALU_DEP_2) | instskip(NEXT) | instid1(VALU_DEP_2)
	v_add_f64 v[12:13], v[12:13], v[70:71]
	v_add_f64 v[14:15], v[14:15], v[6:7]
	flat_load_b128 v[6:9], v[36:37] offset:16
	s_waitcnt vmcnt(0) lgkmcnt(0)
	v_mul_f64 v[70:71], v[4:5], v[8:9]
	v_mul_f64 v[8:9], v[2:3], v[8:9]
	s_delay_alu instid0(VALU_DEP_2) | instskip(NEXT) | instid1(VALU_DEP_2)
	v_fma_f64 v[70:71], v[2:3], v[6:7], v[70:71]
	v_fma_f64 v[6:7], v[4:5], v[6:7], -v[8:9]
	s_delay_alu instid0(VALU_DEP_2) | instskip(NEXT) | instid1(VALU_DEP_2)
	v_add_f64 v[16:17], v[16:17], v[70:71]
	v_add_f64 v[18:19], v[18:19], v[6:7]
	;; [unrolled: 10-line block ×3, first 2 shown]
	flat_load_b128 v[6:9], v[64:65] offset:16
	s_waitcnt vmcnt(0) lgkmcnt(0)
	v_mul_f64 v[70:71], v[4:5], v[8:9]
	s_delay_alu instid0(VALU_DEP_1) | instskip(SKIP_1) | instid1(VALU_DEP_2)
	v_fma_f64 v[70:71], v[2:3], v[6:7], v[70:71]
	v_mul_f64 v[2:3], v[2:3], v[8:9]
	v_add_f64 v[66:67], v[66:67], v[70:71]
	s_delay_alu instid0(VALU_DEP_2) | instskip(NEXT) | instid1(VALU_DEP_1)
	v_fma_f64 v[2:3], v[4:5], v[6:7], -v[2:3]
	v_add_f64 v[68:69], v[68:69], v[2:3]
	scratch_load_b128 v[2:5], off, off offset:32
	flat_load_b128 v[6:9], v[10:11] offset:32
	s_waitcnt vmcnt(0) lgkmcnt(0)
	v_mul_f64 v[70:71], v[4:5], v[8:9]
	v_mul_f64 v[8:9], v[2:3], v[8:9]
	s_delay_alu instid0(VALU_DEP_2) | instskip(NEXT) | instid1(VALU_DEP_2)
	v_fma_f64 v[70:71], v[2:3], v[6:7], v[70:71]
	v_fma_f64 v[6:7], v[4:5], v[6:7], -v[8:9]
	s_delay_alu instid0(VALU_DEP_2) | instskip(NEXT) | instid1(VALU_DEP_2)
	v_add_f64 v[12:13], v[12:13], v[70:71]
	v_add_f64 v[14:15], v[14:15], v[6:7]
	flat_load_b128 v[6:9], v[36:37] offset:32
	s_waitcnt vmcnt(0) lgkmcnt(0)
	v_mul_f64 v[70:71], v[4:5], v[8:9]
	v_mul_f64 v[8:9], v[2:3], v[8:9]
	s_delay_alu instid0(VALU_DEP_2) | instskip(NEXT) | instid1(VALU_DEP_2)
	v_fma_f64 v[70:71], v[2:3], v[6:7], v[70:71]
	v_fma_f64 v[6:7], v[4:5], v[6:7], -v[8:9]
	s_delay_alu instid0(VALU_DEP_2) | instskip(NEXT) | instid1(VALU_DEP_2)
	v_add_f64 v[70:71], v[16:17], v[70:71]
	v_add_f64 v[72:73], v[18:19], v[6:7]
	;; [unrolled: 10-line block ×3, first 2 shown]
	flat_load_b128 v[6:9], v[64:65] offset:32
	s_waitcnt vmcnt(0) lgkmcnt(0)
	v_mul_f64 v[16:17], v[4:5], v[8:9]
	s_delay_alu instid0(VALU_DEP_1) | instskip(SKIP_1) | instid1(VALU_DEP_2)
	v_fma_f64 v[16:17], v[2:3], v[6:7], v[16:17]
	v_mul_f64 v[2:3], v[2:3], v[8:9]
	v_add_f64 v[66:67], v[66:67], v[16:17]
	s_delay_alu instid0(VALU_DEP_2) | instskip(NEXT) | instid1(VALU_DEP_1)
	v_fma_f64 v[2:3], v[4:5], v[6:7], -v[2:3]
	v_add_f64 v[68:69], v[68:69], v[2:3]
	scratch_load_b128 v[17:20], off, off offset:48
	flat_load_b128 v[2:5], v[10:11] offset:48
	s_waitcnt vmcnt(0) lgkmcnt(0)
	v_mul_f64 v[6:7], v[19:20], v[4:5]
	v_mul_f64 v[4:5], v[17:18], v[4:5]
	s_delay_alu instid0(VALU_DEP_2) | instskip(NEXT) | instid1(VALU_DEP_2)
	v_fma_f64 v[6:7], v[17:18], v[2:3], v[6:7]
	v_fma_f64 v[2:3], v[19:20], v[2:3], -v[4:5]
	s_delay_alu instid0(VALU_DEP_2)
	v_add_f64 v[7:8], v[12:13], v[6:7]
	flat_load_b128 v[9:12], v[36:37] offset:48
	v_add_f64 v[5:6], v[14:15], v[2:3]
	flat_load_b128 v[13:16], v[58:59] offset:48
	s_waitcnt vmcnt(1) lgkmcnt(1)
	v_mul_f64 v[2:3], v[19:20], v[11:12]
	v_mul_f64 v[11:12], v[17:18], v[11:12]
	s_delay_alu instid0(VALU_DEP_2) | instskip(NEXT) | instid1(VALU_DEP_2)
	v_fma_f64 v[2:3], v[17:18], v[9:10], v[2:3]
	v_fma_f64 v[11:12], v[19:20], v[9:10], -v[11:12]
	s_delay_alu instid0(VALU_DEP_2) | instskip(SKIP_3) | instid1(VALU_DEP_4)
	v_add_f64 v[9:10], v[70:71], v[2:3]
	s_waitcnt vmcnt(0) lgkmcnt(0)
	v_mul_f64 v[2:3], v[19:20], v[15:16]
	v_mul_f64 v[15:16], v[17:18], v[15:16]
	v_add_f64 v[11:12], v[72:73], v[11:12]
	s_delay_alu instid0(VALU_DEP_3) | instskip(NEXT) | instid1(VALU_DEP_3)
	v_fma_f64 v[2:3], v[17:18], v[13:14], v[2:3]
	v_fma_f64 v[15:16], v[19:20], v[13:14], -v[15:16]
	s_delay_alu instid0(VALU_DEP_2) | instskip(SKIP_4) | instid1(VALU_DEP_1)
	v_add_f64 v[13:14], v[60:61], v[2:3]
	flat_load_b128 v[58:61], v[64:65] offset:48
	v_add_f64 v[15:16], v[62:63], v[15:16]
	s_waitcnt vmcnt(0) lgkmcnt(0)
	v_mul_f64 v[2:3], v[19:20], v[60:61]
	v_fma_f64 v[2:3], v[17:18], v[58:59], v[2:3]
	v_mul_f64 v[17:18], v[17:18], v[60:61]
	s_delay_alu instid0(VALU_DEP_1) | instskip(NEXT) | instid1(VALU_DEP_3)
	v_fma_f64 v[19:20], v[19:20], v[58:59], -v[17:18]
	v_add_f64 v[17:18], v[66:67], v[2:3]
	s_delay_alu instid0(VALU_DEP_2)
	v_add_f64 v[19:20], v[68:69], v[19:20]
	s_and_not1_saveexec_b32 s37, s37
	s_cbranch_execz .LBB371_15
.LBB371_41:                             ;   in Loop: Header=BB371_13 Depth=1
	s_waitcnt lgkmcnt(0)
	v_mov_b32_e32 v17, 0
	v_mov_b32_e32 v18, 0
	s_delay_alu instid0(VALU_DEP_2) | instskip(SKIP_2) | instid1(VALU_DEP_4)
	v_mov_b32_e32 v13, v17
	v_mov_b32_e32 v15, v17
	;; [unrolled: 1-line block ×3, first 2 shown]
	v_dual_mov_b32 v11, v17 :: v_dual_mov_b32 v12, v18
	v_dual_mov_b32 v20, v18 :: v_dual_mov_b32 v19, v17
	v_mov_b32_e32 v14, v18
	v_mov_b32_e32 v16, v18
	v_dual_mov_b32 v10, v18 :: v_dual_mov_b32 v7, v17
	v_dual_mov_b32 v8, v18 :: v_dual_mov_b32 v5, v17
	v_mov_b32_e32 v6, v18
	s_and_saveexec_b32 s38, s3
	s_cbranch_execz .LBB371_47
; %bb.42:                               ;   in Loop: Header=BB371_13 Depth=1
	v_mov_b32_e32 v17, 0
	v_mov_b32_e32 v18, 0
	s_delay_alu instid0(VALU_DEP_2) | instskip(SKIP_2) | instid1(VALU_DEP_4)
	v_mov_b32_e32 v13, v17
	v_mov_b32_e32 v15, v17
	;; [unrolled: 1-line block ×3, first 2 shown]
	v_dual_mov_b32 v11, v17 :: v_dual_mov_b32 v12, v18
	v_dual_mov_b32 v20, v18 :: v_dual_mov_b32 v19, v17
	v_mov_b32_e32 v14, v18
	v_mov_b32_e32 v16, v18
	v_dual_mov_b32 v10, v18 :: v_dual_mov_b32 v7, v17
	v_dual_mov_b32 v8, v18 :: v_dual_mov_b32 v5, v17
	v_mov_b32_e32 v6, v18
	s_and_not1_b32 vcc_lo, exec_lo, s34
	s_cbranch_vccnz .LBB371_47
; %bb.43:                               ;   in Loop: Header=BB371_13 Depth=1
	v_mov_b32_e32 v2, v26
	v_dual_mov_b32 v4, 0 :: v_dual_mov_b32 v3, v27
	s_mov_b32 s39, s9
.LBB371_44:                             ;   Parent Loop BB371_13 Depth=1
                                        ; =>  This Inner Loop Header: Depth=2
	flat_load_b128 v[5:8], v[2:3]
	v_add_co_u32 v2, vcc_lo, v2, s24
	v_add_co_ci_u32_e32 v3, vcc_lo, s25, v3, vcc_lo
	s_add_i32 s39, s39, -1
	s_delay_alu instid0(SALU_CYCLE_1)
	s_cmp_eq_u32 s39, 0
	s_waitcnt vmcnt(0) lgkmcnt(0)
	scratch_store_b128 v4, v[5:8], off
	v_add_nc_u32_e32 v4, 16, v4
	s_cbranch_scc0 .LBB371_44
; %bb.45:                               ;   in Loop: Header=BB371_13 Depth=1
	v_dual_mov_b32 v5, 0 :: v_dual_mov_b32 v2, v34
	v_dual_mov_b32 v6, 0 :: v_dual_mov_b32 v3, v35
	v_mov_b32_e32 v4, v57
	s_mov_b32 s39, s9
	s_delay_alu instid0(VALU_DEP_2)
	v_dual_mov_b32 v8, v6 :: v_dual_mov_b32 v7, v5
	v_dual_mov_b32 v12, v6 :: v_dual_mov_b32 v11, v5
	;; [unrolled: 1-line block ×7, first 2 shown]
.LBB371_46:                             ;   Parent Loop BB371_13 Depth=1
                                        ; =>  This Inner Loop Header: Depth=2
	v_add_co_u32 v36, vcc_lo, v2, s28
	v_add_co_ci_u32_e32 v37, vcc_lo, s29, v3, vcc_lo
	scratch_load_b128 v[58:61], v4, off offset:-8
	v_add_co_u32 v70, vcc_lo, v36, s28
	v_add_co_ci_u32_e32 v71, vcc_lo, s29, v37, vcc_lo
	flat_load_b128 v[62:65], v[2:3]
	v_add_co_u32 v74, vcc_lo, v70, s28
	v_add_co_ci_u32_e32 v75, vcc_lo, s29, v71, vcc_lo
	v_add_co_u32 v2, vcc_lo, v2, 16
	s_clause 0x2
	flat_load_b128 v[66:69], v[36:37]
	flat_load_b128 v[70:73], v[70:71]
	;; [unrolled: 1-line block ×3, first 2 shown]
	v_add_nc_u32_e32 v4, 16, v4
	v_add_co_ci_u32_e32 v3, vcc_lo, 0, v3, vcc_lo
	s_add_i32 s39, s39, -1
	s_delay_alu instid0(SALU_CYCLE_1)
	s_cmp_lg_u32 s39, 0
	s_waitcnt vmcnt(3) lgkmcnt(3)
	v_mul_f64 v[36:37], v[60:61], v[64:65]
	v_mul_f64 v[64:65], v[58:59], v[64:65]
	s_waitcnt vmcnt(2) lgkmcnt(2)
	v_mul_f64 v[78:79], v[60:61], v[68:69]
	v_mul_f64 v[68:69], v[58:59], v[68:69]
	;; [unrolled: 3-line block ×4, first 2 shown]
	v_fma_f64 v[36:37], v[58:59], v[62:63], v[36:37]
	v_fma_f64 v[62:63], v[60:61], v[62:63], -v[64:65]
	v_fma_f64 v[64:65], v[58:59], v[66:67], v[78:79]
	v_fma_f64 v[66:67], v[60:61], v[66:67], -v[68:69]
	;; [unrolled: 2-line block ×4, first 2 shown]
	v_add_f64 v[7:8], v[7:8], v[36:37]
	v_add_f64 v[5:6], v[5:6], v[62:63]
	;; [unrolled: 1-line block ×8, first 2 shown]
	s_cbranch_scc1 .LBB371_46
.LBB371_47:                             ;   in Loop: Header=BB371_13 Depth=1
	s_or_b32 exec_lo, exec_lo, s38
	s_delay_alu instid0(SALU_CYCLE_1)
	s_or_b32 exec_lo, exec_lo, s37
	s_and_saveexec_b32 s37, s0
	s_cbranch_execnz .LBB371_16
	s_branch .LBB371_17
.LBB371_48:                             ;   in Loop: Header=BB371_13 Depth=1
	ds_load_b128 v[5:8], v55
	s_or_b32 exec_lo, exec_lo, s37
	s_and_saveexec_b32 s37, s0
	s_cbranch_execz .LBB371_21
.LBB371_49:                             ;   in Loop: Header=BB371_13 Depth=1
	s_waitcnt lgkmcnt(0)
	ds_bpermute_b32 v2, v52, v5
	ds_bpermute_b32 v3, v52, v6
	ds_bpermute_b32 v36, v52, v7
	ds_bpermute_b32 v37, v52, v8
	s_waitcnt lgkmcnt(2)
	v_add_f64 v[2:3], v[5:6], v[2:3]
	s_waitcnt lgkmcnt(0)
	v_add_f64 v[4:5], v[7:8], v[36:37]
	ds_bpermute_b32 v6, v53, v2
	ds_bpermute_b32 v7, v53, v3
	ds_bpermute_b32 v36, v53, v4
	ds_bpermute_b32 v37, v53, v5
	s_waitcnt lgkmcnt(2)
	v_add_f64 v[2:3], v[2:3], v[6:7]
	s_waitcnt lgkmcnt(0)
	v_add_f64 v[7:8], v[4:5], v[36:37]
	;; [unrolled: 8-line block ×3, first 2 shown]
	s_or_b32 exec_lo, exec_lo, s37
	s_and_saveexec_b32 s37, s0
	s_cbranch_execnz .LBB371_22
	s_branch .LBB371_23
.LBB371_50:                             ;   in Loop: Header=BB371_13 Depth=1
	ds_load_b128 v[9:12], v55
	s_or_b32 exec_lo, exec_lo, s37
	s_and_saveexec_b32 s37, s0
	s_cbranch_execz .LBB371_27
.LBB371_51:                             ;   in Loop: Header=BB371_13 Depth=1
	s_waitcnt lgkmcnt(0)
	ds_bpermute_b32 v2, v52, v9
	ds_bpermute_b32 v3, v52, v10
	ds_bpermute_b32 v36, v52, v11
	ds_bpermute_b32 v37, v52, v12
	s_waitcnt lgkmcnt(2)
	v_add_f64 v[2:3], v[9:10], v[2:3]
	s_waitcnt lgkmcnt(0)
	v_add_f64 v[9:10], v[11:12], v[36:37]
	ds_bpermute_b32 v11, v53, v2
	ds_bpermute_b32 v12, v53, v3
	ds_bpermute_b32 v36, v53, v9
	ds_bpermute_b32 v37, v53, v10
	s_waitcnt lgkmcnt(2)
	v_add_f64 v[2:3], v[2:3], v[11:12]
	s_waitcnt lgkmcnt(0)
	v_add_f64 v[11:12], v[9:10], v[36:37]
	;; [unrolled: 8-line block ×3, first 2 shown]
	s_or_b32 exec_lo, exec_lo, s37
	s_and_saveexec_b32 s37, s0
	s_cbranch_execnz .LBB371_28
	s_branch .LBB371_29
.LBB371_52:                             ;   in Loop: Header=BB371_13 Depth=1
	ds_load_b128 v[13:16], v55
	s_or_b32 exec_lo, exec_lo, s37
	s_and_saveexec_b32 s37, s0
	s_cbranch_execz .LBB371_33
.LBB371_53:                             ;   in Loop: Header=BB371_13 Depth=1
	s_waitcnt lgkmcnt(0)
	ds_bpermute_b32 v2, v52, v13
	ds_bpermute_b32 v3, v52, v14
	ds_bpermute_b32 v36, v52, v15
	ds_bpermute_b32 v37, v52, v16
	s_waitcnt lgkmcnt(2)
	v_add_f64 v[2:3], v[13:14], v[2:3]
	s_waitcnt lgkmcnt(0)
	v_add_f64 v[13:14], v[15:16], v[36:37]
	ds_bpermute_b32 v15, v53, v2
	ds_bpermute_b32 v16, v53, v3
	ds_bpermute_b32 v36, v53, v13
	ds_bpermute_b32 v37, v53, v14
	s_waitcnt lgkmcnt(2)
	v_add_f64 v[2:3], v[2:3], v[15:16]
	s_waitcnt lgkmcnt(0)
	v_add_f64 v[15:16], v[13:14], v[36:37]
	ds_bpermute_b32 v13, v54, v2
	ds_bpermute_b32 v14, v54, v3
	ds_bpermute_b32 v36, v54, v15
	ds_bpermute_b32 v37, v54, v16
	s_waitcnt lgkmcnt(2)
	v_add_f64 v[13:14], v[2:3], v[13:14]
	s_waitcnt lgkmcnt(0)
	v_add_f64 v[15:16], v[15:16], v[36:37]
	s_or_b32 exec_lo, exec_lo, s37
	s_and_saveexec_b32 s37, s0
	s_cbranch_execnz .LBB371_34
	s_branch .LBB371_35
.LBB371_54:                             ;   in Loop: Header=BB371_13 Depth=1
	ds_load_b128 v[17:20], v55
	s_or_b32 exec_lo, exec_lo, s37
	s_and_saveexec_b32 s37, s0
	s_cbranch_execz .LBB371_39
.LBB371_55:                             ;   in Loop: Header=BB371_13 Depth=1
	s_waitcnt lgkmcnt(0)
	ds_bpermute_b32 v2, v52, v17
	ds_bpermute_b32 v3, v52, v18
	ds_bpermute_b32 v36, v52, v19
	ds_bpermute_b32 v37, v52, v20
	s_waitcnt lgkmcnt(2)
	v_add_f64 v[2:3], v[17:18], v[2:3]
	s_waitcnt lgkmcnt(0)
	v_add_f64 v[17:18], v[19:20], v[36:37]
	ds_bpermute_b32 v19, v53, v2
	ds_bpermute_b32 v20, v53, v3
	ds_bpermute_b32 v36, v53, v17
	ds_bpermute_b32 v37, v53, v18
	s_waitcnt lgkmcnt(2)
	v_add_f64 v[2:3], v[2:3], v[19:20]
	s_waitcnt lgkmcnt(0)
	v_add_f64 v[19:20], v[17:18], v[36:37]
	;; [unrolled: 8-line block ×3, first 2 shown]
	s_or_b32 exec_lo, exec_lo, s37
	s_and_saveexec_b32 s37, s5
	s_cbranch_execz .LBB371_12
.LBB371_56:                             ;   in Loop: Header=BB371_13 Depth=1
	v_mul_f64 v[2:3], s[18:19], v[7:8]
	v_mul_f64 v[7:8], s[16:17], v[7:8]
	;; [unrolled: 1-line block ×6, first 2 shown]
	s_waitcnt lgkmcnt(0)
	v_mul_f64 v[60:61], s[18:19], v[19:20]
	v_mul_f64 v[19:20], s[16:17], v[19:20]
	s_mul_hi_u32 s39, s15, s8
	s_mul_i32 s38, s15, s8
	s_delay_alu instid0(SALU_CYCLE_1) | instskip(NEXT) | instid1(SALU_CYCLE_1)
	s_lshl_b64 s[38:39], s[38:39], 4
	s_add_u32 s38, s35, s38
	s_addc_u32 s39, s36, s39
	s_or_b32 s40, s15, 1
	s_delay_alu instid0(SALU_CYCLE_1) | instskip(SKIP_1) | instid1(SALU_CYCLE_1)
	s_mul_hi_u32 s41, s40, s8
	s_mul_i32 s40, s40, s8
	s_lshl_b64 s[40:41], s[40:41], 4
	s_delay_alu instid0(SALU_CYCLE_1) | instskip(SKIP_2) | instid1(SALU_CYCLE_1)
	s_add_u32 s40, s35, s40
	s_addc_u32 s41, s36, s41
	s_or_b32 s42, s15, 2
	s_mul_hi_u32 s43, s42, s8
	s_mul_i32 s42, s42, s8
	s_delay_alu instid0(SALU_CYCLE_1) | instskip(NEXT) | instid1(SALU_CYCLE_1)
	s_lshl_b64 s[42:43], s[42:43], 4
	s_add_u32 s42, s35, s42
	s_addc_u32 s43, s36, s43
	s_or_b32 s44, s15, 3
	s_delay_alu instid0(SALU_CYCLE_1) | instskip(SKIP_1) | instid1(SALU_CYCLE_1)
	s_mul_hi_u32 s45, s44, s8
	s_mul_i32 s44, s44, s8
	s_lshl_b64 s[44:45], s[44:45], 4
	v_fma_f64 v[2:3], s[16:17], v[5:6], -v[2:3]
	v_fma_f64 v[4:5], s[18:19], v[5:6], v[7:8]
	v_fma_f64 v[6:7], s[16:17], v[9:10], -v[36:37]
	v_fma_f64 v[8:9], s[18:19], v[9:10], v[11:12]
	;; [unrolled: 2-line block ×4, first 2 shown]
	s_add_u32 s44, s35, s44
	s_addc_u32 s45, s36, s45
	s_clause 0x3
	global_store_b128 v1, v[2:5], s[38:39]
	global_store_b128 v1, v[6:9], s[40:41]
	;; [unrolled: 1-line block ×4, first 2 shown]
	s_branch .LBB371_12
.LBB371_57:
	s_mov_b32 s15, 0
.LBB371_58:
	s_delay_alu instid0(SALU_CYCLE_1)
	s_cmp_ge_i32 s15, s7
	s_cbranch_scc1 .LBB371_80
; %bb.59:
	v_cmp_gt_u32_e64 s1, 16, v46
	v_cmp_gt_u32_e64 s0, 32, v0
	v_cmp_gt_u32_e64 s2, 8, v0
	v_cmp_eq_u32_e64 s3, 0, v0
	v_mad_i64_i32 v[7:8], null, s22, v43, 0
	v_cndmask_b32_e64 v1, 0, 1, s1
	v_cmp_gt_u32_e64 s1, 24, v46
	v_mad_i64_i32 v[9:10], null, s22, v42, 0
	s_cmp_gt_i32 s9, 0
	s_delay_alu instid0(VALU_DEP_3) | instskip(NEXT) | instid1(VALU_DEP_3)
	v_lshlrev_b32_e32 v1, 4, v1
	v_cndmask_b32_e64 v2, 0, 1, s1
	v_cmp_gt_u32_e64 s1, 28, v46
	s_mov_b32 s25, 0
	s_mov_b32 s24, s14
	s_waitcnt lgkmcnt(0)
	v_add_lshl_u32 v20, v1, v46, 2
	v_lshlrev_b32_e32 v2, 3, v2
	v_cndmask_b32_e64 v3, 0, 1, s1
	v_cmp_gt_u32_e64 s1, 30, v46
	s_cselect_b32 s26, -1, 0
	s_lshl_b64 s[24:25], s[24:25], 4
	v_add_lshl_u32 v26, v2, v46, 2
	v_lshlrev_b32_e32 v3, 2, v3
	v_cndmask_b32_e64 v4, 0, 1, s1
	v_mad_i64_i32 v[1:2], null, s22, v25, 0
	v_cmp_ne_u32_e64 s1, 31, v46
	s_delay_alu instid0(VALU_DEP_4) | instskip(NEXT) | instid1(VALU_DEP_4)
	v_add_lshl_u32 v27, v3, v46, 2
	v_lshlrev_b32_e32 v4, 1, v4
	v_cmp_ge_i32_e32 vcc_lo, s6, v48
	v_cmp_ge_i32_e64 s4, s6, v49
	v_add_co_ci_u32_e64 v5, s1, 0, v46, s1
	s_delay_alu instid0(VALU_DEP_4) | instskip(SKIP_2) | instid1(VALU_DEP_4)
	v_add_lshl_u32 v28, v4, v46, 2
	v_mad_i64_i32 v[3:4], null, s22, v47, 0
	v_lshlrev_b64 v[0:1], 4, v[1:2]
	v_lshlrev_b32_e32 v29, 2, v5
	s_add_u32 s6, s30, s24
	s_addc_u32 s14, s31, s25
	s_mul_i32 s24, s11, s15
	s_mul_hi_u32 s25, s10, s15
	s_delay_alu instid0(VALU_DEP_3) | instskip(SKIP_1) | instid1(VALU_DEP_1)
	v_lshlrev_b64 v[2:3], 4, v[3:4]
	v_add_co_u32 v5, s5, s20, v0
	v_add_co_ci_u32_e64 v6, s5, s21, v1, s5
	v_lshlrev_b64 v[0:1], 4, v[7:8]
	s_delay_alu instid0(VALU_DEP_4) | instskip(NEXT) | instid1(VALU_DEP_1)
	v_add_co_u32 v7, s5, s20, v2
	v_add_co_ci_u32_e64 v8, s5, s21, v3, s5
	v_lshlrev_b64 v[2:3], 4, v[9:10]
	s_delay_alu instid0(VALU_DEP_4) | instskip(NEXT) | instid1(VALU_DEP_1)
	v_add_co_u32 v9, s5, s20, v0
	v_add_co_ci_u32_e64 v10, s5, s21, v1, s5
	v_dual_mov_b32 v0, 0 :: v_dual_lshlrev_b32 v19, 4, v44
	s_delay_alu instid0(VALU_DEP_4) | instskip(NEXT) | instid1(VALU_DEP_1)
	v_add_co_u32 v11, s5, s20, v2
	v_add_co_ci_u32_e64 v12, s5, s21, v3, s5
	s_add_i32 s21, s25, s24
	s_mul_i32 s20, s10, s15
	s_and_b32 s5, s26, s4
	s_lshl_b64 s[24:25], s[20:21], 4
	s_lshl_b64 s[20:21], s[22:23], 4
	s_add_u32 s4, s12, s24
	s_addc_u32 s12, s13, s25
	v_add_co_u32 v13, s4, s4, v23
	v_cmp_eq_u32_e64 s1, 0, v44
	v_and_b32_e32 v30, 0x70, v45
	v_add_co_ci_u32_e64 v14, s4, s12, v24, s4
	s_lshl_b64 s[12:13], s[10:11], 4
	s_branch .LBB371_61
.LBB371_60:                             ;   in Loop: Header=BB371_61 Depth=1
	s_or_b32 exec_lo, exec_lo, s4
	v_add_co_u32 v13, s4, v13, s12
	s_delay_alu instid0(VALU_DEP_1) | instskip(SKIP_1) | instid1(SALU_CYCLE_1)
	v_add_co_ci_u32_e64 v14, s4, s13, v14, s4
	s_add_i32 s15, s15, 1
	s_cmp_lt_i32 s15, s7
	s_cbranch_scc0 .LBB371_80
.LBB371_61:                             ; =>This Loop Header: Depth=1
                                        ;     Child Loop BB371_73 Depth 2
                                        ;     Child Loop BB371_75 Depth 2
                                        ; implicit-def: $vgpr15_vgpr16
                                        ; implicit-def: $vgpr17_vgpr18
	s_and_saveexec_b32 s4, vcc_lo
	s_delay_alu instid0(SALU_CYCLE_1)
	s_xor_b32 s22, exec_lo, s4
	s_cbranch_execnz .LBB371_70
; %bb.62:                               ;   in Loop: Header=BB371_61 Depth=1
	s_and_not1_saveexec_b32 s22, s22
	s_cbranch_execnz .LBB371_71
.LBB371_63:                             ;   in Loop: Header=BB371_61 Depth=1
	s_or_b32 exec_lo, exec_lo, s22
	s_and_saveexec_b32 s4, s0
	s_cbranch_execz .LBB371_65
.LBB371_64:                             ;   in Loop: Header=BB371_61 Depth=1
	s_waitcnt lgkmcnt(0)
	v_mov_b32_e32 v1, v0
	v_mov_b32_e32 v2, v0
	;; [unrolled: 1-line block ×3, first 2 shown]
	ds_store_b128 v19, v[0:3]
.LBB371_65:                             ;   in Loop: Header=BB371_61 Depth=1
	s_or_b32 exec_lo, exec_lo, s4
	s_waitcnt lgkmcnt(0)
	ds_bpermute_b32 v1, v20, v15
	ds_bpermute_b32 v2, v20, v16
	;; [unrolled: 1-line block ×4, first 2 shown]
	s_waitcnt lgkmcnt(0)
	s_waitcnt_vscnt null, 0x0
	s_barrier
	buffer_gl0_inv
	v_add_f64 v[1:2], v[15:16], v[1:2]
	v_add_f64 v[3:4], v[17:18], v[3:4]
	ds_bpermute_b32 v15, v26, v1
	ds_bpermute_b32 v16, v26, v2
	ds_bpermute_b32 v17, v26, v3
	ds_bpermute_b32 v18, v26, v4
	s_waitcnt lgkmcnt(2)
	v_add_f64 v[1:2], v[1:2], v[15:16]
	s_waitcnt lgkmcnt(0)
	v_add_f64 v[3:4], v[3:4], v[17:18]
	ds_bpermute_b32 v15, v27, v1
	ds_bpermute_b32 v16, v27, v2
	ds_bpermute_b32 v17, v27, v3
	ds_bpermute_b32 v18, v27, v4
	s_waitcnt lgkmcnt(2)
	v_add_f64 v[1:2], v[1:2], v[15:16]
	s_waitcnt lgkmcnt(0)
	;; [unrolled: 8-line block ×3, first 2 shown]
	v_add_f64 v[15:16], v[3:4], v[17:18]
	ds_bpermute_b32 v3, v29, v1
	ds_bpermute_b32 v4, v29, v2
	;; [unrolled: 1-line block ×4, first 2 shown]
	s_and_saveexec_b32 s4, s1
	s_cbranch_execz .LBB371_67
; %bb.66:                               ;   in Loop: Header=BB371_61 Depth=1
	s_waitcnt lgkmcnt(0)
	v_add_f64 v[17:18], v[15:16], v[17:18]
	v_add_f64 v[15:16], v[1:2], v[3:4]
	ds_store_b128 v30, v[15:18]
.LBB371_67:                             ;   in Loop: Header=BB371_61 Depth=1
	s_or_b32 exec_lo, exec_lo, s4
	s_waitcnt lgkmcnt(2)
	v_mov_b32_e32 v3, 0
	v_mov_b32_e32 v4, 0
	s_delay_alu instid0(VALU_DEP_2)
	v_mov_b32_e32 v1, v3
	s_waitcnt lgkmcnt(0)
	s_barrier
	buffer_gl0_inv
	v_mov_b32_e32 v2, v4
	s_and_saveexec_b32 s4, s2
	s_cbranch_execnz .LBB371_77
; %bb.68:                               ;   in Loop: Header=BB371_61 Depth=1
	s_or_b32 exec_lo, exec_lo, s4
	s_and_saveexec_b32 s4, s0
	s_cbranch_execnz .LBB371_78
.LBB371_69:                             ;   in Loop: Header=BB371_61 Depth=1
	s_or_b32 exec_lo, exec_lo, s4
	s_and_saveexec_b32 s4, s3
	s_cbranch_execz .LBB371_60
	s_branch .LBB371_79
.LBB371_70:                             ;   in Loop: Header=BB371_61 Depth=1
	s_waitcnt lgkmcnt(0)
	s_clause 0x2
	flat_load_b128 v[1:4], v[7:8]
	flat_load_b128 v[15:18], v[9:10]
	;; [unrolled: 1-line block ×3, first 2 shown]
	s_mul_i32 s4, s15, s11
	s_mul_hi_u32 s23, s15, s10
	s_mul_i32 s24, s15, s10
	s_add_i32 s25, s23, s4
	s_delay_alu instid0(SALU_CYCLE_1) | instskip(NEXT) | instid1(SALU_CYCLE_1)
	s_lshl_b64 s[24:25], s[24:25], 4
	v_add_co_u32 v23, s4, v21, s24
	s_delay_alu instid0(VALU_DEP_1)
	v_add_co_ci_u32_e64 v24, s4, s25, v22, s4
	flat_load_b128 v[42:45], v[5:6]
	s_clause 0x1
	flat_load_b128 v[46:49], v[23:24]
	flat_load_b128 v[50:53], v[23:24] offset:16
	s_waitcnt vmcnt(5) lgkmcnt(5)
	scratch_store_b128 v38, v[1:4], off
	s_waitcnt vmcnt(4) lgkmcnt(4)
	scratch_store_b128 v39, v[15:18], off
	s_clause 0x1
	scratch_load_b128 v[1:4], off, off offset:16
	scratch_load_b128 v[15:18], off, off offset:32
	s_clause 0x1
	flat_load_b128 v[54:57], v[23:24] offset:32
	flat_load_b128 v[58:61], v[23:24] offset:48
	s_waitcnt vmcnt(7) lgkmcnt(5)
	scratch_store_b128 v40, v[31:34], off
	scratch_load_b128 v[31:34], off, off offset:48
	s_waitcnt vmcnt(7) lgkmcnt(4)
	scratch_store_b128 off, v[42:45], off
	s_waitcnt vmcnt(6) lgkmcnt(3)
	v_mul_f64 v[23:24], v[48:49], v[44:45]
	v_mul_f64 v[35:36], v[48:49], v[42:43]
	s_delay_alu instid0(VALU_DEP_2) | instskip(NEXT) | instid1(VALU_DEP_2)
	v_fma_f64 v[23:24], v[46:47], v[42:43], v[23:24]
	v_fma_f64 v[35:36], v[46:47], v[44:45], -v[35:36]
	s_delay_alu instid0(VALU_DEP_2) | instskip(NEXT) | instid1(VALU_DEP_2)
	v_add_f64 v[23:24], v[23:24], 0
	v_add_f64 v[35:36], v[35:36], 0
	s_waitcnt vmcnt(4) lgkmcnt(2)
	v_mul_f64 v[46:47], v[52:53], v[3:4]
	v_mul_f64 v[48:49], v[52:53], v[1:2]
	s_waitcnt vmcnt(2) lgkmcnt(1)
	v_mul_f64 v[52:53], v[56:57], v[17:18]
	v_mul_f64 v[56:57], v[56:57], v[15:16]
	s_delay_alu instid0(VALU_DEP_4) | instskip(NEXT) | instid1(VALU_DEP_4)
	v_fma_f64 v[1:2], v[50:51], v[1:2], v[46:47]
	v_fma_f64 v[3:4], v[50:51], v[3:4], -v[48:49]
	s_waitcnt vmcnt(0) lgkmcnt(0)
	v_mul_f64 v[46:47], v[60:61], v[33:34]
	v_mul_f64 v[48:49], v[60:61], v[31:32]
	v_fma_f64 v[15:16], v[54:55], v[15:16], v[52:53]
	v_fma_f64 v[17:18], v[54:55], v[17:18], -v[56:57]
	v_add_f64 v[1:2], v[23:24], v[1:2]
	v_add_f64 v[3:4], v[35:36], v[3:4]
	v_fma_f64 v[23:24], v[58:59], v[31:32], v[46:47]
	v_fma_f64 v[31:32], v[58:59], v[33:34], -v[48:49]
	s_delay_alu instid0(VALU_DEP_4) | instskip(NEXT) | instid1(VALU_DEP_4)
	v_add_f64 v[1:2], v[1:2], v[15:16]
	v_add_f64 v[3:4], v[3:4], v[17:18]
	s_delay_alu instid0(VALU_DEP_2) | instskip(NEXT) | instid1(VALU_DEP_2)
	v_add_f64 v[15:16], v[1:2], v[23:24]
	v_add_f64 v[17:18], v[3:4], v[31:32]
	s_and_not1_saveexec_b32 s22, s22
	s_cbranch_execz .LBB371_63
.LBB371_71:                             ;   in Loop: Header=BB371_61 Depth=1
	v_mov_b32_e32 v15, 0
	v_mov_b32_e32 v16, 0
	s_delay_alu instid0(VALU_DEP_1)
	v_dual_mov_b32 v18, v16 :: v_dual_mov_b32 v17, v15
	s_and_saveexec_b32 s23, s5
	s_cbranch_execz .LBB371_76
; %bb.72:                               ;   in Loop: Header=BB371_61 Depth=1
	s_waitcnt lgkmcnt(0)
	v_mov_b32_e32 v1, v5
	v_dual_mov_b32 v3, 0 :: v_dual_mov_b32 v2, v6
	s_mov_b32 s24, s9
.LBB371_73:                             ;   Parent Loop BB371_61 Depth=1
                                        ; =>  This Inner Loop Header: Depth=2
	flat_load_b128 v[15:18], v[1:2]
	v_add_co_u32 v1, s4, v1, s20
	s_delay_alu instid0(VALU_DEP_1) | instskip(SKIP_1) | instid1(SALU_CYCLE_1)
	v_add_co_ci_u32_e64 v2, s4, s21, v2, s4
	s_add_i32 s24, s24, -1
	s_cmp_eq_u32 s24, 0
	s_waitcnt vmcnt(0) lgkmcnt(0)
	scratch_store_b128 v3, v[15:18], off
	v_add_nc_u32_e32 v3, 16, v3
	s_cbranch_scc0 .LBB371_73
; %bb.74:                               ;   in Loop: Header=BB371_61 Depth=1
	v_mov_b32_e32 v15, 0
	v_dual_mov_b32 v16, 0 :: v_dual_mov_b32 v1, v13
	v_dual_mov_b32 v3, v41 :: v_dual_mov_b32 v2, v14
	s_mov_b32 s24, s9
	s_delay_alu instid0(VALU_DEP_2)
	v_dual_mov_b32 v18, v16 :: v_dual_mov_b32 v17, v15
	.p2align	6
.LBB371_75:                             ;   Parent Loop BB371_61 Depth=1
                                        ; =>  This Inner Loop Header: Depth=2
	flat_load_b128 v[31:34], v[1:2]
	scratch_load_b128 v[42:45], v3, off offset:-8
	v_add_co_u32 v1, s4, v1, 16
	v_add_nc_u32_e32 v3, 16, v3
	v_add_co_ci_u32_e64 v2, s4, 0, v2, s4
	s_add_i32 s24, s24, -1
	s_delay_alu instid0(SALU_CYCLE_1) | instskip(SKIP_3) | instid1(VALU_DEP_2)
	s_cmp_lg_u32 s24, 0
	s_waitcnt vmcnt(0) lgkmcnt(0)
	v_mul_f64 v[23:24], v[33:34], v[44:45]
	v_mul_f64 v[33:34], v[33:34], v[42:43]
	v_fma_f64 v[23:24], v[31:32], v[42:43], v[23:24]
	s_delay_alu instid0(VALU_DEP_2) | instskip(NEXT) | instid1(VALU_DEP_2)
	v_fma_f64 v[31:32], v[31:32], v[44:45], -v[33:34]
	v_add_f64 v[15:16], v[15:16], v[23:24]
	s_delay_alu instid0(VALU_DEP_2)
	v_add_f64 v[17:18], v[17:18], v[31:32]
	s_cbranch_scc1 .LBB371_75
.LBB371_76:                             ;   in Loop: Header=BB371_61 Depth=1
	s_or_b32 exec_lo, exec_lo, s23
	s_delay_alu instid0(SALU_CYCLE_1)
	s_or_b32 exec_lo, exec_lo, s22
	s_and_saveexec_b32 s4, s0
	s_cbranch_execnz .LBB371_64
	s_branch .LBB371_65
.LBB371_77:                             ;   in Loop: Header=BB371_61 Depth=1
	ds_load_b128 v[1:4], v19
	s_or_b32 exec_lo, exec_lo, s4
	s_and_saveexec_b32 s4, s0
	s_cbranch_execz .LBB371_69
.LBB371_78:                             ;   in Loop: Header=BB371_61 Depth=1
	s_waitcnt lgkmcnt(0)
	ds_bpermute_b32 v15, v27, v1
	ds_bpermute_b32 v16, v27, v2
	ds_bpermute_b32 v17, v27, v3
	ds_bpermute_b32 v18, v27, v4
	s_waitcnt lgkmcnt(2)
	v_add_f64 v[1:2], v[1:2], v[15:16]
	s_waitcnt lgkmcnt(0)
	v_add_f64 v[3:4], v[3:4], v[17:18]
	ds_bpermute_b32 v15, v28, v1
	ds_bpermute_b32 v16, v28, v2
	ds_bpermute_b32 v17, v28, v3
	ds_bpermute_b32 v18, v28, v4
	s_waitcnt lgkmcnt(2)
	v_add_f64 v[1:2], v[1:2], v[15:16]
	s_waitcnt lgkmcnt(0)
	v_add_f64 v[3:4], v[3:4], v[17:18]
	;; [unrolled: 8-line block ×3, first 2 shown]
	s_or_b32 exec_lo, exec_lo, s4
	s_and_saveexec_b32 s4, s3
	s_cbranch_execz .LBB371_60
.LBB371_79:                             ;   in Loop: Header=BB371_61 Depth=1
	s_waitcnt lgkmcnt(0)
	s_delay_alu instid0(VALU_DEP_1) | instskip(SKIP_3) | instid1(SALU_CYCLE_1)
	v_mul_f64 v[15:16], s[18:19], v[3:4]
	v_mul_f64 v[3:4], s[16:17], v[3:4]
	s_mul_hi_u32 s23, s15, s8
	s_mul_i32 s22, s15, s8
	s_lshl_b64 s[22:23], s[22:23], 4
	s_delay_alu instid0(SALU_CYCLE_1) | instskip(SKIP_1) | instid1(VALU_DEP_2)
	s_add_u32 s22, s6, s22
	s_addc_u32 s23, s14, s23
	v_fma_f64 v[15:16], s[16:17], v[1:2], -v[15:16]
	s_delay_alu instid0(VALU_DEP_2)
	v_fma_f64 v[17:18], s[18:19], v[1:2], v[3:4]
	global_store_b128 v0, v[15:18], s[22:23]
	s_branch .LBB371_60
.LBB371_80:
	s_nop 0
	s_sendmsg sendmsg(MSG_DEALLOC_VGPRS)
	s_endpgm
	.section	.rodata,"a",@progbits
	.p2align	6, 0x0
	.amdhsa_kernel _ZL23rocblas_gemvt_sn_kernelILb1ELi256ELi4ElPK19rocblas_complex_numIdES3_S1_EviiT4_lPKT3_lilS7_lilPT5_i
		.amdhsa_group_segment_fixed_size 512
		.amdhsa_private_segment_fixed_size 80
		.amdhsa_kernarg_size 360
		.amdhsa_user_sgpr_count 14
		.amdhsa_user_sgpr_dispatch_ptr 0
		.amdhsa_user_sgpr_queue_ptr 0
		.amdhsa_user_sgpr_kernarg_segment_ptr 1
		.amdhsa_user_sgpr_dispatch_id 0
		.amdhsa_user_sgpr_private_segment_size 0
		.amdhsa_wavefront_size32 1
		.amdhsa_uses_dynamic_stack 0
		.amdhsa_enable_private_segment 1
		.amdhsa_system_sgpr_workgroup_id_x 1
		.amdhsa_system_sgpr_workgroup_id_y 0
		.amdhsa_system_sgpr_workgroup_id_z 1
		.amdhsa_system_sgpr_workgroup_info 0
		.amdhsa_system_vgpr_workitem_id 0
		.amdhsa_next_free_vgpr 84
		.amdhsa_next_free_sgpr 46
		.amdhsa_reserve_vcc 1
		.amdhsa_float_round_mode_32 0
		.amdhsa_float_round_mode_16_64 0
		.amdhsa_float_denorm_mode_32 3
		.amdhsa_float_denorm_mode_16_64 3
		.amdhsa_dx10_clamp 1
		.amdhsa_ieee_mode 1
		.amdhsa_fp16_overflow 0
		.amdhsa_workgroup_processor_mode 1
		.amdhsa_memory_ordered 1
		.amdhsa_forward_progress 0
		.amdhsa_shared_vgpr_count 0
		.amdhsa_exception_fp_ieee_invalid_op 0
		.amdhsa_exception_fp_denorm_src 0
		.amdhsa_exception_fp_ieee_div_zero 0
		.amdhsa_exception_fp_ieee_overflow 0
		.amdhsa_exception_fp_ieee_underflow 0
		.amdhsa_exception_fp_ieee_inexact 0
		.amdhsa_exception_int_div_zero 0
	.end_amdhsa_kernel
	.section	.text._ZL23rocblas_gemvt_sn_kernelILb1ELi256ELi4ElPK19rocblas_complex_numIdES3_S1_EviiT4_lPKT3_lilS7_lilPT5_i,"axG",@progbits,_ZL23rocblas_gemvt_sn_kernelILb1ELi256ELi4ElPK19rocblas_complex_numIdES3_S1_EviiT4_lPKT3_lilS7_lilPT5_i,comdat
.Lfunc_end371:
	.size	_ZL23rocblas_gemvt_sn_kernelILb1ELi256ELi4ElPK19rocblas_complex_numIdES3_S1_EviiT4_lPKT3_lilS7_lilPT5_i, .Lfunc_end371-_ZL23rocblas_gemvt_sn_kernelILb1ELi256ELi4ElPK19rocblas_complex_numIdES3_S1_EviiT4_lPKT3_lilS7_lilPT5_i
                                        ; -- End function
	.section	.AMDGPU.csdata,"",@progbits
; Kernel info:
; codeLenInByte = 7744
; NumSgprs: 48
; NumVgprs: 84
; ScratchSize: 80
; MemoryBound: 0
; FloatMode: 240
; IeeeMode: 1
; LDSByteSize: 512 bytes/workgroup (compile time only)
; SGPRBlocks: 5
; VGPRBlocks: 10
; NumSGPRsForWavesPerEU: 48
; NumVGPRsForWavesPerEU: 84
; Occupancy: 16
; WaveLimiterHint : 0
; COMPUTE_PGM_RSRC2:SCRATCH_EN: 1
; COMPUTE_PGM_RSRC2:USER_SGPR: 14
; COMPUTE_PGM_RSRC2:TRAP_HANDLER: 0
; COMPUTE_PGM_RSRC2:TGID_X_EN: 1
; COMPUTE_PGM_RSRC2:TGID_Y_EN: 0
; COMPUTE_PGM_RSRC2:TGID_Z_EN: 1
; COMPUTE_PGM_RSRC2:TIDIG_COMP_CNT: 0
	.section	.text._ZL23rocblas_gemvt_sn_kernelILb1ELi256ELi4EiPK19rocblas_complex_numIdES1_S1_EviiT4_lPKT3_lilS7_lilPT5_i,"axG",@progbits,_ZL23rocblas_gemvt_sn_kernelILb1ELi256ELi4EiPK19rocblas_complex_numIdES1_S1_EviiT4_lPKT3_lilS7_lilPT5_i,comdat
	.globl	_ZL23rocblas_gemvt_sn_kernelILb1ELi256ELi4EiPK19rocblas_complex_numIdES1_S1_EviiT4_lPKT3_lilS7_lilPT5_i ; -- Begin function _ZL23rocblas_gemvt_sn_kernelILb1ELi256ELi4EiPK19rocblas_complex_numIdES1_S1_EviiT4_lPKT3_lilS7_lilPT5_i
	.p2align	8
	.type	_ZL23rocblas_gemvt_sn_kernelILb1ELi256ELi4EiPK19rocblas_complex_numIdES1_S1_EviiT4_lPKT3_lilS7_lilPT5_i,@function
_ZL23rocblas_gemvt_sn_kernelILb1ELi256ELi4EiPK19rocblas_complex_numIdES1_S1_EviiT4_lPKT3_lilS7_lilPT5_i: ; @_ZL23rocblas_gemvt_sn_kernelILb1ELi256ELi4EiPK19rocblas_complex_numIdES1_S1_EviiT4_lPKT3_lilS7_lilPT5_i
; %bb.0:
	s_load_b128 s[8:11], s[0:1], 0x8
	s_mov_b32 s18, s15
	s_mov_b64 s[4:5], 0
	s_mov_b32 s19, -1
	s_waitcnt lgkmcnt(0)
	v_cmp_neq_f64_e64 s2, s[8:9], 0
	v_cmp_neq_f64_e64 s3, s[10:11], 0
	s_delay_alu instid0(VALU_DEP_1) | instskip(NEXT) | instid1(SALU_CYCLE_1)
	s_or_b32 s2, s2, s3
	s_and_b32 vcc_lo, exec_lo, s2
	s_cbranch_vccnz .LBB372_2
; %bb.1:
	s_mov_b32 s19, 0
	s_cbranch_execz .LBB372_3
	s_branch .LBB372_4
.LBB372_2:
                                        ; implicit-def: $sgpr4_sgpr5
	s_and_not1_b32 vcc_lo, exec_lo, s19
	s_cbranch_vccnz .LBB372_4
.LBB372_3:
	s_load_b128 s[4:7], s[0:1], 0x20
	s_mov_b32 s19, 0
	s_delay_alu instid0(SALU_CYCLE_1)
	s_lshl_b64 s[12:13], s[18:19], 3
	s_waitcnt lgkmcnt(0)
	s_add_u32 s4, s4, s12
	s_addc_u32 s5, s5, s13
	s_lshl_b64 s[6:7], s[6:7], 4
	s_load_b64 s[4:5], s[4:5], 0x0
	s_waitcnt lgkmcnt(0)
	s_add_u32 s4, s4, s6
	s_addc_u32 s5, s5, s7
.LBB372_4:
	v_cndmask_b32_e64 v1, 0, 1, s2
	s_xor_b32 s3, s2, -1
	s_mov_b64 s[6:7], 0
	s_delay_alu instid0(VALU_DEP_1)
	v_cmp_ne_u32_e32 vcc_lo, 1, v1
	s_cbranch_vccnz .LBB372_6
; %bb.5:
	s_load_b128 s[20:23], s[0:1], 0x40
	s_lshl_b64 s[6:7], s[18:19], 3
	s_waitcnt lgkmcnt(0)
	s_add_u32 s6, s20, s6
	s_addc_u32 s7, s21, s7
	s_lshl_b64 s[12:13], s[22:23], 4
	s_load_b64 s[6:7], s[6:7], 0x0
	s_waitcnt lgkmcnt(0)
	s_add_u32 s6, s6, s12
	s_addc_u32 s7, s7, s13
.LBB372_6:
	s_clause 0x2
	s_load_b64 s[12:13], s[0:1], 0x0
	s_load_b32 s16, s[0:1], 0x70
	s_load_b64 s[20:21], s[0:1], 0x60
	s_and_not1_b32 vcc_lo, exec_lo, s3
	v_cmp_eq_u32_e64 s2, 0, v0
	s_mov_b32 s17, 0
	s_waitcnt lgkmcnt(0)
	s_ashr_i32 s24, s13, 31
	s_mul_hi_u32 s3, s18, s13
	s_mul_i32 s15, s18, s24
	s_mul_i32 s19, s19, s13
	s_add_i32 s3, s3, s15
	s_mul_i32 s15, s18, s13
	s_add_i32 s3, s3, s19
	s_mul_hi_u32 s19, s15, s16
	s_mul_i32 s3, s3, s16
	s_mul_i32 s18, s15, s16
	s_add_i32 s19, s19, s3
	s_mov_b32 s3, -1
	s_cbranch_vccnz .LBB372_11
; %bb.7:
	s_cmp_gt_i32 s13, 0
	s_cselect_b32 s3, -1, 0
	s_delay_alu instid0(SALU_CYCLE_1) | instskip(NEXT) | instid1(SALU_CYCLE_1)
	s_and_b32 s2, s2, s3
	s_and_saveexec_b32 s25, s2
	s_cbranch_execz .LBB372_10
; %bb.8:
	s_mov_b32 s15, 0
	v_mov_b32_e32 v1, 0
	s_lshl_b64 s[2:3], s[18:19], 4
	s_lshl_b64 s[22:23], s[14:15], 4
	s_mov_b32 s15, s13
	s_add_u32 s2, s2, s22
	s_addc_u32 s3, s3, s23
	s_add_u32 s2, s2, s20
	v_mov_b32_e32 v2, v1
	v_mov_b32_e32 v3, v1
	;; [unrolled: 1-line block ×3, first 2 shown]
	s_addc_u32 s3, s3, s21
	s_add_u32 s2, s2, 8
	s_addc_u32 s3, s3, 0
	s_lshl_b64 s[22:23], s[16:17], 4
.LBB372_9:                              ; =>This Inner Loop Header: Depth=1
	s_add_i32 s15, s15, -1
	global_store_b128 v1, v[1:4], s[2:3] offset:-8
	s_add_u32 s2, s2, s22
	s_addc_u32 s3, s3, s23
	s_cmp_eq_u32 s15, 0
	s_cbranch_scc0 .LBB372_9
.LBB372_10:
	s_or_b32 exec_lo, exec_lo, s25
	s_mov_b32 s3, 0
.LBB372_11:
	s_delay_alu instid0(SALU_CYCLE_1)
	s_and_not1_b32 vcc_lo, exec_lo, s3
	s_cbranch_vccnz .LBB372_82
; %bb.12:
	s_lshl_b64 s[2:3], s[18:19], 4
	s_clause 0x1
	s_load_b32 s17, s[0:1], 0x30
	s_load_b32 s28, s[0:1], 0x50
	s_add_u32 s33, s20, s2
	s_addc_u32 s31, s21, s3
	s_lshl_b32 s2, s14, 10
	s_ashr_i32 s0, s12, 31
	v_lshl_or_b32 v1, v0, 2, s2
	s_lshr_b32 s0, s0, 30
	s_lshr_b32 s1, s24, 30
	s_add_i32 s0, s12, s0
	s_add_i32 s1, s13, s1
	v_ashrrev_i32_e32 v2, 31, v1
	s_and_b32 s0, s0, -4
	s_and_b32 s15, s1, -4
	s_sub_i32 s29, s12, s0
	v_add_nc_u32_e32 v42, 4, v1
	v_lshlrev_b64 v[2:3], 4, v[1:2]
	v_add_nc_u32_e32 v43, s29, v1
	v_and_b32_e32 v40, 31, v0
	v_cmp_gt_u32_e64 s0, 32, v0
	v_mbcnt_lo_u32_b32 v41, -1, 0
	s_waitcnt lgkmcnt(0)
	v_mul_lo_u32 v21, v1, s28
	v_add_co_u32 v33, vcc_lo, s4, v2
	v_add_co_ci_u32_e32 v34, vcc_lo, s5, v3, vcc_lo
	v_cmp_gt_u32_e64 s1, 8, v0
	v_lshrrev_b32_e32 v39, 1, v0
	v_add_nc_u32_e64 v35, 0, 16
	v_add_nc_u32_e64 v36, 0, 32
	;; [unrolled: 1-line block ×3, first 2 shown]
	v_or_b32_e64 v38, 0, 8
	s_cmp_lt_i32 s15, 1
	s_cbranch_scc1 .LBB372_59
; %bb.13:
	v_cmp_gt_u32_e32 vcc_lo, 16, v41
	v_mul_lo_u32 v22, v1, s28
	v_cmp_ge_i32_e64 s2, s12, v42
	v_cmp_ge_i32_e64 s3, s12, v43
	v_cmp_eq_u32_e64 s4, 0, v40
	v_cndmask_b32_e64 v2, 0, 1, vcc_lo
	v_cmp_gt_u32_e32 vcc_lo, 24, v41
	v_lshlrev_b32_e32 v49, 4, v40
	v_and_b32_e32 v50, 0x70, v39
	v_ashrrev_i32_e32 v23, 31, v22
	v_lshlrev_b32_e32 v2, 4, v2
	v_cndmask_b32_e64 v3, 0, 1, vcc_lo
	v_cmp_gt_u32_e32 vcc_lo, 28, v41
	v_cmp_eq_u32_e64 s5, 0, v0
	v_or_b32_e64 v51, 0, 8
	v_add_lshl_u32 v44, v2, v41, 2
	v_lshlrev_b32_e32 v2, 3, v3
	v_cndmask_b32_e64 v4, 0, 1, vcc_lo
	v_cmp_gt_u32_e32 vcc_lo, 30, v41
	s_cmp_gt_i32 s29, 0
	s_mov_b32 s19, 0
	v_add_lshl_u32 v45, v2, v41, 2
	v_lshlrev_b32_e32 v3, 2, v4
	v_cndmask_b32_e64 v5, 0, 1, vcc_lo
	v_cmp_ne_u32_e32 vcc_lo, 31, v41
	s_cselect_b32 s34, -1, 0
	s_lshl_b32 s35, s17, 2
	v_add_lshl_u32 v46, v3, v41, 2
	v_lshlrev_b32_e32 v1, 1, v5
	v_add_co_ci_u32_e32 v4, vcc_lo, 0, v41, vcc_lo
	v_lshlrev_b64 v[5:6], 4, v[22:23]
	s_lshl_b32 s36, s17, 1
	s_delay_alu instid0(VALU_DEP_3) | instskip(SKIP_4) | instid1(VALU_DEP_3)
	v_add_lshl_u32 v47, v1, v41, 2
	v_add_nc_u32_e32 v1, s28, v22
	v_lshlrev_b32_e32 v48, 2, v4
	s_mul_i32 s37, s17, 3
	v_add_co_u32 v23, vcc_lo, s6, v5
	v_add_nc_u32_e32 v3, s28, v1
	v_ashrrev_i32_e32 v2, 31, v1
	v_add_co_ci_u32_e32 v24, vcc_lo, s7, v6, vcc_lo
	s_mov_b32 s20, s19
	s_delay_alu instid0(VALU_DEP_3) | instskip(NEXT) | instid1(VALU_DEP_3)
	v_add_nc_u32_e32 v7, s28, v3
	v_lshlrev_b64 v[1:2], 4, v[1:2]
	v_ashrrev_i32_e32 v4, 31, v3
	s_mov_b32 s38, s17
	s_mov_b32 s30, 0
	v_ashrrev_i32_e32 v8, 31, v7
	s_delay_alu instid0(VALU_DEP_2) | instskip(SKIP_2) | instid1(VALU_DEP_4)
	v_lshlrev_b64 v[3:4], 4, v[3:4]
	v_add_co_u32 v25, vcc_lo, s6, v1
	v_add_co_ci_u32_e32 v26, vcc_lo, s7, v2, vcc_lo
	v_lshlrev_b64 v[1:2], 4, v[7:8]
	s_delay_alu instid0(VALU_DEP_4) | instskip(SKIP_1) | instid1(VALU_DEP_3)
	v_add_co_u32 v27, vcc_lo, s6, v3
	v_add_co_ci_u32_e32 v28, vcc_lo, s7, v4, vcc_lo
	v_add_co_u32 v29, vcc_lo, s6, v1
	v_mov_b32_e32 v1, 0
	v_add_co_ci_u32_e32 v30, vcc_lo, s7, v2, vcc_lo
	s_branch .LBB372_15
.LBB372_14:                             ;   in Loop: Header=BB372_15 Depth=1
	s_or_b32 exec_lo, exec_lo, s21
	s_add_i32 s30, s30, 4
	s_add_i32 s38, s38, s35
	;; [unrolled: 1-line block ×5, first 2 shown]
	s_cmp_ge_i32 s30, s15
	s_cbranch_scc1 .LBB372_60
.LBB372_15:                             ; =>This Loop Header: Depth=1
                                        ;     Child Loop BB372_46 Depth 2
                                        ;     Child Loop BB372_48 Depth 2
                                        ; implicit-def: $vgpr17_vgpr18
                                        ; implicit-def: $vgpr19_vgpr20
                                        ; implicit-def: $vgpr13_vgpr14
                                        ; implicit-def: $vgpr15_vgpr16
                                        ; implicit-def: $vgpr9_vgpr10
                                        ; implicit-def: $vgpr11_vgpr12
                                        ; implicit-def: $vgpr7_vgpr8
                                        ; implicit-def: $vgpr5_vgpr6
	s_and_saveexec_b32 s18, s2
	s_delay_alu instid0(SALU_CYCLE_1)
	s_xor_b32 s18, exec_lo, s18
	s_cbranch_execnz .LBB372_42
; %bb.16:                               ;   in Loop: Header=BB372_15 Depth=1
	s_and_not1_saveexec_b32 s18, s18
	s_cbranch_execnz .LBB372_43
.LBB372_17:                             ;   in Loop: Header=BB372_15 Depth=1
	s_or_b32 exec_lo, exec_lo, s18
	s_and_saveexec_b32 s18, s0
	s_cbranch_execz .LBB372_19
.LBB372_18:                             ;   in Loop: Header=BB372_15 Depth=1
	v_mov_b32_e32 v2, v1
	v_mov_b32_e32 v3, v1
	;; [unrolled: 1-line block ×3, first 2 shown]
	ds_store_b128 v49, v[1:4]
.LBB372_19:                             ;   in Loop: Header=BB372_15 Depth=1
	s_or_b32 exec_lo, exec_lo, s18
	ds_bpermute_b32 v2, v44, v7
	ds_bpermute_b32 v3, v44, v8
	ds_bpermute_b32 v31, v44, v5
	ds_bpermute_b32 v32, v44, v6
	s_waitcnt lgkmcnt(0)
	s_waitcnt_vscnt null, 0x0
	s_barrier
	buffer_gl0_inv
	v_add_f64 v[2:3], v[7:8], v[2:3]
	v_add_f64 v[4:5], v[5:6], v[31:32]
	ds_bpermute_b32 v6, v45, v2
	ds_bpermute_b32 v7, v45, v3
	ds_bpermute_b32 v31, v45, v4
	ds_bpermute_b32 v32, v45, v5
	s_waitcnt lgkmcnt(2)
	v_add_f64 v[2:3], v[2:3], v[6:7]
	s_waitcnt lgkmcnt(0)
	v_add_f64 v[4:5], v[4:5], v[31:32]
	ds_bpermute_b32 v6, v46, v2
	ds_bpermute_b32 v7, v46, v3
	ds_bpermute_b32 v31, v46, v4
	ds_bpermute_b32 v32, v46, v5
	s_waitcnt lgkmcnt(2)
	v_add_f64 v[2:3], v[2:3], v[6:7]
	s_waitcnt lgkmcnt(0)
	;; [unrolled: 8-line block ×3, first 2 shown]
	v_add_f64 v[6:7], v[4:5], v[31:32]
	ds_bpermute_b32 v4, v48, v2
	ds_bpermute_b32 v5, v48, v3
	;; [unrolled: 1-line block ×4, first 2 shown]
	s_and_saveexec_b32 s18, s4
	s_cbranch_execz .LBB372_21
; %bb.20:                               ;   in Loop: Header=BB372_15 Depth=1
	s_waitcnt lgkmcnt(0)
	v_add_f64 v[6:7], v[6:7], v[31:32]
	v_add_f64 v[4:5], v[2:3], v[4:5]
	ds_store_b128 v50, v[4:7]
.LBB372_21:                             ;   in Loop: Header=BB372_15 Depth=1
	s_or_b32 exec_lo, exec_lo, s18
	v_mov_b32_e32 v7, 0
	v_mov_b32_e32 v8, 0
	s_waitcnt lgkmcnt(2)
	s_delay_alu instid0(VALU_DEP_2)
	v_mov_b32_e32 v5, v7
	s_waitcnt lgkmcnt(0)
	s_barrier
	buffer_gl0_inv
	v_mov_b32_e32 v6, v8
	s_and_saveexec_b32 s18, s1
	s_cbranch_execnz .LBB372_50
; %bb.22:                               ;   in Loop: Header=BB372_15 Depth=1
	s_or_b32 exec_lo, exec_lo, s18
	s_and_saveexec_b32 s18, s0
	s_cbranch_execnz .LBB372_51
.LBB372_23:                             ;   in Loop: Header=BB372_15 Depth=1
	s_or_b32 exec_lo, exec_lo, s18
	s_and_saveexec_b32 s18, s0
	s_cbranch_execz .LBB372_25
.LBB372_24:                             ;   in Loop: Header=BB372_15 Depth=1
	v_mov_b32_e32 v2, v1
	v_mov_b32_e32 v3, v1
	;; [unrolled: 1-line block ×3, first 2 shown]
	ds_store_b128 v49, v[1:4]
.LBB372_25:                             ;   in Loop: Header=BB372_15 Depth=1
	s_or_b32 exec_lo, exec_lo, s18
	ds_bpermute_b32 v2, v44, v9
	ds_bpermute_b32 v3, v44, v10
	;; [unrolled: 1-line block ×4, first 2 shown]
	s_waitcnt lgkmcnt(0)
	s_barrier
	buffer_gl0_inv
	v_add_f64 v[2:3], v[9:10], v[2:3]
	v_add_f64 v[9:10], v[11:12], v[31:32]
	ds_bpermute_b32 v11, v45, v2
	ds_bpermute_b32 v12, v45, v3
	ds_bpermute_b32 v31, v45, v9
	ds_bpermute_b32 v32, v45, v10
	s_waitcnt lgkmcnt(2)
	v_add_f64 v[2:3], v[2:3], v[11:12]
	s_waitcnt lgkmcnt(0)
	v_add_f64 v[9:10], v[9:10], v[31:32]
	ds_bpermute_b32 v11, v46, v2
	ds_bpermute_b32 v12, v46, v3
	ds_bpermute_b32 v31, v46, v9
	ds_bpermute_b32 v32, v46, v10
	s_waitcnt lgkmcnt(2)
	v_add_f64 v[2:3], v[2:3], v[11:12]
	s_waitcnt lgkmcnt(0)
	;; [unrolled: 8-line block ×3, first 2 shown]
	v_add_f64 v[11:12], v[9:10], v[31:32]
	ds_bpermute_b32 v9, v48, v2
	ds_bpermute_b32 v10, v48, v3
	;; [unrolled: 1-line block ×4, first 2 shown]
	s_and_saveexec_b32 s18, s4
	s_cbranch_execz .LBB372_27
; %bb.26:                               ;   in Loop: Header=BB372_15 Depth=1
	s_waitcnt lgkmcnt(0)
	v_add_f64 v[11:12], v[11:12], v[31:32]
	v_add_f64 v[9:10], v[2:3], v[9:10]
	ds_store_b128 v50, v[9:12]
.LBB372_27:                             ;   in Loop: Header=BB372_15 Depth=1
	s_or_b32 exec_lo, exec_lo, s18
	v_mov_b32_e32 v11, 0
	v_mov_b32_e32 v12, 0
	s_waitcnt lgkmcnt(2)
	s_delay_alu instid0(VALU_DEP_2)
	v_mov_b32_e32 v9, v11
	s_waitcnt lgkmcnt(0)
	s_barrier
	buffer_gl0_inv
	v_mov_b32_e32 v10, v12
	s_and_saveexec_b32 s18, s1
	s_cbranch_execnz .LBB372_52
; %bb.28:                               ;   in Loop: Header=BB372_15 Depth=1
	s_or_b32 exec_lo, exec_lo, s18
	s_and_saveexec_b32 s18, s0
	s_cbranch_execnz .LBB372_53
.LBB372_29:                             ;   in Loop: Header=BB372_15 Depth=1
	s_or_b32 exec_lo, exec_lo, s18
	s_and_saveexec_b32 s18, s0
	s_cbranch_execz .LBB372_31
.LBB372_30:                             ;   in Loop: Header=BB372_15 Depth=1
	v_mov_b32_e32 v2, v1
	v_mov_b32_e32 v3, v1
	v_mov_b32_e32 v4, v1
	ds_store_b128 v49, v[1:4]
.LBB372_31:                             ;   in Loop: Header=BB372_15 Depth=1
	s_or_b32 exec_lo, exec_lo, s18
	ds_bpermute_b32 v2, v44, v13
	ds_bpermute_b32 v3, v44, v14
	;; [unrolled: 1-line block ×4, first 2 shown]
	s_waitcnt lgkmcnt(0)
	s_barrier
	buffer_gl0_inv
	v_add_f64 v[2:3], v[13:14], v[2:3]
	v_add_f64 v[13:14], v[15:16], v[31:32]
	ds_bpermute_b32 v15, v45, v2
	ds_bpermute_b32 v16, v45, v3
	ds_bpermute_b32 v31, v45, v13
	ds_bpermute_b32 v32, v45, v14
	s_waitcnt lgkmcnt(2)
	v_add_f64 v[2:3], v[2:3], v[15:16]
	s_waitcnt lgkmcnt(0)
	v_add_f64 v[13:14], v[13:14], v[31:32]
	ds_bpermute_b32 v15, v46, v2
	ds_bpermute_b32 v16, v46, v3
	ds_bpermute_b32 v31, v46, v13
	ds_bpermute_b32 v32, v46, v14
	s_waitcnt lgkmcnt(2)
	v_add_f64 v[2:3], v[2:3], v[15:16]
	s_waitcnt lgkmcnt(0)
	;; [unrolled: 8-line block ×3, first 2 shown]
	v_add_f64 v[15:16], v[13:14], v[31:32]
	ds_bpermute_b32 v13, v48, v2
	ds_bpermute_b32 v14, v48, v3
	ds_bpermute_b32 v31, v48, v15
	ds_bpermute_b32 v32, v48, v16
	s_and_saveexec_b32 s18, s4
	s_cbranch_execz .LBB372_33
; %bb.32:                               ;   in Loop: Header=BB372_15 Depth=1
	s_waitcnt lgkmcnt(0)
	v_add_f64 v[15:16], v[15:16], v[31:32]
	v_add_f64 v[13:14], v[2:3], v[13:14]
	ds_store_b128 v50, v[13:16]
.LBB372_33:                             ;   in Loop: Header=BB372_15 Depth=1
	s_or_b32 exec_lo, exec_lo, s18
	v_mov_b32_e32 v15, 0
	v_mov_b32_e32 v16, 0
	s_waitcnt lgkmcnt(2)
	s_delay_alu instid0(VALU_DEP_2)
	v_mov_b32_e32 v13, v15
	s_waitcnt lgkmcnt(0)
	s_barrier
	buffer_gl0_inv
	v_mov_b32_e32 v14, v16
	s_and_saveexec_b32 s18, s1
	s_cbranch_execnz .LBB372_54
; %bb.34:                               ;   in Loop: Header=BB372_15 Depth=1
	s_or_b32 exec_lo, exec_lo, s18
	s_and_saveexec_b32 s18, s0
	s_cbranch_execnz .LBB372_55
.LBB372_35:                             ;   in Loop: Header=BB372_15 Depth=1
	s_or_b32 exec_lo, exec_lo, s18
	s_and_saveexec_b32 s18, s0
	s_cbranch_execz .LBB372_37
.LBB372_36:                             ;   in Loop: Header=BB372_15 Depth=1
	v_mov_b32_e32 v2, v1
	v_mov_b32_e32 v3, v1
	;; [unrolled: 1-line block ×3, first 2 shown]
	ds_store_b128 v49, v[1:4]
.LBB372_37:                             ;   in Loop: Header=BB372_15 Depth=1
	s_or_b32 exec_lo, exec_lo, s18
	ds_bpermute_b32 v2, v44, v17
	ds_bpermute_b32 v3, v44, v18
	;; [unrolled: 1-line block ×4, first 2 shown]
	s_waitcnt lgkmcnt(0)
	s_barrier
	buffer_gl0_inv
	v_add_f64 v[2:3], v[17:18], v[2:3]
	v_add_f64 v[17:18], v[19:20], v[31:32]
	ds_bpermute_b32 v19, v45, v2
	ds_bpermute_b32 v20, v45, v3
	ds_bpermute_b32 v31, v45, v17
	ds_bpermute_b32 v32, v45, v18
	s_waitcnt lgkmcnt(2)
	v_add_f64 v[2:3], v[2:3], v[19:20]
	s_waitcnt lgkmcnt(0)
	v_add_f64 v[17:18], v[17:18], v[31:32]
	ds_bpermute_b32 v19, v46, v2
	ds_bpermute_b32 v20, v46, v3
	ds_bpermute_b32 v31, v46, v17
	ds_bpermute_b32 v32, v46, v18
	s_waitcnt lgkmcnt(2)
	v_add_f64 v[2:3], v[2:3], v[19:20]
	s_waitcnt lgkmcnt(0)
	;; [unrolled: 8-line block ×3, first 2 shown]
	v_add_f64 v[19:20], v[17:18], v[31:32]
	ds_bpermute_b32 v17, v48, v2
	ds_bpermute_b32 v18, v48, v3
	;; [unrolled: 1-line block ×4, first 2 shown]
	s_and_saveexec_b32 s18, s4
	s_cbranch_execz .LBB372_39
; %bb.38:                               ;   in Loop: Header=BB372_15 Depth=1
	s_waitcnt lgkmcnt(0)
	v_add_f64 v[19:20], v[19:20], v[31:32]
	v_add_f64 v[17:18], v[2:3], v[17:18]
	ds_store_b128 v50, v[17:20]
.LBB372_39:                             ;   in Loop: Header=BB372_15 Depth=1
	s_or_b32 exec_lo, exec_lo, s18
	v_mov_b32_e32 v19, 0
	v_mov_b32_e32 v20, 0
	s_waitcnt lgkmcnt(2)
	s_delay_alu instid0(VALU_DEP_2)
	v_mov_b32_e32 v17, v19
	s_waitcnt lgkmcnt(0)
	s_barrier
	buffer_gl0_inv
	v_mov_b32_e32 v18, v20
	s_and_saveexec_b32 s18, s1
	s_cbranch_execnz .LBB372_56
; %bb.40:                               ;   in Loop: Header=BB372_15 Depth=1
	s_or_b32 exec_lo, exec_lo, s18
	s_and_saveexec_b32 s18, s0
	s_cbranch_execnz .LBB372_57
.LBB372_41:                             ;   in Loop: Header=BB372_15 Depth=1
	s_or_b32 exec_lo, exec_lo, s18
	s_and_saveexec_b32 s21, s5
	s_cbranch_execz .LBB372_14
	s_branch .LBB372_58
.LBB372_42:                             ;   in Loop: Header=BB372_15 Depth=1
	s_clause 0x1
	flat_load_b128 v[2:5], v[23:24]
	flat_load_b128 v[6:9], v[25:26]
	s_mul_i32 s22, s30, s17
	s_delay_alu instid0(SALU_CYCLE_1) | instskip(NEXT) | instid1(SALU_CYCLE_1)
	s_ashr_i32 s23, s22, 31
	s_lshl_b64 s[24:25], s[22:23], 4
	s_add_i32 s22, s22, s17
	v_add_co_u32 v10, vcc_lo, v33, s24
	v_add_co_ci_u32_e32 v11, vcc_lo, s25, v34, vcc_lo
	s_ashr_i32 s23, s22, 31
	s_delay_alu instid0(SALU_CYCLE_1) | instskip(SKIP_4) | instid1(SALU_CYCLE_1)
	s_lshl_b64 s[24:25], s[22:23], 4
	s_add_i32 s22, s22, s17
	v_add_co_u32 v31, vcc_lo, v33, s24
	v_add_co_ci_u32_e32 v32, vcc_lo, s25, v34, vcc_lo
	s_ashr_i32 s23, s22, 31
	s_lshl_b64 s[24:25], s[22:23], 4
	s_add_i32 s22, s22, s17
	v_add_co_u32 v52, vcc_lo, v33, s24
	v_add_co_ci_u32_e32 v53, vcc_lo, s25, v34, vcc_lo
	s_ashr_i32 s23, s22, 31
	s_delay_alu instid0(SALU_CYCLE_1) | instskip(NEXT) | instid1(SALU_CYCLE_1)
	s_lshl_b64 s[22:23], s[22:23], 4
	v_add_co_u32 v58, vcc_lo, v33, s22
	v_add_co_ci_u32_e32 v59, vcc_lo, s23, v34, vcc_lo
	s_waitcnt vmcnt(1) lgkmcnt(1)
	scratch_store_b128 off, v[2:5], off
	s_waitcnt vmcnt(0) lgkmcnt(0)
	scratch_store_b128 v35, v[6:9], off
	flat_load_b128 v[6:9], v[27:28]
	s_waitcnt vmcnt(0) lgkmcnt(0)
	scratch_store_b128 v36, v[6:9], off
	flat_load_b128 v[6:9], v[29:30]
	;; [unrolled: 3-line block ×3, first 2 shown]
	s_waitcnt vmcnt(0) lgkmcnt(0)
	v_mul_f64 v[12:13], v[4:5], v[8:9]
	v_mul_f64 v[8:9], v[2:3], v[8:9]
	s_delay_alu instid0(VALU_DEP_2) | instskip(NEXT) | instid1(VALU_DEP_2)
	v_fma_f64 v[12:13], v[2:3], v[6:7], v[12:13]
	v_fma_f64 v[6:7], v[4:5], v[6:7], -v[8:9]
	s_delay_alu instid0(VALU_DEP_2) | instskip(NEXT) | instid1(VALU_DEP_2)
	v_add_f64 v[12:13], v[12:13], 0
	v_add_f64 v[14:15], v[6:7], 0
	flat_load_b128 v[6:9], v[31:32]
	s_waitcnt vmcnt(0) lgkmcnt(0)
	v_mul_f64 v[16:17], v[4:5], v[8:9]
	v_mul_f64 v[8:9], v[2:3], v[8:9]
	s_delay_alu instid0(VALU_DEP_2) | instskip(NEXT) | instid1(VALU_DEP_2)
	v_fma_f64 v[16:17], v[2:3], v[6:7], v[16:17]
	v_fma_f64 v[6:7], v[4:5], v[6:7], -v[8:9]
	s_delay_alu instid0(VALU_DEP_2) | instskip(NEXT) | instid1(VALU_DEP_2)
	v_add_f64 v[16:17], v[16:17], 0
	v_add_f64 v[18:19], v[6:7], 0
	flat_load_b128 v[6:9], v[52:53]
	;; [unrolled: 10-line block ×3, first 2 shown]
	s_waitcnt vmcnt(0) lgkmcnt(0)
	v_mul_f64 v[60:61], v[4:5], v[8:9]
	s_delay_alu instid0(VALU_DEP_1) | instskip(SKIP_1) | instid1(VALU_DEP_2)
	v_fma_f64 v[60:61], v[2:3], v[6:7], v[60:61]
	v_mul_f64 v[2:3], v[2:3], v[8:9]
	v_add_f64 v[60:61], v[60:61], 0
	s_delay_alu instid0(VALU_DEP_2) | instskip(NEXT) | instid1(VALU_DEP_1)
	v_fma_f64 v[2:3], v[4:5], v[6:7], -v[2:3]
	v_add_f64 v[62:63], v[2:3], 0
	scratch_load_b128 v[2:5], off, off offset:16
	flat_load_b128 v[6:9], v[10:11] offset:16
	s_waitcnt vmcnt(0) lgkmcnt(0)
	v_mul_f64 v[64:65], v[4:5], v[8:9]
	v_mul_f64 v[8:9], v[2:3], v[8:9]
	s_delay_alu instid0(VALU_DEP_2) | instskip(NEXT) | instid1(VALU_DEP_2)
	v_fma_f64 v[64:65], v[2:3], v[6:7], v[64:65]
	v_fma_f64 v[6:7], v[4:5], v[6:7], -v[8:9]
	s_delay_alu instid0(VALU_DEP_2) | instskip(NEXT) | instid1(VALU_DEP_2)
	v_add_f64 v[12:13], v[12:13], v[64:65]
	v_add_f64 v[14:15], v[14:15], v[6:7]
	flat_load_b128 v[6:9], v[31:32] offset:16
	s_waitcnt vmcnt(0) lgkmcnt(0)
	v_mul_f64 v[64:65], v[4:5], v[8:9]
	v_mul_f64 v[8:9], v[2:3], v[8:9]
	s_delay_alu instid0(VALU_DEP_2) | instskip(NEXT) | instid1(VALU_DEP_2)
	v_fma_f64 v[64:65], v[2:3], v[6:7], v[64:65]
	v_fma_f64 v[6:7], v[4:5], v[6:7], -v[8:9]
	s_delay_alu instid0(VALU_DEP_2) | instskip(NEXT) | instid1(VALU_DEP_2)
	v_add_f64 v[16:17], v[16:17], v[64:65]
	v_add_f64 v[18:19], v[18:19], v[6:7]
	;; [unrolled: 10-line block ×3, first 2 shown]
	flat_load_b128 v[6:9], v[58:59] offset:16
	s_waitcnt vmcnt(0) lgkmcnt(0)
	v_mul_f64 v[64:65], v[4:5], v[8:9]
	s_delay_alu instid0(VALU_DEP_1) | instskip(SKIP_1) | instid1(VALU_DEP_2)
	v_fma_f64 v[64:65], v[2:3], v[6:7], v[64:65]
	v_mul_f64 v[2:3], v[2:3], v[8:9]
	v_add_f64 v[60:61], v[60:61], v[64:65]
	s_delay_alu instid0(VALU_DEP_2) | instskip(NEXT) | instid1(VALU_DEP_1)
	v_fma_f64 v[2:3], v[4:5], v[6:7], -v[2:3]
	v_add_f64 v[62:63], v[62:63], v[2:3]
	scratch_load_b128 v[2:5], off, off offset:32
	flat_load_b128 v[6:9], v[10:11] offset:32
	s_waitcnt vmcnt(0) lgkmcnt(0)
	v_mul_f64 v[64:65], v[4:5], v[8:9]
	v_mul_f64 v[8:9], v[2:3], v[8:9]
	s_delay_alu instid0(VALU_DEP_2) | instskip(NEXT) | instid1(VALU_DEP_2)
	v_fma_f64 v[64:65], v[2:3], v[6:7], v[64:65]
	v_fma_f64 v[6:7], v[4:5], v[6:7], -v[8:9]
	s_delay_alu instid0(VALU_DEP_2) | instskip(NEXT) | instid1(VALU_DEP_2)
	v_add_f64 v[12:13], v[12:13], v[64:65]
	v_add_f64 v[14:15], v[14:15], v[6:7]
	flat_load_b128 v[6:9], v[31:32] offset:32
	s_waitcnt vmcnt(0) lgkmcnt(0)
	v_mul_f64 v[64:65], v[4:5], v[8:9]
	v_mul_f64 v[8:9], v[2:3], v[8:9]
	s_delay_alu instid0(VALU_DEP_2) | instskip(NEXT) | instid1(VALU_DEP_2)
	v_fma_f64 v[64:65], v[2:3], v[6:7], v[64:65]
	v_fma_f64 v[6:7], v[4:5], v[6:7], -v[8:9]
	s_delay_alu instid0(VALU_DEP_2) | instskip(NEXT) | instid1(VALU_DEP_2)
	v_add_f64 v[64:65], v[16:17], v[64:65]
	v_add_f64 v[66:67], v[18:19], v[6:7]
	;; [unrolled: 10-line block ×3, first 2 shown]
	flat_load_b128 v[6:9], v[58:59] offset:32
	s_waitcnt vmcnt(0) lgkmcnt(0)
	v_mul_f64 v[16:17], v[4:5], v[8:9]
	s_delay_alu instid0(VALU_DEP_1) | instskip(SKIP_1) | instid1(VALU_DEP_2)
	v_fma_f64 v[16:17], v[2:3], v[6:7], v[16:17]
	v_mul_f64 v[2:3], v[2:3], v[8:9]
	v_add_f64 v[60:61], v[60:61], v[16:17]
	s_delay_alu instid0(VALU_DEP_2) | instskip(NEXT) | instid1(VALU_DEP_1)
	v_fma_f64 v[2:3], v[4:5], v[6:7], -v[2:3]
	v_add_f64 v[62:63], v[62:63], v[2:3]
	scratch_load_b128 v[17:20], off, off offset:48
	flat_load_b128 v[2:5], v[10:11] offset:48
	s_waitcnt vmcnt(0) lgkmcnt(0)
	v_mul_f64 v[6:7], v[19:20], v[4:5]
	v_mul_f64 v[4:5], v[17:18], v[4:5]
	s_delay_alu instid0(VALU_DEP_2) | instskip(NEXT) | instid1(VALU_DEP_2)
	v_fma_f64 v[6:7], v[17:18], v[2:3], v[6:7]
	v_fma_f64 v[2:3], v[19:20], v[2:3], -v[4:5]
	s_delay_alu instid0(VALU_DEP_2)
	v_add_f64 v[7:8], v[12:13], v[6:7]
	flat_load_b128 v[9:12], v[31:32] offset:48
	v_add_f64 v[5:6], v[14:15], v[2:3]
	flat_load_b128 v[13:16], v[52:53] offset:48
	s_waitcnt vmcnt(1) lgkmcnt(1)
	v_mul_f64 v[2:3], v[19:20], v[11:12]
	v_mul_f64 v[11:12], v[17:18], v[11:12]
	s_delay_alu instid0(VALU_DEP_2) | instskip(NEXT) | instid1(VALU_DEP_2)
	v_fma_f64 v[2:3], v[17:18], v[9:10], v[2:3]
	v_fma_f64 v[11:12], v[19:20], v[9:10], -v[11:12]
	s_delay_alu instid0(VALU_DEP_2) | instskip(SKIP_3) | instid1(VALU_DEP_4)
	v_add_f64 v[9:10], v[64:65], v[2:3]
	s_waitcnt vmcnt(0) lgkmcnt(0)
	v_mul_f64 v[2:3], v[19:20], v[15:16]
	v_mul_f64 v[15:16], v[17:18], v[15:16]
	v_add_f64 v[11:12], v[66:67], v[11:12]
	s_delay_alu instid0(VALU_DEP_3) | instskip(NEXT) | instid1(VALU_DEP_3)
	v_fma_f64 v[2:3], v[17:18], v[13:14], v[2:3]
	v_fma_f64 v[15:16], v[19:20], v[13:14], -v[15:16]
	s_delay_alu instid0(VALU_DEP_2) | instskip(SKIP_4) | instid1(VALU_DEP_1)
	v_add_f64 v[13:14], v[54:55], v[2:3]
	flat_load_b128 v[52:55], v[58:59] offset:48
	v_add_f64 v[15:16], v[56:57], v[15:16]
	s_waitcnt vmcnt(0) lgkmcnt(0)
	v_mul_f64 v[2:3], v[19:20], v[54:55]
	v_fma_f64 v[2:3], v[17:18], v[52:53], v[2:3]
	v_mul_f64 v[17:18], v[17:18], v[54:55]
	s_delay_alu instid0(VALU_DEP_1) | instskip(NEXT) | instid1(VALU_DEP_3)
	v_fma_f64 v[19:20], v[19:20], v[52:53], -v[17:18]
	v_add_f64 v[17:18], v[60:61], v[2:3]
	s_delay_alu instid0(VALU_DEP_2)
	v_add_f64 v[19:20], v[62:63], v[19:20]
	s_and_not1_saveexec_b32 s18, s18
	s_cbranch_execz .LBB372_17
.LBB372_43:                             ;   in Loop: Header=BB372_15 Depth=1
	s_waitcnt lgkmcnt(0)
	v_mov_b32_e32 v17, 0
	v_mov_b32_e32 v18, 0
	s_delay_alu instid0(VALU_DEP_2) | instskip(SKIP_2) | instid1(VALU_DEP_4)
	v_mov_b32_e32 v13, v17
	v_mov_b32_e32 v15, v17
	;; [unrolled: 1-line block ×3, first 2 shown]
	v_dual_mov_b32 v11, v17 :: v_dual_mov_b32 v12, v18
	v_dual_mov_b32 v20, v18 :: v_dual_mov_b32 v19, v17
	v_mov_b32_e32 v14, v18
	v_mov_b32_e32 v16, v18
	v_dual_mov_b32 v10, v18 :: v_dual_mov_b32 v7, v17
	v_dual_mov_b32 v8, v18 :: v_dual_mov_b32 v5, v17
	v_mov_b32_e32 v6, v18
	s_and_saveexec_b32 s39, s3
	s_cbranch_execz .LBB372_49
; %bb.44:                               ;   in Loop: Header=BB372_15 Depth=1
	v_mov_b32_e32 v17, 0
	v_mov_b32_e32 v18, 0
	s_delay_alu instid0(VALU_DEP_2) | instskip(SKIP_2) | instid1(VALU_DEP_4)
	v_mov_b32_e32 v13, v17
	v_mov_b32_e32 v15, v17
	;; [unrolled: 1-line block ×3, first 2 shown]
	v_dual_mov_b32 v11, v17 :: v_dual_mov_b32 v12, v18
	v_dual_mov_b32 v20, v18 :: v_dual_mov_b32 v19, v17
	v_mov_b32_e32 v14, v18
	v_mov_b32_e32 v16, v18
	v_dual_mov_b32 v10, v18 :: v_dual_mov_b32 v7, v17
	v_dual_mov_b32 v8, v18 :: v_dual_mov_b32 v5, v17
	v_mov_b32_e32 v6, v18
	s_and_not1_b32 vcc_lo, exec_lo, s34
	s_cbranch_vccnz .LBB372_49
; %bb.45:                               ;   in Loop: Header=BB372_15 Depth=1
	v_mov_b32_e32 v4, 0
	v_mov_b32_e32 v2, v22
	s_mov_b32 s21, s29
.LBB372_46:                             ;   Parent Loop BB372_15 Depth=1
                                        ; =>  This Inner Loop Header: Depth=2
	s_delay_alu instid0(VALU_DEP_1) | instskip(SKIP_1) | instid1(SALU_CYCLE_1)
	v_ashrrev_i32_e32 v3, 31, v2
	s_add_i32 s21, s21, -1
	s_cmp_eq_u32 s21, 0
	s_delay_alu instid0(VALU_DEP_1) | instskip(SKIP_1) | instid1(VALU_DEP_2)
	v_lshlrev_b64 v[5:6], 4, v[2:3]
	v_add_nc_u32_e32 v2, s28, v2
	v_add_co_u32 v5, vcc_lo, s6, v5
	s_delay_alu instid0(VALU_DEP_3)
	v_add_co_ci_u32_e32 v6, vcc_lo, s7, v6, vcc_lo
	flat_load_b128 v[5:8], v[5:6]
	s_waitcnt vmcnt(0) lgkmcnt(0)
	scratch_store_b128 v4, v[5:8], off
	v_add_nc_u32_e32 v4, 16, v4
	s_cbranch_scc0 .LBB372_46
; %bb.47:                               ;   in Loop: Header=BB372_15 Depth=1
	s_ashr_i32 s21, s20, 31
	v_dual_mov_b32 v5, 0 :: v_dual_mov_b32 v4, v51
	v_mov_b32_e32 v6, 0
	s_lshl_b64 s[22:23], s[20:21], 4
	s_mov_b32 s24, s36
	v_add_co_u32 v2, vcc_lo, v33, s22
	v_add_co_ci_u32_e32 v3, vcc_lo, s23, v34, vcc_lo
	v_dual_mov_b32 v8, v6 :: v_dual_mov_b32 v7, v5
	v_dual_mov_b32 v12, v6 :: v_dual_mov_b32 v11, v5
	;; [unrolled: 1-line block ×7, first 2 shown]
	s_mov_b32 s22, s37
	s_mov_b32 s26, s38
	;; [unrolled: 1-line block ×3, first 2 shown]
.LBB372_48:                             ;   Parent Loop BB372_15 Depth=1
                                        ; =>  This Inner Loop Header: Depth=2
	s_ashr_i32 s27, s26, 31
	s_ashr_i32 s25, s24, 31
	s_lshl_b64 s[40:41], s[26:27], 4
	s_lshl_b64 s[42:43], s[24:25], 4
	v_add_co_u32 v31, vcc_lo, v33, s40
	s_ashr_i32 s23, s22, 31
	v_add_co_ci_u32_e32 v32, vcc_lo, s41, v34, vcc_lo
	v_add_co_u32 v64, vcc_lo, v33, s42
	s_lshl_b64 s[44:45], s[22:23], 4
	v_add_co_ci_u32_e32 v65, vcc_lo, s43, v34, vcc_lo
	v_add_co_u32 v68, vcc_lo, v33, s44
	v_add_co_ci_u32_e32 v69, vcc_lo, s45, v34, vcc_lo
	scratch_load_b128 v[52:55], v4, off offset:-8
	flat_load_b128 v[56:59], v[2:3]
	s_clause 0x2
	flat_load_b128 v[60:63], v[31:32]
	flat_load_b128 v[64:67], v[64:65]
	;; [unrolled: 1-line block ×3, first 2 shown]
	v_add_co_u32 v2, vcc_lo, v2, 16
	v_add_nc_u32_e32 v4, 16, v4
	v_add_co_ci_u32_e32 v3, vcc_lo, 0, v3, vcc_lo
	s_add_i32 s21, s21, -1
	s_add_i32 s26, s26, 1
	s_add_i32 s24, s24, 1
	;; [unrolled: 1-line block ×3, first 2 shown]
	s_cmp_lg_u32 s21, 0
	s_waitcnt vmcnt(2) lgkmcnt(2)
	v_mul_f64 v[72:73], v[54:55], v[62:63]
	v_mul_f64 v[31:32], v[54:55], v[58:59]
	;; [unrolled: 1-line block ×4, first 2 shown]
	s_waitcnt vmcnt(1) lgkmcnt(1)
	v_mul_f64 v[74:75], v[54:55], v[66:67]
	v_mul_f64 v[66:67], v[52:53], v[66:67]
	s_waitcnt vmcnt(0) lgkmcnt(0)
	v_mul_f64 v[76:77], v[54:55], v[70:71]
	v_mul_f64 v[70:71], v[52:53], v[70:71]
	v_fma_f64 v[31:32], v[52:53], v[56:57], v[31:32]
	v_fma_f64 v[56:57], v[54:55], v[56:57], -v[58:59]
	v_fma_f64 v[58:59], v[52:53], v[60:61], v[72:73]
	v_fma_f64 v[60:61], v[54:55], v[60:61], -v[62:63]
	;; [unrolled: 2-line block ×4, first 2 shown]
	v_add_f64 v[7:8], v[7:8], v[31:32]
	v_add_f64 v[5:6], v[5:6], v[56:57]
	;; [unrolled: 1-line block ×8, first 2 shown]
	s_cbranch_scc1 .LBB372_48
.LBB372_49:                             ;   in Loop: Header=BB372_15 Depth=1
	s_or_b32 exec_lo, exec_lo, s39
	s_delay_alu instid0(SALU_CYCLE_1)
	s_or_b32 exec_lo, exec_lo, s18
	s_and_saveexec_b32 s18, s0
	s_cbranch_execnz .LBB372_18
	s_branch .LBB372_19
.LBB372_50:                             ;   in Loop: Header=BB372_15 Depth=1
	ds_load_b128 v[5:8], v49
	s_or_b32 exec_lo, exec_lo, s18
	s_and_saveexec_b32 s18, s0
	s_cbranch_execz .LBB372_23
.LBB372_51:                             ;   in Loop: Header=BB372_15 Depth=1
	s_waitcnt lgkmcnt(0)
	ds_bpermute_b32 v2, v46, v5
	ds_bpermute_b32 v3, v46, v6
	ds_bpermute_b32 v31, v46, v7
	ds_bpermute_b32 v32, v46, v8
	s_waitcnt lgkmcnt(2)
	v_add_f64 v[2:3], v[5:6], v[2:3]
	s_waitcnt lgkmcnt(0)
	v_add_f64 v[4:5], v[7:8], v[31:32]
	ds_bpermute_b32 v6, v47, v2
	ds_bpermute_b32 v7, v47, v3
	ds_bpermute_b32 v31, v47, v4
	ds_bpermute_b32 v32, v47, v5
	s_waitcnt lgkmcnt(2)
	v_add_f64 v[2:3], v[2:3], v[6:7]
	s_waitcnt lgkmcnt(0)
	v_add_f64 v[7:8], v[4:5], v[31:32]
	;; [unrolled: 8-line block ×3, first 2 shown]
	s_or_b32 exec_lo, exec_lo, s18
	s_and_saveexec_b32 s18, s0
	s_cbranch_execnz .LBB372_24
	s_branch .LBB372_25
.LBB372_52:                             ;   in Loop: Header=BB372_15 Depth=1
	ds_load_b128 v[9:12], v49
	s_or_b32 exec_lo, exec_lo, s18
	s_and_saveexec_b32 s18, s0
	s_cbranch_execz .LBB372_29
.LBB372_53:                             ;   in Loop: Header=BB372_15 Depth=1
	s_waitcnt lgkmcnt(0)
	ds_bpermute_b32 v2, v46, v9
	ds_bpermute_b32 v3, v46, v10
	ds_bpermute_b32 v31, v46, v11
	ds_bpermute_b32 v32, v46, v12
	s_waitcnt lgkmcnt(2)
	v_add_f64 v[2:3], v[9:10], v[2:3]
	s_waitcnt lgkmcnt(0)
	v_add_f64 v[9:10], v[11:12], v[31:32]
	ds_bpermute_b32 v11, v47, v2
	ds_bpermute_b32 v12, v47, v3
	ds_bpermute_b32 v31, v47, v9
	ds_bpermute_b32 v32, v47, v10
	s_waitcnt lgkmcnt(2)
	v_add_f64 v[2:3], v[2:3], v[11:12]
	s_waitcnt lgkmcnt(0)
	v_add_f64 v[11:12], v[9:10], v[31:32]
	;; [unrolled: 8-line block ×3, first 2 shown]
	s_or_b32 exec_lo, exec_lo, s18
	s_and_saveexec_b32 s18, s0
	s_cbranch_execnz .LBB372_30
	s_branch .LBB372_31
.LBB372_54:                             ;   in Loop: Header=BB372_15 Depth=1
	ds_load_b128 v[13:16], v49
	s_or_b32 exec_lo, exec_lo, s18
	s_and_saveexec_b32 s18, s0
	s_cbranch_execz .LBB372_35
.LBB372_55:                             ;   in Loop: Header=BB372_15 Depth=1
	s_waitcnt lgkmcnt(0)
	ds_bpermute_b32 v2, v46, v13
	ds_bpermute_b32 v3, v46, v14
	ds_bpermute_b32 v31, v46, v15
	ds_bpermute_b32 v32, v46, v16
	s_waitcnt lgkmcnt(2)
	v_add_f64 v[2:3], v[13:14], v[2:3]
	s_waitcnt lgkmcnt(0)
	v_add_f64 v[13:14], v[15:16], v[31:32]
	ds_bpermute_b32 v15, v47, v2
	ds_bpermute_b32 v16, v47, v3
	ds_bpermute_b32 v31, v47, v13
	ds_bpermute_b32 v32, v47, v14
	s_waitcnt lgkmcnt(2)
	v_add_f64 v[2:3], v[2:3], v[15:16]
	s_waitcnt lgkmcnt(0)
	v_add_f64 v[15:16], v[13:14], v[31:32]
	;; [unrolled: 8-line block ×3, first 2 shown]
	s_or_b32 exec_lo, exec_lo, s18
	s_and_saveexec_b32 s18, s0
	s_cbranch_execnz .LBB372_36
	s_branch .LBB372_37
.LBB372_56:                             ;   in Loop: Header=BB372_15 Depth=1
	ds_load_b128 v[17:20], v49
	s_or_b32 exec_lo, exec_lo, s18
	s_and_saveexec_b32 s18, s0
	s_cbranch_execz .LBB372_41
.LBB372_57:                             ;   in Loop: Header=BB372_15 Depth=1
	s_waitcnt lgkmcnt(0)
	ds_bpermute_b32 v2, v46, v17
	ds_bpermute_b32 v3, v46, v18
	ds_bpermute_b32 v31, v46, v19
	ds_bpermute_b32 v32, v46, v20
	s_waitcnt lgkmcnt(2)
	v_add_f64 v[2:3], v[17:18], v[2:3]
	s_waitcnt lgkmcnt(0)
	v_add_f64 v[17:18], v[19:20], v[31:32]
	ds_bpermute_b32 v19, v47, v2
	ds_bpermute_b32 v20, v47, v3
	ds_bpermute_b32 v31, v47, v17
	ds_bpermute_b32 v32, v47, v18
	s_waitcnt lgkmcnt(2)
	v_add_f64 v[2:3], v[2:3], v[19:20]
	s_waitcnt lgkmcnt(0)
	v_add_f64 v[19:20], v[17:18], v[31:32]
	;; [unrolled: 8-line block ×3, first 2 shown]
	s_or_b32 exec_lo, exec_lo, s18
	s_and_saveexec_b32 s21, s5
	s_cbranch_execz .LBB372_14
.LBB372_58:                             ;   in Loop: Header=BB372_15 Depth=1
	v_mul_f64 v[2:3], s[10:11], v[7:8]
	v_mul_f64 v[7:8], s[8:9], v[7:8]
	;; [unrolled: 1-line block ×6, first 2 shown]
	s_waitcnt lgkmcnt(0)
	v_mul_f64 v[54:55], s[10:11], v[19:20]
	v_mul_f64 v[19:20], s[8:9], v[19:20]
	s_mul_i32 s18, s30, s16
	s_delay_alu instid0(SALU_CYCLE_1) | instskip(NEXT) | instid1(SALU_CYCLE_1)
	s_add_i32 s18, s18, s14
	s_lshl_b64 s[22:23], s[18:19], 4
	s_delay_alu instid0(SALU_CYCLE_1) | instskip(SKIP_2) | instid1(SALU_CYCLE_1)
	s_add_u32 s22, s33, s22
	s_addc_u32 s23, s31, s23
	s_add_i32 s18, s18, s16
	s_lshl_b64 s[24:25], s[18:19], 4
	s_delay_alu instid0(SALU_CYCLE_1) | instskip(SKIP_2) | instid1(SALU_CYCLE_1)
	s_add_u32 s24, s33, s24
	s_addc_u32 s25, s31, s25
	;; [unrolled: 5-line block ×3, first 2 shown]
	s_add_i32 s18, s18, s16
	s_lshl_b64 s[40:41], s[18:19], 4
	s_delay_alu instid0(SALU_CYCLE_1)
	s_add_u32 s40, s33, s40
	s_addc_u32 s41, s31, s41
	v_fma_f64 v[2:3], s[8:9], v[5:6], -v[2:3]
	v_fma_f64 v[4:5], s[10:11], v[5:6], v[7:8]
	v_fma_f64 v[6:7], s[8:9], v[9:10], -v[31:32]
	v_fma_f64 v[8:9], s[10:11], v[9:10], v[11:12]
	;; [unrolled: 2-line block ×4, first 2 shown]
	s_clause 0x3
	global_store_b128 v1, v[2:5], s[22:23]
	global_store_b128 v1, v[6:9], s[24:25]
	;; [unrolled: 1-line block ×4, first 2 shown]
	s_branch .LBB372_14
.LBB372_59:
	s_mov_b32 s30, 0
.LBB372_60:
	s_delay_alu instid0(SALU_CYCLE_1)
	s_cmp_ge_i32 s30, s13
	s_cbranch_scc1 .LBB372_82
; %bb.61:
	v_cmp_gt_u32_e64 s1, 16, v41
	v_ashrrev_i32_e32 v22, 31, v21
	v_cmp_gt_u32_e64 s0, 32, v0
	v_cmp_gt_u32_e64 s2, 8, v0
	v_cmp_eq_u32_e64 s3, 0, v0
	v_cndmask_b32_e64 v1, 0, 1, s1
	v_cmp_gt_u32_e64 s1, 24, v41
	v_cmp_ge_i32_e64 s4, s12, v43
	s_cmp_gt_i32 s29, 0
	s_mov_b32 s15, 0
	v_lshlrev_b32_e32 v1, 4, v1
	v_cndmask_b32_e64 v2, 0, 1, s1
	v_cmp_gt_u32_e64 s1, 28, v41
	v_cmp_ge_i32_e32 vcc_lo, s12, v42
	s_cselect_b32 s18, -1, 0
	s_waitcnt lgkmcnt(0)
	v_add_lshl_u32 v18, v1, v41, 2
	v_lshlrev_b32_e32 v2, 3, v2
	v_cndmask_b32_e64 v3, 0, 1, s1
	v_cmp_gt_u32_e64 s1, 30, v41
	v_add_nc_u32_e32 v1, s28, v21
	v_lshlrev_b32_e32 v17, 4, v40
	v_add_lshl_u32 v19, v2, v41, 2
	v_lshlrev_b32_e32 v3, 2, v3
	v_cndmask_b32_e64 v4, 0, 1, s1
	v_cmp_ne_u32_e64 s1, 31, v41
	v_ashrrev_i32_e32 v2, 31, v1
	v_add_nc_u32_e32 v0, s28, v1
	v_add_lshl_u32 v20, v3, v41, 2
	v_lshlrev_b32_e32 v4, 1, v4
	v_add_co_ci_u32_e64 v5, s1, 0, v41, s1
	v_lshlrev_b64 v[7:8], 4, v[1:2]
	v_add_nc_u32_e32 v2, s28, v0
	s_delay_alu instid0(VALU_DEP_4)
	v_add_lshl_u32 v23, v4, v41, 2
	v_lshlrev_b64 v[3:4], 4, v[21:22]
	v_ashrrev_i32_e32 v1, 31, v0
	v_lshlrev_b32_e32 v24, 2, v5
	v_cmp_eq_u32_e64 s1, 0, v40
	v_and_b32_e32 v25, 0x70, v39
	s_lshl_b64 s[14:15], s[14:15], 4
	v_add_co_u32 v5, s5, s6, v3
	v_ashrrev_i32_e32 v3, 31, v2
	v_lshlrev_b64 v[0:1], 4, v[0:1]
	v_add_co_ci_u32_e64 v6, s5, s7, v4, s5
	v_add_co_u32 v7, s5, s6, v7
	s_delay_alu instid0(VALU_DEP_4)
	v_lshlrev_b64 v[2:3], 4, v[2:3]
	v_add_co_ci_u32_e64 v8, s5, s7, v8, s5
	v_add_co_u32 v9, s5, s6, v0
	v_mov_b32_e32 v0, 0
	v_add_co_ci_u32_e64 v10, s5, s7, v1, s5
	v_add_co_u32 v11, s5, s6, v2
	s_delay_alu instid0(VALU_DEP_1)
	v_add_co_ci_u32_e64 v12, s5, s7, v3, s5
	s_add_u32 s12, s33, s14
	s_addc_u32 s5, s31, s15
	s_and_b32 s18, s18, s4
	s_mul_i32 s14, s30, s17
	s_branch .LBB372_63
.LBB372_62:                             ;   in Loop: Header=BB372_63 Depth=1
	s_or_b32 exec_lo, exec_lo, s4
	s_add_i32 s30, s30, 1
	s_add_i32 s14, s14, s17
	s_cmp_lt_i32 s30, s13
	s_cbranch_scc0 .LBB372_82
.LBB372_63:                             ; =>This Loop Header: Depth=1
                                        ;     Child Loop BB372_75 Depth 2
                                        ;     Child Loop BB372_77 Depth 2
                                        ; implicit-def: $vgpr13_vgpr14
                                        ; implicit-def: $vgpr15_vgpr16
	s_and_saveexec_b32 s4, vcc_lo
	s_delay_alu instid0(SALU_CYCLE_1)
	s_xor_b32 s15, exec_lo, s4
	s_cbranch_execnz .LBB372_72
; %bb.64:                               ;   in Loop: Header=BB372_63 Depth=1
	s_and_not1_saveexec_b32 s19, s15
	s_cbranch_execnz .LBB372_73
.LBB372_65:                             ;   in Loop: Header=BB372_63 Depth=1
	s_or_b32 exec_lo, exec_lo, s19
	s_and_saveexec_b32 s4, s0
	s_cbranch_execz .LBB372_67
.LBB372_66:                             ;   in Loop: Header=BB372_63 Depth=1
	s_waitcnt lgkmcnt(0)
	v_mov_b32_e32 v1, v0
	v_mov_b32_e32 v2, v0
	;; [unrolled: 1-line block ×3, first 2 shown]
	ds_store_b128 v17, v[0:3]
.LBB372_67:                             ;   in Loop: Header=BB372_63 Depth=1
	s_or_b32 exec_lo, exec_lo, s4
	s_waitcnt lgkmcnt(0)
	ds_bpermute_b32 v1, v18, v13
	ds_bpermute_b32 v2, v18, v14
	;; [unrolled: 1-line block ×4, first 2 shown]
	s_waitcnt lgkmcnt(0)
	s_waitcnt_vscnt null, 0x0
	s_barrier
	buffer_gl0_inv
	v_add_f64 v[1:2], v[13:14], v[1:2]
	v_add_f64 v[3:4], v[15:16], v[3:4]
	ds_bpermute_b32 v13, v19, v1
	ds_bpermute_b32 v14, v19, v2
	ds_bpermute_b32 v15, v19, v3
	ds_bpermute_b32 v16, v19, v4
	s_waitcnt lgkmcnt(2)
	v_add_f64 v[1:2], v[1:2], v[13:14]
	s_waitcnt lgkmcnt(0)
	v_add_f64 v[3:4], v[3:4], v[15:16]
	ds_bpermute_b32 v13, v20, v1
	ds_bpermute_b32 v14, v20, v2
	ds_bpermute_b32 v15, v20, v3
	ds_bpermute_b32 v16, v20, v4
	s_waitcnt lgkmcnt(2)
	v_add_f64 v[1:2], v[1:2], v[13:14]
	s_waitcnt lgkmcnt(0)
	;; [unrolled: 8-line block ×3, first 2 shown]
	v_add_f64 v[13:14], v[3:4], v[15:16]
	ds_bpermute_b32 v3, v24, v1
	ds_bpermute_b32 v4, v24, v2
	;; [unrolled: 1-line block ×4, first 2 shown]
	s_and_saveexec_b32 s4, s1
	s_cbranch_execz .LBB372_69
; %bb.68:                               ;   in Loop: Header=BB372_63 Depth=1
	s_waitcnt lgkmcnt(0)
	v_add_f64 v[15:16], v[13:14], v[15:16]
	v_add_f64 v[13:14], v[1:2], v[3:4]
	ds_store_b128 v25, v[13:16]
.LBB372_69:                             ;   in Loop: Header=BB372_63 Depth=1
	s_or_b32 exec_lo, exec_lo, s4
	s_waitcnt lgkmcnt(2)
	v_mov_b32_e32 v3, 0
	v_mov_b32_e32 v4, 0
	s_delay_alu instid0(VALU_DEP_2)
	v_mov_b32_e32 v1, v3
	s_waitcnt lgkmcnt(0)
	s_barrier
	buffer_gl0_inv
	v_mov_b32_e32 v2, v4
	s_and_saveexec_b32 s4, s2
	s_cbranch_execnz .LBB372_79
; %bb.70:                               ;   in Loop: Header=BB372_63 Depth=1
	s_or_b32 exec_lo, exec_lo, s4
	s_and_saveexec_b32 s4, s0
	s_cbranch_execnz .LBB372_80
.LBB372_71:                             ;   in Loop: Header=BB372_63 Depth=1
	s_or_b32 exec_lo, exec_lo, s4
	s_and_saveexec_b32 s4, s3
	s_cbranch_execz .LBB372_62
	s_branch .LBB372_81
.LBB372_72:                             ;   in Loop: Header=BB372_63 Depth=1
	s_waitcnt lgkmcnt(0)
	s_clause 0x3
	flat_load_b128 v[1:4], v[7:8]
	flat_load_b128 v[13:16], v[9:10]
	;; [unrolled: 1-line block ×4, first 2 shown]
	s_mul_i32 s20, s30, s17
	s_waitcnt vmcnt(3) lgkmcnt(3)
	scratch_store_b128 v35, v[1:4], off
	s_waitcnt vmcnt(2) lgkmcnt(2)
	scratch_store_b128 v36, v[13:16], off
	s_waitcnt vmcnt(1) lgkmcnt(1)
	scratch_store_b128 off, v[26:29], off
	s_waitcnt vmcnt(0) lgkmcnt(0)
	scratch_store_b128 v37, v[39:42], off
	s_ashr_i32 s21, s20, 31
	s_delay_alu instid0(SALU_CYCLE_1) | instskip(NEXT) | instid1(SALU_CYCLE_1)
	s_lshl_b64 s[20:21], s[20:21], 4
	v_add_co_u32 v30, s4, v33, s20
	s_delay_alu instid0(VALU_DEP_1)
	v_add_co_ci_u32_e64 v31, s4, s21, v34, s4
	s_clause 0x1
	flat_load_b128 v[1:4], v[30:31]
	flat_load_b128 v[13:16], v[30:31] offset:16
	s_clause 0x1
	scratch_load_b128 v[39:42], off, off offset:16
	scratch_load_b128 v[43:46], off, off offset:32
	s_clause 0x1
	flat_load_b128 v[47:50], v[30:31] offset:32
	flat_load_b128 v[51:54], v[30:31] offset:48
	scratch_load_b128 v[55:58], off, off offset:48
	s_waitcnt vmcnt(6) lgkmcnt(3)
	v_mul_f64 v[30:31], v[3:4], v[28:29]
	v_mul_f64 v[3:4], v[3:4], v[26:27]
	s_waitcnt vmcnt(4) lgkmcnt(2)
	v_mul_f64 v[59:60], v[15:16], v[41:42]
	v_mul_f64 v[15:16], v[15:16], v[39:40]
	s_delay_alu instid0(VALU_DEP_4) | instskip(NEXT) | instid1(VALU_DEP_4)
	v_fma_f64 v[26:27], v[1:2], v[26:27], v[30:31]
	v_fma_f64 v[1:2], v[1:2], v[28:29], -v[3:4]
	s_waitcnt vmcnt(2) lgkmcnt(1)
	v_mul_f64 v[3:4], v[49:50], v[45:46]
	v_mul_f64 v[28:29], v[49:50], v[43:44]
	v_fma_f64 v[30:31], v[13:14], v[39:40], v[59:60]
	v_fma_f64 v[13:14], v[13:14], v[41:42], -v[15:16]
	s_waitcnt vmcnt(0) lgkmcnt(0)
	v_mul_f64 v[39:40], v[53:54], v[55:56]
	v_add_f64 v[15:16], v[26:27], 0
	v_add_f64 v[1:2], v[1:2], 0
	v_mul_f64 v[26:27], v[53:54], v[57:58]
	v_fma_f64 v[3:4], v[47:48], v[43:44], v[3:4]
	v_fma_f64 v[28:29], v[47:48], v[45:46], -v[28:29]
	v_add_f64 v[15:16], v[15:16], v[30:31]
	v_add_f64 v[1:2], v[1:2], v[13:14]
	v_fma_f64 v[13:14], v[51:52], v[55:56], v[26:27]
	v_fma_f64 v[26:27], v[51:52], v[57:58], -v[39:40]
	s_delay_alu instid0(VALU_DEP_4) | instskip(NEXT) | instid1(VALU_DEP_4)
	v_add_f64 v[3:4], v[15:16], v[3:4]
	v_add_f64 v[1:2], v[1:2], v[28:29]
	s_delay_alu instid0(VALU_DEP_2) | instskip(NEXT) | instid1(VALU_DEP_2)
	v_add_f64 v[13:14], v[3:4], v[13:14]
	v_add_f64 v[15:16], v[1:2], v[26:27]
	s_and_not1_saveexec_b32 s19, s15
	s_cbranch_execz .LBB372_65
.LBB372_73:                             ;   in Loop: Header=BB372_63 Depth=1
	v_mov_b32_e32 v13, 0
	v_mov_b32_e32 v14, 0
	s_delay_alu instid0(VALU_DEP_1)
	v_dual_mov_b32 v16, v14 :: v_dual_mov_b32 v15, v13
	s_and_saveexec_b32 s20, s18
	s_cbranch_execz .LBB372_78
; %bb.74:                               ;   in Loop: Header=BB372_63 Depth=1
	s_waitcnt lgkmcnt(0)
	v_mov_b32_e32 v3, 0
	v_mov_b32_e32 v1, v21
	s_mov_b32 s15, s29
.LBB372_75:                             ;   Parent Loop BB372_63 Depth=1
                                        ; =>  This Inner Loop Header: Depth=2
	s_delay_alu instid0(VALU_DEP_1) | instskip(SKIP_1) | instid1(SALU_CYCLE_1)
	v_ashrrev_i32_e32 v2, 31, v1
	s_add_i32 s15, s15, -1
	s_cmp_eq_u32 s15, 0
	s_delay_alu instid0(VALU_DEP_1) | instskip(SKIP_1) | instid1(VALU_DEP_2)
	v_lshlrev_b64 v[13:14], 4, v[1:2]
	v_add_nc_u32_e32 v1, s28, v1
	v_add_co_u32 v13, s4, s6, v13
	s_delay_alu instid0(VALU_DEP_1)
	v_add_co_ci_u32_e64 v14, s4, s7, v14, s4
	flat_load_b128 v[13:16], v[13:14]
	s_waitcnt vmcnt(0) lgkmcnt(0)
	scratch_store_b128 v3, v[13:16], off
	v_add_nc_u32_e32 v3, 16, v3
	s_cbranch_scc0 .LBB372_75
; %bb.76:                               ;   in Loop: Header=BB372_63 Depth=1
	s_ashr_i32 s15, s14, 31
	v_mov_b32_e32 v13, 0
	v_dual_mov_b32 v14, 0 :: v_dual_mov_b32 v3, v38
	s_lshl_b64 s[22:23], s[14:15], 4
	s_mov_b32 s15, s29
	v_add_co_u32 v1, s4, v33, s22
	s_delay_alu instid0(VALU_DEP_1)
	v_add_co_ci_u32_e64 v2, s4, s23, v34, s4
	v_dual_mov_b32 v16, v14 :: v_dual_mov_b32 v15, v13
	.p2align	6
.LBB372_77:                             ;   Parent Loop BB372_63 Depth=1
                                        ; =>  This Inner Loop Header: Depth=2
	flat_load_b128 v[26:29], v[1:2]
	scratch_load_b128 v[39:42], v3, off offset:-8
	v_add_co_u32 v1, s4, v1, 16
	v_add_nc_u32_e32 v3, 16, v3
	v_add_co_ci_u32_e64 v2, s4, 0, v2, s4
	s_add_i32 s15, s15, -1
	s_delay_alu instid0(SALU_CYCLE_1) | instskip(SKIP_3) | instid1(VALU_DEP_2)
	s_cmp_lg_u32 s15, 0
	s_waitcnt vmcnt(0) lgkmcnt(0)
	v_mul_f64 v[30:31], v[28:29], v[41:42]
	v_mul_f64 v[28:29], v[28:29], v[39:40]
	v_fma_f64 v[30:31], v[26:27], v[39:40], v[30:31]
	s_delay_alu instid0(VALU_DEP_2) | instskip(NEXT) | instid1(VALU_DEP_2)
	v_fma_f64 v[26:27], v[26:27], v[41:42], -v[28:29]
	v_add_f64 v[13:14], v[13:14], v[30:31]
	s_delay_alu instid0(VALU_DEP_2)
	v_add_f64 v[15:16], v[15:16], v[26:27]
	s_cbranch_scc1 .LBB372_77
.LBB372_78:                             ;   in Loop: Header=BB372_63 Depth=1
	s_or_b32 exec_lo, exec_lo, s20
	s_delay_alu instid0(SALU_CYCLE_1)
	s_or_b32 exec_lo, exec_lo, s19
	s_and_saveexec_b32 s4, s0
	s_cbranch_execnz .LBB372_66
	s_branch .LBB372_67
.LBB372_79:                             ;   in Loop: Header=BB372_63 Depth=1
	ds_load_b128 v[1:4], v17
	s_or_b32 exec_lo, exec_lo, s4
	s_and_saveexec_b32 s4, s0
	s_cbranch_execz .LBB372_71
.LBB372_80:                             ;   in Loop: Header=BB372_63 Depth=1
	s_waitcnt lgkmcnt(0)
	ds_bpermute_b32 v13, v20, v1
	ds_bpermute_b32 v14, v20, v2
	ds_bpermute_b32 v15, v20, v3
	ds_bpermute_b32 v16, v20, v4
	s_waitcnt lgkmcnt(2)
	v_add_f64 v[1:2], v[1:2], v[13:14]
	s_waitcnt lgkmcnt(0)
	v_add_f64 v[3:4], v[3:4], v[15:16]
	ds_bpermute_b32 v13, v23, v1
	ds_bpermute_b32 v14, v23, v2
	ds_bpermute_b32 v15, v23, v3
	ds_bpermute_b32 v16, v23, v4
	s_waitcnt lgkmcnt(2)
	v_add_f64 v[1:2], v[1:2], v[13:14]
	s_waitcnt lgkmcnt(0)
	v_add_f64 v[3:4], v[3:4], v[15:16]
	ds_bpermute_b32 v13, v24, v1
	ds_bpermute_b32 v14, v24, v2
	ds_bpermute_b32 v15, v24, v3
	ds_bpermute_b32 v16, v24, v4
	s_waitcnt lgkmcnt(2)
	v_add_f64 v[1:2], v[1:2], v[13:14]
	s_waitcnt lgkmcnt(0)
	v_add_f64 v[3:4], v[3:4], v[15:16]
	s_or_b32 exec_lo, exec_lo, s4
	s_and_saveexec_b32 s4, s3
	s_cbranch_execz .LBB372_62
.LBB372_81:                             ;   in Loop: Header=BB372_63 Depth=1
	s_waitcnt lgkmcnt(0)
	s_delay_alu instid0(VALU_DEP_1) | instskip(SKIP_3) | instid1(SALU_CYCLE_1)
	v_mul_f64 v[13:14], s[10:11], v[3:4]
	v_mul_f64 v[3:4], s[8:9], v[3:4]
	s_mul_hi_u32 s21, s30, s16
	s_mul_i32 s20, s30, s16
	s_lshl_b64 s[20:21], s[20:21], 4
	s_delay_alu instid0(SALU_CYCLE_1) | instskip(SKIP_1) | instid1(VALU_DEP_2)
	s_add_u32 s20, s12, s20
	s_addc_u32 s21, s5, s21
	v_fma_f64 v[13:14], s[8:9], v[1:2], -v[13:14]
	s_delay_alu instid0(VALU_DEP_2)
	v_fma_f64 v[15:16], s[10:11], v[1:2], v[3:4]
	global_store_b128 v0, v[13:16], s[20:21]
	s_branch .LBB372_62
.LBB372_82:
	s_nop 0
	s_sendmsg sendmsg(MSG_DEALLOC_VGPRS)
	s_endpgm
	.section	.rodata,"a",@progbits
	.p2align	6, 0x0
	.amdhsa_kernel _ZL23rocblas_gemvt_sn_kernelILb1ELi256ELi4EiPK19rocblas_complex_numIdES1_S1_EviiT4_lPKT3_lilS7_lilPT5_i
		.amdhsa_group_segment_fixed_size 512
		.amdhsa_private_segment_fixed_size 80
		.amdhsa_kernarg_size 368
		.amdhsa_user_sgpr_count 14
		.amdhsa_user_sgpr_dispatch_ptr 0
		.amdhsa_user_sgpr_queue_ptr 0
		.amdhsa_user_sgpr_kernarg_segment_ptr 1
		.amdhsa_user_sgpr_dispatch_id 0
		.amdhsa_user_sgpr_private_segment_size 0
		.amdhsa_wavefront_size32 1
		.amdhsa_uses_dynamic_stack 0
		.amdhsa_enable_private_segment 1
		.amdhsa_system_sgpr_workgroup_id_x 1
		.amdhsa_system_sgpr_workgroup_id_y 0
		.amdhsa_system_sgpr_workgroup_id_z 1
		.amdhsa_system_sgpr_workgroup_info 0
		.amdhsa_system_vgpr_workitem_id 0
		.amdhsa_next_free_vgpr 78
		.amdhsa_next_free_sgpr 46
		.amdhsa_reserve_vcc 1
		.amdhsa_float_round_mode_32 0
		.amdhsa_float_round_mode_16_64 0
		.amdhsa_float_denorm_mode_32 3
		.amdhsa_float_denorm_mode_16_64 3
		.amdhsa_dx10_clamp 1
		.amdhsa_ieee_mode 1
		.amdhsa_fp16_overflow 0
		.amdhsa_workgroup_processor_mode 1
		.amdhsa_memory_ordered 1
		.amdhsa_forward_progress 0
		.amdhsa_shared_vgpr_count 0
		.amdhsa_exception_fp_ieee_invalid_op 0
		.amdhsa_exception_fp_denorm_src 0
		.amdhsa_exception_fp_ieee_div_zero 0
		.amdhsa_exception_fp_ieee_overflow 0
		.amdhsa_exception_fp_ieee_underflow 0
		.amdhsa_exception_fp_ieee_inexact 0
		.amdhsa_exception_int_div_zero 0
	.end_amdhsa_kernel
	.section	.text._ZL23rocblas_gemvt_sn_kernelILb1ELi256ELi4EiPK19rocblas_complex_numIdES1_S1_EviiT4_lPKT3_lilS7_lilPT5_i,"axG",@progbits,_ZL23rocblas_gemvt_sn_kernelILb1ELi256ELi4EiPK19rocblas_complex_numIdES1_S1_EviiT4_lPKT3_lilS7_lilPT5_i,comdat
.Lfunc_end372:
	.size	_ZL23rocblas_gemvt_sn_kernelILb1ELi256ELi4EiPK19rocblas_complex_numIdES1_S1_EviiT4_lPKT3_lilS7_lilPT5_i, .Lfunc_end372-_ZL23rocblas_gemvt_sn_kernelILb1ELi256ELi4EiPK19rocblas_complex_numIdES1_S1_EviiT4_lPKT3_lilS7_lilPT5_i
                                        ; -- End function
	.section	.AMDGPU.csdata,"",@progbits
; Kernel info:
; codeLenInByte = 7648
; NumSgprs: 48
; NumVgprs: 78
; ScratchSize: 80
; MemoryBound: 0
; FloatMode: 240
; IeeeMode: 1
; LDSByteSize: 512 bytes/workgroup (compile time only)
; SGPRBlocks: 5
; VGPRBlocks: 9
; NumSGPRsForWavesPerEU: 48
; NumVGPRsForWavesPerEU: 78
; Occupancy: 16
; WaveLimiterHint : 0
; COMPUTE_PGM_RSRC2:SCRATCH_EN: 1
; COMPUTE_PGM_RSRC2:USER_SGPR: 14
; COMPUTE_PGM_RSRC2:TRAP_HANDLER: 0
; COMPUTE_PGM_RSRC2:TGID_X_EN: 1
; COMPUTE_PGM_RSRC2:TGID_Y_EN: 0
; COMPUTE_PGM_RSRC2:TGID_Z_EN: 1
; COMPUTE_PGM_RSRC2:TIDIG_COMP_CNT: 0
	.section	.text._ZL23rocblas_gemvt_sn_kernelILb1ELi256ELi4ElPK19rocblas_complex_numIdES1_S1_EviiT4_lPKT3_lilS7_lilPT5_i,"axG",@progbits,_ZL23rocblas_gemvt_sn_kernelILb1ELi256ELi4ElPK19rocblas_complex_numIdES1_S1_EviiT4_lPKT3_lilS7_lilPT5_i,comdat
	.globl	_ZL23rocblas_gemvt_sn_kernelILb1ELi256ELi4ElPK19rocblas_complex_numIdES1_S1_EviiT4_lPKT3_lilS7_lilPT5_i ; -- Begin function _ZL23rocblas_gemvt_sn_kernelILb1ELi256ELi4ElPK19rocblas_complex_numIdES1_S1_EviiT4_lPKT3_lilS7_lilPT5_i
	.p2align	8
	.type	_ZL23rocblas_gemvt_sn_kernelILb1ELi256ELi4ElPK19rocblas_complex_numIdES1_S1_EviiT4_lPKT3_lilS7_lilPT5_i,@function
_ZL23rocblas_gemvt_sn_kernelILb1ELi256ELi4ElPK19rocblas_complex_numIdES1_S1_EviiT4_lPKT3_lilS7_lilPT5_i: ; @_ZL23rocblas_gemvt_sn_kernelILb1ELi256ELi4ElPK19rocblas_complex_numIdES1_S1_EviiT4_lPKT3_lilS7_lilPT5_i
; %bb.0:
	s_load_b128 s[8:11], s[0:1], 0x8
	s_mov_b32 s4, s15
	s_mov_b64 s[18:19], 0
	s_mov_b32 s5, -1
	s_waitcnt lgkmcnt(0)
	v_cmp_neq_f64_e64 s2, s[8:9], 0
	v_cmp_neq_f64_e64 s3, s[10:11], 0
	s_delay_alu instid0(VALU_DEP_1) | instskip(NEXT) | instid1(SALU_CYCLE_1)
	s_or_b32 s2, s2, s3
	s_and_b32 vcc_lo, exec_lo, s2
	s_cbranch_vccnz .LBB373_2
; %bb.1:
	s_mov_b32 s5, 0
	s_cbranch_execz .LBB373_3
	s_branch .LBB373_4
.LBB373_2:
                                        ; implicit-def: $sgpr18_sgpr19
	s_and_not1_b32 vcc_lo, exec_lo, s5
	s_cbranch_vccnz .LBB373_4
.LBB373_3:
	s_load_b128 s[16:19], s[0:1], 0x20
	s_mov_b32 s5, 0
	s_delay_alu instid0(SALU_CYCLE_1)
	s_lshl_b64 s[6:7], s[4:5], 3
	s_waitcnt lgkmcnt(0)
	s_add_u32 s6, s16, s6
	s_addc_u32 s7, s17, s7
	s_lshl_b64 s[12:13], s[18:19], 4
	s_load_b64 s[6:7], s[6:7], 0x0
	s_waitcnt lgkmcnt(0)
	s_add_u32 s18, s6, s12
	s_addc_u32 s19, s7, s13
.LBB373_4:
	v_cndmask_b32_e64 v1, 0, 1, s2
	s_xor_b32 s3, s2, -1
	s_mov_b64 s[20:21], 0
	s_delay_alu instid0(VALU_DEP_1)
	v_cmp_ne_u32_e32 vcc_lo, 1, v1
	s_cbranch_vccnz .LBB373_6
; %bb.5:
	s_load_b128 s[20:23], s[0:1], 0x40
	s_lshl_b64 s[6:7], s[4:5], 3
	s_waitcnt lgkmcnt(0)
	s_add_u32 s6, s20, s6
	s_addc_u32 s7, s21, s7
	s_lshl_b64 s[12:13], s[22:23], 4
	s_load_b64 s[6:7], s[6:7], 0x0
	s_waitcnt lgkmcnt(0)
	s_add_u32 s20, s6, s12
	s_addc_u32 s21, s7, s13
.LBB373_6:
	s_clause 0x2
	s_load_b64 s[6:7], s[0:1], 0x0
	s_load_b32 s12, s[0:1], 0x70
	s_load_b64 s[24:25], s[0:1], 0x60
	s_and_not1_b32 vcc_lo, exec_lo, s3
	v_cmp_eq_u32_e64 s2, 0, v0
	s_mov_b32 s13, 0
	s_waitcnt lgkmcnt(0)
	s_ashr_i32 s26, s7, 31
	s_mul_hi_u32 s3, s4, s7
	s_mul_i32 s15, s4, s26
	s_mul_i32 s5, s5, s7
	s_add_i32 s3, s3, s15
	s_mul_i32 s4, s4, s7
	s_add_i32 s3, s3, s5
	s_mul_hi_u32 s5, s4, s12
	s_mul_i32 s3, s3, s12
	s_mul_i32 s4, s4, s12
	s_add_i32 s5, s5, s3
	s_mov_b32 s3, -1
	s_cbranch_vccnz .LBB373_11
; %bb.7:
	s_cmp_gt_i32 s7, 0
	s_cselect_b32 s3, -1, 0
	s_delay_alu instid0(SALU_CYCLE_1) | instskip(NEXT) | instid1(SALU_CYCLE_1)
	s_and_b32 s2, s2, s3
	s_and_saveexec_b32 s22, s2
	s_cbranch_execz .LBB373_10
; %bb.8:
	s_mov_b32 s15, 0
	v_mov_b32_e32 v1, 0
	s_lshl_b64 s[2:3], s[4:5], 4
	s_lshl_b64 s[16:17], s[14:15], 4
	s_delay_alu instid0(SALU_CYCLE_1)
	s_add_u32 s2, s2, s16
	s_addc_u32 s3, s3, s17
	s_add_u32 s2, s2, s24
	v_mov_b32_e32 v2, v1
	v_mov_b32_e32 v3, v1
	v_mov_b32_e32 v4, v1
	s_addc_u32 s3, s3, s25
	s_add_u32 s2, s2, 8
	s_addc_u32 s3, s3, 0
	s_lshl_b64 s[16:17], s[12:13], 4
	s_mov_b32 s13, s7
.LBB373_9:                              ; =>This Inner Loop Header: Depth=1
	s_delay_alu instid0(SALU_CYCLE_1)
	s_add_i32 s13, s13, -1
	global_store_b128 v1, v[1:4], s[2:3] offset:-8
	s_add_u32 s2, s2, s16
	s_addc_u32 s3, s3, s17
	s_cmp_eq_u32 s13, 0
	s_cbranch_scc0 .LBB373_9
.LBB373_10:
	s_or_b32 exec_lo, exec_lo, s22
	s_mov_b32 s3, 0
.LBB373_11:
	s_delay_alu instid0(SALU_CYCLE_1)
	s_and_not1_b32 vcc_lo, exec_lo, s3
	s_cbranch_vccnz .LBB373_82
; %bb.12:
	s_clause 0x1
	s_load_b32 s16, s[0:1], 0x30
	s_load_b32 s22, s[0:1], 0x50
	s_lshl_b64 s[2:3], s[4:5], 4
	v_and_b32_e32 v44, 31, v0
	v_cmp_gt_u32_e64 s0, 32, v0
	v_mbcnt_lo_u32_b32 v46, -1, 0
	v_cmp_gt_u32_e64 s1, 8, v0
	v_lshrrev_b32_e32 v45, 1, v0
	v_add_nc_u32_e64 v38, 0, 16
	v_add_nc_u32_e64 v39, 0, 32
	;; [unrolled: 1-line block ×3, first 2 shown]
	v_or_b32_e64 v41, 0, 8
	s_waitcnt lgkmcnt(0)
	s_ashr_i32 s17, s16, 31
	s_ashr_i32 s23, s22, 31
	s_add_u32 s30, s24, s2
	s_addc_u32 s31, s25, s3
	s_lshl_b32 s2, s14, 10
	s_ashr_i32 s3, s6, 31
	v_lshl_or_b32 v25, v0, 2, s2
	s_lshr_b32 s2, s26, 30
	s_lshr_b32 s3, s3, 30
	s_add_i32 s2, s7, s2
	s_add_i32 s3, s6, s3
	v_ashrrev_i32_e32 v26, 31, v25
	s_and_b32 s33, s2, -4
	s_and_b32 s2, s3, -4
	v_add_nc_u32_e32 v48, 4, v25
	s_sub_i32 s13, s6, s2
	v_lshlrev_b64 v[23:24], 4, v[25:26]
	v_or_b32_e32 v47, 1, v25
	v_or_b32_e32 v43, 2, v25
	;; [unrolled: 1-line block ×3, first 2 shown]
	v_add_nc_u32_e32 v49, s13, v25
	s_cmp_lt_i32 s33, 1
	v_add_co_u32 v21, vcc_lo, s18, v23
	v_add_co_ci_u32_e32 v22, vcc_lo, s19, v24, vcc_lo
	s_cbranch_scc1 .LBB373_59
; %bb.13:
	v_cmp_gt_u32_e32 vcc_lo, 16, v46
	v_mad_i64_i32 v[7:8], null, s22, v42, 0
	s_mov_b32 s15, 0
	s_cmp_gt_i32 s13, 0
	v_cndmask_b32_e64 v1, 0, 1, vcc_lo
	v_cmp_gt_u32_e32 vcc_lo, 24, v46
	v_cmp_ge_i32_e64 s2, s6, v48
	v_cmp_ge_i32_e64 s3, s6, v49
	s_cselect_b32 s34, -1, 0
	v_lshlrev_b32_e32 v1, 4, v1
	v_cndmask_b32_e64 v2, 0, 1, vcc_lo
	v_cmp_gt_u32_e32 vcc_lo, 28, v46
	v_cmp_eq_u32_e64 s4, 0, v44
	v_lshlrev_b32_e32 v55, 4, v44
	v_and_b32_e32 v56, 0x70, v45
	v_lshlrev_b32_e32 v2, 3, v2
	v_cndmask_b32_e64 v3, 0, 1, vcc_lo
	v_cmp_gt_u32_e32 vcc_lo, 30, v46
	s_lshl_b64 s[24:25], s[14:15], 4
	v_cmp_eq_u32_e64 s5, 0, v0
	v_add_lshl_u32 v51, v2, v46, 2
	v_lshlrev_b32_e32 v3, 2, v3
	v_cndmask_b32_e64 v4, 0, 1, vcc_lo
	v_cmp_ne_u32_e32 vcc_lo, 31, v46
	v_dual_mov_b32 v35, v22 :: v_dual_mov_b32 v34, v21
	v_add_lshl_u32 v50, v1, v46, 2
	s_delay_alu instid0(VALU_DEP_4) | instskip(SKIP_3) | instid1(VALU_DEP_4)
	v_lshlrev_b32_e32 v4, 1, v4
	v_mad_i64_i32 v[1:2], null, s22, v25, 0
	v_add_co_ci_u32_e32 v5, vcc_lo, 0, v46, vcc_lo
	v_add_lshl_u32 v52, v3, v46, 2
	v_add_lshl_u32 v53, v4, v46, 2
	v_mad_i64_i32 v[3:4], null, s22, v47, 0
	s_delay_alu instid0(VALU_DEP_4)
	v_lshlrev_b32_e32 v54, 2, v5
	v_lshlrev_b64 v[1:2], 4, v[1:2]
	v_mad_i64_i32 v[5:6], null, s22, v43, 0
	v_or_b32_e64 v57, 0, 8
	s_add_u32 s35, s30, s24
	v_lshlrev_b64 v[3:4], 4, v[3:4]
	s_delay_alu instid0(VALU_DEP_4) | instskip(SKIP_2) | instid1(VALU_DEP_4)
	v_add_co_u32 v26, vcc_lo, s20, v1
	v_add_co_ci_u32_e32 v27, vcc_lo, s21, v2, vcc_lo
	v_lshlrev_b64 v[1:2], 4, v[5:6]
	v_add_co_u32 v28, vcc_lo, s20, v3
	v_add_co_ci_u32_e32 v29, vcc_lo, s21, v4, vcc_lo
	v_lshlrev_b64 v[3:4], 4, v[7:8]
	s_delay_alu instid0(VALU_DEP_4) | instskip(SKIP_2) | instid1(VALU_DEP_4)
	v_add_co_u32 v30, vcc_lo, s20, v1
	v_add_co_ci_u32_e32 v31, vcc_lo, s21, v2, vcc_lo
	v_mov_b32_e32 v1, 0
	v_add_co_u32 v32, vcc_lo, s20, v3
	v_add_co_ci_u32_e32 v33, vcc_lo, s21, v4, vcc_lo
	s_addc_u32 s36, s31, s25
	s_lshl_b64 s[24:25], s[22:23], 4
	s_lshl_b64 s[26:27], s[16:17], 6
	;; [unrolled: 1-line block ×3, first 2 shown]
	s_branch .LBB373_15
.LBB373_14:                             ;   in Loop: Header=BB373_15 Depth=1
	s_or_b32 exec_lo, exec_lo, s37
	v_add_co_u32 v34, vcc_lo, v34, s26
	v_add_co_ci_u32_e32 v35, vcc_lo, s27, v35, vcc_lo
	s_add_i32 s15, s15, 4
	s_delay_alu instid0(SALU_CYCLE_1)
	s_cmp_ge_i32 s15, s33
	s_cbranch_scc1 .LBB373_60
.LBB373_15:                             ; =>This Loop Header: Depth=1
                                        ;     Child Loop BB373_46 Depth 2
                                        ;     Child Loop BB373_48 Depth 2
                                        ; implicit-def: $vgpr17_vgpr18
                                        ; implicit-def: $vgpr19_vgpr20
                                        ; implicit-def: $vgpr13_vgpr14
                                        ; implicit-def: $vgpr15_vgpr16
                                        ; implicit-def: $vgpr9_vgpr10
                                        ; implicit-def: $vgpr11_vgpr12
                                        ; implicit-def: $vgpr7_vgpr8
                                        ; implicit-def: $vgpr5_vgpr6
	s_and_saveexec_b32 s37, s2
	s_delay_alu instid0(SALU_CYCLE_1)
	s_xor_b32 s37, exec_lo, s37
	s_cbranch_execnz .LBB373_42
; %bb.16:                               ;   in Loop: Header=BB373_15 Depth=1
	s_and_not1_saveexec_b32 s37, s37
	s_cbranch_execnz .LBB373_43
.LBB373_17:                             ;   in Loop: Header=BB373_15 Depth=1
	s_or_b32 exec_lo, exec_lo, s37
	s_and_saveexec_b32 s37, s0
	s_cbranch_execz .LBB373_19
.LBB373_18:                             ;   in Loop: Header=BB373_15 Depth=1
	v_mov_b32_e32 v2, v1
	v_mov_b32_e32 v3, v1
	v_mov_b32_e32 v4, v1
	ds_store_b128 v55, v[1:4]
.LBB373_19:                             ;   in Loop: Header=BB373_15 Depth=1
	s_or_b32 exec_lo, exec_lo, s37
	ds_bpermute_b32 v2, v50, v7
	ds_bpermute_b32 v3, v50, v8
	;; [unrolled: 1-line block ×4, first 2 shown]
	s_waitcnt lgkmcnt(0)
	s_waitcnt_vscnt null, 0x0
	s_barrier
	buffer_gl0_inv
	v_add_f64 v[2:3], v[7:8], v[2:3]
	v_add_f64 v[4:5], v[5:6], v[36:37]
	ds_bpermute_b32 v6, v51, v2
	ds_bpermute_b32 v7, v51, v3
	ds_bpermute_b32 v36, v51, v4
	ds_bpermute_b32 v37, v51, v5
	s_waitcnt lgkmcnt(2)
	v_add_f64 v[2:3], v[2:3], v[6:7]
	s_waitcnt lgkmcnt(0)
	v_add_f64 v[4:5], v[4:5], v[36:37]
	ds_bpermute_b32 v6, v52, v2
	ds_bpermute_b32 v7, v52, v3
	ds_bpermute_b32 v36, v52, v4
	ds_bpermute_b32 v37, v52, v5
	s_waitcnt lgkmcnt(2)
	v_add_f64 v[2:3], v[2:3], v[6:7]
	s_waitcnt lgkmcnt(0)
	;; [unrolled: 8-line block ×3, first 2 shown]
	v_add_f64 v[6:7], v[4:5], v[36:37]
	ds_bpermute_b32 v4, v54, v2
	ds_bpermute_b32 v5, v54, v3
	;; [unrolled: 1-line block ×4, first 2 shown]
	s_and_saveexec_b32 s37, s4
	s_cbranch_execz .LBB373_21
; %bb.20:                               ;   in Loop: Header=BB373_15 Depth=1
	s_waitcnt lgkmcnt(0)
	v_add_f64 v[6:7], v[6:7], v[36:37]
	v_add_f64 v[4:5], v[2:3], v[4:5]
	ds_store_b128 v56, v[4:7]
.LBB373_21:                             ;   in Loop: Header=BB373_15 Depth=1
	s_or_b32 exec_lo, exec_lo, s37
	v_mov_b32_e32 v7, 0
	v_mov_b32_e32 v8, 0
	s_waitcnt lgkmcnt(2)
	s_delay_alu instid0(VALU_DEP_2)
	v_mov_b32_e32 v5, v7
	s_waitcnt lgkmcnt(0)
	s_barrier
	buffer_gl0_inv
	v_mov_b32_e32 v6, v8
	s_and_saveexec_b32 s37, s1
	s_cbranch_execnz .LBB373_50
; %bb.22:                               ;   in Loop: Header=BB373_15 Depth=1
	s_or_b32 exec_lo, exec_lo, s37
	s_and_saveexec_b32 s37, s0
	s_cbranch_execnz .LBB373_51
.LBB373_23:                             ;   in Loop: Header=BB373_15 Depth=1
	s_or_b32 exec_lo, exec_lo, s37
	s_and_saveexec_b32 s37, s0
	s_cbranch_execz .LBB373_25
.LBB373_24:                             ;   in Loop: Header=BB373_15 Depth=1
	v_mov_b32_e32 v2, v1
	v_mov_b32_e32 v3, v1
	;; [unrolled: 1-line block ×3, first 2 shown]
	ds_store_b128 v55, v[1:4]
.LBB373_25:                             ;   in Loop: Header=BB373_15 Depth=1
	s_or_b32 exec_lo, exec_lo, s37
	ds_bpermute_b32 v2, v50, v9
	ds_bpermute_b32 v3, v50, v10
	;; [unrolled: 1-line block ×4, first 2 shown]
	s_waitcnt lgkmcnt(0)
	s_barrier
	buffer_gl0_inv
	v_add_f64 v[2:3], v[9:10], v[2:3]
	v_add_f64 v[9:10], v[11:12], v[36:37]
	ds_bpermute_b32 v11, v51, v2
	ds_bpermute_b32 v12, v51, v3
	ds_bpermute_b32 v36, v51, v9
	ds_bpermute_b32 v37, v51, v10
	s_waitcnt lgkmcnt(2)
	v_add_f64 v[2:3], v[2:3], v[11:12]
	s_waitcnt lgkmcnt(0)
	v_add_f64 v[9:10], v[9:10], v[36:37]
	ds_bpermute_b32 v11, v52, v2
	ds_bpermute_b32 v12, v52, v3
	ds_bpermute_b32 v36, v52, v9
	ds_bpermute_b32 v37, v52, v10
	s_waitcnt lgkmcnt(2)
	v_add_f64 v[2:3], v[2:3], v[11:12]
	s_waitcnt lgkmcnt(0)
	;; [unrolled: 8-line block ×3, first 2 shown]
	v_add_f64 v[11:12], v[9:10], v[36:37]
	ds_bpermute_b32 v9, v54, v2
	ds_bpermute_b32 v10, v54, v3
	;; [unrolled: 1-line block ×4, first 2 shown]
	s_and_saveexec_b32 s37, s4
	s_cbranch_execz .LBB373_27
; %bb.26:                               ;   in Loop: Header=BB373_15 Depth=1
	s_waitcnt lgkmcnt(0)
	v_add_f64 v[11:12], v[11:12], v[36:37]
	v_add_f64 v[9:10], v[2:3], v[9:10]
	ds_store_b128 v56, v[9:12]
.LBB373_27:                             ;   in Loop: Header=BB373_15 Depth=1
	s_or_b32 exec_lo, exec_lo, s37
	v_mov_b32_e32 v11, 0
	v_mov_b32_e32 v12, 0
	s_waitcnt lgkmcnt(2)
	s_delay_alu instid0(VALU_DEP_2)
	v_mov_b32_e32 v9, v11
	s_waitcnt lgkmcnt(0)
	s_barrier
	buffer_gl0_inv
	v_mov_b32_e32 v10, v12
	s_and_saveexec_b32 s37, s1
	s_cbranch_execnz .LBB373_52
; %bb.28:                               ;   in Loop: Header=BB373_15 Depth=1
	s_or_b32 exec_lo, exec_lo, s37
	s_and_saveexec_b32 s37, s0
	s_cbranch_execnz .LBB373_53
.LBB373_29:                             ;   in Loop: Header=BB373_15 Depth=1
	s_or_b32 exec_lo, exec_lo, s37
	s_and_saveexec_b32 s37, s0
	s_cbranch_execz .LBB373_31
.LBB373_30:                             ;   in Loop: Header=BB373_15 Depth=1
	v_mov_b32_e32 v2, v1
	v_mov_b32_e32 v3, v1
	;; [unrolled: 1-line block ×3, first 2 shown]
	ds_store_b128 v55, v[1:4]
.LBB373_31:                             ;   in Loop: Header=BB373_15 Depth=1
	s_or_b32 exec_lo, exec_lo, s37
	ds_bpermute_b32 v2, v50, v13
	ds_bpermute_b32 v3, v50, v14
	;; [unrolled: 1-line block ×4, first 2 shown]
	s_waitcnt lgkmcnt(0)
	s_barrier
	buffer_gl0_inv
	v_add_f64 v[2:3], v[13:14], v[2:3]
	v_add_f64 v[13:14], v[15:16], v[36:37]
	ds_bpermute_b32 v15, v51, v2
	ds_bpermute_b32 v16, v51, v3
	ds_bpermute_b32 v36, v51, v13
	ds_bpermute_b32 v37, v51, v14
	s_waitcnt lgkmcnt(2)
	v_add_f64 v[2:3], v[2:3], v[15:16]
	s_waitcnt lgkmcnt(0)
	v_add_f64 v[13:14], v[13:14], v[36:37]
	ds_bpermute_b32 v15, v52, v2
	ds_bpermute_b32 v16, v52, v3
	ds_bpermute_b32 v36, v52, v13
	ds_bpermute_b32 v37, v52, v14
	s_waitcnt lgkmcnt(2)
	v_add_f64 v[2:3], v[2:3], v[15:16]
	s_waitcnt lgkmcnt(0)
	;; [unrolled: 8-line block ×3, first 2 shown]
	v_add_f64 v[15:16], v[13:14], v[36:37]
	ds_bpermute_b32 v13, v54, v2
	ds_bpermute_b32 v14, v54, v3
	;; [unrolled: 1-line block ×4, first 2 shown]
	s_and_saveexec_b32 s37, s4
	s_cbranch_execz .LBB373_33
; %bb.32:                               ;   in Loop: Header=BB373_15 Depth=1
	s_waitcnt lgkmcnt(0)
	v_add_f64 v[15:16], v[15:16], v[36:37]
	v_add_f64 v[13:14], v[2:3], v[13:14]
	ds_store_b128 v56, v[13:16]
.LBB373_33:                             ;   in Loop: Header=BB373_15 Depth=1
	s_or_b32 exec_lo, exec_lo, s37
	v_mov_b32_e32 v15, 0
	v_mov_b32_e32 v16, 0
	s_waitcnt lgkmcnt(2)
	s_delay_alu instid0(VALU_DEP_2)
	v_mov_b32_e32 v13, v15
	s_waitcnt lgkmcnt(0)
	s_barrier
	buffer_gl0_inv
	v_mov_b32_e32 v14, v16
	s_and_saveexec_b32 s37, s1
	s_cbranch_execnz .LBB373_54
; %bb.34:                               ;   in Loop: Header=BB373_15 Depth=1
	s_or_b32 exec_lo, exec_lo, s37
	s_and_saveexec_b32 s37, s0
	s_cbranch_execnz .LBB373_55
.LBB373_35:                             ;   in Loop: Header=BB373_15 Depth=1
	s_or_b32 exec_lo, exec_lo, s37
	s_and_saveexec_b32 s37, s0
	s_cbranch_execz .LBB373_37
.LBB373_36:                             ;   in Loop: Header=BB373_15 Depth=1
	v_mov_b32_e32 v2, v1
	v_mov_b32_e32 v3, v1
	;; [unrolled: 1-line block ×3, first 2 shown]
	ds_store_b128 v55, v[1:4]
.LBB373_37:                             ;   in Loop: Header=BB373_15 Depth=1
	s_or_b32 exec_lo, exec_lo, s37
	ds_bpermute_b32 v2, v50, v17
	ds_bpermute_b32 v3, v50, v18
	;; [unrolled: 1-line block ×4, first 2 shown]
	s_waitcnt lgkmcnt(0)
	s_barrier
	buffer_gl0_inv
	v_add_f64 v[2:3], v[17:18], v[2:3]
	v_add_f64 v[17:18], v[19:20], v[36:37]
	ds_bpermute_b32 v19, v51, v2
	ds_bpermute_b32 v20, v51, v3
	ds_bpermute_b32 v36, v51, v17
	ds_bpermute_b32 v37, v51, v18
	s_waitcnt lgkmcnt(2)
	v_add_f64 v[2:3], v[2:3], v[19:20]
	s_waitcnt lgkmcnt(0)
	v_add_f64 v[17:18], v[17:18], v[36:37]
	ds_bpermute_b32 v19, v52, v2
	ds_bpermute_b32 v20, v52, v3
	ds_bpermute_b32 v36, v52, v17
	ds_bpermute_b32 v37, v52, v18
	s_waitcnt lgkmcnt(2)
	v_add_f64 v[2:3], v[2:3], v[19:20]
	s_waitcnt lgkmcnt(0)
	;; [unrolled: 8-line block ×3, first 2 shown]
	v_add_f64 v[19:20], v[17:18], v[36:37]
	ds_bpermute_b32 v17, v54, v2
	ds_bpermute_b32 v18, v54, v3
	;; [unrolled: 1-line block ×4, first 2 shown]
	s_and_saveexec_b32 s37, s4
	s_cbranch_execz .LBB373_39
; %bb.38:                               ;   in Loop: Header=BB373_15 Depth=1
	s_waitcnt lgkmcnt(0)
	v_add_f64 v[19:20], v[19:20], v[36:37]
	v_add_f64 v[17:18], v[2:3], v[17:18]
	ds_store_b128 v56, v[17:20]
.LBB373_39:                             ;   in Loop: Header=BB373_15 Depth=1
	s_or_b32 exec_lo, exec_lo, s37
	v_mov_b32_e32 v19, 0
	v_mov_b32_e32 v20, 0
	s_waitcnt lgkmcnt(2)
	s_delay_alu instid0(VALU_DEP_2)
	v_mov_b32_e32 v17, v19
	s_waitcnt lgkmcnt(0)
	s_barrier
	buffer_gl0_inv
	v_mov_b32_e32 v18, v20
	s_and_saveexec_b32 s37, s1
	s_cbranch_execnz .LBB373_56
; %bb.40:                               ;   in Loop: Header=BB373_15 Depth=1
	s_or_b32 exec_lo, exec_lo, s37
	s_and_saveexec_b32 s37, s0
	s_cbranch_execnz .LBB373_57
.LBB373_41:                             ;   in Loop: Header=BB373_15 Depth=1
	s_or_b32 exec_lo, exec_lo, s37
	s_and_saveexec_b32 s37, s5
	s_cbranch_execz .LBB373_14
	s_branch .LBB373_58
.LBB373_42:                             ;   in Loop: Header=BB373_15 Depth=1
	s_clause 0x1
	flat_load_b128 v[2:5], v[26:27]
	flat_load_b128 v[6:9], v[28:29]
	s_mul_i32 s38, s15, s17
	s_mul_hi_u32 s39, s15, s16
	s_delay_alu instid0(SALU_CYCLE_1) | instskip(SKIP_1) | instid1(SALU_CYCLE_1)
	s_add_i32 s39, s39, s38
	s_mul_i32 s38, s15, s16
	s_lshl_b64 s[38:39], s[38:39], 4
	s_delay_alu instid0(SALU_CYCLE_1) | instskip(SKIP_2) | instid1(SALU_CYCLE_1)
	v_add_co_u32 v10, vcc_lo, v21, s38
	v_add_co_ci_u32_e32 v11, vcc_lo, s39, v22, vcc_lo
	s_or_b32 s38, s15, 1
	s_mul_i32 s39, s38, s17
	s_mul_hi_u32 s40, s38, s16
	s_mul_i32 s38, s38, s16
	s_add_i32 s39, s40, s39
	s_delay_alu instid0(SALU_CYCLE_1) | instskip(NEXT) | instid1(SALU_CYCLE_1)
	s_lshl_b64 s[38:39], s[38:39], 4
	v_add_co_u32 v36, vcc_lo, v21, s38
	v_add_co_ci_u32_e32 v37, vcc_lo, s39, v22, vcc_lo
	s_or_b32 s38, s15, 2
	s_delay_alu instid0(SALU_CYCLE_1) | instskip(SKIP_3) | instid1(SALU_CYCLE_1)
	s_mul_i32 s39, s38, s17
	s_mul_hi_u32 s40, s38, s16
	s_mul_i32 s38, s38, s16
	s_add_i32 s39, s40, s39
	s_lshl_b64 s[38:39], s[38:39], 4
	s_delay_alu instid0(SALU_CYCLE_1) | instskip(SKIP_2) | instid1(SALU_CYCLE_1)
	v_add_co_u32 v58, vcc_lo, v21, s38
	v_add_co_ci_u32_e32 v59, vcc_lo, s39, v22, vcc_lo
	s_or_b32 s38, s15, 3
	s_mul_i32 s39, s38, s17
	s_mul_hi_u32 s40, s38, s16
	s_mul_i32 s38, s38, s16
	s_add_i32 s39, s40, s39
	s_delay_alu instid0(SALU_CYCLE_1) | instskip(NEXT) | instid1(SALU_CYCLE_1)
	s_lshl_b64 s[38:39], s[38:39], 4
	v_add_co_u32 v64, vcc_lo, v21, s38
	v_add_co_ci_u32_e32 v65, vcc_lo, s39, v22, vcc_lo
	s_waitcnt vmcnt(1) lgkmcnt(1)
	scratch_store_b128 off, v[2:5], off
	s_waitcnt vmcnt(0) lgkmcnt(0)
	scratch_store_b128 v38, v[6:9], off
	flat_load_b128 v[6:9], v[30:31]
	s_waitcnt vmcnt(0) lgkmcnt(0)
	scratch_store_b128 v39, v[6:9], off
	flat_load_b128 v[6:9], v[32:33]
	;; [unrolled: 3-line block ×3, first 2 shown]
	s_waitcnt vmcnt(0) lgkmcnt(0)
	v_mul_f64 v[12:13], v[4:5], v[8:9]
	v_mul_f64 v[8:9], v[2:3], v[8:9]
	s_delay_alu instid0(VALU_DEP_2) | instskip(NEXT) | instid1(VALU_DEP_2)
	v_fma_f64 v[12:13], v[2:3], v[6:7], v[12:13]
	v_fma_f64 v[6:7], v[4:5], v[6:7], -v[8:9]
	s_delay_alu instid0(VALU_DEP_2) | instskip(NEXT) | instid1(VALU_DEP_2)
	v_add_f64 v[12:13], v[12:13], 0
	v_add_f64 v[14:15], v[6:7], 0
	flat_load_b128 v[6:9], v[36:37]
	s_waitcnt vmcnt(0) lgkmcnt(0)
	v_mul_f64 v[16:17], v[4:5], v[8:9]
	v_mul_f64 v[8:9], v[2:3], v[8:9]
	s_delay_alu instid0(VALU_DEP_2) | instskip(NEXT) | instid1(VALU_DEP_2)
	v_fma_f64 v[16:17], v[2:3], v[6:7], v[16:17]
	v_fma_f64 v[6:7], v[4:5], v[6:7], -v[8:9]
	s_delay_alu instid0(VALU_DEP_2) | instskip(NEXT) | instid1(VALU_DEP_2)
	v_add_f64 v[16:17], v[16:17], 0
	v_add_f64 v[18:19], v[6:7], 0
	flat_load_b128 v[6:9], v[58:59]
	;; [unrolled: 10-line block ×3, first 2 shown]
	s_waitcnt vmcnt(0) lgkmcnt(0)
	v_mul_f64 v[66:67], v[4:5], v[8:9]
	s_delay_alu instid0(VALU_DEP_1) | instskip(SKIP_1) | instid1(VALU_DEP_2)
	v_fma_f64 v[66:67], v[2:3], v[6:7], v[66:67]
	v_mul_f64 v[2:3], v[2:3], v[8:9]
	v_add_f64 v[66:67], v[66:67], 0
	s_delay_alu instid0(VALU_DEP_2) | instskip(NEXT) | instid1(VALU_DEP_1)
	v_fma_f64 v[2:3], v[4:5], v[6:7], -v[2:3]
	v_add_f64 v[68:69], v[2:3], 0
	scratch_load_b128 v[2:5], off, off offset:16
	flat_load_b128 v[6:9], v[10:11] offset:16
	s_waitcnt vmcnt(0) lgkmcnt(0)
	v_mul_f64 v[70:71], v[4:5], v[8:9]
	v_mul_f64 v[8:9], v[2:3], v[8:9]
	s_delay_alu instid0(VALU_DEP_2) | instskip(NEXT) | instid1(VALU_DEP_2)
	v_fma_f64 v[70:71], v[2:3], v[6:7], v[70:71]
	v_fma_f64 v[6:7], v[4:5], v[6:7], -v[8:9]
	s_delay_alu instid0(VALU_DEP_2) | instskip(NEXT) | instid1(VALU_DEP_2)
	v_add_f64 v[12:13], v[12:13], v[70:71]
	v_add_f64 v[14:15], v[14:15], v[6:7]
	flat_load_b128 v[6:9], v[36:37] offset:16
	s_waitcnt vmcnt(0) lgkmcnt(0)
	v_mul_f64 v[70:71], v[4:5], v[8:9]
	v_mul_f64 v[8:9], v[2:3], v[8:9]
	s_delay_alu instid0(VALU_DEP_2) | instskip(NEXT) | instid1(VALU_DEP_2)
	v_fma_f64 v[70:71], v[2:3], v[6:7], v[70:71]
	v_fma_f64 v[6:7], v[4:5], v[6:7], -v[8:9]
	s_delay_alu instid0(VALU_DEP_2) | instskip(NEXT) | instid1(VALU_DEP_2)
	v_add_f64 v[16:17], v[16:17], v[70:71]
	v_add_f64 v[18:19], v[18:19], v[6:7]
	;; [unrolled: 10-line block ×3, first 2 shown]
	flat_load_b128 v[6:9], v[64:65] offset:16
	s_waitcnt vmcnt(0) lgkmcnt(0)
	v_mul_f64 v[70:71], v[4:5], v[8:9]
	s_delay_alu instid0(VALU_DEP_1) | instskip(SKIP_1) | instid1(VALU_DEP_2)
	v_fma_f64 v[70:71], v[2:3], v[6:7], v[70:71]
	v_mul_f64 v[2:3], v[2:3], v[8:9]
	v_add_f64 v[66:67], v[66:67], v[70:71]
	s_delay_alu instid0(VALU_DEP_2) | instskip(NEXT) | instid1(VALU_DEP_1)
	v_fma_f64 v[2:3], v[4:5], v[6:7], -v[2:3]
	v_add_f64 v[68:69], v[68:69], v[2:3]
	scratch_load_b128 v[2:5], off, off offset:32
	flat_load_b128 v[6:9], v[10:11] offset:32
	s_waitcnt vmcnt(0) lgkmcnt(0)
	v_mul_f64 v[70:71], v[4:5], v[8:9]
	v_mul_f64 v[8:9], v[2:3], v[8:9]
	s_delay_alu instid0(VALU_DEP_2) | instskip(NEXT) | instid1(VALU_DEP_2)
	v_fma_f64 v[70:71], v[2:3], v[6:7], v[70:71]
	v_fma_f64 v[6:7], v[4:5], v[6:7], -v[8:9]
	s_delay_alu instid0(VALU_DEP_2) | instskip(NEXT) | instid1(VALU_DEP_2)
	v_add_f64 v[12:13], v[12:13], v[70:71]
	v_add_f64 v[14:15], v[14:15], v[6:7]
	flat_load_b128 v[6:9], v[36:37] offset:32
	s_waitcnt vmcnt(0) lgkmcnt(0)
	v_mul_f64 v[70:71], v[4:5], v[8:9]
	v_mul_f64 v[8:9], v[2:3], v[8:9]
	s_delay_alu instid0(VALU_DEP_2) | instskip(NEXT) | instid1(VALU_DEP_2)
	v_fma_f64 v[70:71], v[2:3], v[6:7], v[70:71]
	v_fma_f64 v[6:7], v[4:5], v[6:7], -v[8:9]
	s_delay_alu instid0(VALU_DEP_2) | instskip(NEXT) | instid1(VALU_DEP_2)
	v_add_f64 v[70:71], v[16:17], v[70:71]
	v_add_f64 v[72:73], v[18:19], v[6:7]
	;; [unrolled: 10-line block ×3, first 2 shown]
	flat_load_b128 v[6:9], v[64:65] offset:32
	s_waitcnt vmcnt(0) lgkmcnt(0)
	v_mul_f64 v[16:17], v[4:5], v[8:9]
	s_delay_alu instid0(VALU_DEP_1) | instskip(SKIP_1) | instid1(VALU_DEP_2)
	v_fma_f64 v[16:17], v[2:3], v[6:7], v[16:17]
	v_mul_f64 v[2:3], v[2:3], v[8:9]
	v_add_f64 v[66:67], v[66:67], v[16:17]
	s_delay_alu instid0(VALU_DEP_2) | instskip(NEXT) | instid1(VALU_DEP_1)
	v_fma_f64 v[2:3], v[4:5], v[6:7], -v[2:3]
	v_add_f64 v[68:69], v[68:69], v[2:3]
	scratch_load_b128 v[17:20], off, off offset:48
	flat_load_b128 v[2:5], v[10:11] offset:48
	s_waitcnt vmcnt(0) lgkmcnt(0)
	v_mul_f64 v[6:7], v[19:20], v[4:5]
	v_mul_f64 v[4:5], v[17:18], v[4:5]
	s_delay_alu instid0(VALU_DEP_2) | instskip(NEXT) | instid1(VALU_DEP_2)
	v_fma_f64 v[6:7], v[17:18], v[2:3], v[6:7]
	v_fma_f64 v[2:3], v[19:20], v[2:3], -v[4:5]
	s_delay_alu instid0(VALU_DEP_2)
	v_add_f64 v[7:8], v[12:13], v[6:7]
	flat_load_b128 v[9:12], v[36:37] offset:48
	v_add_f64 v[5:6], v[14:15], v[2:3]
	flat_load_b128 v[13:16], v[58:59] offset:48
	s_waitcnt vmcnt(1) lgkmcnt(1)
	v_mul_f64 v[2:3], v[19:20], v[11:12]
	v_mul_f64 v[11:12], v[17:18], v[11:12]
	s_delay_alu instid0(VALU_DEP_2) | instskip(NEXT) | instid1(VALU_DEP_2)
	v_fma_f64 v[2:3], v[17:18], v[9:10], v[2:3]
	v_fma_f64 v[11:12], v[19:20], v[9:10], -v[11:12]
	s_delay_alu instid0(VALU_DEP_2) | instskip(SKIP_3) | instid1(VALU_DEP_4)
	v_add_f64 v[9:10], v[70:71], v[2:3]
	s_waitcnt vmcnt(0) lgkmcnt(0)
	v_mul_f64 v[2:3], v[19:20], v[15:16]
	v_mul_f64 v[15:16], v[17:18], v[15:16]
	v_add_f64 v[11:12], v[72:73], v[11:12]
	s_delay_alu instid0(VALU_DEP_3) | instskip(NEXT) | instid1(VALU_DEP_3)
	v_fma_f64 v[2:3], v[17:18], v[13:14], v[2:3]
	v_fma_f64 v[15:16], v[19:20], v[13:14], -v[15:16]
	s_delay_alu instid0(VALU_DEP_2) | instskip(SKIP_4) | instid1(VALU_DEP_1)
	v_add_f64 v[13:14], v[60:61], v[2:3]
	flat_load_b128 v[58:61], v[64:65] offset:48
	v_add_f64 v[15:16], v[62:63], v[15:16]
	s_waitcnt vmcnt(0) lgkmcnt(0)
	v_mul_f64 v[2:3], v[19:20], v[60:61]
	v_fma_f64 v[2:3], v[17:18], v[58:59], v[2:3]
	v_mul_f64 v[17:18], v[17:18], v[60:61]
	s_delay_alu instid0(VALU_DEP_1) | instskip(NEXT) | instid1(VALU_DEP_3)
	v_fma_f64 v[19:20], v[19:20], v[58:59], -v[17:18]
	v_add_f64 v[17:18], v[66:67], v[2:3]
	s_delay_alu instid0(VALU_DEP_2)
	v_add_f64 v[19:20], v[68:69], v[19:20]
	s_and_not1_saveexec_b32 s37, s37
	s_cbranch_execz .LBB373_17
.LBB373_43:                             ;   in Loop: Header=BB373_15 Depth=1
	s_waitcnt lgkmcnt(0)
	v_mov_b32_e32 v17, 0
	v_mov_b32_e32 v18, 0
	s_delay_alu instid0(VALU_DEP_2) | instskip(SKIP_2) | instid1(VALU_DEP_4)
	v_mov_b32_e32 v13, v17
	v_mov_b32_e32 v15, v17
	;; [unrolled: 1-line block ×3, first 2 shown]
	v_dual_mov_b32 v11, v17 :: v_dual_mov_b32 v12, v18
	v_dual_mov_b32 v20, v18 :: v_dual_mov_b32 v19, v17
	v_mov_b32_e32 v14, v18
	v_mov_b32_e32 v16, v18
	v_dual_mov_b32 v10, v18 :: v_dual_mov_b32 v7, v17
	v_dual_mov_b32 v8, v18 :: v_dual_mov_b32 v5, v17
	v_mov_b32_e32 v6, v18
	s_and_saveexec_b32 s38, s3
	s_cbranch_execz .LBB373_49
; %bb.44:                               ;   in Loop: Header=BB373_15 Depth=1
	v_mov_b32_e32 v17, 0
	v_mov_b32_e32 v18, 0
	s_delay_alu instid0(VALU_DEP_2) | instskip(SKIP_2) | instid1(VALU_DEP_4)
	v_mov_b32_e32 v13, v17
	v_mov_b32_e32 v15, v17
	;; [unrolled: 1-line block ×3, first 2 shown]
	v_dual_mov_b32 v11, v17 :: v_dual_mov_b32 v12, v18
	v_dual_mov_b32 v20, v18 :: v_dual_mov_b32 v19, v17
	v_mov_b32_e32 v14, v18
	v_mov_b32_e32 v16, v18
	v_dual_mov_b32 v10, v18 :: v_dual_mov_b32 v7, v17
	v_dual_mov_b32 v8, v18 :: v_dual_mov_b32 v5, v17
	v_mov_b32_e32 v6, v18
	s_and_not1_b32 vcc_lo, exec_lo, s34
	s_cbranch_vccnz .LBB373_49
; %bb.45:                               ;   in Loop: Header=BB373_15 Depth=1
	v_mov_b32_e32 v2, v26
	v_dual_mov_b32 v4, 0 :: v_dual_mov_b32 v3, v27
	s_mov_b32 s39, s13
.LBB373_46:                             ;   Parent Loop BB373_15 Depth=1
                                        ; =>  This Inner Loop Header: Depth=2
	flat_load_b128 v[5:8], v[2:3]
	v_add_co_u32 v2, vcc_lo, v2, s24
	v_add_co_ci_u32_e32 v3, vcc_lo, s25, v3, vcc_lo
	s_add_i32 s39, s39, -1
	s_delay_alu instid0(SALU_CYCLE_1)
	s_cmp_eq_u32 s39, 0
	s_waitcnt vmcnt(0) lgkmcnt(0)
	scratch_store_b128 v4, v[5:8], off
	v_add_nc_u32_e32 v4, 16, v4
	s_cbranch_scc0 .LBB373_46
; %bb.47:                               ;   in Loop: Header=BB373_15 Depth=1
	v_dual_mov_b32 v5, 0 :: v_dual_mov_b32 v2, v34
	v_dual_mov_b32 v6, 0 :: v_dual_mov_b32 v3, v35
	v_mov_b32_e32 v4, v57
	s_mov_b32 s39, s13
	s_delay_alu instid0(VALU_DEP_2)
	v_dual_mov_b32 v8, v6 :: v_dual_mov_b32 v7, v5
	v_dual_mov_b32 v12, v6 :: v_dual_mov_b32 v11, v5
	;; [unrolled: 1-line block ×7, first 2 shown]
.LBB373_48:                             ;   Parent Loop BB373_15 Depth=1
                                        ; =>  This Inner Loop Header: Depth=2
	v_add_co_u32 v36, vcc_lo, v2, s28
	v_add_co_ci_u32_e32 v37, vcc_lo, s29, v3, vcc_lo
	scratch_load_b128 v[58:61], v4, off offset:-8
	v_add_co_u32 v70, vcc_lo, v36, s28
	v_add_co_ci_u32_e32 v71, vcc_lo, s29, v37, vcc_lo
	flat_load_b128 v[62:65], v[2:3]
	v_add_co_u32 v74, vcc_lo, v70, s28
	v_add_co_ci_u32_e32 v75, vcc_lo, s29, v71, vcc_lo
	v_add_co_u32 v2, vcc_lo, v2, 16
	s_clause 0x2
	flat_load_b128 v[66:69], v[36:37]
	flat_load_b128 v[70:73], v[70:71]
	;; [unrolled: 1-line block ×3, first 2 shown]
	v_add_nc_u32_e32 v4, 16, v4
	v_add_co_ci_u32_e32 v3, vcc_lo, 0, v3, vcc_lo
	s_add_i32 s39, s39, -1
	s_delay_alu instid0(SALU_CYCLE_1)
	s_cmp_lg_u32 s39, 0
	s_waitcnt vmcnt(3) lgkmcnt(3)
	v_mul_f64 v[36:37], v[60:61], v[64:65]
	v_mul_f64 v[64:65], v[58:59], v[64:65]
	s_waitcnt vmcnt(2) lgkmcnt(2)
	v_mul_f64 v[78:79], v[60:61], v[68:69]
	v_mul_f64 v[68:69], v[58:59], v[68:69]
	;; [unrolled: 3-line block ×4, first 2 shown]
	v_fma_f64 v[36:37], v[58:59], v[62:63], v[36:37]
	v_fma_f64 v[62:63], v[60:61], v[62:63], -v[64:65]
	v_fma_f64 v[64:65], v[58:59], v[66:67], v[78:79]
	v_fma_f64 v[66:67], v[60:61], v[66:67], -v[68:69]
	;; [unrolled: 2-line block ×4, first 2 shown]
	v_add_f64 v[7:8], v[7:8], v[36:37]
	v_add_f64 v[5:6], v[5:6], v[62:63]
	;; [unrolled: 1-line block ×8, first 2 shown]
	s_cbranch_scc1 .LBB373_48
.LBB373_49:                             ;   in Loop: Header=BB373_15 Depth=1
	s_or_b32 exec_lo, exec_lo, s38
	s_delay_alu instid0(SALU_CYCLE_1)
	s_or_b32 exec_lo, exec_lo, s37
	s_and_saveexec_b32 s37, s0
	s_cbranch_execnz .LBB373_18
	s_branch .LBB373_19
.LBB373_50:                             ;   in Loop: Header=BB373_15 Depth=1
	ds_load_b128 v[5:8], v55
	s_or_b32 exec_lo, exec_lo, s37
	s_and_saveexec_b32 s37, s0
	s_cbranch_execz .LBB373_23
.LBB373_51:                             ;   in Loop: Header=BB373_15 Depth=1
	s_waitcnt lgkmcnt(0)
	ds_bpermute_b32 v2, v52, v5
	ds_bpermute_b32 v3, v52, v6
	ds_bpermute_b32 v36, v52, v7
	ds_bpermute_b32 v37, v52, v8
	s_waitcnt lgkmcnt(2)
	v_add_f64 v[2:3], v[5:6], v[2:3]
	s_waitcnt lgkmcnt(0)
	v_add_f64 v[4:5], v[7:8], v[36:37]
	ds_bpermute_b32 v6, v53, v2
	ds_bpermute_b32 v7, v53, v3
	ds_bpermute_b32 v36, v53, v4
	ds_bpermute_b32 v37, v53, v5
	s_waitcnt lgkmcnt(2)
	v_add_f64 v[2:3], v[2:3], v[6:7]
	s_waitcnt lgkmcnt(0)
	v_add_f64 v[7:8], v[4:5], v[36:37]
	;; [unrolled: 8-line block ×3, first 2 shown]
	s_or_b32 exec_lo, exec_lo, s37
	s_and_saveexec_b32 s37, s0
	s_cbranch_execnz .LBB373_24
	s_branch .LBB373_25
.LBB373_52:                             ;   in Loop: Header=BB373_15 Depth=1
	ds_load_b128 v[9:12], v55
	s_or_b32 exec_lo, exec_lo, s37
	s_and_saveexec_b32 s37, s0
	s_cbranch_execz .LBB373_29
.LBB373_53:                             ;   in Loop: Header=BB373_15 Depth=1
	s_waitcnt lgkmcnt(0)
	ds_bpermute_b32 v2, v52, v9
	ds_bpermute_b32 v3, v52, v10
	ds_bpermute_b32 v36, v52, v11
	ds_bpermute_b32 v37, v52, v12
	s_waitcnt lgkmcnt(2)
	v_add_f64 v[2:3], v[9:10], v[2:3]
	s_waitcnt lgkmcnt(0)
	v_add_f64 v[9:10], v[11:12], v[36:37]
	ds_bpermute_b32 v11, v53, v2
	ds_bpermute_b32 v12, v53, v3
	ds_bpermute_b32 v36, v53, v9
	ds_bpermute_b32 v37, v53, v10
	s_waitcnt lgkmcnt(2)
	v_add_f64 v[2:3], v[2:3], v[11:12]
	s_waitcnt lgkmcnt(0)
	v_add_f64 v[11:12], v[9:10], v[36:37]
	;; [unrolled: 8-line block ×3, first 2 shown]
	s_or_b32 exec_lo, exec_lo, s37
	s_and_saveexec_b32 s37, s0
	s_cbranch_execnz .LBB373_30
	s_branch .LBB373_31
.LBB373_54:                             ;   in Loop: Header=BB373_15 Depth=1
	ds_load_b128 v[13:16], v55
	s_or_b32 exec_lo, exec_lo, s37
	s_and_saveexec_b32 s37, s0
	s_cbranch_execz .LBB373_35
.LBB373_55:                             ;   in Loop: Header=BB373_15 Depth=1
	s_waitcnt lgkmcnt(0)
	ds_bpermute_b32 v2, v52, v13
	ds_bpermute_b32 v3, v52, v14
	ds_bpermute_b32 v36, v52, v15
	ds_bpermute_b32 v37, v52, v16
	s_waitcnt lgkmcnt(2)
	v_add_f64 v[2:3], v[13:14], v[2:3]
	s_waitcnt lgkmcnt(0)
	v_add_f64 v[13:14], v[15:16], v[36:37]
	ds_bpermute_b32 v15, v53, v2
	ds_bpermute_b32 v16, v53, v3
	ds_bpermute_b32 v36, v53, v13
	ds_bpermute_b32 v37, v53, v14
	s_waitcnt lgkmcnt(2)
	v_add_f64 v[2:3], v[2:3], v[15:16]
	s_waitcnt lgkmcnt(0)
	v_add_f64 v[15:16], v[13:14], v[36:37]
	ds_bpermute_b32 v13, v54, v2
	ds_bpermute_b32 v14, v54, v3
	ds_bpermute_b32 v36, v54, v15
	ds_bpermute_b32 v37, v54, v16
	s_waitcnt lgkmcnt(2)
	v_add_f64 v[13:14], v[2:3], v[13:14]
	s_waitcnt lgkmcnt(0)
	v_add_f64 v[15:16], v[15:16], v[36:37]
	s_or_b32 exec_lo, exec_lo, s37
	s_and_saveexec_b32 s37, s0
	s_cbranch_execnz .LBB373_36
	s_branch .LBB373_37
.LBB373_56:                             ;   in Loop: Header=BB373_15 Depth=1
	ds_load_b128 v[17:20], v55
	s_or_b32 exec_lo, exec_lo, s37
	s_and_saveexec_b32 s37, s0
	s_cbranch_execz .LBB373_41
.LBB373_57:                             ;   in Loop: Header=BB373_15 Depth=1
	s_waitcnt lgkmcnt(0)
	ds_bpermute_b32 v2, v52, v17
	ds_bpermute_b32 v3, v52, v18
	ds_bpermute_b32 v36, v52, v19
	ds_bpermute_b32 v37, v52, v20
	s_waitcnt lgkmcnt(2)
	v_add_f64 v[2:3], v[17:18], v[2:3]
	s_waitcnt lgkmcnt(0)
	v_add_f64 v[17:18], v[19:20], v[36:37]
	ds_bpermute_b32 v19, v53, v2
	ds_bpermute_b32 v20, v53, v3
	ds_bpermute_b32 v36, v53, v17
	ds_bpermute_b32 v37, v53, v18
	s_waitcnt lgkmcnt(2)
	v_add_f64 v[2:3], v[2:3], v[19:20]
	s_waitcnt lgkmcnt(0)
	v_add_f64 v[19:20], v[17:18], v[36:37]
	;; [unrolled: 8-line block ×3, first 2 shown]
	s_or_b32 exec_lo, exec_lo, s37
	s_and_saveexec_b32 s37, s5
	s_cbranch_execz .LBB373_14
.LBB373_58:                             ;   in Loop: Header=BB373_15 Depth=1
	v_mul_f64 v[2:3], s[10:11], v[7:8]
	v_mul_f64 v[7:8], s[8:9], v[7:8]
	;; [unrolled: 1-line block ×6, first 2 shown]
	s_waitcnt lgkmcnt(0)
	v_mul_f64 v[60:61], s[10:11], v[19:20]
	v_mul_f64 v[19:20], s[8:9], v[19:20]
	s_mul_hi_u32 s39, s15, s12
	s_mul_i32 s38, s15, s12
	s_delay_alu instid0(SALU_CYCLE_1) | instskip(NEXT) | instid1(SALU_CYCLE_1)
	s_lshl_b64 s[38:39], s[38:39], 4
	s_add_u32 s38, s35, s38
	s_addc_u32 s39, s36, s39
	s_or_b32 s40, s15, 1
	s_delay_alu instid0(SALU_CYCLE_1) | instskip(SKIP_1) | instid1(SALU_CYCLE_1)
	s_mul_hi_u32 s41, s40, s12
	s_mul_i32 s40, s40, s12
	s_lshl_b64 s[40:41], s[40:41], 4
	s_delay_alu instid0(SALU_CYCLE_1) | instskip(SKIP_2) | instid1(SALU_CYCLE_1)
	s_add_u32 s40, s35, s40
	s_addc_u32 s41, s36, s41
	s_or_b32 s42, s15, 2
	s_mul_hi_u32 s43, s42, s12
	s_mul_i32 s42, s42, s12
	s_delay_alu instid0(SALU_CYCLE_1) | instskip(NEXT) | instid1(SALU_CYCLE_1)
	s_lshl_b64 s[42:43], s[42:43], 4
	s_add_u32 s42, s35, s42
	s_addc_u32 s43, s36, s43
	s_or_b32 s44, s15, 3
	s_delay_alu instid0(SALU_CYCLE_1) | instskip(SKIP_1) | instid1(SALU_CYCLE_1)
	s_mul_hi_u32 s45, s44, s12
	s_mul_i32 s44, s44, s12
	s_lshl_b64 s[44:45], s[44:45], 4
	v_fma_f64 v[2:3], s[8:9], v[5:6], -v[2:3]
	v_fma_f64 v[4:5], s[10:11], v[5:6], v[7:8]
	v_fma_f64 v[6:7], s[8:9], v[9:10], -v[36:37]
	v_fma_f64 v[8:9], s[10:11], v[9:10], v[11:12]
	;; [unrolled: 2-line block ×4, first 2 shown]
	s_add_u32 s44, s35, s44
	s_addc_u32 s45, s36, s45
	s_clause 0x3
	global_store_b128 v1, v[2:5], s[38:39]
	global_store_b128 v1, v[6:9], s[40:41]
	;; [unrolled: 1-line block ×4, first 2 shown]
	s_branch .LBB373_14
.LBB373_59:
	s_mov_b32 s15, 0
.LBB373_60:
	s_delay_alu instid0(SALU_CYCLE_1)
	s_cmp_ge_i32 s15, s7
	s_cbranch_scc1 .LBB373_82
; %bb.61:
	v_cmp_gt_u32_e64 s1, 16, v46
	v_cmp_gt_u32_e64 s0, 32, v0
	v_cmp_gt_u32_e64 s2, 8, v0
	v_cmp_eq_u32_e64 s3, 0, v0
	v_mad_i64_i32 v[7:8], null, s22, v43, 0
	v_cndmask_b32_e64 v1, 0, 1, s1
	v_cmp_gt_u32_e64 s1, 24, v46
	v_mad_i64_i32 v[9:10], null, s22, v42, 0
	s_cmp_gt_i32 s13, 0
	s_delay_alu instid0(VALU_DEP_3) | instskip(NEXT) | instid1(VALU_DEP_3)
	v_lshlrev_b32_e32 v1, 4, v1
	v_cndmask_b32_e64 v2, 0, 1, s1
	v_cmp_gt_u32_e64 s1, 28, v46
	s_mov_b32 s25, 0
	s_mov_b32 s24, s14
	s_waitcnt lgkmcnt(0)
	v_add_lshl_u32 v20, v1, v46, 2
	v_lshlrev_b32_e32 v2, 3, v2
	v_cndmask_b32_e64 v3, 0, 1, s1
	v_cmp_gt_u32_e64 s1, 30, v46
	s_cselect_b32 s26, -1, 0
	s_lshl_b64 s[24:25], s[24:25], 4
	v_add_lshl_u32 v26, v2, v46, 2
	v_lshlrev_b32_e32 v3, 2, v3
	v_cndmask_b32_e64 v4, 0, 1, s1
	v_mad_i64_i32 v[1:2], null, s22, v25, 0
	v_cmp_ne_u32_e64 s1, 31, v46
	s_delay_alu instid0(VALU_DEP_4) | instskip(NEXT) | instid1(VALU_DEP_4)
	v_add_lshl_u32 v27, v3, v46, 2
	v_lshlrev_b32_e32 v4, 1, v4
	v_cmp_ge_i32_e32 vcc_lo, s6, v48
	v_cmp_ge_i32_e64 s4, s6, v49
	v_add_co_ci_u32_e64 v5, s1, 0, v46, s1
	s_delay_alu instid0(VALU_DEP_4) | instskip(SKIP_2) | instid1(VALU_DEP_4)
	v_add_lshl_u32 v28, v4, v46, 2
	v_mad_i64_i32 v[3:4], null, s22, v47, 0
	v_lshlrev_b64 v[0:1], 4, v[1:2]
	v_lshlrev_b32_e32 v29, 2, v5
	s_add_u32 s6, s30, s24
	s_addc_u32 s14, s31, s25
	s_mul_i32 s24, s17, s15
	s_mul_hi_u32 s25, s16, s15
	s_delay_alu instid0(VALU_DEP_3) | instskip(SKIP_1) | instid1(VALU_DEP_1)
	v_lshlrev_b64 v[2:3], 4, v[3:4]
	v_add_co_u32 v5, s5, s20, v0
	v_add_co_ci_u32_e64 v6, s5, s21, v1, s5
	v_lshlrev_b64 v[0:1], 4, v[7:8]
	s_delay_alu instid0(VALU_DEP_4) | instskip(NEXT) | instid1(VALU_DEP_1)
	v_add_co_u32 v7, s5, s20, v2
	v_add_co_ci_u32_e64 v8, s5, s21, v3, s5
	v_lshlrev_b64 v[2:3], 4, v[9:10]
	s_delay_alu instid0(VALU_DEP_4) | instskip(NEXT) | instid1(VALU_DEP_1)
	v_add_co_u32 v9, s5, s20, v0
	v_add_co_ci_u32_e64 v10, s5, s21, v1, s5
	v_dual_mov_b32 v0, 0 :: v_dual_lshlrev_b32 v19, 4, v44
	s_delay_alu instid0(VALU_DEP_4) | instskip(NEXT) | instid1(VALU_DEP_1)
	v_add_co_u32 v11, s5, s20, v2
	v_add_co_ci_u32_e64 v12, s5, s21, v3, s5
	s_add_i32 s21, s25, s24
	s_mul_i32 s20, s16, s15
	s_and_b32 s5, s26, s4
	s_lshl_b64 s[24:25], s[20:21], 4
	s_lshl_b64 s[20:21], s[22:23], 4
	s_add_u32 s4, s18, s24
	s_addc_u32 s18, s19, s25
	v_add_co_u32 v13, s4, s4, v23
	v_cmp_eq_u32_e64 s1, 0, v44
	v_and_b32_e32 v30, 0x70, v45
	v_add_co_ci_u32_e64 v14, s4, s18, v24, s4
	s_lshl_b64 s[18:19], s[16:17], 4
	s_branch .LBB373_63
.LBB373_62:                             ;   in Loop: Header=BB373_63 Depth=1
	s_or_b32 exec_lo, exec_lo, s4
	v_add_co_u32 v13, s4, v13, s18
	s_delay_alu instid0(VALU_DEP_1) | instskip(SKIP_1) | instid1(SALU_CYCLE_1)
	v_add_co_ci_u32_e64 v14, s4, s19, v14, s4
	s_add_i32 s15, s15, 1
	s_cmp_lt_i32 s15, s7
	s_cbranch_scc0 .LBB373_82
.LBB373_63:                             ; =>This Loop Header: Depth=1
                                        ;     Child Loop BB373_75 Depth 2
                                        ;     Child Loop BB373_77 Depth 2
                                        ; implicit-def: $vgpr15_vgpr16
                                        ; implicit-def: $vgpr17_vgpr18
	s_and_saveexec_b32 s4, vcc_lo
	s_delay_alu instid0(SALU_CYCLE_1)
	s_xor_b32 s22, exec_lo, s4
	s_cbranch_execnz .LBB373_72
; %bb.64:                               ;   in Loop: Header=BB373_63 Depth=1
	s_and_not1_saveexec_b32 s22, s22
	s_cbranch_execnz .LBB373_73
.LBB373_65:                             ;   in Loop: Header=BB373_63 Depth=1
	s_or_b32 exec_lo, exec_lo, s22
	s_and_saveexec_b32 s4, s0
	s_cbranch_execz .LBB373_67
.LBB373_66:                             ;   in Loop: Header=BB373_63 Depth=1
	s_waitcnt lgkmcnt(0)
	v_mov_b32_e32 v1, v0
	v_mov_b32_e32 v2, v0
	;; [unrolled: 1-line block ×3, first 2 shown]
	ds_store_b128 v19, v[0:3]
.LBB373_67:                             ;   in Loop: Header=BB373_63 Depth=1
	s_or_b32 exec_lo, exec_lo, s4
	s_waitcnt lgkmcnt(0)
	ds_bpermute_b32 v1, v20, v15
	ds_bpermute_b32 v2, v20, v16
	;; [unrolled: 1-line block ×4, first 2 shown]
	s_waitcnt lgkmcnt(0)
	s_waitcnt_vscnt null, 0x0
	s_barrier
	buffer_gl0_inv
	v_add_f64 v[1:2], v[15:16], v[1:2]
	v_add_f64 v[3:4], v[17:18], v[3:4]
	ds_bpermute_b32 v15, v26, v1
	ds_bpermute_b32 v16, v26, v2
	ds_bpermute_b32 v17, v26, v3
	ds_bpermute_b32 v18, v26, v4
	s_waitcnt lgkmcnt(2)
	v_add_f64 v[1:2], v[1:2], v[15:16]
	s_waitcnt lgkmcnt(0)
	v_add_f64 v[3:4], v[3:4], v[17:18]
	ds_bpermute_b32 v15, v27, v1
	ds_bpermute_b32 v16, v27, v2
	ds_bpermute_b32 v17, v27, v3
	ds_bpermute_b32 v18, v27, v4
	s_waitcnt lgkmcnt(2)
	v_add_f64 v[1:2], v[1:2], v[15:16]
	s_waitcnt lgkmcnt(0)
	;; [unrolled: 8-line block ×3, first 2 shown]
	v_add_f64 v[15:16], v[3:4], v[17:18]
	ds_bpermute_b32 v3, v29, v1
	ds_bpermute_b32 v4, v29, v2
	;; [unrolled: 1-line block ×4, first 2 shown]
	s_and_saveexec_b32 s4, s1
	s_cbranch_execz .LBB373_69
; %bb.68:                               ;   in Loop: Header=BB373_63 Depth=1
	s_waitcnt lgkmcnt(0)
	v_add_f64 v[17:18], v[15:16], v[17:18]
	v_add_f64 v[15:16], v[1:2], v[3:4]
	ds_store_b128 v30, v[15:18]
.LBB373_69:                             ;   in Loop: Header=BB373_63 Depth=1
	s_or_b32 exec_lo, exec_lo, s4
	s_waitcnt lgkmcnt(2)
	v_mov_b32_e32 v3, 0
	v_mov_b32_e32 v4, 0
	s_delay_alu instid0(VALU_DEP_2)
	v_mov_b32_e32 v1, v3
	s_waitcnt lgkmcnt(0)
	s_barrier
	buffer_gl0_inv
	v_mov_b32_e32 v2, v4
	s_and_saveexec_b32 s4, s2
	s_cbranch_execnz .LBB373_79
; %bb.70:                               ;   in Loop: Header=BB373_63 Depth=1
	s_or_b32 exec_lo, exec_lo, s4
	s_and_saveexec_b32 s4, s0
	s_cbranch_execnz .LBB373_80
.LBB373_71:                             ;   in Loop: Header=BB373_63 Depth=1
	s_or_b32 exec_lo, exec_lo, s4
	s_and_saveexec_b32 s4, s3
	s_cbranch_execz .LBB373_62
	s_branch .LBB373_81
.LBB373_72:                             ;   in Loop: Header=BB373_63 Depth=1
	s_waitcnt lgkmcnt(0)
	s_clause 0x3
	flat_load_b128 v[1:4], v[7:8]
	flat_load_b128 v[15:18], v[9:10]
	;; [unrolled: 1-line block ×4, first 2 shown]
	s_mul_i32 s4, s15, s17
	s_mul_hi_u32 s23, s15, s16
	s_mul_i32 s24, s15, s16
	s_add_i32 s25, s23, s4
	s_waitcnt vmcnt(3) lgkmcnt(3)
	scratch_store_b128 v38, v[1:4], off
	s_waitcnt vmcnt(2) lgkmcnt(2)
	scratch_store_b128 v39, v[15:18], off
	s_waitcnt vmcnt(1) lgkmcnt(1)
	scratch_store_b128 off, v[31:34], off
	s_waitcnt vmcnt(0) lgkmcnt(0)
	scratch_store_b128 v40, v[42:45], off
	s_lshl_b64 s[24:25], s[24:25], 4
	s_delay_alu instid0(SALU_CYCLE_1) | instskip(NEXT) | instid1(VALU_DEP_1)
	v_add_co_u32 v23, s4, v21, s24
	v_add_co_ci_u32_e64 v24, s4, s25, v22, s4
	s_clause 0x1
	flat_load_b128 v[1:4], v[23:24]
	flat_load_b128 v[15:18], v[23:24] offset:16
	s_clause 0x1
	scratch_load_b128 v[42:45], off, off offset:16
	scratch_load_b128 v[46:49], off, off offset:32
	s_clause 0x1
	flat_load_b128 v[50:53], v[23:24] offset:32
	flat_load_b128 v[54:57], v[23:24] offset:48
	scratch_load_b128 v[58:61], off, off offset:48
	s_waitcnt vmcnt(6) lgkmcnt(3)
	v_mul_f64 v[23:24], v[3:4], v[33:34]
	v_mul_f64 v[3:4], v[3:4], v[31:32]
	s_waitcnt vmcnt(4) lgkmcnt(2)
	v_mul_f64 v[35:36], v[17:18], v[44:45]
	v_mul_f64 v[17:18], v[17:18], v[42:43]
	s_delay_alu instid0(VALU_DEP_4) | instskip(NEXT) | instid1(VALU_DEP_4)
	v_fma_f64 v[23:24], v[1:2], v[31:32], v[23:24]
	v_fma_f64 v[1:2], v[1:2], v[33:34], -v[3:4]
	s_waitcnt vmcnt(2) lgkmcnt(1)
	v_mul_f64 v[3:4], v[52:53], v[48:49]
	v_mul_f64 v[31:32], v[52:53], v[46:47]
	v_fma_f64 v[33:34], v[15:16], v[42:43], v[35:36]
	v_fma_f64 v[15:16], v[15:16], v[44:45], -v[17:18]
	s_waitcnt vmcnt(0) lgkmcnt(0)
	v_mul_f64 v[35:36], v[56:57], v[58:59]
	v_add_f64 v[17:18], v[23:24], 0
	v_add_f64 v[1:2], v[1:2], 0
	v_mul_f64 v[23:24], v[56:57], v[60:61]
	v_fma_f64 v[3:4], v[50:51], v[46:47], v[3:4]
	v_fma_f64 v[31:32], v[50:51], v[48:49], -v[31:32]
	v_add_f64 v[17:18], v[17:18], v[33:34]
	v_add_f64 v[1:2], v[1:2], v[15:16]
	v_fma_f64 v[15:16], v[54:55], v[58:59], v[23:24]
	v_fma_f64 v[23:24], v[54:55], v[60:61], -v[35:36]
	s_delay_alu instid0(VALU_DEP_4) | instskip(NEXT) | instid1(VALU_DEP_4)
	v_add_f64 v[3:4], v[17:18], v[3:4]
	v_add_f64 v[1:2], v[1:2], v[31:32]
	s_delay_alu instid0(VALU_DEP_2) | instskip(NEXT) | instid1(VALU_DEP_2)
	v_add_f64 v[15:16], v[3:4], v[15:16]
	v_add_f64 v[17:18], v[1:2], v[23:24]
	s_and_not1_saveexec_b32 s22, s22
	s_cbranch_execz .LBB373_65
.LBB373_73:                             ;   in Loop: Header=BB373_63 Depth=1
	v_mov_b32_e32 v15, 0
	v_mov_b32_e32 v16, 0
	s_delay_alu instid0(VALU_DEP_1)
	v_dual_mov_b32 v18, v16 :: v_dual_mov_b32 v17, v15
	s_and_saveexec_b32 s23, s5
	s_cbranch_execz .LBB373_78
; %bb.74:                               ;   in Loop: Header=BB373_63 Depth=1
	s_waitcnt lgkmcnt(0)
	v_mov_b32_e32 v1, v5
	v_dual_mov_b32 v3, 0 :: v_dual_mov_b32 v2, v6
	s_mov_b32 s24, s13
.LBB373_75:                             ;   Parent Loop BB373_63 Depth=1
                                        ; =>  This Inner Loop Header: Depth=2
	flat_load_b128 v[15:18], v[1:2]
	v_add_co_u32 v1, s4, v1, s20
	s_delay_alu instid0(VALU_DEP_1) | instskip(SKIP_1) | instid1(SALU_CYCLE_1)
	v_add_co_ci_u32_e64 v2, s4, s21, v2, s4
	s_add_i32 s24, s24, -1
	s_cmp_eq_u32 s24, 0
	s_waitcnt vmcnt(0) lgkmcnt(0)
	scratch_store_b128 v3, v[15:18], off
	v_add_nc_u32_e32 v3, 16, v3
	s_cbranch_scc0 .LBB373_75
; %bb.76:                               ;   in Loop: Header=BB373_63 Depth=1
	v_mov_b32_e32 v15, 0
	v_dual_mov_b32 v16, 0 :: v_dual_mov_b32 v1, v13
	v_dual_mov_b32 v3, v41 :: v_dual_mov_b32 v2, v14
	s_mov_b32 s24, s13
	s_delay_alu instid0(VALU_DEP_2)
	v_dual_mov_b32 v18, v16 :: v_dual_mov_b32 v17, v15
	.p2align	6
.LBB373_77:                             ;   Parent Loop BB373_63 Depth=1
                                        ; =>  This Inner Loop Header: Depth=2
	flat_load_b128 v[31:34], v[1:2]
	scratch_load_b128 v[42:45], v3, off offset:-8
	v_add_co_u32 v1, s4, v1, 16
	v_add_nc_u32_e32 v3, 16, v3
	v_add_co_ci_u32_e64 v2, s4, 0, v2, s4
	s_add_i32 s24, s24, -1
	s_delay_alu instid0(SALU_CYCLE_1) | instskip(SKIP_3) | instid1(VALU_DEP_2)
	s_cmp_lg_u32 s24, 0
	s_waitcnt vmcnt(0) lgkmcnt(0)
	v_mul_f64 v[23:24], v[33:34], v[44:45]
	v_mul_f64 v[33:34], v[33:34], v[42:43]
	v_fma_f64 v[23:24], v[31:32], v[42:43], v[23:24]
	s_delay_alu instid0(VALU_DEP_2) | instskip(NEXT) | instid1(VALU_DEP_2)
	v_fma_f64 v[31:32], v[31:32], v[44:45], -v[33:34]
	v_add_f64 v[15:16], v[15:16], v[23:24]
	s_delay_alu instid0(VALU_DEP_2)
	v_add_f64 v[17:18], v[17:18], v[31:32]
	s_cbranch_scc1 .LBB373_77
.LBB373_78:                             ;   in Loop: Header=BB373_63 Depth=1
	s_or_b32 exec_lo, exec_lo, s23
	s_delay_alu instid0(SALU_CYCLE_1)
	s_or_b32 exec_lo, exec_lo, s22
	s_and_saveexec_b32 s4, s0
	s_cbranch_execnz .LBB373_66
	s_branch .LBB373_67
.LBB373_79:                             ;   in Loop: Header=BB373_63 Depth=1
	ds_load_b128 v[1:4], v19
	s_or_b32 exec_lo, exec_lo, s4
	s_and_saveexec_b32 s4, s0
	s_cbranch_execz .LBB373_71
.LBB373_80:                             ;   in Loop: Header=BB373_63 Depth=1
	s_waitcnt lgkmcnt(0)
	ds_bpermute_b32 v15, v27, v1
	ds_bpermute_b32 v16, v27, v2
	ds_bpermute_b32 v17, v27, v3
	ds_bpermute_b32 v18, v27, v4
	s_waitcnt lgkmcnt(2)
	v_add_f64 v[1:2], v[1:2], v[15:16]
	s_waitcnt lgkmcnt(0)
	v_add_f64 v[3:4], v[3:4], v[17:18]
	ds_bpermute_b32 v15, v28, v1
	ds_bpermute_b32 v16, v28, v2
	ds_bpermute_b32 v17, v28, v3
	ds_bpermute_b32 v18, v28, v4
	s_waitcnt lgkmcnt(2)
	v_add_f64 v[1:2], v[1:2], v[15:16]
	s_waitcnt lgkmcnt(0)
	v_add_f64 v[3:4], v[3:4], v[17:18]
	;; [unrolled: 8-line block ×3, first 2 shown]
	s_or_b32 exec_lo, exec_lo, s4
	s_and_saveexec_b32 s4, s3
	s_cbranch_execz .LBB373_62
.LBB373_81:                             ;   in Loop: Header=BB373_63 Depth=1
	s_waitcnt lgkmcnt(0)
	s_delay_alu instid0(VALU_DEP_1) | instskip(SKIP_3) | instid1(SALU_CYCLE_1)
	v_mul_f64 v[15:16], s[10:11], v[3:4]
	v_mul_f64 v[3:4], s[8:9], v[3:4]
	s_mul_hi_u32 s23, s15, s12
	s_mul_i32 s22, s15, s12
	s_lshl_b64 s[22:23], s[22:23], 4
	s_delay_alu instid0(SALU_CYCLE_1) | instskip(SKIP_1) | instid1(VALU_DEP_2)
	s_add_u32 s22, s6, s22
	s_addc_u32 s23, s14, s23
	v_fma_f64 v[15:16], s[8:9], v[1:2], -v[15:16]
	s_delay_alu instid0(VALU_DEP_2)
	v_fma_f64 v[17:18], s[10:11], v[1:2], v[3:4]
	global_store_b128 v0, v[15:18], s[22:23]
	s_branch .LBB373_62
.LBB373_82:
	s_nop 0
	s_sendmsg sendmsg(MSG_DEALLOC_VGPRS)
	s_endpgm
	.section	.rodata,"a",@progbits
	.p2align	6, 0x0
	.amdhsa_kernel _ZL23rocblas_gemvt_sn_kernelILb1ELi256ELi4ElPK19rocblas_complex_numIdES1_S1_EviiT4_lPKT3_lilS7_lilPT5_i
		.amdhsa_group_segment_fixed_size 512
		.amdhsa_private_segment_fixed_size 80
		.amdhsa_kernarg_size 368
		.amdhsa_user_sgpr_count 14
		.amdhsa_user_sgpr_dispatch_ptr 0
		.amdhsa_user_sgpr_queue_ptr 0
		.amdhsa_user_sgpr_kernarg_segment_ptr 1
		.amdhsa_user_sgpr_dispatch_id 0
		.amdhsa_user_sgpr_private_segment_size 0
		.amdhsa_wavefront_size32 1
		.amdhsa_uses_dynamic_stack 0
		.amdhsa_enable_private_segment 1
		.amdhsa_system_sgpr_workgroup_id_x 1
		.amdhsa_system_sgpr_workgroup_id_y 0
		.amdhsa_system_sgpr_workgroup_id_z 1
		.amdhsa_system_sgpr_workgroup_info 0
		.amdhsa_system_vgpr_workitem_id 0
		.amdhsa_next_free_vgpr 84
		.amdhsa_next_free_sgpr 46
		.amdhsa_reserve_vcc 1
		.amdhsa_float_round_mode_32 0
		.amdhsa_float_round_mode_16_64 0
		.amdhsa_float_denorm_mode_32 3
		.amdhsa_float_denorm_mode_16_64 3
		.amdhsa_dx10_clamp 1
		.amdhsa_ieee_mode 1
		.amdhsa_fp16_overflow 0
		.amdhsa_workgroup_processor_mode 1
		.amdhsa_memory_ordered 1
		.amdhsa_forward_progress 0
		.amdhsa_shared_vgpr_count 0
		.amdhsa_exception_fp_ieee_invalid_op 0
		.amdhsa_exception_fp_denorm_src 0
		.amdhsa_exception_fp_ieee_div_zero 0
		.amdhsa_exception_fp_ieee_overflow 0
		.amdhsa_exception_fp_ieee_underflow 0
		.amdhsa_exception_fp_ieee_inexact 0
		.amdhsa_exception_int_div_zero 0
	.end_amdhsa_kernel
	.section	.text._ZL23rocblas_gemvt_sn_kernelILb1ELi256ELi4ElPK19rocblas_complex_numIdES1_S1_EviiT4_lPKT3_lilS7_lilPT5_i,"axG",@progbits,_ZL23rocblas_gemvt_sn_kernelILb1ELi256ELi4ElPK19rocblas_complex_numIdES1_S1_EviiT4_lPKT3_lilS7_lilPT5_i,comdat
.Lfunc_end373:
	.size	_ZL23rocblas_gemvt_sn_kernelILb1ELi256ELi4ElPK19rocblas_complex_numIdES1_S1_EviiT4_lPKT3_lilS7_lilPT5_i, .Lfunc_end373-_ZL23rocblas_gemvt_sn_kernelILb1ELi256ELi4ElPK19rocblas_complex_numIdES1_S1_EviiT4_lPKT3_lilS7_lilPT5_i
                                        ; -- End function
	.section	.AMDGPU.csdata,"",@progbits
; Kernel info:
; codeLenInByte = 7740
; NumSgprs: 48
; NumVgprs: 84
; ScratchSize: 80
; MemoryBound: 0
; FloatMode: 240
; IeeeMode: 1
; LDSByteSize: 512 bytes/workgroup (compile time only)
; SGPRBlocks: 5
; VGPRBlocks: 10
; NumSGPRsForWavesPerEU: 48
; NumVGPRsForWavesPerEU: 84
; Occupancy: 16
; WaveLimiterHint : 0
; COMPUTE_PGM_RSRC2:SCRATCH_EN: 1
; COMPUTE_PGM_RSRC2:USER_SGPR: 14
; COMPUTE_PGM_RSRC2:TRAP_HANDLER: 0
; COMPUTE_PGM_RSRC2:TGID_X_EN: 1
; COMPUTE_PGM_RSRC2:TGID_Y_EN: 0
; COMPUTE_PGM_RSRC2:TGID_Z_EN: 1
; COMPUTE_PGM_RSRC2:TIDIG_COMP_CNT: 0
	.section	.text._ZL20rocblas_gemvt_kernelILb1ELi256EPK19rocblas_complex_numIdES3_KPS1_EviiT2_lPKT1_lilS9_lilS6_lPT3_lili,"axG",@progbits,_ZL20rocblas_gemvt_kernelILb1ELi256EPK19rocblas_complex_numIdES3_KPS1_EviiT2_lPKT1_lilS9_lilS6_lPT3_lili,comdat
	.globl	_ZL20rocblas_gemvt_kernelILb1ELi256EPK19rocblas_complex_numIdES3_KPS1_EviiT2_lPKT1_lilS9_lilS6_lPT3_lili ; -- Begin function _ZL20rocblas_gemvt_kernelILb1ELi256EPK19rocblas_complex_numIdES3_KPS1_EviiT2_lPKT1_lilS9_lilS6_lPT3_lili
	.p2align	8
	.type	_ZL20rocblas_gemvt_kernelILb1ELi256EPK19rocblas_complex_numIdES3_KPS1_EviiT2_lPKT1_lilS9_lilS6_lPT3_lili,@function
_ZL20rocblas_gemvt_kernelILb1ELi256EPK19rocblas_complex_numIdES3_KPS1_EviiT2_lPKT1_lilS9_lilS6_lPT3_lili: ; @_ZL20rocblas_gemvt_kernelILb1ELi256EPK19rocblas_complex_numIdES3_KPS1_EviiT2_lPKT1_lilS9_lilS6_lPT3_lili
; %bb.0:
	s_load_b256 s[16:23], s[0:1], 0x8
	s_mov_b32 s2, s15
	s_mov_b64 s[24:25], 0
	s_waitcnt lgkmcnt(0)
	s_mul_i32 s3, s15, s19
	s_mul_hi_u32 s5, s15, s18
	s_mul_i32 s4, s15, s18
	s_add_i32 s5, s5, s3
	s_delay_alu instid0(SALU_CYCLE_1) | instskip(NEXT) | instid1(SALU_CYCLE_1)
	s_lshl_b64 s[4:5], s[4:5], 4
	s_add_u32 s4, s16, s4
	s_addc_u32 s5, s17, s5
	s_load_b128 s[16:19], s[4:5], 0x0
	s_load_b256 s[4:11], s[0:1], 0x58
	s_waitcnt lgkmcnt(0)
	v_cmp_neq_f64_e64 s12, s[16:17], 0
	v_cmp_neq_f64_e64 s13, s[18:19], 0
	s_mul_i32 s3, s15, s7
	s_mul_hi_u32 s7, s15, s6
	s_mul_i32 s6, s15, s6
	s_add_i32 s7, s7, s3
	s_mov_b32 s3, 0
	s_lshl_b64 s[6:7], s[6:7], 4
	s_mov_b32 s15, -1
	s_add_u32 s4, s4, s6
	s_addc_u32 s5, s5, s7
	s_load_b128 s[4:7], s[4:5], 0x0
	s_delay_alu instid0(VALU_DEP_1)
	s_or_b32 s12, s12, s13
	s_mov_b32 s13, s3
	s_and_b32 vcc_lo, exec_lo, s12
	s_cbranch_vccz .LBB374_4
; %bb.1:
	s_and_not1_b32 vcc_lo, exec_lo, s15
	s_cbranch_vccz .LBB374_5
.LBB374_2:
	s_and_not1_b32 vcc_lo, exec_lo, s13
	s_cbranch_vccz .LBB374_6
.LBB374_3:
	s_endpgm
.LBB374_4:
	s_waitcnt lgkmcnt(0)
	v_cmp_neq_f64_e64 s13, s[4:5], 1.0
	v_cmp_neq_f64_e64 s15, s[6:7], 0
	s_delay_alu instid0(VALU_DEP_1)
	s_or_b32 s13, s13, s15
	s_cbranch_execnz .LBB374_2
.LBB374_5:
	s_lshl_b64 s[24:25], s[2:3], 3
	s_delay_alu instid0(SALU_CYCLE_1)
	s_add_u32 s20, s20, s24
	s_addc_u32 s21, s21, s25
	s_lshl_b64 s[22:23], s[22:23], 4
	s_load_b64 s[20:21], s[20:21], 0x0
	s_waitcnt lgkmcnt(0)
	s_add_u32 s24, s20, s22
	s_addc_u32 s25, s21, s23
.LBB374_6:
	v_cndmask_b32_e64 v1, 0, 1, s12
	s_xor_b32 s20, s12, -1
	s_mov_b64 s[12:13], 0
	s_delay_alu instid0(VALU_DEP_1)
	v_cmp_ne_u32_e32 vcc_lo, 1, v1
	s_cbranch_vccnz .LBB374_8
; %bb.7:
	s_load_b128 s[28:31], s[0:1], 0x38
	s_lshl_b64 s[12:13], s[2:3], 3
	s_waitcnt lgkmcnt(0)
	s_add_u32 s12, s28, s12
	s_addc_u32 s13, s29, s13
	s_lshl_b64 s[22:23], s[30:31], 4
	s_load_b64 s[12:13], s[12:13], 0x0
	s_waitcnt lgkmcnt(0)
	s_add_u32 s12, s12, s22
	s_addc_u32 s13, s13, s23
.LBB374_8:
	s_lshl_b64 s[2:3], s[2:3], 3
	s_delay_alu instid0(SALU_CYCLE_1)
	s_add_u32 s2, s8, s2
	s_addc_u32 s3, s9, s3
	s_lshl_b64 s[10:11], s[10:11], 4
	s_load_b64 s[8:9], s[2:3], 0x0
	s_load_b32 s15, s[0:1], 0x78
	v_cmp_eq_u32_e64 s2, 0, v0
	s_waitcnt lgkmcnt(0)
	s_add_u32 s10, s8, s10
	s_addc_u32 s11, s9, s11
	s_and_not1_b32 vcc_lo, exec_lo, s20
	s_cbranch_vccnz .LBB374_13
; %bb.9:
	s_mov_b32 s3, 0
	s_mov_b32 s20, 0
                                        ; implicit-def: $vgpr3_vgpr4
                                        ; implicit-def: $sgpr8_sgpr9
	s_and_saveexec_b32 s21, s2
	s_cbranch_execz .LBB374_14
; %bb.10:
	v_cmp_neq_f64_e64 s2, s[4:5], 0
	v_cmp_neq_f64_e64 s8, s[6:7], 0
	v_mov_b32_e32 v3, 0
	v_mov_b32_e32 v4, 0
	s_delay_alu instid0(VALU_DEP_2) | instskip(SKIP_1) | instid1(VALU_DEP_2)
	v_mov_b32_e32 v1, v3
	s_mul_hi_i32 s9, s15, s14
	v_mov_b32_e32 v2, v4
	s_or_b32 s2, s2, s8
	s_mul_i32 s8, s15, s14
	s_and_not1_b32 vcc_lo, exec_lo, s2
	s_cbranch_vccnz .LBB374_12
; %bb.11:
	s_lshl_b64 s[22:23], s[8:9], 4
	s_delay_alu instid0(SALU_CYCLE_1)
	s_add_u32 s22, s10, s22
	s_addc_u32 s23, s11, s23
	s_load_b128 s[28:31], s[22:23], 0x0
	s_waitcnt lgkmcnt(0)
	v_mul_f64 v[1:2], s[6:7], s[30:31]
	v_mul_f64 v[3:4], s[4:5], s[30:31]
	s_delay_alu instid0(VALU_DEP_2) | instskip(NEXT) | instid1(VALU_DEP_2)
	v_fma_f64 v[1:2], s[4:5], s[28:29], -v[1:2]
	v_fma_f64 v[3:4], s[6:7], s[28:29], v[3:4]
.LBB374_12:
	s_mov_b32 s20, exec_lo
	s_or_b32 exec_lo, exec_lo, s21
	s_delay_alu instid0(SALU_CYCLE_1)
	s_and_b32 vcc_lo, exec_lo, s3
	s_cbranch_vccnz .LBB374_15
	s_branch .LBB374_41
.LBB374_13:
	s_mov_b32 s20, 0
                                        ; implicit-def: $vgpr3_vgpr4
                                        ; implicit-def: $sgpr8_sgpr9
	s_cbranch_execnz .LBB374_15
	s_branch .LBB374_41
.LBB374_14:
	s_or_b32 exec_lo, exec_lo, s21
	s_delay_alu instid0(SALU_CYCLE_1)
	s_and_b32 vcc_lo, exec_lo, s3
	s_cbranch_vccz .LBB374_41
.LBB374_15:
	s_clause 0x2
	s_load_b32 s2, s[0:1], 0x28
	s_load_b32 s3, s[0:1], 0x0
	;; [unrolled: 1-line block ×3, first 2 shown]
	v_mov_b32_e32 v3, 0
	s_mov_b32 s21, 0
	v_mov_b32_e32 v4, 0
	s_waitcnt lgkmcnt(0)
	s_mul_hi_i32 s9, s2, s14
	v_cmp_gt_i32_e32 vcc_lo, s3, v0
	s_mul_i32 s8, s2, s14
	s_delay_alu instid0(SALU_CYCLE_1) | instskip(SKIP_4) | instid1(SALU_CYCLE_1)
	s_lshl_b64 s[8:9], s[8:9], 4
	v_cndmask_b32_e32 v1, 0, v0, vcc_lo
	s_add_u32 s1, s8, s24
	s_addc_u32 s2, s9, s25
	s_ashr_i32 s8, s3, 31
	s_lshr_b32 s8, s8, 24
	v_lshlrev_b32_e32 v1, 4, v1
	s_add_i32 s8, s3, s8
	s_delay_alu instid0(VALU_DEP_1)
	v_add_co_u32 v5, s1, s1, v1
	v_dual_mov_b32 v1, v3 :: v_dual_mov_b32 v2, v4
	v_add_co_ci_u32_e64 v6, null, s2, 0, s1
	s_and_b32 s2, s8, 0xffffff00
	s_cmpk_lt_i32 s3, 0x100
	s_cbranch_scc1 .LBB374_18
; %bb.16:
	v_mad_i64_i32 v[1:2], null, s0, v0, 0
	v_dual_mov_b32 v3, 0 :: v_dual_mov_b32 v8, v6
	v_dual_mov_b32 v4, 0 :: v_dual_mov_b32 v7, v5
	s_ashr_i32 s1, s0, 31
	s_delay_alu instid0(SALU_CYCLE_1) | instskip(NEXT) | instid1(VALU_DEP_3)
	s_lshl_b64 s[8:9], s[0:1], 12
	v_lshlrev_b64 v[1:2], 4, v[1:2]
	s_delay_alu instid0(VALU_DEP_1) | instskip(NEXT) | instid1(VALU_DEP_2)
	v_add_co_u32 v9, vcc_lo, s12, v1
	v_add_co_ci_u32_e32 v10, vcc_lo, s13, v2, vcc_lo
	v_dual_mov_b32 v1, v3 :: v_dual_mov_b32 v2, v4
	.p2align	6
.LBB374_17:                             ; =>This Inner Loop Header: Depth=1
	flat_load_b128 v[11:14], v[7:8]
	flat_load_b128 v[15:18], v[9:10]
	v_add_co_u32 v9, vcc_lo, v9, s8
	v_add_co_ci_u32_e32 v10, vcc_lo, s9, v10, vcc_lo
	v_add_co_u32 v7, vcc_lo, 0x1000, v7
	v_add_co_ci_u32_e32 v8, vcc_lo, 0, v8, vcc_lo
	s_addk_i32 s21, 0x100
	s_delay_alu instid0(SALU_CYCLE_1) | instskip(SKIP_3) | instid1(VALU_DEP_2)
	s_cmp_ge_i32 s21, s2
	s_waitcnt vmcnt(0) lgkmcnt(0)
	v_mul_f64 v[19:20], v[13:14], v[17:18]
	v_mul_f64 v[13:14], v[13:14], v[15:16]
	v_fma_f64 v[15:16], v[11:12], v[15:16], v[19:20]
	s_delay_alu instid0(VALU_DEP_2) | instskip(NEXT) | instid1(VALU_DEP_2)
	v_fma_f64 v[11:12], v[11:12], v[17:18], -v[13:14]
	v_add_f64 v[1:2], v[1:2], v[15:16]
	s_delay_alu instid0(VALU_DEP_2)
	v_add_f64 v[3:4], v[3:4], v[11:12]
	s_cbranch_scc0 .LBB374_17
.LBB374_18:
	v_add_nc_u32_e32 v7, s2, v0
	s_mov_b32 s1, exec_lo
	s_delay_alu instid0(VALU_DEP_1)
	v_cmpx_gt_i32_e64 s3, v7
	s_cbranch_execz .LBB374_20
; %bb.19:
	v_mad_i64_i32 v[8:9], null, s0, v7, 0
	s_ashr_i32 s3, s2, 31
	s_delay_alu instid0(SALU_CYCLE_1) | instskip(NEXT) | instid1(SALU_CYCLE_1)
	s_lshl_b64 s[2:3], s[2:3], 4
	v_add_co_u32 v5, vcc_lo, v5, s2
	s_delay_alu instid0(VALU_DEP_2) | instskip(SKIP_1) | instid1(VALU_DEP_2)
	v_lshlrev_b64 v[7:8], 4, v[8:9]
	v_add_co_ci_u32_e32 v6, vcc_lo, s3, v6, vcc_lo
	v_add_co_u32 v9, vcc_lo, s12, v7
	s_delay_alu instid0(VALU_DEP_3)
	v_add_co_ci_u32_e32 v10, vcc_lo, s13, v8, vcc_lo
	flat_load_b128 v[5:8], v[5:6]
	flat_load_b128 v[9:12], v[9:10]
	s_waitcnt vmcnt(0) lgkmcnt(0)
	v_mul_f64 v[13:14], v[7:8], v[11:12]
	v_mul_f64 v[7:8], v[7:8], v[9:10]
	s_delay_alu instid0(VALU_DEP_2) | instskip(NEXT) | instid1(VALU_DEP_2)
	v_fma_f64 v[9:10], v[5:6], v[9:10], v[13:14]
	v_fma_f64 v[5:6], v[5:6], v[11:12], -v[7:8]
	s_delay_alu instid0(VALU_DEP_2) | instskip(NEXT) | instid1(VALU_DEP_2)
	v_add_f64 v[1:2], v[1:2], v[9:10]
	v_add_f64 v[3:4], v[3:4], v[5:6]
.LBB374_20:
	s_or_b32 exec_lo, exec_lo, s1
	v_lshlrev_b32_e32 v5, 4, v0
	s_mov_b32 s0, exec_lo
	ds_store_b128 v5, v[1:4]
	s_waitcnt lgkmcnt(0)
	s_barrier
	buffer_gl0_inv
	v_cmpx_gt_u32_e32 0x80, v0
	s_cbranch_execz .LBB374_22
; %bb.21:
	ds_load_b128 v[1:4], v5 offset:2048
	ds_load_b128 v[6:9], v5
	s_waitcnt lgkmcnt(0)
	v_add_f64 v[1:2], v[1:2], v[6:7]
	v_add_f64 v[3:4], v[3:4], v[8:9]
	ds_store_b128 v5, v[1:4]
.LBB374_22:
	s_or_b32 exec_lo, exec_lo, s0
	s_delay_alu instid0(SALU_CYCLE_1)
	s_mov_b32 s0, exec_lo
	s_waitcnt lgkmcnt(0)
	s_barrier
	buffer_gl0_inv
	v_cmpx_gt_u32_e32 64, v0
	s_cbranch_execz .LBB374_24
; %bb.23:
	ds_load_b128 v[1:4], v5 offset:1024
	ds_load_b128 v[6:9], v5
	s_waitcnt lgkmcnt(0)
	v_add_f64 v[1:2], v[1:2], v[6:7]
	v_add_f64 v[3:4], v[3:4], v[8:9]
	ds_store_b128 v5, v[1:4]
.LBB374_24:
	s_or_b32 exec_lo, exec_lo, s0
	s_delay_alu instid0(SALU_CYCLE_1)
	s_mov_b32 s0, exec_lo
	;; [unrolled: 16-line block ×6, first 2 shown]
	s_waitcnt lgkmcnt(0)
	s_barrier
	buffer_gl0_inv
	v_cmpx_gt_u32_e32 2, v0
	s_cbranch_execz .LBB374_34
; %bb.33:
	ds_load_b128 v[1:4], v5
	ds_load_b128 v[6:9], v5 offset:32
	s_waitcnt lgkmcnt(0)
	v_add_f64 v[1:2], v[6:7], v[1:2]
	v_add_f64 v[3:4], v[8:9], v[3:4]
	ds_store_b128 v5, v[1:4]
.LBB374_34:
	s_or_b32 exec_lo, exec_lo, s0
	v_cmp_eq_u32_e32 vcc_lo, 0, v0
	s_waitcnt lgkmcnt(0)
	s_barrier
	buffer_gl0_inv
	s_and_saveexec_b32 s0, vcc_lo
	s_cbranch_execz .LBB374_36
; %bb.35:
	v_mov_b32_e32 v8, 0
	ds_load_b128 v[0:3], v8
	ds_load_b128 v[4:7], v8 offset:16
	s_waitcnt lgkmcnt(0)
	v_add_f64 v[0:1], v[4:5], v[0:1]
	v_add_f64 v[2:3], v[6:7], v[2:3]
	ds_store_b128 v8, v[0:3]
.LBB374_36:
	s_or_b32 exec_lo, exec_lo, s0
	s_waitcnt lgkmcnt(0)
	s_barrier
	buffer_gl0_inv
                                        ; implicit-def: $vgpr3_vgpr4
                                        ; implicit-def: $sgpr8_sgpr9
	s_and_saveexec_b32 s0, vcc_lo
	s_cbranch_execz .LBB374_40
; %bb.37:
	v_mov_b32_e32 v0, 0
	v_cmp_neq_f64_e64 s1, s[4:5], 0
	v_cmp_neq_f64_e64 s2, s[6:7], 0
	s_mul_hi_i32 s9, s15, s14
	s_mul_i32 s8, s15, s14
	ds_load_b128 v[3:6], v0
	s_waitcnt lgkmcnt(0)
	v_mul_f64 v[0:1], s[18:19], v[5:6]
	v_mul_f64 v[5:6], s[16:17], v[5:6]
	s_or_b32 s1, s1, s2
	s_delay_alu instid0(SALU_CYCLE_1) | instskip(NEXT) | instid1(VALU_DEP_2)
	s_and_not1_b32 vcc_lo, exec_lo, s1
	v_fma_f64 v[1:2], s[16:17], v[3:4], -v[0:1]
	s_delay_alu instid0(VALU_DEP_2)
	v_fma_f64 v[3:4], s[18:19], v[3:4], v[5:6]
	s_cbranch_vccnz .LBB374_39
; %bb.38:
	s_lshl_b64 s[2:3], s[8:9], 4
	s_delay_alu instid0(SALU_CYCLE_1)
	s_add_u32 s2, s10, s2
	s_addc_u32 s3, s11, s3
	s_load_b128 s[12:15], s[2:3], 0x0
	s_waitcnt lgkmcnt(0)
	v_mul_f64 v[5:6], s[6:7], s[14:15]
	v_mul_f64 v[7:8], s[4:5], s[14:15]
	s_delay_alu instid0(VALU_DEP_2) | instskip(NEXT) | instid1(VALU_DEP_2)
	v_fma_f64 v[5:6], s[4:5], s[12:13], -v[5:6]
	v_fma_f64 v[7:8], s[6:7], s[12:13], v[7:8]
	s_delay_alu instid0(VALU_DEP_2) | instskip(NEXT) | instid1(VALU_DEP_2)
	v_add_f64 v[1:2], v[1:2], v[5:6]
	v_add_f64 v[3:4], v[3:4], v[7:8]
.LBB374_39:
	s_or_b32 s20, s20, exec_lo
.LBB374_40:
	s_or_b32 exec_lo, exec_lo, s0
.LBB374_41:
	s_and_saveexec_b32 s0, s20
	s_cbranch_execz .LBB374_3
; %bb.42:
	s_lshl_b64 s[0:1], s[8:9], 4
	v_mov_b32_e32 v0, 0
	s_add_u32 s0, s10, s0
	s_addc_u32 s1, s11, s1
	global_store_b128 v0, v[1:4], s[0:1]
	s_nop 0
	s_sendmsg sendmsg(MSG_DEALLOC_VGPRS)
	s_endpgm
	.section	.rodata,"a",@progbits
	.p2align	6, 0x0
	.amdhsa_kernel _ZL20rocblas_gemvt_kernelILb1ELi256EPK19rocblas_complex_numIdES3_KPS1_EviiT2_lPKT1_lilS9_lilS6_lPT3_lili
		.amdhsa_group_segment_fixed_size 4096
		.amdhsa_private_segment_fixed_size 0
		.amdhsa_kernarg_size 140
		.amdhsa_user_sgpr_count 14
		.amdhsa_user_sgpr_dispatch_ptr 0
		.amdhsa_user_sgpr_queue_ptr 0
		.amdhsa_user_sgpr_kernarg_segment_ptr 1
		.amdhsa_user_sgpr_dispatch_id 0
		.amdhsa_user_sgpr_private_segment_size 0
		.amdhsa_wavefront_size32 1
		.amdhsa_uses_dynamic_stack 0
		.amdhsa_enable_private_segment 0
		.amdhsa_system_sgpr_workgroup_id_x 1
		.amdhsa_system_sgpr_workgroup_id_y 0
		.amdhsa_system_sgpr_workgroup_id_z 1
		.amdhsa_system_sgpr_workgroup_info 0
		.amdhsa_system_vgpr_workitem_id 0
		.amdhsa_next_free_vgpr 21
		.amdhsa_next_free_sgpr 32
		.amdhsa_reserve_vcc 1
		.amdhsa_float_round_mode_32 0
		.amdhsa_float_round_mode_16_64 0
		.amdhsa_float_denorm_mode_32 3
		.amdhsa_float_denorm_mode_16_64 3
		.amdhsa_dx10_clamp 1
		.amdhsa_ieee_mode 1
		.amdhsa_fp16_overflow 0
		.amdhsa_workgroup_processor_mode 1
		.amdhsa_memory_ordered 1
		.amdhsa_forward_progress 0
		.amdhsa_shared_vgpr_count 0
		.amdhsa_exception_fp_ieee_invalid_op 0
		.amdhsa_exception_fp_denorm_src 0
		.amdhsa_exception_fp_ieee_div_zero 0
		.amdhsa_exception_fp_ieee_overflow 0
		.amdhsa_exception_fp_ieee_underflow 0
		.amdhsa_exception_fp_ieee_inexact 0
		.amdhsa_exception_int_div_zero 0
	.end_amdhsa_kernel
	.section	.text._ZL20rocblas_gemvt_kernelILb1ELi256EPK19rocblas_complex_numIdES3_KPS1_EviiT2_lPKT1_lilS9_lilS6_lPT3_lili,"axG",@progbits,_ZL20rocblas_gemvt_kernelILb1ELi256EPK19rocblas_complex_numIdES3_KPS1_EviiT2_lPKT1_lilS9_lilS6_lPT3_lili,comdat
.Lfunc_end374:
	.size	_ZL20rocblas_gemvt_kernelILb1ELi256EPK19rocblas_complex_numIdES3_KPS1_EviiT2_lPKT1_lilS9_lilS6_lPT3_lili, .Lfunc_end374-_ZL20rocblas_gemvt_kernelILb1ELi256EPK19rocblas_complex_numIdES3_KPS1_EviiT2_lPKT1_lilS9_lilS6_lPT3_lili
                                        ; -- End function
	.section	.AMDGPU.csdata,"",@progbits
; Kernel info:
; codeLenInByte = 1964
; NumSgprs: 34
; NumVgprs: 21
; ScratchSize: 0
; MemoryBound: 0
; FloatMode: 240
; IeeeMode: 1
; LDSByteSize: 4096 bytes/workgroup (compile time only)
; SGPRBlocks: 4
; VGPRBlocks: 2
; NumSGPRsForWavesPerEU: 34
; NumVGPRsForWavesPerEU: 21
; Occupancy: 16
; WaveLimiterHint : 1
; COMPUTE_PGM_RSRC2:SCRATCH_EN: 0
; COMPUTE_PGM_RSRC2:USER_SGPR: 14
; COMPUTE_PGM_RSRC2:TRAP_HANDLER: 0
; COMPUTE_PGM_RSRC2:TGID_X_EN: 1
; COMPUTE_PGM_RSRC2:TGID_Y_EN: 0
; COMPUTE_PGM_RSRC2:TGID_Z_EN: 1
; COMPUTE_PGM_RSRC2:TIDIG_COMP_CNT: 0
	.section	.text._ZL20rocblas_gemvt_kernelILb1ELi256EPK19rocblas_complex_numIdES1_KPS1_EviiT2_lPKT1_lilS9_lilS6_lPT3_lili,"axG",@progbits,_ZL20rocblas_gemvt_kernelILb1ELi256EPK19rocblas_complex_numIdES1_KPS1_EviiT2_lPKT1_lilS9_lilS6_lPT3_lili,comdat
	.globl	_ZL20rocblas_gemvt_kernelILb1ELi256EPK19rocblas_complex_numIdES1_KPS1_EviiT2_lPKT1_lilS9_lilS6_lPT3_lili ; -- Begin function _ZL20rocblas_gemvt_kernelILb1ELi256EPK19rocblas_complex_numIdES1_KPS1_EviiT2_lPKT1_lilS9_lilS6_lPT3_lili
	.p2align	8
	.type	_ZL20rocblas_gemvt_kernelILb1ELi256EPK19rocblas_complex_numIdES1_KPS1_EviiT2_lPKT1_lilS9_lilS6_lPT3_lili,@function
_ZL20rocblas_gemvt_kernelILb1ELi256EPK19rocblas_complex_numIdES1_KPS1_EviiT2_lPKT1_lilS9_lilS6_lPT3_lili: ; @_ZL20rocblas_gemvt_kernelILb1ELi256EPK19rocblas_complex_numIdES1_KPS1_EviiT2_lPKT1_lilS9_lilS6_lPT3_lili
; %bb.0:
	s_clause 0x1
	s_load_b128 s[8:11], s[0:1], 0x8
	s_load_b128 s[4:7], s[0:1], 0x60
	s_mov_b32 s2, s15
	s_mov_b32 s15, -1
	s_waitcnt lgkmcnt(0)
	v_cmp_neq_f64_e64 s3, s[8:9], 0
	v_cmp_neq_f64_e64 s12, s[10:11], 0
	s_delay_alu instid0(VALU_DEP_1) | instskip(NEXT) | instid1(SALU_CYCLE_1)
	s_or_b32 s12, s3, s12
                                        ; implicit-def: $sgpr3
	s_and_b32 vcc_lo, exec_lo, s12
	s_cbranch_vccnz .LBB375_3
; %bb.1:
	v_cmp_eq_f64_e64 s3, s[4:5], 1.0
	v_cmp_eq_f64_e64 s13, s[6:7], 0
	s_mov_b32 s15, 0
	s_delay_alu instid0(VALU_DEP_1) | instskip(NEXT) | instid1(SALU_CYCLE_1)
	s_and_b32 s3, s3, s13
	s_and_not1_b32 vcc_lo, exec_lo, s3
	s_cbranch_vccz .LBB375_3
; %bb.2:
	s_mov_b32 s3, 0
	s_mov_b32 s13, -1
	s_mov_b64 s[16:17], 0
	s_and_b32 vcc_lo, exec_lo, s15
	s_cbranch_vccnz .LBB375_4
	s_branch .LBB375_5
.LBB375_3:
	s_mov_b32 s13, 0
                                        ; implicit-def: $sgpr16_sgpr17
	s_and_b32 vcc_lo, exec_lo, s15
	s_cbranch_vccz .LBB375_5
.LBB375_4:
	s_load_b128 s[16:19], s[0:1], 0x20
	s_mov_b32 s3, 0
	s_mov_b32 s13, -1
	s_lshl_b64 s[20:21], s[2:3], 3
	s_waitcnt lgkmcnt(0)
	s_add_u32 s16, s16, s20
	s_addc_u32 s17, s17, s21
	s_lshl_b64 s[18:19], s[18:19], 4
	s_load_b64 s[16:17], s[16:17], 0x0
	s_waitcnt lgkmcnt(0)
	s_add_u32 s16, s16, s18
	s_addc_u32 s17, s17, s19
.LBB375_5:
	s_and_not1_b32 vcc_lo, exec_lo, s13
	s_cbranch_vccnz .LBB375_43
; %bb.6:
	v_cndmask_b32_e64 v1, 0, 1, s12
	s_xor_b32 s18, s12, -1
	s_mov_b64 s[12:13], 0
	s_delay_alu instid0(VALU_DEP_1)
	v_cmp_ne_u32_e32 vcc_lo, 1, v1
	s_cbranch_vccnz .LBB375_8
; %bb.7:
	s_load_b128 s[20:23], s[0:1], 0x40
	s_lshl_b64 s[12:13], s[2:3], 3
	s_waitcnt lgkmcnt(0)
	s_add_u32 s12, s20, s12
	s_addc_u32 s13, s21, s13
	s_lshl_b64 s[20:21], s[22:23], 4
	s_load_b64 s[12:13], s[12:13], 0x0
	s_waitcnt lgkmcnt(0)
	s_add_u32 s12, s12, s20
	s_addc_u32 s13, s13, s21
.LBB375_8:
	s_clause 0x1
	s_load_b128 s[24:27], s[0:1], 0x78
	s_load_b32 s21, s[0:1], 0x88
	s_lshl_b64 s[2:3], s[2:3], 3
	s_waitcnt lgkmcnt(0)
	s_add_u32 s2, s24, s2
	s_addc_u32 s3, s25, s3
	s_lshl_b64 s[24:25], s[26:27], 4
	s_load_b64 s[22:23], s[2:3], 0x0
	v_cmp_eq_u32_e64 s2, 0, v0
	s_waitcnt lgkmcnt(0)
	s_add_u32 s15, s22, s24
	s_addc_u32 s20, s23, s25
	s_and_not1_b32 vcc_lo, exec_lo, s18
	s_cbranch_vccnz .LBB375_13
; %bb.9:
	s_mov_b32 s3, 0
	s_mov_b32 s22, 0
                                        ; implicit-def: $vgpr3_vgpr4
                                        ; implicit-def: $sgpr18_sgpr19
	s_and_saveexec_b32 s23, s2
	s_cbranch_execz .LBB375_14
; %bb.10:
	v_cmp_neq_f64_e64 s2, s[4:5], 0
	v_cmp_neq_f64_e64 s18, s[6:7], 0
	v_mov_b32_e32 v3, 0
	v_mov_b32_e32 v4, 0
	s_delay_alu instid0(VALU_DEP_2) | instskip(SKIP_1) | instid1(VALU_DEP_2)
	v_mov_b32_e32 v1, v3
	s_mul_hi_i32 s19, s21, s14
	v_mov_b32_e32 v2, v4
	s_or_b32 s2, s2, s18
	s_mul_i32 s18, s21, s14
	s_and_not1_b32 vcc_lo, exec_lo, s2
	s_cbranch_vccnz .LBB375_12
; %bb.11:
	s_lshl_b64 s[24:25], s[18:19], 4
	s_delay_alu instid0(SALU_CYCLE_1)
	s_add_u32 s24, s15, s24
	s_addc_u32 s25, s20, s25
	s_load_b128 s[24:27], s[24:25], 0x0
	s_waitcnt lgkmcnt(0)
	v_mul_f64 v[1:2], s[6:7], s[26:27]
	v_mul_f64 v[3:4], s[4:5], s[26:27]
	s_delay_alu instid0(VALU_DEP_2) | instskip(NEXT) | instid1(VALU_DEP_2)
	v_fma_f64 v[1:2], s[4:5], s[24:25], -v[1:2]
	v_fma_f64 v[3:4], s[6:7], s[24:25], v[3:4]
.LBB375_12:
	s_mov_b32 s22, exec_lo
	s_or_b32 exec_lo, exec_lo, s23
	s_delay_alu instid0(SALU_CYCLE_1)
	s_and_b32 vcc_lo, exec_lo, s3
	s_cbranch_vccnz .LBB375_15
	s_branch .LBB375_41
.LBB375_13:
	s_mov_b32 s22, 0
                                        ; implicit-def: $vgpr3_vgpr4
                                        ; implicit-def: $sgpr18_sgpr19
	s_cbranch_execnz .LBB375_15
	s_branch .LBB375_41
.LBB375_14:
	s_or_b32 exec_lo, exec_lo, s23
	s_delay_alu instid0(SALU_CYCLE_1)
	s_and_b32 vcc_lo, exec_lo, s3
	s_cbranch_vccz .LBB375_41
.LBB375_15:
	s_clause 0x2
	s_load_b32 s2, s[0:1], 0x30
	s_load_b32 s3, s[0:1], 0x0
	;; [unrolled: 1-line block ×3, first 2 shown]
	v_mov_b32_e32 v3, 0
	v_mov_b32_e32 v4, 0
	s_waitcnt lgkmcnt(0)
	s_mul_hi_i32 s19, s2, s14
	v_cmp_gt_i32_e32 vcc_lo, s3, v0
	s_mul_i32 s18, s2, s14
	s_delay_alu instid0(SALU_CYCLE_1)
	s_lshl_b64 s[18:19], s[18:19], 4
	v_cndmask_b32_e32 v1, 0, v0, vcc_lo
	s_add_u32 s1, s18, s16
	s_addc_u32 s2, s19, s17
	s_ashr_i32 s16, s3, 31
	s_mov_b32 s18, 0
	v_lshlrev_b32_e32 v1, 4, v1
	s_lshr_b32 s16, s16, 24
	s_delay_alu instid0(SALU_CYCLE_1) | instskip(NEXT) | instid1(VALU_DEP_1)
	s_add_i32 s16, s3, s16
	v_add_co_u32 v5, s1, s1, v1
	v_dual_mov_b32 v1, v3 :: v_dual_mov_b32 v2, v4
	v_add_co_ci_u32_e64 v6, null, s2, 0, s1
	s_and_b32 s2, s16, 0xffffff00
	s_cmpk_lt_i32 s3, 0x100
	s_cbranch_scc1 .LBB375_18
; %bb.16:
	v_mad_i64_i32 v[1:2], null, s0, v0, 0
	v_dual_mov_b32 v3, 0 :: v_dual_mov_b32 v8, v6
	v_dual_mov_b32 v4, 0 :: v_dual_mov_b32 v7, v5
	s_ashr_i32 s1, s0, 31
	s_delay_alu instid0(SALU_CYCLE_1) | instskip(NEXT) | instid1(VALU_DEP_3)
	s_lshl_b64 s[16:17], s[0:1], 12
	v_lshlrev_b64 v[1:2], 4, v[1:2]
	s_delay_alu instid0(VALU_DEP_1) | instskip(NEXT) | instid1(VALU_DEP_2)
	v_add_co_u32 v9, vcc_lo, s12, v1
	v_add_co_ci_u32_e32 v10, vcc_lo, s13, v2, vcc_lo
	v_dual_mov_b32 v1, v3 :: v_dual_mov_b32 v2, v4
	.p2align	6
.LBB375_17:                             ; =>This Inner Loop Header: Depth=1
	flat_load_b128 v[11:14], v[7:8]
	flat_load_b128 v[15:18], v[9:10]
	v_add_co_u32 v9, vcc_lo, v9, s16
	v_add_co_ci_u32_e32 v10, vcc_lo, s17, v10, vcc_lo
	v_add_co_u32 v7, vcc_lo, 0x1000, v7
	v_add_co_ci_u32_e32 v8, vcc_lo, 0, v8, vcc_lo
	s_addk_i32 s18, 0x100
	s_delay_alu instid0(SALU_CYCLE_1) | instskip(SKIP_3) | instid1(VALU_DEP_2)
	s_cmp_ge_i32 s18, s2
	s_waitcnt vmcnt(0) lgkmcnt(0)
	v_mul_f64 v[19:20], v[13:14], v[17:18]
	v_mul_f64 v[13:14], v[13:14], v[15:16]
	v_fma_f64 v[15:16], v[11:12], v[15:16], v[19:20]
	s_delay_alu instid0(VALU_DEP_2) | instskip(NEXT) | instid1(VALU_DEP_2)
	v_fma_f64 v[11:12], v[11:12], v[17:18], -v[13:14]
	v_add_f64 v[1:2], v[1:2], v[15:16]
	s_delay_alu instid0(VALU_DEP_2)
	v_add_f64 v[3:4], v[3:4], v[11:12]
	s_cbranch_scc0 .LBB375_17
.LBB375_18:
	v_add_nc_u32_e32 v7, s2, v0
	s_mov_b32 s1, exec_lo
	s_delay_alu instid0(VALU_DEP_1)
	v_cmpx_gt_i32_e64 s3, v7
	s_cbranch_execz .LBB375_20
; %bb.19:
	v_mad_i64_i32 v[8:9], null, s0, v7, 0
	s_ashr_i32 s3, s2, 31
	s_delay_alu instid0(SALU_CYCLE_1) | instskip(NEXT) | instid1(SALU_CYCLE_1)
	s_lshl_b64 s[2:3], s[2:3], 4
	v_add_co_u32 v5, vcc_lo, v5, s2
	s_delay_alu instid0(VALU_DEP_2) | instskip(SKIP_1) | instid1(VALU_DEP_2)
	v_lshlrev_b64 v[7:8], 4, v[8:9]
	v_add_co_ci_u32_e32 v6, vcc_lo, s3, v6, vcc_lo
	v_add_co_u32 v9, vcc_lo, s12, v7
	s_delay_alu instid0(VALU_DEP_3)
	v_add_co_ci_u32_e32 v10, vcc_lo, s13, v8, vcc_lo
	flat_load_b128 v[5:8], v[5:6]
	flat_load_b128 v[9:12], v[9:10]
	s_waitcnt vmcnt(0) lgkmcnt(0)
	v_mul_f64 v[13:14], v[7:8], v[11:12]
	v_mul_f64 v[7:8], v[7:8], v[9:10]
	s_delay_alu instid0(VALU_DEP_2) | instskip(NEXT) | instid1(VALU_DEP_2)
	v_fma_f64 v[9:10], v[5:6], v[9:10], v[13:14]
	v_fma_f64 v[5:6], v[5:6], v[11:12], -v[7:8]
	s_delay_alu instid0(VALU_DEP_2) | instskip(NEXT) | instid1(VALU_DEP_2)
	v_add_f64 v[1:2], v[1:2], v[9:10]
	v_add_f64 v[3:4], v[3:4], v[5:6]
.LBB375_20:
	s_or_b32 exec_lo, exec_lo, s1
	v_lshlrev_b32_e32 v5, 4, v0
	s_mov_b32 s0, exec_lo
	ds_store_b128 v5, v[1:4]
	s_waitcnt lgkmcnt(0)
	s_barrier
	buffer_gl0_inv
	v_cmpx_gt_u32_e32 0x80, v0
	s_cbranch_execz .LBB375_22
; %bb.21:
	ds_load_b128 v[1:4], v5 offset:2048
	ds_load_b128 v[6:9], v5
	s_waitcnt lgkmcnt(0)
	v_add_f64 v[1:2], v[1:2], v[6:7]
	v_add_f64 v[3:4], v[3:4], v[8:9]
	ds_store_b128 v5, v[1:4]
.LBB375_22:
	s_or_b32 exec_lo, exec_lo, s0
	s_delay_alu instid0(SALU_CYCLE_1)
	s_mov_b32 s0, exec_lo
	s_waitcnt lgkmcnt(0)
	s_barrier
	buffer_gl0_inv
	v_cmpx_gt_u32_e32 64, v0
	s_cbranch_execz .LBB375_24
; %bb.23:
	ds_load_b128 v[1:4], v5 offset:1024
	ds_load_b128 v[6:9], v5
	s_waitcnt lgkmcnt(0)
	v_add_f64 v[1:2], v[1:2], v[6:7]
	v_add_f64 v[3:4], v[3:4], v[8:9]
	ds_store_b128 v5, v[1:4]
.LBB375_24:
	s_or_b32 exec_lo, exec_lo, s0
	s_delay_alu instid0(SALU_CYCLE_1)
	s_mov_b32 s0, exec_lo
	;; [unrolled: 16-line block ×6, first 2 shown]
	s_waitcnt lgkmcnt(0)
	s_barrier
	buffer_gl0_inv
	v_cmpx_gt_u32_e32 2, v0
	s_cbranch_execz .LBB375_34
; %bb.33:
	ds_load_b128 v[1:4], v5
	ds_load_b128 v[6:9], v5 offset:32
	s_waitcnt lgkmcnt(0)
	v_add_f64 v[1:2], v[6:7], v[1:2]
	v_add_f64 v[3:4], v[8:9], v[3:4]
	ds_store_b128 v5, v[1:4]
.LBB375_34:
	s_or_b32 exec_lo, exec_lo, s0
	v_cmp_eq_u32_e32 vcc_lo, 0, v0
	s_waitcnt lgkmcnt(0)
	s_barrier
	buffer_gl0_inv
	s_and_saveexec_b32 s0, vcc_lo
	s_cbranch_execz .LBB375_36
; %bb.35:
	v_mov_b32_e32 v8, 0
	ds_load_b128 v[0:3], v8
	ds_load_b128 v[4:7], v8 offset:16
	s_waitcnt lgkmcnt(0)
	v_add_f64 v[0:1], v[4:5], v[0:1]
	v_add_f64 v[2:3], v[6:7], v[2:3]
	ds_store_b128 v8, v[0:3]
.LBB375_36:
	s_or_b32 exec_lo, exec_lo, s0
	s_waitcnt lgkmcnt(0)
	s_barrier
	buffer_gl0_inv
                                        ; implicit-def: $vgpr3_vgpr4
                                        ; implicit-def: $sgpr18_sgpr19
	s_and_saveexec_b32 s0, vcc_lo
	s_cbranch_execz .LBB375_40
; %bb.37:
	v_mov_b32_e32 v0, 0
	v_cmp_neq_f64_e64 s1, s[4:5], 0
	v_cmp_neq_f64_e64 s2, s[6:7], 0
	s_mul_hi_i32 s19, s21, s14
	s_mul_i32 s18, s21, s14
	ds_load_b128 v[3:6], v0
	s_waitcnt lgkmcnt(0)
	v_mul_f64 v[0:1], s[10:11], v[5:6]
	v_mul_f64 v[5:6], s[8:9], v[5:6]
	s_or_b32 s1, s1, s2
	s_delay_alu instid0(SALU_CYCLE_1) | instskip(NEXT) | instid1(VALU_DEP_2)
	s_and_not1_b32 vcc_lo, exec_lo, s1
	v_fma_f64 v[1:2], s[8:9], v[3:4], -v[0:1]
	s_delay_alu instid0(VALU_DEP_2)
	v_fma_f64 v[3:4], s[10:11], v[3:4], v[5:6]
	s_cbranch_vccnz .LBB375_39
; %bb.38:
	s_lshl_b64 s[2:3], s[18:19], 4
	s_delay_alu instid0(SALU_CYCLE_1)
	s_add_u32 s2, s15, s2
	s_addc_u32 s3, s20, s3
	s_load_b128 s[8:11], s[2:3], 0x0
	s_waitcnt lgkmcnt(0)
	v_mul_f64 v[5:6], s[6:7], s[10:11]
	v_mul_f64 v[7:8], s[4:5], s[10:11]
	s_delay_alu instid0(VALU_DEP_2) | instskip(NEXT) | instid1(VALU_DEP_2)
	v_fma_f64 v[5:6], s[4:5], s[8:9], -v[5:6]
	v_fma_f64 v[7:8], s[6:7], s[8:9], v[7:8]
	s_delay_alu instid0(VALU_DEP_2) | instskip(NEXT) | instid1(VALU_DEP_2)
	v_add_f64 v[1:2], v[1:2], v[5:6]
	v_add_f64 v[3:4], v[3:4], v[7:8]
.LBB375_39:
	s_or_b32 s22, s22, exec_lo
.LBB375_40:
	s_or_b32 exec_lo, exec_lo, s0
.LBB375_41:
	s_and_saveexec_b32 s0, s22
	s_cbranch_execz .LBB375_43
; %bb.42:
	s_lshl_b64 s[0:1], s[18:19], 4
	v_mov_b32_e32 v0, 0
	s_add_u32 s0, s15, s0
	s_addc_u32 s1, s20, s1
	global_store_b128 v0, v[1:4], s[0:1]
.LBB375_43:
	s_nop 0
	s_sendmsg sendmsg(MSG_DEALLOC_VGPRS)
	s_endpgm
	.section	.rodata,"a",@progbits
	.p2align	6, 0x0
	.amdhsa_kernel _ZL20rocblas_gemvt_kernelILb1ELi256EPK19rocblas_complex_numIdES1_KPS1_EviiT2_lPKT1_lilS9_lilS6_lPT3_lili
		.amdhsa_group_segment_fixed_size 4096
		.amdhsa_private_segment_fixed_size 0
		.amdhsa_kernarg_size 156
		.amdhsa_user_sgpr_count 14
		.amdhsa_user_sgpr_dispatch_ptr 0
		.amdhsa_user_sgpr_queue_ptr 0
		.amdhsa_user_sgpr_kernarg_segment_ptr 1
		.amdhsa_user_sgpr_dispatch_id 0
		.amdhsa_user_sgpr_private_segment_size 0
		.amdhsa_wavefront_size32 1
		.amdhsa_uses_dynamic_stack 0
		.amdhsa_enable_private_segment 0
		.amdhsa_system_sgpr_workgroup_id_x 1
		.amdhsa_system_sgpr_workgroup_id_y 0
		.amdhsa_system_sgpr_workgroup_id_z 1
		.amdhsa_system_sgpr_workgroup_info 0
		.amdhsa_system_vgpr_workitem_id 0
		.amdhsa_next_free_vgpr 21
		.amdhsa_next_free_sgpr 28
		.amdhsa_reserve_vcc 1
		.amdhsa_float_round_mode_32 0
		.amdhsa_float_round_mode_16_64 0
		.amdhsa_float_denorm_mode_32 3
		.amdhsa_float_denorm_mode_16_64 3
		.amdhsa_dx10_clamp 1
		.amdhsa_ieee_mode 1
		.amdhsa_fp16_overflow 0
		.amdhsa_workgroup_processor_mode 1
		.amdhsa_memory_ordered 1
		.amdhsa_forward_progress 0
		.amdhsa_shared_vgpr_count 0
		.amdhsa_exception_fp_ieee_invalid_op 0
		.amdhsa_exception_fp_denorm_src 0
		.amdhsa_exception_fp_ieee_div_zero 0
		.amdhsa_exception_fp_ieee_overflow 0
		.amdhsa_exception_fp_ieee_underflow 0
		.amdhsa_exception_fp_ieee_inexact 0
		.amdhsa_exception_int_div_zero 0
	.end_amdhsa_kernel
	.section	.text._ZL20rocblas_gemvt_kernelILb1ELi256EPK19rocblas_complex_numIdES1_KPS1_EviiT2_lPKT1_lilS9_lilS6_lPT3_lili,"axG",@progbits,_ZL20rocblas_gemvt_kernelILb1ELi256EPK19rocblas_complex_numIdES1_KPS1_EviiT2_lPKT1_lilS9_lilS6_lPT3_lili,comdat
.Lfunc_end375:
	.size	_ZL20rocblas_gemvt_kernelILb1ELi256EPK19rocblas_complex_numIdES1_KPS1_EviiT2_lPKT1_lilS9_lilS6_lPT3_lili, .Lfunc_end375-_ZL20rocblas_gemvt_kernelILb1ELi256EPK19rocblas_complex_numIdES1_KPS1_EviiT2_lPKT1_lilS9_lilS6_lPT3_lili
                                        ; -- End function
	.section	.AMDGPU.csdata,"",@progbits
; Kernel info:
; codeLenInByte = 1932
; NumSgprs: 30
; NumVgprs: 21
; ScratchSize: 0
; MemoryBound: 0
; FloatMode: 240
; IeeeMode: 1
; LDSByteSize: 4096 bytes/workgroup (compile time only)
; SGPRBlocks: 3
; VGPRBlocks: 2
; NumSGPRsForWavesPerEU: 30
; NumVGPRsForWavesPerEU: 21
; Occupancy: 16
; WaveLimiterHint : 1
; COMPUTE_PGM_RSRC2:SCRATCH_EN: 0
; COMPUTE_PGM_RSRC2:USER_SGPR: 14
; COMPUTE_PGM_RSRC2:TRAP_HANDLER: 0
; COMPUTE_PGM_RSRC2:TGID_X_EN: 1
; COMPUTE_PGM_RSRC2:TGID_Y_EN: 0
; COMPUTE_PGM_RSRC2:TGID_Z_EN: 1
; COMPUTE_PGM_RSRC2:TIDIG_COMP_CNT: 0
	.section	.text._ZL32rocblas_gemvt_warp_reduce_kernelILb1ELi1024EiPK19rocblas_complex_numIdES3_KPS1_EviiT3_lPKT2_lT1_lS9_lSA_lS6_lPT4_lSA_li,"axG",@progbits,_ZL32rocblas_gemvt_warp_reduce_kernelILb1ELi1024EiPK19rocblas_complex_numIdES3_KPS1_EviiT3_lPKT2_lT1_lS9_lSA_lS6_lPT4_lSA_li,comdat
	.globl	_ZL32rocblas_gemvt_warp_reduce_kernelILb1ELi1024EiPK19rocblas_complex_numIdES3_KPS1_EviiT3_lPKT2_lT1_lS9_lSA_lS6_lPT4_lSA_li ; -- Begin function _ZL32rocblas_gemvt_warp_reduce_kernelILb1ELi1024EiPK19rocblas_complex_numIdES3_KPS1_EviiT3_lPKT2_lT1_lS9_lSA_lS6_lPT4_lSA_li
	.p2align	8
	.type	_ZL32rocblas_gemvt_warp_reduce_kernelILb1ELi1024EiPK19rocblas_complex_numIdES3_KPS1_EviiT3_lPKT2_lT1_lS9_lSA_lS6_lPT4_lSA_li,@function
_ZL32rocblas_gemvt_warp_reduce_kernelILb1ELi1024EiPK19rocblas_complex_numIdES3_KPS1_EviiT3_lPKT2_lT1_lS9_lSA_lS6_lPT4_lSA_li: ; @_ZL32rocblas_gemvt_warp_reduce_kernelILb1ELi1024EiPK19rocblas_complex_numIdES3_KPS1_EviiT3_lPKT2_lT1_lS9_lSA_lS6_lPT4_lSA_li
; %bb.0:
	s_load_b256 s[16:23], s[0:1], 0x8
	s_mov_b32 s2, s15
	s_mov_b64 s[24:25], 0
	s_waitcnt lgkmcnt(0)
	s_mul_i32 s3, s15, s19
	s_mul_hi_u32 s5, s15, s18
	s_mul_i32 s4, s15, s18
	s_add_i32 s5, s5, s3
	s_delay_alu instid0(SALU_CYCLE_1) | instskip(NEXT) | instid1(SALU_CYCLE_1)
	s_lshl_b64 s[4:5], s[4:5], 4
	s_add_u32 s4, s16, s4
	s_addc_u32 s5, s17, s5
	s_load_b128 s[16:19], s[4:5], 0x0
	s_load_b256 s[4:11], s[0:1], 0x58
	s_waitcnt lgkmcnt(0)
	v_cmp_neq_f64_e64 s12, s[16:17], 0
	v_cmp_neq_f64_e64 s13, s[18:19], 0
	s_mul_i32 s3, s15, s7
	s_mul_hi_u32 s7, s15, s6
	s_mul_i32 s6, s15, s6
	s_add_i32 s7, s7, s3
	s_mov_b32 s3, 0
	s_lshl_b64 s[6:7], s[6:7], 4
	s_mov_b32 s15, -1
	s_add_u32 s4, s4, s6
	s_addc_u32 s5, s5, s7
	s_load_b128 s[4:7], s[4:5], 0x0
	s_delay_alu instid0(VALU_DEP_1)
	s_or_b32 s12, s12, s13
	s_mov_b32 s13, s3
	s_and_b32 vcc_lo, exec_lo, s12
	s_cbranch_vccz .LBB376_4
; %bb.1:
	s_and_not1_b32 vcc_lo, exec_lo, s15
	s_cbranch_vccz .LBB376_5
.LBB376_2:
	s_and_not1_b32 vcc_lo, exec_lo, s13
	s_cbranch_vccz .LBB376_6
.LBB376_3:
	s_endpgm
.LBB376_4:
	s_waitcnt lgkmcnt(0)
	v_cmp_neq_f64_e64 s13, s[4:5], 1.0
	v_cmp_neq_f64_e64 s15, s[6:7], 0
	s_delay_alu instid0(VALU_DEP_1)
	s_or_b32 s13, s13, s15
	s_cbranch_execnz .LBB376_2
.LBB376_5:
	s_lshl_b64 s[24:25], s[2:3], 3
	s_delay_alu instid0(SALU_CYCLE_1)
	s_add_u32 s20, s20, s24
	s_addc_u32 s21, s21, s25
	s_lshl_b64 s[22:23], s[22:23], 4
	s_load_b64 s[20:21], s[20:21], 0x0
	s_waitcnt lgkmcnt(0)
	s_add_u32 s24, s20, s22
	s_addc_u32 s25, s21, s23
.LBB376_6:
	v_cndmask_b32_e64 v1, 0, 1, s12
	s_xor_b32 s15, s12, -1
	s_mov_b64 s[12:13], 0
	s_delay_alu instid0(VALU_DEP_1)
	v_cmp_ne_u32_e32 vcc_lo, 1, v1
	s_cbranch_vccnz .LBB376_8
; %bb.7:
	s_load_b128 s[20:23], s[0:1], 0x38
	s_lshl_b64 s[12:13], s[2:3], 3
	s_waitcnt lgkmcnt(0)
	s_add_u32 s12, s20, s12
	s_addc_u32 s13, s21, s13
	s_lshl_b64 s[20:21], s[22:23], 4
	s_load_b64 s[12:13], s[12:13], 0x0
	s_waitcnt lgkmcnt(0)
	s_add_u32 s12, s12, s20
	s_addc_u32 s13, s13, s21
.LBB376_8:
	s_lshl_b64 s[2:3], s[2:3], 3
	s_delay_alu instid0(SALU_CYCLE_1)
	s_add_u32 s2, s8, s2
	s_addc_u32 s3, s9, s3
	s_lshl_b64 s[10:11], s[10:11], 4
	s_load_b64 s[8:9], s[2:3], 0x0
	s_load_b32 s20, s[0:1], 0x78
	v_cmp_eq_u32_e64 s2, 0, v0
	s_waitcnt lgkmcnt(0)
	s_add_u32 s10, s8, s10
	s_addc_u32 s11, s9, s11
	s_and_not1_b32 vcc_lo, exec_lo, s15
	s_cbranch_vccnz .LBB376_13
; %bb.9:
	s_mov_b32 s3, 0
	s_mov_b32 s15, 0
                                        ; implicit-def: $vgpr3_vgpr4
                                        ; implicit-def: $sgpr8_sgpr9
	s_and_saveexec_b32 s21, s2
	s_cbranch_execz .LBB376_14
; %bb.10:
	v_cmp_neq_f64_e64 s2, s[4:5], 0
	v_cmp_neq_f64_e64 s8, s[6:7], 0
	v_mov_b32_e32 v3, 0
	v_mov_b32_e32 v4, 0
	s_delay_alu instid0(VALU_DEP_1) | instskip(NEXT) | instid1(VALU_DEP_4)
	v_dual_mov_b32 v1, v3 :: v_dual_mov_b32 v2, v4
	s_or_b32 s2, s2, s8
	s_mul_i32 s8, s14, s20
	s_and_not1_b32 vcc_lo, exec_lo, s2
	s_ashr_i32 s9, s8, 31
	s_cbranch_vccnz .LBB376_12
; %bb.11:
	s_lshl_b64 s[22:23], s[8:9], 4
	s_delay_alu instid0(SALU_CYCLE_1)
	s_add_u32 s22, s10, s22
	s_addc_u32 s23, s11, s23
	s_load_b128 s[28:31], s[22:23], 0x0
	s_waitcnt lgkmcnt(0)
	v_mul_f64 v[1:2], s[6:7], s[30:31]
	v_mul_f64 v[3:4], s[4:5], s[30:31]
	s_delay_alu instid0(VALU_DEP_2) | instskip(NEXT) | instid1(VALU_DEP_2)
	v_fma_f64 v[1:2], s[4:5], s[28:29], -v[1:2]
	v_fma_f64 v[3:4], s[6:7], s[28:29], v[3:4]
.LBB376_12:
	s_mov_b32 s15, exec_lo
	s_or_b32 exec_lo, exec_lo, s21
	s_delay_alu instid0(SALU_CYCLE_1)
	s_and_b32 vcc_lo, exec_lo, s3
	s_cbranch_vccnz .LBB376_15
	s_branch .LBB376_34
.LBB376_13:
	s_mov_b32 s15, 0
                                        ; implicit-def: $vgpr3_vgpr4
                                        ; implicit-def: $sgpr8_sgpr9
	s_cbranch_execnz .LBB376_15
	s_branch .LBB376_34
.LBB376_14:
	s_or_b32 exec_lo, exec_lo, s21
	s_delay_alu instid0(SALU_CYCLE_1)
	s_and_b32 vcc_lo, exec_lo, s3
	s_cbranch_vccz .LBB376_34
.LBB376_15:
	s_clause 0x2
	s_load_b32 s2, s[0:1], 0x28
	s_load_b32 s3, s[0:1], 0x0
	;; [unrolled: 1-line block ×3, first 2 shown]
	s_waitcnt lgkmcnt(0)
	s_mul_i32 s8, s14, s2
	v_cmp_gt_i32_e32 vcc_lo, s3, v0
	s_ashr_i32 s9, s8, 31
	s_delay_alu instid0(SALU_CYCLE_1)
	s_lshl_b64 s[8:9], s[8:9], 4
	v_cndmask_b32_e32 v1, 0, v0, vcc_lo
	s_add_u32 s0, s8, s24
	s_addc_u32 s8, s9, s25
	s_ashr_i32 s2, s3, 31
	s_mov_b32 s9, 0
	v_lshlrev_b32_e32 v3, 4, v1
	v_mov_b32_e32 v1, 0
	v_mov_b32_e32 v2, 0
	s_lshr_b32 s2, s2, 22
	s_delay_alu instid0(SALU_CYCLE_1) | instskip(SKIP_1) | instid1(VALU_DEP_1)
	s_add_i32 s2, s3, s2
	v_add_co_u32 v5, s0, s0, v3
	v_add_co_ci_u32_e64 v6, null, s8, 0, s0
	v_dual_mov_b32 v4, v2 :: v_dual_mov_b32 v3, v1
	s_and_b32 s2, s2, 0xfffffc00
	s_mov_b32 s8, exec_lo
	v_cmpx_gt_i32_e64 s2, v0
	s_cbranch_execz .LBB376_19
; %bb.16:
	v_dual_mov_b32 v1, 0 :: v_dual_mov_b32 v10, v6
	v_dual_mov_b32 v2, 0 :: v_dual_mov_b32 v9, v5
	v_mul_lo_u32 v7, v0, s1
	v_mov_b32_e32 v11, v0
	s_lshl_b32 s21, s1, 10
	s_delay_alu instid0(VALU_DEP_3)
	v_dual_mov_b32 v4, v2 :: v_dual_mov_b32 v3, v1
	s_set_inst_prefetch_distance 0x1
	.p2align	6
.LBB376_17:                             ; =>This Inner Loop Header: Depth=1
	s_delay_alu instid0(VALU_DEP_3) | instskip(SKIP_1) | instid1(VALU_DEP_2)
	v_ashrrev_i32_e32 v8, 31, v7
	v_add_nc_u32_e32 v11, 0x400, v11
	v_lshlrev_b64 v[12:13], 4, v[7:8]
	s_delay_alu instid0(VALU_DEP_2) | instskip(SKIP_1) | instid1(VALU_DEP_2)
	v_cmp_le_i32_e64 s0, s2, v11
	v_add_nc_u32_e32 v7, s21, v7
	s_or_b32 s9, s0, s9
	s_delay_alu instid0(VALU_DEP_3) | instskip(NEXT) | instid1(VALU_DEP_4)
	v_add_co_u32 v16, vcc_lo, s12, v12
	v_add_co_ci_u32_e32 v17, vcc_lo, s13, v13, vcc_lo
	flat_load_b128 v[12:15], v[9:10]
	flat_load_b128 v[16:19], v[16:17]
	v_add_co_u32 v9, vcc_lo, 0x4000, v9
	v_add_co_ci_u32_e32 v10, vcc_lo, 0, v10, vcc_lo
	s_waitcnt vmcnt(0) lgkmcnt(0)
	v_mul_f64 v[20:21], v[14:15], v[18:19]
	v_mul_f64 v[14:15], v[14:15], v[16:17]
	s_delay_alu instid0(VALU_DEP_2) | instskip(NEXT) | instid1(VALU_DEP_2)
	v_fma_f64 v[16:17], v[12:13], v[16:17], v[20:21]
	v_fma_f64 v[12:13], v[12:13], v[18:19], -v[14:15]
	s_delay_alu instid0(VALU_DEP_2) | instskip(NEXT) | instid1(VALU_DEP_2)
	v_add_f64 v[3:4], v[3:4], v[16:17]
	v_add_f64 v[1:2], v[1:2], v[12:13]
	s_and_not1_b32 exec_lo, exec_lo, s9
	s_cbranch_execnz .LBB376_17
; %bb.18:
	s_set_inst_prefetch_distance 0x2
	s_or_b32 exec_lo, exec_lo, s9
.LBB376_19:
	s_delay_alu instid0(SALU_CYCLE_1) | instskip(SKIP_2) | instid1(VALU_DEP_1)
	s_or_b32 exec_lo, exec_lo, s8
	v_or_b32_e32 v7, s2, v0
	s_mov_b32 s0, exec_lo
	v_cmpx_gt_i32_e64 s3, v7
	s_cbranch_execz .LBB376_21
; %bb.20:
	v_mul_lo_u32 v7, v7, s1
	s_ashr_i32 s3, s2, 31
	s_delay_alu instid0(SALU_CYCLE_1) | instskip(NEXT) | instid1(SALU_CYCLE_1)
	s_lshl_b64 s[2:3], s[2:3], 4
	v_add_co_u32 v5, vcc_lo, v5, s2
	v_add_co_ci_u32_e32 v6, vcc_lo, s3, v6, vcc_lo
	s_delay_alu instid0(VALU_DEP_3) | instskip(NEXT) | instid1(VALU_DEP_1)
	v_ashrrev_i32_e32 v8, 31, v7
	v_lshlrev_b64 v[7:8], 4, v[7:8]
	s_delay_alu instid0(VALU_DEP_1) | instskip(NEXT) | instid1(VALU_DEP_2)
	v_add_co_u32 v9, vcc_lo, s12, v7
	v_add_co_ci_u32_e32 v10, vcc_lo, s13, v8, vcc_lo
	flat_load_b128 v[5:8], v[5:6]
	flat_load_b128 v[9:12], v[9:10]
	s_waitcnt vmcnt(0) lgkmcnt(0)
	v_mul_f64 v[13:14], v[7:8], v[11:12]
	v_mul_f64 v[7:8], v[7:8], v[9:10]
	s_delay_alu instid0(VALU_DEP_2) | instskip(NEXT) | instid1(VALU_DEP_2)
	v_fma_f64 v[9:10], v[5:6], v[9:10], v[13:14]
	v_fma_f64 v[5:6], v[5:6], v[11:12], -v[7:8]
	s_delay_alu instid0(VALU_DEP_2) | instskip(NEXT) | instid1(VALU_DEP_2)
	v_add_f64 v[3:4], v[3:4], v[9:10]
	v_add_f64 v[1:2], v[1:2], v[5:6]
.LBB376_21:
	s_or_b32 exec_lo, exec_lo, s0
	v_and_b32_e32 v15, 31, v0
	v_cmp_gt_u32_e32 vcc_lo, 32, v0
	s_delay_alu instid0(VALU_DEP_2)
	v_lshlrev_b32_e32 v11, 4, v15
	s_and_saveexec_b32 s0, vcc_lo
	s_cbranch_execz .LBB376_23
; %bb.22:
	v_mov_b32_e32 v5, 0
	s_delay_alu instid0(VALU_DEP_1)
	v_mov_b32_e32 v6, v5
	v_mov_b32_e32 v7, v5
	;; [unrolled: 1-line block ×3, first 2 shown]
	ds_store_b128 v11, v[5:8]
.LBB376_23:
	s_or_b32 exec_lo, exec_lo, s0
	v_mbcnt_lo_u32_b32 v14, -1, 0
	s_mov_b32 s1, exec_lo
	s_waitcnt lgkmcnt(0)
	s_barrier
	buffer_gl0_inv
	v_cmp_gt_u32_e64 s0, 16, v14
	s_delay_alu instid0(VALU_DEP_1) | instskip(SKIP_1) | instid1(VALU_DEP_2)
	v_cndmask_b32_e64 v5, 0, 1, s0
	v_cmp_gt_u32_e64 s0, 24, v14
	v_lshlrev_b32_e32 v5, 4, v5
	s_delay_alu instid0(VALU_DEP_1)
	v_add_lshl_u32 v9, v5, v14, 2
	ds_bpermute_b32 v5, v9, v3
	ds_bpermute_b32 v6, v9, v4
	;; [unrolled: 1-line block ×4, first 2 shown]
	s_waitcnt lgkmcnt(2)
	v_add_f64 v[3:4], v[3:4], v[5:6]
	v_cndmask_b32_e64 v5, 0, 1, s0
	s_waitcnt lgkmcnt(0)
	v_add_f64 v[1:2], v[1:2], v[7:8]
	v_cmp_gt_u32_e64 s0, 28, v14
	s_delay_alu instid0(VALU_DEP_3) | instskip(NEXT) | instid1(VALU_DEP_1)
	v_lshlrev_b32_e32 v5, 3, v5
	v_add_lshl_u32 v10, v5, v14, 2
	ds_bpermute_b32 v5, v10, v3
	ds_bpermute_b32 v6, v10, v4
	ds_bpermute_b32 v7, v10, v1
	ds_bpermute_b32 v8, v10, v2
	s_waitcnt lgkmcnt(2)
	v_add_f64 v[3:4], v[3:4], v[5:6]
	v_cndmask_b32_e64 v5, 0, 1, s0
	s_waitcnt lgkmcnt(0)
	v_add_f64 v[1:2], v[1:2], v[7:8]
	v_cmp_gt_u32_e64 s0, 30, v14
	s_delay_alu instid0(VALU_DEP_3) | instskip(NEXT) | instid1(VALU_DEP_1)
	v_lshlrev_b32_e32 v5, 2, v5
	v_add_lshl_u32 v12, v5, v14, 2
	ds_bpermute_b32 v5, v12, v3
	ds_bpermute_b32 v6, v12, v4
	;; [unrolled: 1-line block ×4, first 2 shown]
	s_waitcnt lgkmcnt(2)
	v_add_f64 v[3:4], v[3:4], v[5:6]
	s_waitcnt lgkmcnt(0)
	v_add_f64 v[5:6], v[1:2], v[7:8]
	v_cndmask_b32_e64 v1, 0, 1, s0
	v_cmp_ne_u32_e64 s0, 31, v14
	s_delay_alu instid0(VALU_DEP_2) | instskip(NEXT) | instid1(VALU_DEP_1)
	v_lshlrev_b32_e32 v1, 1, v1
	v_add_lshl_u32 v13, v1, v14, 2
	ds_bpermute_b32 v1, v13, v3
	ds_bpermute_b32 v2, v13, v4
	;; [unrolled: 1-line block ×4, first 2 shown]
	s_waitcnt lgkmcnt(2)
	v_add_f64 v[1:2], v[3:4], v[1:2]
	v_add_co_ci_u32_e64 v3, s0, 0, v14, s0
	s_waitcnt lgkmcnt(0)
	v_add_f64 v[5:6], v[5:6], v[7:8]
	s_delay_alu instid0(VALU_DEP_2)
	v_lshlrev_b32_e32 v14, 2, v3
	ds_bpermute_b32 v3, v14, v1
	ds_bpermute_b32 v4, v14, v2
	ds_bpermute_b32 v7, v14, v5
	ds_bpermute_b32 v8, v14, v6
	v_cmpx_eq_u32_e32 0, v15
	s_cbranch_execz .LBB376_25
; %bb.24:
	s_waitcnt lgkmcnt(0)
	v_add_f64 v[5:6], v[5:6], v[7:8]
	v_add_f64 v[3:4], v[1:2], v[3:4]
	v_lshrrev_b32_e32 v1, 1, v0
	s_delay_alu instid0(VALU_DEP_1)
	v_and_b32_e32 v1, 0x1f0, v1
	ds_store_b128 v1, v[3:6]
.LBB376_25:
	s_or_b32 exec_lo, exec_lo, s1
	s_waitcnt lgkmcnt(0)
	v_mov_b32_e32 v7, 0
	v_mov_b32_e32 v8, 0
	s_delay_alu instid0(VALU_DEP_2)
	v_mov_b32_e32 v5, v7
	s_barrier
	buffer_gl0_inv
	v_mov_b32_e32 v6, v8
	s_and_saveexec_b32 s0, vcc_lo
	s_cbranch_execz .LBB376_27
; %bb.26:
	ds_load_b128 v[5:8], v11
.LBB376_27:
	s_or_b32 exec_lo, exec_lo, s0
	s_and_saveexec_b32 s0, vcc_lo
	s_cbranch_execz .LBB376_29
; %bb.28:
	s_waitcnt lgkmcnt(0)
	ds_bpermute_b32 v1, v9, v5
	ds_bpermute_b32 v2, v9, v6
	ds_bpermute_b32 v3, v9, v7
	ds_bpermute_b32 v4, v9, v8
	s_waitcnt lgkmcnt(2)
	v_add_f64 v[1:2], v[5:6], v[1:2]
	s_waitcnt lgkmcnt(0)
	v_add_f64 v[3:4], v[7:8], v[3:4]
	ds_bpermute_b32 v5, v10, v1
	ds_bpermute_b32 v6, v10, v2
	ds_bpermute_b32 v7, v10, v3
	ds_bpermute_b32 v8, v10, v4
	s_waitcnt lgkmcnt(2)
	v_add_f64 v[1:2], v[1:2], v[5:6]
	s_waitcnt lgkmcnt(0)
	v_add_f64 v[3:4], v[3:4], v[7:8]
	;; [unrolled: 8-line block ×5, first 2 shown]
.LBB376_29:
	s_or_b32 exec_lo, exec_lo, s0
	s_delay_alu instid0(SALU_CYCLE_1)
	s_mov_b32 s0, exec_lo
                                        ; implicit-def: $vgpr3_vgpr4
                                        ; implicit-def: $sgpr8_sgpr9
	v_cmpx_eq_u32_e32 0, v0
	s_cbranch_execz .LBB376_33
; %bb.30:
	s_waitcnt lgkmcnt(0)
	s_delay_alu instid0(VALU_DEP_2) | instskip(SKIP_4) | instid1(SALU_CYCLE_1)
	v_mul_f64 v[0:1], s[18:19], v[7:8]
	v_mul_f64 v[3:4], s[16:17], v[7:8]
	v_cmp_neq_f64_e64 s1, s[4:5], 0
	v_cmp_neq_f64_e64 s2, s[6:7], 0
	s_mul_i32 s8, s14, s20
	s_ashr_i32 s9, s8, 31
	s_delay_alu instid0(VALU_DEP_4) | instskip(NEXT) | instid1(VALU_DEP_4)
	v_fma_f64 v[1:2], s[16:17], v[5:6], -v[0:1]
	v_fma_f64 v[3:4], s[18:19], v[5:6], v[3:4]
	s_delay_alu instid0(VALU_DEP_3) | instskip(NEXT) | instid1(SALU_CYCLE_1)
	s_or_b32 s1, s1, s2
	s_and_not1_b32 vcc_lo, exec_lo, s1
	s_cbranch_vccnz .LBB376_32
; %bb.31:
	s_lshl_b64 s[2:3], s[8:9], 4
	s_delay_alu instid0(SALU_CYCLE_1)
	s_add_u32 s2, s10, s2
	s_addc_u32 s3, s11, s3
	s_load_b128 s[16:19], s[2:3], 0x0
	s_waitcnt lgkmcnt(0)
	v_mul_f64 v[5:6], s[6:7], s[18:19]
	v_mul_f64 v[7:8], s[4:5], s[18:19]
	s_delay_alu instid0(VALU_DEP_2) | instskip(NEXT) | instid1(VALU_DEP_2)
	v_fma_f64 v[5:6], s[4:5], s[16:17], -v[5:6]
	v_fma_f64 v[7:8], s[6:7], s[16:17], v[7:8]
	s_delay_alu instid0(VALU_DEP_2) | instskip(NEXT) | instid1(VALU_DEP_2)
	v_add_f64 v[1:2], v[1:2], v[5:6]
	v_add_f64 v[3:4], v[3:4], v[7:8]
.LBB376_32:
	s_or_b32 s15, s15, exec_lo
.LBB376_33:
	s_or_b32 exec_lo, exec_lo, s0
.LBB376_34:
	s_and_saveexec_b32 s0, s15
	s_cbranch_execz .LBB376_3
; %bb.35:
	s_lshl_b64 s[0:1], s[8:9], 4
	v_mov_b32_e32 v0, 0
	s_add_u32 s0, s10, s0
	s_addc_u32 s1, s11, s1
	global_store_b128 v0, v[1:4], s[0:1]
	s_nop 0
	s_sendmsg sendmsg(MSG_DEALLOC_VGPRS)
	s_endpgm
	.section	.rodata,"a",@progbits
	.p2align	6, 0x0
	.amdhsa_kernel _ZL32rocblas_gemvt_warp_reduce_kernelILb1ELi1024EiPK19rocblas_complex_numIdES3_KPS1_EviiT3_lPKT2_lT1_lS9_lSA_lS6_lPT4_lSA_li
		.amdhsa_group_segment_fixed_size 512
		.amdhsa_private_segment_fixed_size 0
		.amdhsa_kernarg_size 140
		.amdhsa_user_sgpr_count 14
		.amdhsa_user_sgpr_dispatch_ptr 0
		.amdhsa_user_sgpr_queue_ptr 0
		.amdhsa_user_sgpr_kernarg_segment_ptr 1
		.amdhsa_user_sgpr_dispatch_id 0
		.amdhsa_user_sgpr_private_segment_size 0
		.amdhsa_wavefront_size32 1
		.amdhsa_uses_dynamic_stack 0
		.amdhsa_enable_private_segment 0
		.amdhsa_system_sgpr_workgroup_id_x 1
		.amdhsa_system_sgpr_workgroup_id_y 0
		.amdhsa_system_sgpr_workgroup_id_z 1
		.amdhsa_system_sgpr_workgroup_info 0
		.amdhsa_system_vgpr_workitem_id 0
		.amdhsa_next_free_vgpr 22
		.amdhsa_next_free_sgpr 32
		.amdhsa_reserve_vcc 1
		.amdhsa_float_round_mode_32 0
		.amdhsa_float_round_mode_16_64 0
		.amdhsa_float_denorm_mode_32 3
		.amdhsa_float_denorm_mode_16_64 3
		.amdhsa_dx10_clamp 1
		.amdhsa_ieee_mode 1
		.amdhsa_fp16_overflow 0
		.amdhsa_workgroup_processor_mode 1
		.amdhsa_memory_ordered 1
		.amdhsa_forward_progress 0
		.amdhsa_shared_vgpr_count 0
		.amdhsa_exception_fp_ieee_invalid_op 0
		.amdhsa_exception_fp_denorm_src 0
		.amdhsa_exception_fp_ieee_div_zero 0
		.amdhsa_exception_fp_ieee_overflow 0
		.amdhsa_exception_fp_ieee_underflow 0
		.amdhsa_exception_fp_ieee_inexact 0
		.amdhsa_exception_int_div_zero 0
	.end_amdhsa_kernel
	.section	.text._ZL32rocblas_gemvt_warp_reduce_kernelILb1ELi1024EiPK19rocblas_complex_numIdES3_KPS1_EviiT3_lPKT2_lT1_lS9_lSA_lS6_lPT4_lSA_li,"axG",@progbits,_ZL32rocblas_gemvt_warp_reduce_kernelILb1ELi1024EiPK19rocblas_complex_numIdES3_KPS1_EviiT3_lPKT2_lT1_lS9_lSA_lS6_lPT4_lSA_li,comdat
.Lfunc_end376:
	.size	_ZL32rocblas_gemvt_warp_reduce_kernelILb1ELi1024EiPK19rocblas_complex_numIdES3_KPS1_EviiT3_lPKT2_lT1_lS9_lSA_lS6_lPT4_lSA_li, .Lfunc_end376-_ZL32rocblas_gemvt_warp_reduce_kernelILb1ELi1024EiPK19rocblas_complex_numIdES3_KPS1_EviiT3_lPKT2_lT1_lS9_lSA_lS6_lPT4_lSA_li
                                        ; -- End function
	.section	.AMDGPU.csdata,"",@progbits
; Kernel info:
; codeLenInByte = 2244
; NumSgprs: 34
; NumVgprs: 22
; ScratchSize: 0
; MemoryBound: 0
; FloatMode: 240
; IeeeMode: 1
; LDSByteSize: 512 bytes/workgroup (compile time only)
; SGPRBlocks: 4
; VGPRBlocks: 2
; NumSGPRsForWavesPerEU: 34
; NumVGPRsForWavesPerEU: 22
; Occupancy: 16
; WaveLimiterHint : 1
; COMPUTE_PGM_RSRC2:SCRATCH_EN: 0
; COMPUTE_PGM_RSRC2:USER_SGPR: 14
; COMPUTE_PGM_RSRC2:TRAP_HANDLER: 0
; COMPUTE_PGM_RSRC2:TGID_X_EN: 1
; COMPUTE_PGM_RSRC2:TGID_Y_EN: 0
; COMPUTE_PGM_RSRC2:TGID_Z_EN: 1
; COMPUTE_PGM_RSRC2:TIDIG_COMP_CNT: 0
	.section	.text._ZL32rocblas_gemvt_warp_reduce_kernelILb1ELi1024ElPK19rocblas_complex_numIdES3_KPS1_EviiT3_lPKT2_lT1_lS9_lSA_lS6_lPT4_lSA_li,"axG",@progbits,_ZL32rocblas_gemvt_warp_reduce_kernelILb1ELi1024ElPK19rocblas_complex_numIdES3_KPS1_EviiT3_lPKT2_lT1_lS9_lSA_lS6_lPT4_lSA_li,comdat
	.globl	_ZL32rocblas_gemvt_warp_reduce_kernelILb1ELi1024ElPK19rocblas_complex_numIdES3_KPS1_EviiT3_lPKT2_lT1_lS9_lSA_lS6_lPT4_lSA_li ; -- Begin function _ZL32rocblas_gemvt_warp_reduce_kernelILb1ELi1024ElPK19rocblas_complex_numIdES3_KPS1_EviiT3_lPKT2_lT1_lS9_lSA_lS6_lPT4_lSA_li
	.p2align	8
	.type	_ZL32rocblas_gemvt_warp_reduce_kernelILb1ELi1024ElPK19rocblas_complex_numIdES3_KPS1_EviiT3_lPKT2_lT1_lS9_lSA_lS6_lPT4_lSA_li,@function
_ZL32rocblas_gemvt_warp_reduce_kernelILb1ELi1024ElPK19rocblas_complex_numIdES3_KPS1_EviiT3_lPKT2_lT1_lS9_lSA_lS6_lPT4_lSA_li: ; @_ZL32rocblas_gemvt_warp_reduce_kernelILb1ELi1024ElPK19rocblas_complex_numIdES3_KPS1_EviiT3_lPKT2_lT1_lS9_lSA_lS6_lPT4_lSA_li
; %bb.0:
	s_load_b256 s[16:23], s[0:1], 0x8
	s_mov_b32 s2, s15
	s_mov_b64 s[30:31], 0
	s_waitcnt lgkmcnt(0)
	s_mul_i32 s3, s15, s19
	s_mul_hi_u32 s5, s15, s18
	s_mul_i32 s4, s15, s18
	s_add_i32 s5, s5, s3
	s_delay_alu instid0(SALU_CYCLE_1) | instskip(NEXT) | instid1(SALU_CYCLE_1)
	s_lshl_b64 s[4:5], s[4:5], 4
	s_add_u32 s4, s16, s4
	s_addc_u32 s5, s17, s5
	s_load_b128 s[16:19], s[4:5], 0x0
	s_load_b256 s[4:11], s[0:1], 0x58
	s_waitcnt lgkmcnt(0)
	v_cmp_neq_f64_e64 s12, s[16:17], 0
	v_cmp_neq_f64_e64 s13, s[18:19], 0
	s_mul_i32 s3, s15, s7
	s_mul_hi_u32 s7, s15, s6
	s_mul_i32 s6, s15, s6
	s_add_i32 s7, s7, s3
	s_mov_b32 s3, 0
	s_lshl_b64 s[6:7], s[6:7], 4
	s_delay_alu instid0(SALU_CYCLE_1) | instskip(SKIP_3) | instid1(VALU_DEP_1)
	s_add_u32 s4, s4, s6
	s_addc_u32 s5, s5, s7
	s_load_b64 s[28:29], s[0:1], 0x28
	s_load_b128 s[4:7], s[4:5], 0x0
	s_or_b32 s15, s12, s13
	s_mov_b32 s13, -1
	s_and_b32 vcc_lo, exec_lo, s15
	s_mov_b32 s12, s3
	s_cbranch_vccz .LBB377_4
; %bb.1:
	s_and_not1_b32 vcc_lo, exec_lo, s13
	s_cbranch_vccz .LBB377_5
.LBB377_2:
	s_and_not1_b32 vcc_lo, exec_lo, s12
	s_cbranch_vccz .LBB377_6
.LBB377_3:
	s_endpgm
.LBB377_4:
	s_waitcnt lgkmcnt(0)
	v_cmp_neq_f64_e64 s12, s[4:5], 1.0
	v_cmp_neq_f64_e64 s13, s[6:7], 0
	s_delay_alu instid0(VALU_DEP_1)
	s_or_b32 s12, s12, s13
	s_cbranch_execnz .LBB377_2
.LBB377_5:
	s_lshl_b64 s[12:13], s[2:3], 3
	s_delay_alu instid0(SALU_CYCLE_1)
	s_add_u32 s12, s20, s12
	s_addc_u32 s13, s21, s13
	s_lshl_b64 s[20:21], s[22:23], 4
	s_load_b64 s[12:13], s[12:13], 0x0
	s_waitcnt lgkmcnt(0)
	s_add_u32 s30, s12, s20
	s_addc_u32 s31, s13, s21
.LBB377_6:
	s_clause 0x2
	s_load_b64 s[12:13], s[0:1], 0x78
	s_load_b128 s[20:23], s[0:1], 0x38
	s_load_b64 s[24:25], s[0:1], 0x48
	v_cndmask_b32_e64 v1, 0, 1, s15
	s_xor_b32 s15, s15, -1
	s_mov_b64 s[26:27], 0
	s_delay_alu instid0(VALU_DEP_1)
	v_cmp_ne_u32_e32 vcc_lo, 1, v1
	s_cbranch_vccnz .LBB377_8
; %bb.7:
	s_lshl_b64 s[26:27], s[2:3], 3
	s_waitcnt lgkmcnt(0)
	s_add_u32 s20, s20, s26
	s_addc_u32 s21, s21, s27
	s_lshl_b64 s[22:23], s[22:23], 4
	s_load_b64 s[20:21], s[20:21], 0x0
	s_waitcnt lgkmcnt(0)
	s_add_u32 s26, s20, s22
	s_addc_u32 s27, s21, s23
.LBB377_8:
	s_lshl_b64 s[2:3], s[2:3], 3
	s_delay_alu instid0(SALU_CYCLE_1)
	s_add_u32 s2, s8, s2
	s_addc_u32 s3, s9, s3
	s_lshl_b64 s[10:11], s[10:11], 4
	s_load_b64 s[8:9], s[2:3], 0x0
	v_cmp_eq_u32_e64 s2, 0, v0
	s_waitcnt lgkmcnt(0)
	s_add_u32 s10, s8, s10
	s_addc_u32 s11, s9, s11
	s_and_not1_b32 vcc_lo, exec_lo, s15
	s_cbranch_vccnz .LBB377_13
; %bb.9:
	s_mov_b32 s3, 0
	s_mov_b32 s15, 0
                                        ; implicit-def: $vgpr3_vgpr4
                                        ; implicit-def: $sgpr8_sgpr9
	s_and_saveexec_b32 s20, s2
	s_cbranch_execz .LBB377_14
; %bb.10:
	v_cmp_neq_f64_e64 s2, s[4:5], 0
	v_cmp_neq_f64_e64 s8, s[6:7], 0
	v_mov_b32_e32 v3, 0
	v_mov_b32_e32 v4, 0
	s_mul_i32 s9, s14, s13
	s_mul_hi_u32 s15, s14, s12
	s_delay_alu instid0(VALU_DEP_2)
	v_mov_b32_e32 v1, v3
	s_add_i32 s9, s15, s9
	v_mov_b32_e32 v2, v4
	s_or_b32 s2, s2, s8
	s_ashr_i32 s8, s14, 31
	s_and_not1_b32 vcc_lo, exec_lo, s2
	s_mul_i32 s8, s8, s12
	s_delay_alu instid0(SALU_CYCLE_1)
	s_add_i32 s9, s9, s8
	s_mul_i32 s8, s14, s12
	s_cbranch_vccnz .LBB377_12
; %bb.11:
	s_lshl_b64 s[22:23], s[8:9], 4
	s_delay_alu instid0(SALU_CYCLE_1)
	s_add_u32 s22, s10, s22
	s_addc_u32 s23, s11, s23
	s_load_b128 s[36:39], s[22:23], 0x0
	s_waitcnt lgkmcnt(0)
	v_mul_f64 v[1:2], s[6:7], s[38:39]
	v_mul_f64 v[3:4], s[4:5], s[38:39]
	s_delay_alu instid0(VALU_DEP_2) | instskip(NEXT) | instid1(VALU_DEP_2)
	v_fma_f64 v[1:2], s[4:5], s[36:37], -v[1:2]
	v_fma_f64 v[3:4], s[6:7], s[36:37], v[3:4]
.LBB377_12:
	s_mov_b32 s15, exec_lo
	s_or_b32 exec_lo, exec_lo, s20
	s_delay_alu instid0(SALU_CYCLE_1)
	s_and_b32 vcc_lo, exec_lo, s3
	s_cbranch_vccnz .LBB377_15
	s_branch .LBB377_34
.LBB377_13:
	s_mov_b32 s15, 0
                                        ; implicit-def: $vgpr3_vgpr4
                                        ; implicit-def: $sgpr8_sgpr9
	s_cbranch_execnz .LBB377_15
	s_branch .LBB377_34
.LBB377_14:
	s_or_b32 exec_lo, exec_lo, s20
	s_delay_alu instid0(SALU_CYCLE_1)
	s_and_b32 vcc_lo, exec_lo, s3
	s_cbranch_vccz .LBB377_34
.LBB377_15:
	s_load_b32 s3, s[0:1], 0x0
	s_mul_i32 s0, s14, s29
	s_mul_hi_u32 s2, s14, s28
	s_ashr_i32 s1, s14, 31
	s_add_i32 s0, s2, s0
	s_mul_i32 s2, s1, s28
	s_mul_i32 s8, s14, s28
	s_add_i32 s9, s0, s2
	s_mov_b32 s21, 0
	s_lshl_b64 s[8:9], s[8:9], 4
	s_mov_b32 s20, exec_lo
	s_add_u32 s0, s8, s30
	s_addc_u32 s8, s9, s31
	s_waitcnt lgkmcnt(0)
	v_cmp_gt_i32_e32 vcc_lo, s3, v0
	s_ashr_i32 s2, s3, 31
	s_delay_alu instid0(SALU_CYCLE_1) | instskip(NEXT) | instid1(SALU_CYCLE_1)
	s_lshr_b32 s2, s2, 22
	s_add_i32 s2, s3, s2
	v_cndmask_b32_e32 v1, 0, v0, vcc_lo
	s_and_b32 s2, s2, 0xfffffc00
	s_delay_alu instid0(VALU_DEP_1) | instskip(SKIP_2) | instid1(VALU_DEP_3)
	v_lshlrev_b32_e32 v3, 4, v1
	v_mov_b32_e32 v1, 0
	v_mov_b32_e32 v2, 0
	v_add_co_u32 v5, s0, s0, v3
	s_delay_alu instid0(VALU_DEP_1) | instskip(NEXT) | instid1(VALU_DEP_3)
	v_add_co_ci_u32_e64 v6, null, s8, 0, s0
	v_dual_mov_b32 v4, v2 :: v_dual_mov_b32 v3, v1
	v_cmpx_gt_i32_e64 s2, v0
	s_cbranch_execz .LBB377_19
; %bb.16:
	v_mad_u64_u32 v[1:2], null, s24, v0, 0
	v_mov_b32_e32 v8, v6
	s_lshl_b64 s[8:9], s[24:25], 14
	v_mov_b32_e32 v7, v5
	v_mov_b32_e32 v11, v0
	s_delay_alu instid0(VALU_DEP_4) | instskip(NEXT) | instid1(VALU_DEP_1)
	v_mad_u64_u32 v[3:4], null, s25, v0, v[2:3]
	v_mov_b32_e32 v2, v3
	s_delay_alu instid0(VALU_DEP_1) | instskip(SKIP_2) | instid1(VALU_DEP_3)
	v_lshlrev_b64 v[3:4], 4, v[1:2]
	v_mov_b32_e32 v1, 0
	v_mov_b32_e32 v2, 0
	v_add_co_u32 v9, vcc_lo, s26, v3
	s_delay_alu instid0(VALU_DEP_4) | instskip(NEXT) | instid1(VALU_DEP_3)
	v_add_co_ci_u32_e32 v10, vcc_lo, s27, v4, vcc_lo
	v_dual_mov_b32 v4, v2 :: v_dual_mov_b32 v3, v1
	.p2align	6
.LBB377_17:                             ; =>This Inner Loop Header: Depth=1
	flat_load_b128 v[12:15], v[7:8]
	flat_load_b128 v[16:19], v[9:10]
	v_add_nc_u32_e32 v11, 0x400, v11
	v_add_co_u32 v7, vcc_lo, 0x4000, v7
	v_add_co_ci_u32_e32 v8, vcc_lo, 0, v8, vcc_lo
	s_delay_alu instid0(VALU_DEP_3) | instskip(SKIP_1) | instid1(VALU_DEP_1)
	v_cmp_le_i32_e32 vcc_lo, s2, v11
	v_add_co_u32 v9, s0, v9, s8
	v_add_co_ci_u32_e64 v10, s0, s9, v10, s0
	s_or_b32 s21, vcc_lo, s21
	s_waitcnt vmcnt(0) lgkmcnt(0)
	v_mul_f64 v[20:21], v[14:15], v[18:19]
	v_mul_f64 v[14:15], v[14:15], v[16:17]
	s_delay_alu instid0(VALU_DEP_2) | instskip(NEXT) | instid1(VALU_DEP_2)
	v_fma_f64 v[16:17], v[12:13], v[16:17], v[20:21]
	v_fma_f64 v[12:13], v[12:13], v[18:19], -v[14:15]
	s_delay_alu instid0(VALU_DEP_2) | instskip(NEXT) | instid1(VALU_DEP_2)
	v_add_f64 v[3:4], v[3:4], v[16:17]
	v_add_f64 v[1:2], v[1:2], v[12:13]
	s_and_not1_b32 exec_lo, exec_lo, s21
	s_cbranch_execnz .LBB377_17
; %bb.18:
	s_or_b32 exec_lo, exec_lo, s21
.LBB377_19:
	s_delay_alu instid0(SALU_CYCLE_1) | instskip(SKIP_2) | instid1(VALU_DEP_1)
	s_or_b32 exec_lo, exec_lo, s20
	v_or_b32_e32 v7, s2, v0
	s_mov_b32 s0, exec_lo
	v_cmpx_gt_i32_e64 s3, v7
	s_cbranch_execz .LBB377_21
; %bb.20:
	v_ashrrev_i32_e32 v10, 31, v7
	v_mul_lo_u32 v11, v7, s25
	v_mad_u64_u32 v[8:9], null, v7, s24, 0
	s_ashr_i32 s3, s2, 31
	s_delay_alu instid0(VALU_DEP_3) | instskip(SKIP_1) | instid1(SALU_CYCLE_1)
	v_mul_lo_u32 v7, v10, s24
	s_lshl_b64 s[2:3], s[2:3], 4
	v_add_co_u32 v5, vcc_lo, v5, s2
	v_add_co_ci_u32_e32 v6, vcc_lo, s3, v6, vcc_lo
	s_delay_alu instid0(VALU_DEP_3) | instskip(NEXT) | instid1(VALU_DEP_1)
	v_add3_u32 v9, v9, v11, v7
	v_lshlrev_b64 v[7:8], 4, v[8:9]
	s_delay_alu instid0(VALU_DEP_1) | instskip(NEXT) | instid1(VALU_DEP_2)
	v_add_co_u32 v9, vcc_lo, s26, v7
	v_add_co_ci_u32_e32 v10, vcc_lo, s27, v8, vcc_lo
	flat_load_b128 v[5:8], v[5:6]
	flat_load_b128 v[9:12], v[9:10]
	s_waitcnt vmcnt(0) lgkmcnt(0)
	v_mul_f64 v[13:14], v[7:8], v[11:12]
	v_mul_f64 v[7:8], v[7:8], v[9:10]
	s_delay_alu instid0(VALU_DEP_2) | instskip(NEXT) | instid1(VALU_DEP_2)
	v_fma_f64 v[9:10], v[5:6], v[9:10], v[13:14]
	v_fma_f64 v[5:6], v[5:6], v[11:12], -v[7:8]
	s_delay_alu instid0(VALU_DEP_2) | instskip(NEXT) | instid1(VALU_DEP_2)
	v_add_f64 v[3:4], v[3:4], v[9:10]
	v_add_f64 v[1:2], v[1:2], v[5:6]
.LBB377_21:
	s_or_b32 exec_lo, exec_lo, s0
	v_and_b32_e32 v15, 31, v0
	v_cmp_gt_u32_e32 vcc_lo, 32, v0
	s_delay_alu instid0(VALU_DEP_2)
	v_lshlrev_b32_e32 v11, 4, v15
	s_and_saveexec_b32 s0, vcc_lo
	s_cbranch_execz .LBB377_23
; %bb.22:
	v_mov_b32_e32 v5, 0
	s_delay_alu instid0(VALU_DEP_1)
	v_mov_b32_e32 v6, v5
	v_mov_b32_e32 v7, v5
	;; [unrolled: 1-line block ×3, first 2 shown]
	ds_store_b128 v11, v[5:8]
.LBB377_23:
	s_or_b32 exec_lo, exec_lo, s0
	v_mbcnt_lo_u32_b32 v14, -1, 0
	s_mov_b32 s2, exec_lo
	s_waitcnt lgkmcnt(0)
	s_barrier
	buffer_gl0_inv
	v_cmp_gt_u32_e64 s0, 16, v14
	s_delay_alu instid0(VALU_DEP_1) | instskip(SKIP_1) | instid1(VALU_DEP_2)
	v_cndmask_b32_e64 v5, 0, 1, s0
	v_cmp_gt_u32_e64 s0, 24, v14
	v_lshlrev_b32_e32 v5, 4, v5
	s_delay_alu instid0(VALU_DEP_1)
	v_add_lshl_u32 v9, v5, v14, 2
	ds_bpermute_b32 v5, v9, v3
	ds_bpermute_b32 v6, v9, v4
	;; [unrolled: 1-line block ×4, first 2 shown]
	s_waitcnt lgkmcnt(2)
	v_add_f64 v[3:4], v[3:4], v[5:6]
	v_cndmask_b32_e64 v5, 0, 1, s0
	s_waitcnt lgkmcnt(0)
	v_add_f64 v[1:2], v[1:2], v[7:8]
	v_cmp_gt_u32_e64 s0, 28, v14
	s_delay_alu instid0(VALU_DEP_3) | instskip(NEXT) | instid1(VALU_DEP_1)
	v_lshlrev_b32_e32 v5, 3, v5
	v_add_lshl_u32 v10, v5, v14, 2
	ds_bpermute_b32 v5, v10, v3
	ds_bpermute_b32 v6, v10, v4
	;; [unrolled: 1-line block ×4, first 2 shown]
	s_waitcnt lgkmcnt(2)
	v_add_f64 v[3:4], v[3:4], v[5:6]
	v_cndmask_b32_e64 v5, 0, 1, s0
	s_waitcnt lgkmcnt(0)
	v_add_f64 v[1:2], v[1:2], v[7:8]
	v_cmp_gt_u32_e64 s0, 30, v14
	s_delay_alu instid0(VALU_DEP_3) | instskip(NEXT) | instid1(VALU_DEP_1)
	v_lshlrev_b32_e32 v5, 2, v5
	v_add_lshl_u32 v12, v5, v14, 2
	ds_bpermute_b32 v5, v12, v3
	ds_bpermute_b32 v6, v12, v4
	;; [unrolled: 1-line block ×4, first 2 shown]
	s_waitcnt lgkmcnt(2)
	v_add_f64 v[3:4], v[3:4], v[5:6]
	s_waitcnt lgkmcnt(0)
	v_add_f64 v[5:6], v[1:2], v[7:8]
	v_cndmask_b32_e64 v1, 0, 1, s0
	v_cmp_ne_u32_e64 s0, 31, v14
	s_delay_alu instid0(VALU_DEP_2) | instskip(NEXT) | instid1(VALU_DEP_1)
	v_lshlrev_b32_e32 v1, 1, v1
	v_add_lshl_u32 v13, v1, v14, 2
	ds_bpermute_b32 v1, v13, v3
	ds_bpermute_b32 v2, v13, v4
	;; [unrolled: 1-line block ×4, first 2 shown]
	s_waitcnt lgkmcnt(2)
	v_add_f64 v[1:2], v[3:4], v[1:2]
	v_add_co_ci_u32_e64 v3, s0, 0, v14, s0
	s_waitcnt lgkmcnt(0)
	v_add_f64 v[5:6], v[5:6], v[7:8]
	s_delay_alu instid0(VALU_DEP_2)
	v_lshlrev_b32_e32 v14, 2, v3
	ds_bpermute_b32 v3, v14, v1
	ds_bpermute_b32 v4, v14, v2
	;; [unrolled: 1-line block ×4, first 2 shown]
	v_cmpx_eq_u32_e32 0, v15
	s_cbranch_execz .LBB377_25
; %bb.24:
	s_waitcnt lgkmcnt(0)
	v_add_f64 v[5:6], v[5:6], v[7:8]
	v_add_f64 v[3:4], v[1:2], v[3:4]
	v_lshrrev_b32_e32 v1, 1, v0
	s_delay_alu instid0(VALU_DEP_1)
	v_and_b32_e32 v1, 0x1f0, v1
	ds_store_b128 v1, v[3:6]
.LBB377_25:
	s_or_b32 exec_lo, exec_lo, s2
	s_waitcnt lgkmcnt(0)
	v_mov_b32_e32 v7, 0
	v_mov_b32_e32 v8, 0
	s_delay_alu instid0(VALU_DEP_2)
	v_mov_b32_e32 v5, v7
	s_barrier
	buffer_gl0_inv
	v_mov_b32_e32 v6, v8
	s_and_saveexec_b32 s0, vcc_lo
	s_cbranch_execz .LBB377_27
; %bb.26:
	ds_load_b128 v[5:8], v11
.LBB377_27:
	s_or_b32 exec_lo, exec_lo, s0
	s_and_saveexec_b32 s0, vcc_lo
	s_cbranch_execz .LBB377_29
; %bb.28:
	s_waitcnt lgkmcnt(0)
	ds_bpermute_b32 v1, v9, v5
	ds_bpermute_b32 v2, v9, v6
	ds_bpermute_b32 v3, v9, v7
	ds_bpermute_b32 v4, v9, v8
	s_waitcnt lgkmcnt(2)
	v_add_f64 v[1:2], v[5:6], v[1:2]
	s_waitcnt lgkmcnt(0)
	v_add_f64 v[3:4], v[7:8], v[3:4]
	ds_bpermute_b32 v5, v10, v1
	ds_bpermute_b32 v6, v10, v2
	ds_bpermute_b32 v7, v10, v3
	ds_bpermute_b32 v8, v10, v4
	s_waitcnt lgkmcnt(2)
	v_add_f64 v[1:2], v[1:2], v[5:6]
	s_waitcnt lgkmcnt(0)
	v_add_f64 v[3:4], v[3:4], v[7:8]
	;; [unrolled: 8-line block ×5, first 2 shown]
.LBB377_29:
	s_or_b32 exec_lo, exec_lo, s0
	s_delay_alu instid0(SALU_CYCLE_1)
	s_mov_b32 s0, exec_lo
                                        ; implicit-def: $vgpr3_vgpr4
                                        ; implicit-def: $sgpr8_sgpr9
	v_cmpx_eq_u32_e32 0, v0
	s_cbranch_execz .LBB377_33
; %bb.30:
	s_waitcnt lgkmcnt(0)
	s_delay_alu instid0(VALU_DEP_2)
	v_mul_f64 v[0:1], s[18:19], v[7:8]
	v_mul_f64 v[3:4], s[16:17], v[7:8]
	v_cmp_neq_f64_e64 s2, s[4:5], 0
	v_cmp_neq_f64_e64 s3, s[6:7], 0
	s_mul_hi_u32 s8, s14, s12
	s_mul_i32 s1, s1, s12
	s_delay_alu instid0(VALU_DEP_4) | instskip(NEXT) | instid1(VALU_DEP_4)
	v_fma_f64 v[1:2], s[16:17], v[5:6], -v[0:1]
	v_fma_f64 v[3:4], s[18:19], v[5:6], v[3:4]
	s_delay_alu instid0(VALU_DEP_3)
	s_or_b32 s2, s2, s3
	s_mul_i32 s3, s14, s13
	s_and_not1_b32 vcc_lo, exec_lo, s2
	s_add_i32 s3, s8, s3
	s_mul_i32 s8, s14, s12
	s_add_i32 s9, s3, s1
	s_cbranch_vccnz .LBB377_32
; %bb.31:
	s_lshl_b64 s[2:3], s[8:9], 4
	s_delay_alu instid0(SALU_CYCLE_1)
	s_add_u32 s2, s10, s2
	s_addc_u32 s3, s11, s3
	s_load_b128 s[16:19], s[2:3], 0x0
	s_waitcnt lgkmcnt(0)
	v_mul_f64 v[5:6], s[6:7], s[18:19]
	v_mul_f64 v[7:8], s[4:5], s[18:19]
	s_delay_alu instid0(VALU_DEP_2) | instskip(NEXT) | instid1(VALU_DEP_2)
	v_fma_f64 v[5:6], s[4:5], s[16:17], -v[5:6]
	v_fma_f64 v[7:8], s[6:7], s[16:17], v[7:8]
	s_delay_alu instid0(VALU_DEP_2) | instskip(NEXT) | instid1(VALU_DEP_2)
	v_add_f64 v[1:2], v[1:2], v[5:6]
	v_add_f64 v[3:4], v[3:4], v[7:8]
.LBB377_32:
	s_or_b32 s15, s15, exec_lo
.LBB377_33:
	s_or_b32 exec_lo, exec_lo, s0
.LBB377_34:
	s_and_saveexec_b32 s0, s15
	s_cbranch_execz .LBB377_3
; %bb.35:
	s_lshl_b64 s[0:1], s[8:9], 4
	v_mov_b32_e32 v0, 0
	s_add_u32 s0, s10, s0
	s_addc_u32 s1, s11, s1
	global_store_b128 v0, v[1:4], s[0:1]
	s_nop 0
	s_sendmsg sendmsg(MSG_DEALLOC_VGPRS)
	s_endpgm
	.section	.rodata,"a",@progbits
	.p2align	6, 0x0
	.amdhsa_kernel _ZL32rocblas_gemvt_warp_reduce_kernelILb1ELi1024ElPK19rocblas_complex_numIdES3_KPS1_EviiT3_lPKT2_lT1_lS9_lSA_lS6_lPT4_lSA_li
		.amdhsa_group_segment_fixed_size 512
		.amdhsa_private_segment_fixed_size 0
		.amdhsa_kernarg_size 140
		.amdhsa_user_sgpr_count 14
		.amdhsa_user_sgpr_dispatch_ptr 0
		.amdhsa_user_sgpr_queue_ptr 0
		.amdhsa_user_sgpr_kernarg_segment_ptr 1
		.amdhsa_user_sgpr_dispatch_id 0
		.amdhsa_user_sgpr_private_segment_size 0
		.amdhsa_wavefront_size32 1
		.amdhsa_uses_dynamic_stack 0
		.amdhsa_enable_private_segment 0
		.amdhsa_system_sgpr_workgroup_id_x 1
		.amdhsa_system_sgpr_workgroup_id_y 0
		.amdhsa_system_sgpr_workgroup_id_z 1
		.amdhsa_system_sgpr_workgroup_info 0
		.amdhsa_system_vgpr_workitem_id 0
		.amdhsa_next_free_vgpr 22
		.amdhsa_next_free_sgpr 40
		.amdhsa_reserve_vcc 1
		.amdhsa_float_round_mode_32 0
		.amdhsa_float_round_mode_16_64 0
		.amdhsa_float_denorm_mode_32 3
		.amdhsa_float_denorm_mode_16_64 3
		.amdhsa_dx10_clamp 1
		.amdhsa_ieee_mode 1
		.amdhsa_fp16_overflow 0
		.amdhsa_workgroup_processor_mode 1
		.amdhsa_memory_ordered 1
		.amdhsa_forward_progress 0
		.amdhsa_shared_vgpr_count 0
		.amdhsa_exception_fp_ieee_invalid_op 0
		.amdhsa_exception_fp_denorm_src 0
		.amdhsa_exception_fp_ieee_div_zero 0
		.amdhsa_exception_fp_ieee_overflow 0
		.amdhsa_exception_fp_ieee_underflow 0
		.amdhsa_exception_fp_ieee_inexact 0
		.amdhsa_exception_int_div_zero 0
	.end_amdhsa_kernel
	.section	.text._ZL32rocblas_gemvt_warp_reduce_kernelILb1ELi1024ElPK19rocblas_complex_numIdES3_KPS1_EviiT3_lPKT2_lT1_lS9_lSA_lS6_lPT4_lSA_li,"axG",@progbits,_ZL32rocblas_gemvt_warp_reduce_kernelILb1ELi1024ElPK19rocblas_complex_numIdES3_KPS1_EviiT3_lPKT2_lT1_lS9_lSA_lS6_lPT4_lSA_li,comdat
.Lfunc_end377:
	.size	_ZL32rocblas_gemvt_warp_reduce_kernelILb1ELi1024ElPK19rocblas_complex_numIdES3_KPS1_EviiT3_lPKT2_lT1_lS9_lSA_lS6_lPT4_lSA_li, .Lfunc_end377-_ZL32rocblas_gemvt_warp_reduce_kernelILb1ELi1024ElPK19rocblas_complex_numIdES3_KPS1_EviiT3_lPKT2_lT1_lS9_lSA_lS6_lPT4_lSA_li
                                        ; -- End function
	.section	.AMDGPU.csdata,"",@progbits
; Kernel info:
; codeLenInByte = 2340
; NumSgprs: 42
; NumVgprs: 22
; ScratchSize: 0
; MemoryBound: 0
; FloatMode: 240
; IeeeMode: 1
; LDSByteSize: 512 bytes/workgroup (compile time only)
; SGPRBlocks: 5
; VGPRBlocks: 2
; NumSGPRsForWavesPerEU: 42
; NumVGPRsForWavesPerEU: 22
; Occupancy: 16
; WaveLimiterHint : 1
; COMPUTE_PGM_RSRC2:SCRATCH_EN: 0
; COMPUTE_PGM_RSRC2:USER_SGPR: 14
; COMPUTE_PGM_RSRC2:TRAP_HANDLER: 0
; COMPUTE_PGM_RSRC2:TGID_X_EN: 1
; COMPUTE_PGM_RSRC2:TGID_Y_EN: 0
; COMPUTE_PGM_RSRC2:TGID_Z_EN: 1
; COMPUTE_PGM_RSRC2:TIDIG_COMP_CNT: 0
	.section	.text._ZL32rocblas_gemvt_warp_reduce_kernelILb1ELi1024EiPK19rocblas_complex_numIdES1_KPS1_EviiT3_lPKT2_lT1_lS9_lSA_lS6_lPT4_lSA_li,"axG",@progbits,_ZL32rocblas_gemvt_warp_reduce_kernelILb1ELi1024EiPK19rocblas_complex_numIdES1_KPS1_EviiT3_lPKT2_lT1_lS9_lSA_lS6_lPT4_lSA_li,comdat
	.globl	_ZL32rocblas_gemvt_warp_reduce_kernelILb1ELi1024EiPK19rocblas_complex_numIdES1_KPS1_EviiT3_lPKT2_lT1_lS9_lSA_lS6_lPT4_lSA_li ; -- Begin function _ZL32rocblas_gemvt_warp_reduce_kernelILb1ELi1024EiPK19rocblas_complex_numIdES1_KPS1_EviiT3_lPKT2_lT1_lS9_lSA_lS6_lPT4_lSA_li
	.p2align	8
	.type	_ZL32rocblas_gemvt_warp_reduce_kernelILb1ELi1024EiPK19rocblas_complex_numIdES1_KPS1_EviiT3_lPKT2_lT1_lS9_lSA_lS6_lPT4_lSA_li,@function
_ZL32rocblas_gemvt_warp_reduce_kernelILb1ELi1024EiPK19rocblas_complex_numIdES1_KPS1_EviiT3_lPKT2_lT1_lS9_lSA_lS6_lPT4_lSA_li: ; @_ZL32rocblas_gemvt_warp_reduce_kernelILb1ELi1024EiPK19rocblas_complex_numIdES1_KPS1_EviiT3_lPKT2_lT1_lS9_lSA_lS6_lPT4_lSA_li
; %bb.0:
	s_clause 0x1
	s_load_b128 s[8:11], s[0:1], 0x8
	s_load_b128 s[4:7], s[0:1], 0x60
	s_mov_b32 s2, s15
	s_mov_b32 s15, -1
	s_waitcnt lgkmcnt(0)
	v_cmp_neq_f64_e64 s3, s[8:9], 0
	v_cmp_neq_f64_e64 s12, s[10:11], 0
	s_delay_alu instid0(VALU_DEP_1) | instskip(NEXT) | instid1(SALU_CYCLE_1)
	s_or_b32 s12, s3, s12
                                        ; implicit-def: $sgpr3
	s_and_b32 vcc_lo, exec_lo, s12
	s_cbranch_vccnz .LBB378_3
; %bb.1:
	v_cmp_eq_f64_e64 s3, s[4:5], 1.0
	v_cmp_eq_f64_e64 s13, s[6:7], 0
	s_mov_b32 s15, 0
	s_delay_alu instid0(VALU_DEP_1) | instskip(NEXT) | instid1(SALU_CYCLE_1)
	s_and_b32 s3, s3, s13
	s_and_not1_b32 vcc_lo, exec_lo, s3
	s_cbranch_vccz .LBB378_3
; %bb.2:
	s_mov_b32 s3, 0
	s_mov_b32 s13, -1
	s_mov_b64 s[16:17], 0
	s_and_b32 vcc_lo, exec_lo, s15
	s_cbranch_vccnz .LBB378_4
	s_branch .LBB378_5
.LBB378_3:
	s_mov_b32 s13, 0
                                        ; implicit-def: $sgpr16_sgpr17
	s_and_b32 vcc_lo, exec_lo, s15
	s_cbranch_vccz .LBB378_5
.LBB378_4:
	s_load_b128 s[16:19], s[0:1], 0x20
	s_mov_b32 s3, 0
	s_mov_b32 s13, -1
	s_lshl_b64 s[20:21], s[2:3], 3
	s_waitcnt lgkmcnt(0)
	s_add_u32 s16, s16, s20
	s_addc_u32 s17, s17, s21
	s_lshl_b64 s[18:19], s[18:19], 4
	s_load_b64 s[16:17], s[16:17], 0x0
	s_waitcnt lgkmcnt(0)
	s_add_u32 s16, s16, s18
	s_addc_u32 s17, s17, s19
.LBB378_5:
	s_and_not1_b32 vcc_lo, exec_lo, s13
	s_cbranch_vccnz .LBB378_36
; %bb.6:
	v_cndmask_b32_e64 v1, 0, 1, s12
	s_xor_b32 s18, s12, -1
	s_mov_b64 s[12:13], 0
	s_delay_alu instid0(VALU_DEP_1)
	v_cmp_ne_u32_e32 vcc_lo, 1, v1
	s_cbranch_vccnz .LBB378_8
; %bb.7:
	s_load_b128 s[20:23], s[0:1], 0x40
	s_lshl_b64 s[12:13], s[2:3], 3
	s_waitcnt lgkmcnt(0)
	s_add_u32 s12, s20, s12
	s_addc_u32 s13, s21, s13
	s_lshl_b64 s[20:21], s[22:23], 4
	s_load_b64 s[12:13], s[12:13], 0x0
	s_waitcnt lgkmcnt(0)
	s_add_u32 s12, s12, s20
	s_addc_u32 s13, s13, s21
.LBB378_8:
	s_clause 0x1
	s_load_b128 s[24:27], s[0:1], 0x78
	s_load_b32 s21, s[0:1], 0x88
	s_lshl_b64 s[2:3], s[2:3], 3
	s_waitcnt lgkmcnt(0)
	s_add_u32 s2, s24, s2
	s_addc_u32 s3, s25, s3
	s_lshl_b64 s[24:25], s[26:27], 4
	s_load_b64 s[22:23], s[2:3], 0x0
	v_cmp_eq_u32_e64 s2, 0, v0
	s_waitcnt lgkmcnt(0)
	s_add_u32 s15, s22, s24
	s_addc_u32 s20, s23, s25
	s_and_not1_b32 vcc_lo, exec_lo, s18
	s_cbranch_vccnz .LBB378_13
; %bb.9:
	s_mov_b32 s3, 0
	s_mov_b32 s22, 0
                                        ; implicit-def: $vgpr3_vgpr4
                                        ; implicit-def: $sgpr18_sgpr19
	s_and_saveexec_b32 s23, s2
	s_cbranch_execz .LBB378_14
; %bb.10:
	v_cmp_neq_f64_e64 s2, s[4:5], 0
	v_cmp_neq_f64_e64 s18, s[6:7], 0
	v_mov_b32_e32 v3, 0
	v_mov_b32_e32 v4, 0
	s_delay_alu instid0(VALU_DEP_1) | instskip(NEXT) | instid1(VALU_DEP_4)
	v_dual_mov_b32 v1, v3 :: v_dual_mov_b32 v2, v4
	s_or_b32 s2, s2, s18
	s_mul_i32 s18, s14, s21
	s_and_not1_b32 vcc_lo, exec_lo, s2
	s_ashr_i32 s19, s18, 31
	s_cbranch_vccnz .LBB378_12
; %bb.11:
	s_lshl_b64 s[24:25], s[18:19], 4
	s_delay_alu instid0(SALU_CYCLE_1)
	s_add_u32 s24, s15, s24
	s_addc_u32 s25, s20, s25
	s_load_b128 s[24:27], s[24:25], 0x0
	s_waitcnt lgkmcnt(0)
	v_mul_f64 v[1:2], s[6:7], s[26:27]
	v_mul_f64 v[3:4], s[4:5], s[26:27]
	s_delay_alu instid0(VALU_DEP_2) | instskip(NEXT) | instid1(VALU_DEP_2)
	v_fma_f64 v[1:2], s[4:5], s[24:25], -v[1:2]
	v_fma_f64 v[3:4], s[6:7], s[24:25], v[3:4]
.LBB378_12:
	s_mov_b32 s22, exec_lo
	s_or_b32 exec_lo, exec_lo, s23
	s_delay_alu instid0(SALU_CYCLE_1)
	s_and_b32 vcc_lo, exec_lo, s3
	s_cbranch_vccnz .LBB378_15
	s_branch .LBB378_34
.LBB378_13:
	s_mov_b32 s22, 0
                                        ; implicit-def: $vgpr3_vgpr4
                                        ; implicit-def: $sgpr18_sgpr19
	s_cbranch_execnz .LBB378_15
	s_branch .LBB378_34
.LBB378_14:
	s_or_b32 exec_lo, exec_lo, s23
	s_delay_alu instid0(SALU_CYCLE_1)
	s_and_b32 vcc_lo, exec_lo, s3
	s_cbranch_vccz .LBB378_34
.LBB378_15:
	s_clause 0x2
	s_load_b32 s2, s[0:1], 0x30
	s_load_b32 s3, s[0:1], 0x0
	;; [unrolled: 1-line block ×3, first 2 shown]
	s_waitcnt lgkmcnt(0)
	s_mul_i32 s18, s14, s2
	v_cmp_gt_i32_e32 vcc_lo, s3, v0
	s_ashr_i32 s19, s18, 31
	s_delay_alu instid0(SALU_CYCLE_1)
	s_lshl_b64 s[18:19], s[18:19], 4
	v_cndmask_b32_e32 v1, 0, v0, vcc_lo
	s_add_u32 s0, s18, s16
	s_addc_u32 s16, s19, s17
	s_ashr_i32 s2, s3, 31
	s_mov_b32 s17, 0
	v_lshlrev_b32_e32 v3, 4, v1
	v_mov_b32_e32 v1, 0
	v_mov_b32_e32 v2, 0
	s_lshr_b32 s2, s2, 22
	s_delay_alu instid0(SALU_CYCLE_1) | instskip(SKIP_1) | instid1(VALU_DEP_1)
	s_add_i32 s2, s3, s2
	v_add_co_u32 v5, s0, s0, v3
	v_add_co_ci_u32_e64 v6, null, s16, 0, s0
	v_dual_mov_b32 v4, v2 :: v_dual_mov_b32 v3, v1
	s_and_b32 s2, s2, 0xfffffc00
	s_mov_b32 s16, exec_lo
	v_cmpx_gt_i32_e64 s2, v0
	s_cbranch_execz .LBB378_19
; %bb.16:
	v_dual_mov_b32 v1, 0 :: v_dual_mov_b32 v10, v6
	v_dual_mov_b32 v2, 0 :: v_dual_mov_b32 v9, v5
	v_mul_lo_u32 v7, v0, s1
	v_mov_b32_e32 v11, v0
	s_lshl_b32 s18, s1, 10
	s_delay_alu instid0(VALU_DEP_3)
	v_dual_mov_b32 v4, v2 :: v_dual_mov_b32 v3, v1
	s_set_inst_prefetch_distance 0x1
	.p2align	6
.LBB378_17:                             ; =>This Inner Loop Header: Depth=1
	s_delay_alu instid0(VALU_DEP_3) | instskip(SKIP_1) | instid1(VALU_DEP_2)
	v_ashrrev_i32_e32 v8, 31, v7
	v_add_nc_u32_e32 v11, 0x400, v11
	v_lshlrev_b64 v[12:13], 4, v[7:8]
	s_delay_alu instid0(VALU_DEP_2) | instskip(SKIP_1) | instid1(VALU_DEP_2)
	v_cmp_le_i32_e64 s0, s2, v11
	v_add_nc_u32_e32 v7, s18, v7
	s_or_b32 s17, s0, s17
	s_delay_alu instid0(VALU_DEP_3) | instskip(NEXT) | instid1(VALU_DEP_4)
	v_add_co_u32 v16, vcc_lo, s12, v12
	v_add_co_ci_u32_e32 v17, vcc_lo, s13, v13, vcc_lo
	flat_load_b128 v[12:15], v[9:10]
	flat_load_b128 v[16:19], v[16:17]
	v_add_co_u32 v9, vcc_lo, 0x4000, v9
	v_add_co_ci_u32_e32 v10, vcc_lo, 0, v10, vcc_lo
	s_waitcnt vmcnt(0) lgkmcnt(0)
	v_mul_f64 v[20:21], v[14:15], v[18:19]
	v_mul_f64 v[14:15], v[14:15], v[16:17]
	s_delay_alu instid0(VALU_DEP_2) | instskip(NEXT) | instid1(VALU_DEP_2)
	v_fma_f64 v[16:17], v[12:13], v[16:17], v[20:21]
	v_fma_f64 v[12:13], v[12:13], v[18:19], -v[14:15]
	s_delay_alu instid0(VALU_DEP_2) | instskip(NEXT) | instid1(VALU_DEP_2)
	v_add_f64 v[3:4], v[3:4], v[16:17]
	v_add_f64 v[1:2], v[1:2], v[12:13]
	s_and_not1_b32 exec_lo, exec_lo, s17
	s_cbranch_execnz .LBB378_17
; %bb.18:
	s_set_inst_prefetch_distance 0x2
	s_or_b32 exec_lo, exec_lo, s17
.LBB378_19:
	s_delay_alu instid0(SALU_CYCLE_1) | instskip(SKIP_2) | instid1(VALU_DEP_1)
	s_or_b32 exec_lo, exec_lo, s16
	v_or_b32_e32 v7, s2, v0
	s_mov_b32 s0, exec_lo
	v_cmpx_gt_i32_e64 s3, v7
	s_cbranch_execz .LBB378_21
; %bb.20:
	v_mul_lo_u32 v7, v7, s1
	s_ashr_i32 s3, s2, 31
	s_delay_alu instid0(SALU_CYCLE_1) | instskip(NEXT) | instid1(SALU_CYCLE_1)
	s_lshl_b64 s[2:3], s[2:3], 4
	v_add_co_u32 v5, vcc_lo, v5, s2
	v_add_co_ci_u32_e32 v6, vcc_lo, s3, v6, vcc_lo
	s_delay_alu instid0(VALU_DEP_3) | instskip(NEXT) | instid1(VALU_DEP_1)
	v_ashrrev_i32_e32 v8, 31, v7
	v_lshlrev_b64 v[7:8], 4, v[7:8]
	s_delay_alu instid0(VALU_DEP_1) | instskip(NEXT) | instid1(VALU_DEP_2)
	v_add_co_u32 v9, vcc_lo, s12, v7
	v_add_co_ci_u32_e32 v10, vcc_lo, s13, v8, vcc_lo
	flat_load_b128 v[5:8], v[5:6]
	flat_load_b128 v[9:12], v[9:10]
	s_waitcnt vmcnt(0) lgkmcnt(0)
	v_mul_f64 v[13:14], v[7:8], v[11:12]
	v_mul_f64 v[7:8], v[7:8], v[9:10]
	s_delay_alu instid0(VALU_DEP_2) | instskip(NEXT) | instid1(VALU_DEP_2)
	v_fma_f64 v[9:10], v[5:6], v[9:10], v[13:14]
	v_fma_f64 v[5:6], v[5:6], v[11:12], -v[7:8]
	s_delay_alu instid0(VALU_DEP_2) | instskip(NEXT) | instid1(VALU_DEP_2)
	v_add_f64 v[3:4], v[3:4], v[9:10]
	v_add_f64 v[1:2], v[1:2], v[5:6]
.LBB378_21:
	s_or_b32 exec_lo, exec_lo, s0
	v_and_b32_e32 v15, 31, v0
	v_cmp_gt_u32_e32 vcc_lo, 32, v0
	s_delay_alu instid0(VALU_DEP_2)
	v_lshlrev_b32_e32 v11, 4, v15
	s_and_saveexec_b32 s0, vcc_lo
	s_cbranch_execz .LBB378_23
; %bb.22:
	v_mov_b32_e32 v5, 0
	s_delay_alu instid0(VALU_DEP_1)
	v_mov_b32_e32 v6, v5
	v_mov_b32_e32 v7, v5
	;; [unrolled: 1-line block ×3, first 2 shown]
	ds_store_b128 v11, v[5:8]
.LBB378_23:
	s_or_b32 exec_lo, exec_lo, s0
	v_mbcnt_lo_u32_b32 v14, -1, 0
	s_mov_b32 s1, exec_lo
	s_waitcnt lgkmcnt(0)
	s_barrier
	buffer_gl0_inv
	v_cmp_gt_u32_e64 s0, 16, v14
	s_delay_alu instid0(VALU_DEP_1) | instskip(SKIP_1) | instid1(VALU_DEP_2)
	v_cndmask_b32_e64 v5, 0, 1, s0
	v_cmp_gt_u32_e64 s0, 24, v14
	v_lshlrev_b32_e32 v5, 4, v5
	s_delay_alu instid0(VALU_DEP_1)
	v_add_lshl_u32 v9, v5, v14, 2
	ds_bpermute_b32 v5, v9, v3
	ds_bpermute_b32 v6, v9, v4
	;; [unrolled: 1-line block ×4, first 2 shown]
	s_waitcnt lgkmcnt(2)
	v_add_f64 v[3:4], v[3:4], v[5:6]
	v_cndmask_b32_e64 v5, 0, 1, s0
	s_waitcnt lgkmcnt(0)
	v_add_f64 v[1:2], v[1:2], v[7:8]
	v_cmp_gt_u32_e64 s0, 28, v14
	s_delay_alu instid0(VALU_DEP_3) | instskip(NEXT) | instid1(VALU_DEP_1)
	v_lshlrev_b32_e32 v5, 3, v5
	v_add_lshl_u32 v10, v5, v14, 2
	ds_bpermute_b32 v5, v10, v3
	ds_bpermute_b32 v6, v10, v4
	;; [unrolled: 1-line block ×4, first 2 shown]
	s_waitcnt lgkmcnt(2)
	v_add_f64 v[3:4], v[3:4], v[5:6]
	v_cndmask_b32_e64 v5, 0, 1, s0
	s_waitcnt lgkmcnt(0)
	v_add_f64 v[1:2], v[1:2], v[7:8]
	v_cmp_gt_u32_e64 s0, 30, v14
	s_delay_alu instid0(VALU_DEP_3) | instskip(NEXT) | instid1(VALU_DEP_1)
	v_lshlrev_b32_e32 v5, 2, v5
	v_add_lshl_u32 v12, v5, v14, 2
	ds_bpermute_b32 v5, v12, v3
	ds_bpermute_b32 v6, v12, v4
	ds_bpermute_b32 v7, v12, v1
	ds_bpermute_b32 v8, v12, v2
	s_waitcnt lgkmcnt(2)
	v_add_f64 v[3:4], v[3:4], v[5:6]
	s_waitcnt lgkmcnt(0)
	v_add_f64 v[5:6], v[1:2], v[7:8]
	v_cndmask_b32_e64 v1, 0, 1, s0
	v_cmp_ne_u32_e64 s0, 31, v14
	s_delay_alu instid0(VALU_DEP_2) | instskip(NEXT) | instid1(VALU_DEP_1)
	v_lshlrev_b32_e32 v1, 1, v1
	v_add_lshl_u32 v13, v1, v14, 2
	ds_bpermute_b32 v1, v13, v3
	ds_bpermute_b32 v2, v13, v4
	;; [unrolled: 1-line block ×4, first 2 shown]
	s_waitcnt lgkmcnt(2)
	v_add_f64 v[1:2], v[3:4], v[1:2]
	v_add_co_ci_u32_e64 v3, s0, 0, v14, s0
	s_waitcnt lgkmcnt(0)
	v_add_f64 v[5:6], v[5:6], v[7:8]
	s_delay_alu instid0(VALU_DEP_2)
	v_lshlrev_b32_e32 v14, 2, v3
	ds_bpermute_b32 v3, v14, v1
	ds_bpermute_b32 v4, v14, v2
	;; [unrolled: 1-line block ×4, first 2 shown]
	v_cmpx_eq_u32_e32 0, v15
	s_cbranch_execz .LBB378_25
; %bb.24:
	s_waitcnt lgkmcnt(0)
	v_add_f64 v[5:6], v[5:6], v[7:8]
	v_add_f64 v[3:4], v[1:2], v[3:4]
	v_lshrrev_b32_e32 v1, 1, v0
	s_delay_alu instid0(VALU_DEP_1)
	v_and_b32_e32 v1, 0x1f0, v1
	ds_store_b128 v1, v[3:6]
.LBB378_25:
	s_or_b32 exec_lo, exec_lo, s1
	s_waitcnt lgkmcnt(0)
	v_mov_b32_e32 v7, 0
	v_mov_b32_e32 v8, 0
	s_delay_alu instid0(VALU_DEP_2)
	v_mov_b32_e32 v5, v7
	s_barrier
	buffer_gl0_inv
	v_mov_b32_e32 v6, v8
	s_and_saveexec_b32 s0, vcc_lo
	s_cbranch_execz .LBB378_27
; %bb.26:
	ds_load_b128 v[5:8], v11
.LBB378_27:
	s_or_b32 exec_lo, exec_lo, s0
	s_and_saveexec_b32 s0, vcc_lo
	s_cbranch_execz .LBB378_29
; %bb.28:
	s_waitcnt lgkmcnt(0)
	ds_bpermute_b32 v1, v9, v5
	ds_bpermute_b32 v2, v9, v6
	ds_bpermute_b32 v3, v9, v7
	ds_bpermute_b32 v4, v9, v8
	s_waitcnt lgkmcnt(2)
	v_add_f64 v[1:2], v[5:6], v[1:2]
	s_waitcnt lgkmcnt(0)
	v_add_f64 v[3:4], v[7:8], v[3:4]
	ds_bpermute_b32 v5, v10, v1
	ds_bpermute_b32 v6, v10, v2
	ds_bpermute_b32 v7, v10, v3
	ds_bpermute_b32 v8, v10, v4
	s_waitcnt lgkmcnt(2)
	v_add_f64 v[1:2], v[1:2], v[5:6]
	s_waitcnt lgkmcnt(0)
	v_add_f64 v[3:4], v[3:4], v[7:8]
	;; [unrolled: 8-line block ×5, first 2 shown]
.LBB378_29:
	s_or_b32 exec_lo, exec_lo, s0
	s_delay_alu instid0(SALU_CYCLE_1)
	s_mov_b32 s0, exec_lo
                                        ; implicit-def: $vgpr3_vgpr4
                                        ; implicit-def: $sgpr18_sgpr19
	v_cmpx_eq_u32_e32 0, v0
	s_cbranch_execz .LBB378_33
; %bb.30:
	s_waitcnt lgkmcnt(0)
	s_delay_alu instid0(VALU_DEP_2) | instskip(SKIP_4) | instid1(SALU_CYCLE_1)
	v_mul_f64 v[0:1], s[10:11], v[7:8]
	v_mul_f64 v[3:4], s[8:9], v[7:8]
	v_cmp_neq_f64_e64 s1, s[4:5], 0
	v_cmp_neq_f64_e64 s2, s[6:7], 0
	s_mul_i32 s18, s14, s21
	s_ashr_i32 s19, s18, 31
	s_delay_alu instid0(VALU_DEP_4) | instskip(NEXT) | instid1(VALU_DEP_4)
	v_fma_f64 v[1:2], s[8:9], v[5:6], -v[0:1]
	v_fma_f64 v[3:4], s[10:11], v[5:6], v[3:4]
	s_delay_alu instid0(VALU_DEP_3) | instskip(NEXT) | instid1(SALU_CYCLE_1)
	s_or_b32 s1, s1, s2
	s_and_not1_b32 vcc_lo, exec_lo, s1
	s_cbranch_vccnz .LBB378_32
; %bb.31:
	s_lshl_b64 s[2:3], s[18:19], 4
	s_delay_alu instid0(SALU_CYCLE_1)
	s_add_u32 s2, s15, s2
	s_addc_u32 s3, s20, s3
	s_load_b128 s[8:11], s[2:3], 0x0
	s_waitcnt lgkmcnt(0)
	v_mul_f64 v[5:6], s[6:7], s[10:11]
	v_mul_f64 v[7:8], s[4:5], s[10:11]
	s_delay_alu instid0(VALU_DEP_2) | instskip(NEXT) | instid1(VALU_DEP_2)
	v_fma_f64 v[5:6], s[4:5], s[8:9], -v[5:6]
	v_fma_f64 v[7:8], s[6:7], s[8:9], v[7:8]
	s_delay_alu instid0(VALU_DEP_2) | instskip(NEXT) | instid1(VALU_DEP_2)
	v_add_f64 v[1:2], v[1:2], v[5:6]
	v_add_f64 v[3:4], v[3:4], v[7:8]
.LBB378_32:
	s_or_b32 s22, s22, exec_lo
.LBB378_33:
	s_or_b32 exec_lo, exec_lo, s0
.LBB378_34:
	s_and_saveexec_b32 s0, s22
	s_cbranch_execz .LBB378_36
; %bb.35:
	s_lshl_b64 s[0:1], s[18:19], 4
	v_mov_b32_e32 v0, 0
	s_add_u32 s0, s15, s0
	s_addc_u32 s1, s20, s1
	global_store_b128 v0, v[1:4], s[0:1]
.LBB378_36:
	s_nop 0
	s_sendmsg sendmsg(MSG_DEALLOC_VGPRS)
	s_endpgm
	.section	.rodata,"a",@progbits
	.p2align	6, 0x0
	.amdhsa_kernel _ZL32rocblas_gemvt_warp_reduce_kernelILb1ELi1024EiPK19rocblas_complex_numIdES1_KPS1_EviiT3_lPKT2_lT1_lS9_lSA_lS6_lPT4_lSA_li
		.amdhsa_group_segment_fixed_size 512
		.amdhsa_private_segment_fixed_size 0
		.amdhsa_kernarg_size 156
		.amdhsa_user_sgpr_count 14
		.amdhsa_user_sgpr_dispatch_ptr 0
		.amdhsa_user_sgpr_queue_ptr 0
		.amdhsa_user_sgpr_kernarg_segment_ptr 1
		.amdhsa_user_sgpr_dispatch_id 0
		.amdhsa_user_sgpr_private_segment_size 0
		.amdhsa_wavefront_size32 1
		.amdhsa_uses_dynamic_stack 0
		.amdhsa_enable_private_segment 0
		.amdhsa_system_sgpr_workgroup_id_x 1
		.amdhsa_system_sgpr_workgroup_id_y 0
		.amdhsa_system_sgpr_workgroup_id_z 1
		.amdhsa_system_sgpr_workgroup_info 0
		.amdhsa_system_vgpr_workitem_id 0
		.amdhsa_next_free_vgpr 22
		.amdhsa_next_free_sgpr 28
		.amdhsa_reserve_vcc 1
		.amdhsa_float_round_mode_32 0
		.amdhsa_float_round_mode_16_64 0
		.amdhsa_float_denorm_mode_32 3
		.amdhsa_float_denorm_mode_16_64 3
		.amdhsa_dx10_clamp 1
		.amdhsa_ieee_mode 1
		.amdhsa_fp16_overflow 0
		.amdhsa_workgroup_processor_mode 1
		.amdhsa_memory_ordered 1
		.amdhsa_forward_progress 0
		.amdhsa_shared_vgpr_count 0
		.amdhsa_exception_fp_ieee_invalid_op 0
		.amdhsa_exception_fp_denorm_src 0
		.amdhsa_exception_fp_ieee_div_zero 0
		.amdhsa_exception_fp_ieee_overflow 0
		.amdhsa_exception_fp_ieee_underflow 0
		.amdhsa_exception_fp_ieee_inexact 0
		.amdhsa_exception_int_div_zero 0
	.end_amdhsa_kernel
	.section	.text._ZL32rocblas_gemvt_warp_reduce_kernelILb1ELi1024EiPK19rocblas_complex_numIdES1_KPS1_EviiT3_lPKT2_lT1_lS9_lSA_lS6_lPT4_lSA_li,"axG",@progbits,_ZL32rocblas_gemvt_warp_reduce_kernelILb1ELi1024EiPK19rocblas_complex_numIdES1_KPS1_EviiT3_lPKT2_lT1_lS9_lSA_lS6_lPT4_lSA_li,comdat
.Lfunc_end378:
	.size	_ZL32rocblas_gemvt_warp_reduce_kernelILb1ELi1024EiPK19rocblas_complex_numIdES1_KPS1_EviiT3_lPKT2_lT1_lS9_lSA_lS6_lPT4_lSA_li, .Lfunc_end378-_ZL32rocblas_gemvt_warp_reduce_kernelILb1ELi1024EiPK19rocblas_complex_numIdES1_KPS1_EviiT3_lPKT2_lT1_lS9_lSA_lS6_lPT4_lSA_li
                                        ; -- End function
	.section	.AMDGPU.csdata,"",@progbits
; Kernel info:
; codeLenInByte = 2212
; NumSgprs: 30
; NumVgprs: 22
; ScratchSize: 0
; MemoryBound: 0
; FloatMode: 240
; IeeeMode: 1
; LDSByteSize: 512 bytes/workgroup (compile time only)
; SGPRBlocks: 3
; VGPRBlocks: 2
; NumSGPRsForWavesPerEU: 30
; NumVGPRsForWavesPerEU: 22
; Occupancy: 16
; WaveLimiterHint : 1
; COMPUTE_PGM_RSRC2:SCRATCH_EN: 0
; COMPUTE_PGM_RSRC2:USER_SGPR: 14
; COMPUTE_PGM_RSRC2:TRAP_HANDLER: 0
; COMPUTE_PGM_RSRC2:TGID_X_EN: 1
; COMPUTE_PGM_RSRC2:TGID_Y_EN: 0
; COMPUTE_PGM_RSRC2:TGID_Z_EN: 1
; COMPUTE_PGM_RSRC2:TIDIG_COMP_CNT: 0
	.section	.text._ZL32rocblas_gemvt_warp_reduce_kernelILb1ELi1024ElPK19rocblas_complex_numIdES1_KPS1_EviiT3_lPKT2_lT1_lS9_lSA_lS6_lPT4_lSA_li,"axG",@progbits,_ZL32rocblas_gemvt_warp_reduce_kernelILb1ELi1024ElPK19rocblas_complex_numIdES1_KPS1_EviiT3_lPKT2_lT1_lS9_lSA_lS6_lPT4_lSA_li,comdat
	.globl	_ZL32rocblas_gemvt_warp_reduce_kernelILb1ELi1024ElPK19rocblas_complex_numIdES1_KPS1_EviiT3_lPKT2_lT1_lS9_lSA_lS6_lPT4_lSA_li ; -- Begin function _ZL32rocblas_gemvt_warp_reduce_kernelILb1ELi1024ElPK19rocblas_complex_numIdES1_KPS1_EviiT3_lPKT2_lT1_lS9_lSA_lS6_lPT4_lSA_li
	.p2align	8
	.type	_ZL32rocblas_gemvt_warp_reduce_kernelILb1ELi1024ElPK19rocblas_complex_numIdES1_KPS1_EviiT3_lPKT2_lT1_lS9_lSA_lS6_lPT4_lSA_li,@function
_ZL32rocblas_gemvt_warp_reduce_kernelILb1ELi1024ElPK19rocblas_complex_numIdES1_KPS1_EviiT3_lPKT2_lT1_lS9_lSA_lS6_lPT4_lSA_li: ; @_ZL32rocblas_gemvt_warp_reduce_kernelILb1ELi1024ElPK19rocblas_complex_numIdES1_KPS1_EviiT3_lPKT2_lT1_lS9_lSA_lS6_lPT4_lSA_li
; %bb.0:
	s_clause 0x3
	s_load_b128 s[8:11], s[0:1], 0x8
	s_load_b128 s[16:19], s[0:1], 0x20
	s_load_b64 s[24:25], s[0:1], 0x30
	s_load_b128 s[4:7], s[0:1], 0x60
	s_mov_b32 s2, s15
	s_mov_b32 s15, -1
	s_waitcnt lgkmcnt(0)
	v_cmp_neq_f64_e64 s3, s[8:9], 0
	v_cmp_neq_f64_e64 s12, s[10:11], 0
	s_delay_alu instid0(VALU_DEP_1) | instskip(NEXT) | instid1(SALU_CYCLE_1)
	s_or_b32 s12, s3, s12
                                        ; implicit-def: $sgpr3
	s_and_b32 vcc_lo, exec_lo, s12
	s_cbranch_vccnz .LBB379_3
; %bb.1:
	v_cmp_eq_f64_e64 s3, s[4:5], 1.0
	v_cmp_eq_f64_e64 s13, s[6:7], 0
	s_mov_b32 s15, 0
	s_delay_alu instid0(VALU_DEP_1) | instskip(NEXT) | instid1(SALU_CYCLE_1)
	s_and_b32 s3, s3, s13
	s_and_not1_b32 vcc_lo, exec_lo, s3
	s_cbranch_vccz .LBB379_3
; %bb.2:
	s_mov_b32 s3, 0
	s_mov_b32 s13, -1
	s_mov_b64 s[26:27], 0
	s_and_b32 vcc_lo, exec_lo, s15
	s_cbranch_vccnz .LBB379_4
	s_branch .LBB379_5
.LBB379_3:
	s_mov_b32 s13, 0
                                        ; implicit-def: $sgpr26_sgpr27
	s_and_b32 vcc_lo, exec_lo, s15
	s_cbranch_vccz .LBB379_5
.LBB379_4:
	s_mov_b32 s3, 0
	s_mov_b32 s13, -1
	s_lshl_b64 s[20:21], s[2:3], 3
	s_delay_alu instid0(SALU_CYCLE_1)
	s_add_u32 s16, s16, s20
	s_addc_u32 s17, s17, s21
	s_lshl_b64 s[18:19], s[18:19], 4
	s_load_b64 s[16:17], s[16:17], 0x0
	s_waitcnt lgkmcnt(0)
	s_add_u32 s26, s16, s18
	s_addc_u32 s27, s17, s19
.LBB379_5:
	s_and_not1_b32 vcc_lo, exec_lo, s13
	s_cbranch_vccnz .LBB379_36
; %bb.6:
	s_clause 0x1
	s_load_b128 s[16:19], s[0:1], 0x40
	s_load_b64 s[20:21], s[0:1], 0x50
	v_cndmask_b32_e64 v1, 0, 1, s12
	s_xor_b32 s28, s12, -1
	s_mov_b64 s[22:23], 0
	s_delay_alu instid0(VALU_DEP_1)
	v_cmp_ne_u32_e32 vcc_lo, 1, v1
	s_cbranch_vccnz .LBB379_8
; %bb.7:
	s_lshl_b64 s[12:13], s[2:3], 3
	s_waitcnt lgkmcnt(0)
	s_add_u32 s12, s16, s12
	s_addc_u32 s13, s17, s13
	s_lshl_b64 s[16:17], s[18:19], 4
	s_load_b64 s[12:13], s[12:13], 0x0
	s_waitcnt lgkmcnt(0)
	s_add_u32 s22, s12, s16
	s_addc_u32 s23, s13, s17
.LBB379_8:
	s_waitcnt lgkmcnt(0)
	s_clause 0x1
	s_load_b128 s[16:19], s[0:1], 0x78
	s_load_b64 s[12:13], s[0:1], 0x88
	s_lshl_b64 s[2:3], s[2:3], 3
	s_waitcnt lgkmcnt(0)
	s_add_u32 s2, s16, s2
	s_addc_u32 s3, s17, s3
	s_lshl_b64 s[18:19], s[18:19], 4
	s_load_b64 s[16:17], s[2:3], 0x0
	v_cmp_eq_u32_e64 s2, 0, v0
	s_waitcnt lgkmcnt(0)
	s_add_u32 s15, s16, s18
	s_addc_u32 s18, s17, s19
	s_and_not1_b32 vcc_lo, exec_lo, s28
	s_cbranch_vccnz .LBB379_13
; %bb.9:
	s_mov_b32 s3, 0
	s_mov_b32 s19, 0
                                        ; implicit-def: $vgpr3_vgpr4
                                        ; implicit-def: $sgpr16_sgpr17
	s_and_saveexec_b32 s28, s2
	s_cbranch_execz .LBB379_14
; %bb.10:
	v_cmp_neq_f64_e64 s2, s[4:5], 0
	v_cmp_neq_f64_e64 s16, s[6:7], 0
	v_mov_b32_e32 v3, 0
	v_mov_b32_e32 v4, 0
	s_mul_i32 s17, s14, s13
	s_mul_hi_u32 s19, s14, s12
	s_delay_alu instid0(VALU_DEP_2)
	v_mov_b32_e32 v1, v3
	s_add_i32 s17, s19, s17
	v_mov_b32_e32 v2, v4
	s_or_b32 s2, s2, s16
	s_ashr_i32 s16, s14, 31
	s_and_not1_b32 vcc_lo, exec_lo, s2
	s_mul_i32 s16, s16, s12
	s_delay_alu instid0(SALU_CYCLE_1)
	s_add_i32 s17, s17, s16
	s_mul_i32 s16, s14, s12
	s_cbranch_vccnz .LBB379_12
; %bb.11:
	s_lshl_b64 s[30:31], s[16:17], 4
	s_delay_alu instid0(SALU_CYCLE_1)
	s_add_u32 s30, s15, s30
	s_addc_u32 s31, s18, s31
	s_load_b128 s[36:39], s[30:31], 0x0
	s_waitcnt lgkmcnt(0)
	v_mul_f64 v[1:2], s[6:7], s[38:39]
	v_mul_f64 v[3:4], s[4:5], s[38:39]
	s_delay_alu instid0(VALU_DEP_2) | instskip(NEXT) | instid1(VALU_DEP_2)
	v_fma_f64 v[1:2], s[4:5], s[36:37], -v[1:2]
	v_fma_f64 v[3:4], s[6:7], s[36:37], v[3:4]
.LBB379_12:
	s_mov_b32 s19, exec_lo
	s_or_b32 exec_lo, exec_lo, s28
	s_delay_alu instid0(SALU_CYCLE_1)
	s_and_b32 vcc_lo, exec_lo, s3
	s_cbranch_vccnz .LBB379_15
	s_branch .LBB379_34
.LBB379_13:
	s_mov_b32 s19, 0
                                        ; implicit-def: $vgpr3_vgpr4
                                        ; implicit-def: $sgpr16_sgpr17
	s_cbranch_execnz .LBB379_15
	s_branch .LBB379_34
.LBB379_14:
	s_or_b32 exec_lo, exec_lo, s28
	s_delay_alu instid0(SALU_CYCLE_1)
	s_and_b32 vcc_lo, exec_lo, s3
	s_cbranch_vccz .LBB379_34
.LBB379_15:
	s_load_b32 s3, s[0:1], 0x0
	s_mul_i32 s0, s14, s25
	s_mul_hi_u32 s2, s14, s24
	s_ashr_i32 s1, s14, 31
	s_add_i32 s0, s2, s0
	s_mul_i32 s2, s1, s24
	s_mul_i32 s16, s14, s24
	s_add_i32 s17, s0, s2
	s_mov_b32 s25, 0
	s_lshl_b64 s[16:17], s[16:17], 4
	s_mov_b32 s24, exec_lo
	s_add_u32 s0, s16, s26
	s_addc_u32 s16, s17, s27
	s_waitcnt lgkmcnt(0)
	v_cmp_gt_i32_e32 vcc_lo, s3, v0
	s_ashr_i32 s2, s3, 31
	s_delay_alu instid0(SALU_CYCLE_1) | instskip(NEXT) | instid1(SALU_CYCLE_1)
	s_lshr_b32 s2, s2, 22
	s_add_i32 s2, s3, s2
	v_cndmask_b32_e32 v1, 0, v0, vcc_lo
	s_and_b32 s2, s2, 0xfffffc00
	s_delay_alu instid0(VALU_DEP_1) | instskip(SKIP_2) | instid1(VALU_DEP_3)
	v_lshlrev_b32_e32 v3, 4, v1
	v_mov_b32_e32 v1, 0
	v_mov_b32_e32 v2, 0
	v_add_co_u32 v5, s0, s0, v3
	s_delay_alu instid0(VALU_DEP_1) | instskip(NEXT) | instid1(VALU_DEP_3)
	v_add_co_ci_u32_e64 v6, null, s16, 0, s0
	v_dual_mov_b32 v4, v2 :: v_dual_mov_b32 v3, v1
	v_cmpx_gt_i32_e64 s2, v0
	s_cbranch_execz .LBB379_19
; %bb.16:
	v_mad_u64_u32 v[1:2], null, s20, v0, 0
	v_mov_b32_e32 v8, v6
	s_lshl_b64 s[16:17], s[20:21], 14
	v_mov_b32_e32 v7, v5
	v_mov_b32_e32 v11, v0
	s_delay_alu instid0(VALU_DEP_4) | instskip(NEXT) | instid1(VALU_DEP_1)
	v_mad_u64_u32 v[3:4], null, s21, v0, v[2:3]
	v_mov_b32_e32 v2, v3
	s_delay_alu instid0(VALU_DEP_1) | instskip(SKIP_2) | instid1(VALU_DEP_3)
	v_lshlrev_b64 v[3:4], 4, v[1:2]
	v_mov_b32_e32 v1, 0
	v_mov_b32_e32 v2, 0
	v_add_co_u32 v9, vcc_lo, s22, v3
	s_delay_alu instid0(VALU_DEP_4) | instskip(NEXT) | instid1(VALU_DEP_3)
	v_add_co_ci_u32_e32 v10, vcc_lo, s23, v4, vcc_lo
	v_dual_mov_b32 v4, v2 :: v_dual_mov_b32 v3, v1
	.p2align	6
.LBB379_17:                             ; =>This Inner Loop Header: Depth=1
	flat_load_b128 v[12:15], v[7:8]
	flat_load_b128 v[16:19], v[9:10]
	v_add_nc_u32_e32 v11, 0x400, v11
	v_add_co_u32 v7, vcc_lo, 0x4000, v7
	v_add_co_ci_u32_e32 v8, vcc_lo, 0, v8, vcc_lo
	s_delay_alu instid0(VALU_DEP_3) | instskip(SKIP_1) | instid1(VALU_DEP_1)
	v_cmp_le_i32_e32 vcc_lo, s2, v11
	v_add_co_u32 v9, s0, v9, s16
	v_add_co_ci_u32_e64 v10, s0, s17, v10, s0
	s_or_b32 s25, vcc_lo, s25
	s_waitcnt vmcnt(0) lgkmcnt(0)
	v_mul_f64 v[20:21], v[14:15], v[18:19]
	v_mul_f64 v[14:15], v[14:15], v[16:17]
	s_delay_alu instid0(VALU_DEP_2) | instskip(NEXT) | instid1(VALU_DEP_2)
	v_fma_f64 v[16:17], v[12:13], v[16:17], v[20:21]
	v_fma_f64 v[12:13], v[12:13], v[18:19], -v[14:15]
	s_delay_alu instid0(VALU_DEP_2) | instskip(NEXT) | instid1(VALU_DEP_2)
	v_add_f64 v[3:4], v[3:4], v[16:17]
	v_add_f64 v[1:2], v[1:2], v[12:13]
	s_and_not1_b32 exec_lo, exec_lo, s25
	s_cbranch_execnz .LBB379_17
; %bb.18:
	s_or_b32 exec_lo, exec_lo, s25
.LBB379_19:
	s_delay_alu instid0(SALU_CYCLE_1) | instskip(SKIP_2) | instid1(VALU_DEP_1)
	s_or_b32 exec_lo, exec_lo, s24
	v_or_b32_e32 v7, s2, v0
	s_mov_b32 s0, exec_lo
	v_cmpx_gt_i32_e64 s3, v7
	s_cbranch_execz .LBB379_21
; %bb.20:
	v_ashrrev_i32_e32 v10, 31, v7
	v_mul_lo_u32 v11, v7, s21
	v_mad_u64_u32 v[8:9], null, v7, s20, 0
	s_ashr_i32 s3, s2, 31
	s_delay_alu instid0(VALU_DEP_3) | instskip(SKIP_1) | instid1(SALU_CYCLE_1)
	v_mul_lo_u32 v7, v10, s20
	s_lshl_b64 s[2:3], s[2:3], 4
	v_add_co_u32 v5, vcc_lo, v5, s2
	v_add_co_ci_u32_e32 v6, vcc_lo, s3, v6, vcc_lo
	s_delay_alu instid0(VALU_DEP_3) | instskip(NEXT) | instid1(VALU_DEP_1)
	v_add3_u32 v9, v9, v11, v7
	v_lshlrev_b64 v[7:8], 4, v[8:9]
	s_delay_alu instid0(VALU_DEP_1) | instskip(NEXT) | instid1(VALU_DEP_2)
	v_add_co_u32 v9, vcc_lo, s22, v7
	v_add_co_ci_u32_e32 v10, vcc_lo, s23, v8, vcc_lo
	flat_load_b128 v[5:8], v[5:6]
	flat_load_b128 v[9:12], v[9:10]
	s_waitcnt vmcnt(0) lgkmcnt(0)
	v_mul_f64 v[13:14], v[7:8], v[11:12]
	v_mul_f64 v[7:8], v[7:8], v[9:10]
	s_delay_alu instid0(VALU_DEP_2) | instskip(NEXT) | instid1(VALU_DEP_2)
	v_fma_f64 v[9:10], v[5:6], v[9:10], v[13:14]
	v_fma_f64 v[5:6], v[5:6], v[11:12], -v[7:8]
	s_delay_alu instid0(VALU_DEP_2) | instskip(NEXT) | instid1(VALU_DEP_2)
	v_add_f64 v[3:4], v[3:4], v[9:10]
	v_add_f64 v[1:2], v[1:2], v[5:6]
.LBB379_21:
	s_or_b32 exec_lo, exec_lo, s0
	v_and_b32_e32 v15, 31, v0
	v_cmp_gt_u32_e32 vcc_lo, 32, v0
	s_delay_alu instid0(VALU_DEP_2)
	v_lshlrev_b32_e32 v11, 4, v15
	s_and_saveexec_b32 s0, vcc_lo
	s_cbranch_execz .LBB379_23
; %bb.22:
	v_mov_b32_e32 v5, 0
	s_delay_alu instid0(VALU_DEP_1)
	v_mov_b32_e32 v6, v5
	v_mov_b32_e32 v7, v5
	;; [unrolled: 1-line block ×3, first 2 shown]
	ds_store_b128 v11, v[5:8]
.LBB379_23:
	s_or_b32 exec_lo, exec_lo, s0
	v_mbcnt_lo_u32_b32 v14, -1, 0
	s_mov_b32 s2, exec_lo
	s_waitcnt lgkmcnt(0)
	s_barrier
	buffer_gl0_inv
	v_cmp_gt_u32_e64 s0, 16, v14
	s_delay_alu instid0(VALU_DEP_1) | instskip(SKIP_1) | instid1(VALU_DEP_2)
	v_cndmask_b32_e64 v5, 0, 1, s0
	v_cmp_gt_u32_e64 s0, 24, v14
	v_lshlrev_b32_e32 v5, 4, v5
	s_delay_alu instid0(VALU_DEP_1)
	v_add_lshl_u32 v9, v5, v14, 2
	ds_bpermute_b32 v5, v9, v3
	ds_bpermute_b32 v6, v9, v4
	;; [unrolled: 1-line block ×4, first 2 shown]
	s_waitcnt lgkmcnt(2)
	v_add_f64 v[3:4], v[3:4], v[5:6]
	v_cndmask_b32_e64 v5, 0, 1, s0
	s_waitcnt lgkmcnt(0)
	v_add_f64 v[1:2], v[1:2], v[7:8]
	v_cmp_gt_u32_e64 s0, 28, v14
	s_delay_alu instid0(VALU_DEP_3) | instskip(NEXT) | instid1(VALU_DEP_1)
	v_lshlrev_b32_e32 v5, 3, v5
	v_add_lshl_u32 v10, v5, v14, 2
	ds_bpermute_b32 v5, v10, v3
	ds_bpermute_b32 v6, v10, v4
	;; [unrolled: 1-line block ×4, first 2 shown]
	s_waitcnt lgkmcnt(2)
	v_add_f64 v[3:4], v[3:4], v[5:6]
	v_cndmask_b32_e64 v5, 0, 1, s0
	s_waitcnt lgkmcnt(0)
	v_add_f64 v[1:2], v[1:2], v[7:8]
	v_cmp_gt_u32_e64 s0, 30, v14
	s_delay_alu instid0(VALU_DEP_3) | instskip(NEXT) | instid1(VALU_DEP_1)
	v_lshlrev_b32_e32 v5, 2, v5
	v_add_lshl_u32 v12, v5, v14, 2
	ds_bpermute_b32 v5, v12, v3
	ds_bpermute_b32 v6, v12, v4
	;; [unrolled: 1-line block ×4, first 2 shown]
	s_waitcnt lgkmcnt(2)
	v_add_f64 v[3:4], v[3:4], v[5:6]
	s_waitcnt lgkmcnt(0)
	v_add_f64 v[5:6], v[1:2], v[7:8]
	v_cndmask_b32_e64 v1, 0, 1, s0
	v_cmp_ne_u32_e64 s0, 31, v14
	s_delay_alu instid0(VALU_DEP_2) | instskip(NEXT) | instid1(VALU_DEP_1)
	v_lshlrev_b32_e32 v1, 1, v1
	v_add_lshl_u32 v13, v1, v14, 2
	ds_bpermute_b32 v1, v13, v3
	ds_bpermute_b32 v2, v13, v4
	;; [unrolled: 1-line block ×4, first 2 shown]
	s_waitcnt lgkmcnt(2)
	v_add_f64 v[1:2], v[3:4], v[1:2]
	v_add_co_ci_u32_e64 v3, s0, 0, v14, s0
	s_waitcnt lgkmcnt(0)
	v_add_f64 v[5:6], v[5:6], v[7:8]
	s_delay_alu instid0(VALU_DEP_2)
	v_lshlrev_b32_e32 v14, 2, v3
	ds_bpermute_b32 v3, v14, v1
	ds_bpermute_b32 v4, v14, v2
	;; [unrolled: 1-line block ×4, first 2 shown]
	v_cmpx_eq_u32_e32 0, v15
	s_cbranch_execz .LBB379_25
; %bb.24:
	s_waitcnt lgkmcnt(0)
	v_add_f64 v[5:6], v[5:6], v[7:8]
	v_add_f64 v[3:4], v[1:2], v[3:4]
	v_lshrrev_b32_e32 v1, 1, v0
	s_delay_alu instid0(VALU_DEP_1)
	v_and_b32_e32 v1, 0x1f0, v1
	ds_store_b128 v1, v[3:6]
.LBB379_25:
	s_or_b32 exec_lo, exec_lo, s2
	s_waitcnt lgkmcnt(0)
	v_mov_b32_e32 v7, 0
	v_mov_b32_e32 v8, 0
	s_delay_alu instid0(VALU_DEP_2)
	v_mov_b32_e32 v5, v7
	s_barrier
	buffer_gl0_inv
	v_mov_b32_e32 v6, v8
	s_and_saveexec_b32 s0, vcc_lo
	s_cbranch_execz .LBB379_27
; %bb.26:
	ds_load_b128 v[5:8], v11
.LBB379_27:
	s_or_b32 exec_lo, exec_lo, s0
	s_and_saveexec_b32 s0, vcc_lo
	s_cbranch_execz .LBB379_29
; %bb.28:
	s_waitcnt lgkmcnt(0)
	ds_bpermute_b32 v1, v9, v5
	ds_bpermute_b32 v2, v9, v6
	ds_bpermute_b32 v3, v9, v7
	ds_bpermute_b32 v4, v9, v8
	s_waitcnt lgkmcnt(2)
	v_add_f64 v[1:2], v[5:6], v[1:2]
	s_waitcnt lgkmcnt(0)
	v_add_f64 v[3:4], v[7:8], v[3:4]
	ds_bpermute_b32 v5, v10, v1
	ds_bpermute_b32 v6, v10, v2
	ds_bpermute_b32 v7, v10, v3
	ds_bpermute_b32 v8, v10, v4
	s_waitcnt lgkmcnt(2)
	v_add_f64 v[1:2], v[1:2], v[5:6]
	s_waitcnt lgkmcnt(0)
	v_add_f64 v[3:4], v[3:4], v[7:8]
	;; [unrolled: 8-line block ×5, first 2 shown]
.LBB379_29:
	s_or_b32 exec_lo, exec_lo, s0
	s_delay_alu instid0(SALU_CYCLE_1)
	s_mov_b32 s0, exec_lo
                                        ; implicit-def: $vgpr3_vgpr4
                                        ; implicit-def: $sgpr16_sgpr17
	v_cmpx_eq_u32_e32 0, v0
	s_cbranch_execz .LBB379_33
; %bb.30:
	s_waitcnt lgkmcnt(0)
	s_delay_alu instid0(VALU_DEP_2)
	v_mul_f64 v[0:1], s[10:11], v[7:8]
	v_mul_f64 v[3:4], s[8:9], v[7:8]
	v_cmp_neq_f64_e64 s2, s[4:5], 0
	v_cmp_neq_f64_e64 s3, s[6:7], 0
	s_mul_i32 s1, s1, s12
	s_mul_i32 s16, s14, s12
	s_delay_alu instid0(VALU_DEP_4) | instskip(NEXT) | instid1(VALU_DEP_4)
	v_fma_f64 v[1:2], s[8:9], v[5:6], -v[0:1]
	v_fma_f64 v[3:4], s[10:11], v[5:6], v[3:4]
	s_mul_hi_u32 s8, s14, s12
	s_delay_alu instid0(VALU_DEP_3) | instskip(SKIP_3) | instid1(SALU_CYCLE_1)
	s_or_b32 s2, s2, s3
	s_mul_i32 s3, s14, s13
	s_and_not1_b32 vcc_lo, exec_lo, s2
	s_add_i32 s3, s8, s3
	s_add_i32 s17, s3, s1
	s_cbranch_vccnz .LBB379_32
; %bb.31:
	s_lshl_b64 s[2:3], s[16:17], 4
	s_delay_alu instid0(SALU_CYCLE_1)
	s_add_u32 s2, s15, s2
	s_addc_u32 s3, s18, s3
	s_load_b128 s[8:11], s[2:3], 0x0
	s_waitcnt lgkmcnt(0)
	v_mul_f64 v[5:6], s[6:7], s[10:11]
	v_mul_f64 v[7:8], s[4:5], s[10:11]
	s_delay_alu instid0(VALU_DEP_2) | instskip(NEXT) | instid1(VALU_DEP_2)
	v_fma_f64 v[5:6], s[4:5], s[8:9], -v[5:6]
	v_fma_f64 v[7:8], s[6:7], s[8:9], v[7:8]
	s_delay_alu instid0(VALU_DEP_2) | instskip(NEXT) | instid1(VALU_DEP_2)
	v_add_f64 v[1:2], v[1:2], v[5:6]
	v_add_f64 v[3:4], v[3:4], v[7:8]
.LBB379_32:
	s_or_b32 s19, s19, exec_lo
.LBB379_33:
	s_or_b32 exec_lo, exec_lo, s0
.LBB379_34:
	s_and_saveexec_b32 s0, s19
	s_cbranch_execz .LBB379_36
; %bb.35:
	s_lshl_b64 s[0:1], s[16:17], 4
	v_mov_b32_e32 v0, 0
	s_add_u32 s0, s15, s0
	s_addc_u32 s1, s18, s1
	global_store_b128 v0, v[1:4], s[0:1]
.LBB379_36:
	s_nop 0
	s_sendmsg sendmsg(MSG_DEALLOC_VGPRS)
	s_endpgm
	.section	.rodata,"a",@progbits
	.p2align	6, 0x0
	.amdhsa_kernel _ZL32rocblas_gemvt_warp_reduce_kernelILb1ELi1024ElPK19rocblas_complex_numIdES1_KPS1_EviiT3_lPKT2_lT1_lS9_lSA_lS6_lPT4_lSA_li
		.amdhsa_group_segment_fixed_size 512
		.amdhsa_private_segment_fixed_size 0
		.amdhsa_kernarg_size 156
		.amdhsa_user_sgpr_count 14
		.amdhsa_user_sgpr_dispatch_ptr 0
		.amdhsa_user_sgpr_queue_ptr 0
		.amdhsa_user_sgpr_kernarg_segment_ptr 1
		.amdhsa_user_sgpr_dispatch_id 0
		.amdhsa_user_sgpr_private_segment_size 0
		.amdhsa_wavefront_size32 1
		.amdhsa_uses_dynamic_stack 0
		.amdhsa_enable_private_segment 0
		.amdhsa_system_sgpr_workgroup_id_x 1
		.amdhsa_system_sgpr_workgroup_id_y 0
		.amdhsa_system_sgpr_workgroup_id_z 1
		.amdhsa_system_sgpr_workgroup_info 0
		.amdhsa_system_vgpr_workitem_id 0
		.amdhsa_next_free_vgpr 22
		.amdhsa_next_free_sgpr 40
		.amdhsa_reserve_vcc 1
		.amdhsa_float_round_mode_32 0
		.amdhsa_float_round_mode_16_64 0
		.amdhsa_float_denorm_mode_32 3
		.amdhsa_float_denorm_mode_16_64 3
		.amdhsa_dx10_clamp 1
		.amdhsa_ieee_mode 1
		.amdhsa_fp16_overflow 0
		.amdhsa_workgroup_processor_mode 1
		.amdhsa_memory_ordered 1
		.amdhsa_forward_progress 0
		.amdhsa_shared_vgpr_count 0
		.amdhsa_exception_fp_ieee_invalid_op 0
		.amdhsa_exception_fp_denorm_src 0
		.amdhsa_exception_fp_ieee_div_zero 0
		.amdhsa_exception_fp_ieee_overflow 0
		.amdhsa_exception_fp_ieee_underflow 0
		.amdhsa_exception_fp_ieee_inexact 0
		.amdhsa_exception_int_div_zero 0
	.end_amdhsa_kernel
	.section	.text._ZL32rocblas_gemvt_warp_reduce_kernelILb1ELi1024ElPK19rocblas_complex_numIdES1_KPS1_EviiT3_lPKT2_lT1_lS9_lSA_lS6_lPT4_lSA_li,"axG",@progbits,_ZL32rocblas_gemvt_warp_reduce_kernelILb1ELi1024ElPK19rocblas_complex_numIdES1_KPS1_EviiT3_lPKT2_lT1_lS9_lSA_lS6_lPT4_lSA_li,comdat
.Lfunc_end379:
	.size	_ZL32rocblas_gemvt_warp_reduce_kernelILb1ELi1024ElPK19rocblas_complex_numIdES1_KPS1_EviiT3_lPKT2_lT1_lS9_lSA_lS6_lPT4_lSA_li, .Lfunc_end379-_ZL32rocblas_gemvt_warp_reduce_kernelILb1ELi1024ElPK19rocblas_complex_numIdES1_KPS1_EviiT3_lPKT2_lT1_lS9_lSA_lS6_lPT4_lSA_li
                                        ; -- End function
	.section	.AMDGPU.csdata,"",@progbits
; Kernel info:
; codeLenInByte = 2312
; NumSgprs: 42
; NumVgprs: 22
; ScratchSize: 0
; MemoryBound: 0
; FloatMode: 240
; IeeeMode: 1
; LDSByteSize: 512 bytes/workgroup (compile time only)
; SGPRBlocks: 5
; VGPRBlocks: 2
; NumSGPRsForWavesPerEU: 42
; NumVGPRsForWavesPerEU: 22
; Occupancy: 16
; WaveLimiterHint : 1
; COMPUTE_PGM_RSRC2:SCRATCH_EN: 0
; COMPUTE_PGM_RSRC2:USER_SGPR: 14
; COMPUTE_PGM_RSRC2:TRAP_HANDLER: 0
; COMPUTE_PGM_RSRC2:TGID_X_EN: 1
; COMPUTE_PGM_RSRC2:TGID_Y_EN: 0
; COMPUTE_PGM_RSRC2:TGID_Z_EN: 1
; COMPUTE_PGM_RSRC2:TIDIG_COMP_CNT: 0
	.section	.text._ZL34rocblas_gemvn_sm_mn_batched_kernelILi32ELi24EDF16_PKfDF16_EviiT2_lPKT1_lilS5_lilS2_lPT3_lili,"axG",@progbits,_ZL34rocblas_gemvn_sm_mn_batched_kernelILi32ELi24EDF16_PKfDF16_EviiT2_lPKT1_lilS5_lilS2_lPT3_lili,comdat
	.globl	_ZL34rocblas_gemvn_sm_mn_batched_kernelILi32ELi24EDF16_PKfDF16_EviiT2_lPKT1_lilS5_lilS2_lPT3_lili ; -- Begin function _ZL34rocblas_gemvn_sm_mn_batched_kernelILi32ELi24EDF16_PKfDF16_EviiT2_lPKT1_lilS5_lilS2_lPT3_lili
	.p2align	8
	.type	_ZL34rocblas_gemvn_sm_mn_batched_kernelILi32ELi24EDF16_PKfDF16_EviiT2_lPKT1_lilS5_lilS2_lPT3_lili,@function
_ZL34rocblas_gemvn_sm_mn_batched_kernelILi32ELi24EDF16_PKfDF16_EviiT2_lPKT1_lilS5_lilS2_lPT3_lili: ; @_ZL34rocblas_gemvn_sm_mn_batched_kernelILi32ELi24EDF16_PKfDF16_EviiT2_lPKT1_lilS5_lilS2_lPT3_lili
; %bb.0:
	s_endpgm
	.section	.rodata,"a",@progbits
	.p2align	6, 0x0
	.amdhsa_kernel _ZL34rocblas_gemvn_sm_mn_batched_kernelILi32ELi24EDF16_PKfDF16_EviiT2_lPKT1_lilS5_lilS2_lPT3_lili
		.amdhsa_group_segment_fixed_size 0
		.amdhsa_private_segment_fixed_size 0
		.amdhsa_kernarg_size 140
		.amdhsa_user_sgpr_count 15
		.amdhsa_user_sgpr_dispatch_ptr 0
		.amdhsa_user_sgpr_queue_ptr 0
		.amdhsa_user_sgpr_kernarg_segment_ptr 1
		.amdhsa_user_sgpr_dispatch_id 0
		.amdhsa_user_sgpr_private_segment_size 0
		.amdhsa_wavefront_size32 1
		.amdhsa_uses_dynamic_stack 0
		.amdhsa_enable_private_segment 0
		.amdhsa_system_sgpr_workgroup_id_x 1
		.amdhsa_system_sgpr_workgroup_id_y 0
		.amdhsa_system_sgpr_workgroup_id_z 0
		.amdhsa_system_sgpr_workgroup_info 0
		.amdhsa_system_vgpr_workitem_id 0
		.amdhsa_next_free_vgpr 1
		.amdhsa_next_free_sgpr 1
		.amdhsa_reserve_vcc 0
		.amdhsa_float_round_mode_32 0
		.amdhsa_float_round_mode_16_64 0
		.amdhsa_float_denorm_mode_32 3
		.amdhsa_float_denorm_mode_16_64 3
		.amdhsa_dx10_clamp 1
		.amdhsa_ieee_mode 1
		.amdhsa_fp16_overflow 0
		.amdhsa_workgroup_processor_mode 1
		.amdhsa_memory_ordered 1
		.amdhsa_forward_progress 0
		.amdhsa_shared_vgpr_count 0
		.amdhsa_exception_fp_ieee_invalid_op 0
		.amdhsa_exception_fp_denorm_src 0
		.amdhsa_exception_fp_ieee_div_zero 0
		.amdhsa_exception_fp_ieee_overflow 0
		.amdhsa_exception_fp_ieee_underflow 0
		.amdhsa_exception_fp_ieee_inexact 0
		.amdhsa_exception_int_div_zero 0
	.end_amdhsa_kernel
	.section	.text._ZL34rocblas_gemvn_sm_mn_batched_kernelILi32ELi24EDF16_PKfDF16_EviiT2_lPKT1_lilS5_lilS2_lPT3_lili,"axG",@progbits,_ZL34rocblas_gemvn_sm_mn_batched_kernelILi32ELi24EDF16_PKfDF16_EviiT2_lPKT1_lilS5_lilS2_lPT3_lili,comdat
.Lfunc_end380:
	.size	_ZL34rocblas_gemvn_sm_mn_batched_kernelILi32ELi24EDF16_PKfDF16_EviiT2_lPKT1_lilS5_lilS2_lPT3_lili, .Lfunc_end380-_ZL34rocblas_gemvn_sm_mn_batched_kernelILi32ELi24EDF16_PKfDF16_EviiT2_lPKT1_lilS5_lilS2_lPT3_lili
                                        ; -- End function
	.section	.AMDGPU.csdata,"",@progbits
; Kernel info:
; codeLenInByte = 4
; NumSgprs: 0
; NumVgprs: 0
; ScratchSize: 0
; MemoryBound: 0
; FloatMode: 240
; IeeeMode: 1
; LDSByteSize: 0 bytes/workgroup (compile time only)
; SGPRBlocks: 0
; VGPRBlocks: 0
; NumSGPRsForWavesPerEU: 1
; NumVGPRsForWavesPerEU: 1
; Occupancy: 12
; WaveLimiterHint : 0
; COMPUTE_PGM_RSRC2:SCRATCH_EN: 0
; COMPUTE_PGM_RSRC2:USER_SGPR: 15
; COMPUTE_PGM_RSRC2:TRAP_HANDLER: 0
; COMPUTE_PGM_RSRC2:TGID_X_EN: 1
; COMPUTE_PGM_RSRC2:TGID_Y_EN: 0
; COMPUTE_PGM_RSRC2:TGID_Z_EN: 0
; COMPUTE_PGM_RSRC2:TIDIG_COMP_CNT: 0
	.section	.text._ZL34rocblas_gemvn_sm_mn_batched_kernelILi32ELi24EDF16_fDF16_EviiT2_lPKT1_lilS3_lilS0_lPT3_lili,"axG",@progbits,_ZL34rocblas_gemvn_sm_mn_batched_kernelILi32ELi24EDF16_fDF16_EviiT2_lPKT1_lilS3_lilS0_lPT3_lili,comdat
	.globl	_ZL34rocblas_gemvn_sm_mn_batched_kernelILi32ELi24EDF16_fDF16_EviiT2_lPKT1_lilS3_lilS0_lPT3_lili ; -- Begin function _ZL34rocblas_gemvn_sm_mn_batched_kernelILi32ELi24EDF16_fDF16_EviiT2_lPKT1_lilS3_lilS0_lPT3_lili
	.p2align	8
	.type	_ZL34rocblas_gemvn_sm_mn_batched_kernelILi32ELi24EDF16_fDF16_EviiT2_lPKT1_lilS3_lilS0_lPT3_lili,@function
_ZL34rocblas_gemvn_sm_mn_batched_kernelILi32ELi24EDF16_fDF16_EviiT2_lPKT1_lilS3_lilS0_lPT3_lili: ; @_ZL34rocblas_gemvn_sm_mn_batched_kernelILi32ELi24EDF16_fDF16_EviiT2_lPKT1_lilS3_lilS0_lPT3_lili
; %bb.0:
	s_endpgm
	.section	.rodata,"a",@progbits
	.p2align	6, 0x0
	.amdhsa_kernel _ZL34rocblas_gemvn_sm_mn_batched_kernelILi32ELi24EDF16_fDF16_EviiT2_lPKT1_lilS3_lilS0_lPT3_lili
		.amdhsa_group_segment_fixed_size 0
		.amdhsa_private_segment_fixed_size 0
		.amdhsa_kernarg_size 140
		.amdhsa_user_sgpr_count 15
		.amdhsa_user_sgpr_dispatch_ptr 0
		.amdhsa_user_sgpr_queue_ptr 0
		.amdhsa_user_sgpr_kernarg_segment_ptr 1
		.amdhsa_user_sgpr_dispatch_id 0
		.amdhsa_user_sgpr_private_segment_size 0
		.amdhsa_wavefront_size32 1
		.amdhsa_uses_dynamic_stack 0
		.amdhsa_enable_private_segment 0
		.amdhsa_system_sgpr_workgroup_id_x 1
		.amdhsa_system_sgpr_workgroup_id_y 0
		.amdhsa_system_sgpr_workgroup_id_z 0
		.amdhsa_system_sgpr_workgroup_info 0
		.amdhsa_system_vgpr_workitem_id 0
		.amdhsa_next_free_vgpr 1
		.amdhsa_next_free_sgpr 1
		.amdhsa_reserve_vcc 0
		.amdhsa_float_round_mode_32 0
		.amdhsa_float_round_mode_16_64 0
		.amdhsa_float_denorm_mode_32 3
		.amdhsa_float_denorm_mode_16_64 3
		.amdhsa_dx10_clamp 1
		.amdhsa_ieee_mode 1
		.amdhsa_fp16_overflow 0
		.amdhsa_workgroup_processor_mode 1
		.amdhsa_memory_ordered 1
		.amdhsa_forward_progress 0
		.amdhsa_shared_vgpr_count 0
		.amdhsa_exception_fp_ieee_invalid_op 0
		.amdhsa_exception_fp_denorm_src 0
		.amdhsa_exception_fp_ieee_div_zero 0
		.amdhsa_exception_fp_ieee_overflow 0
		.amdhsa_exception_fp_ieee_underflow 0
		.amdhsa_exception_fp_ieee_inexact 0
		.amdhsa_exception_int_div_zero 0
	.end_amdhsa_kernel
	.section	.text._ZL34rocblas_gemvn_sm_mn_batched_kernelILi32ELi24EDF16_fDF16_EviiT2_lPKT1_lilS3_lilS0_lPT3_lili,"axG",@progbits,_ZL34rocblas_gemvn_sm_mn_batched_kernelILi32ELi24EDF16_fDF16_EviiT2_lPKT1_lilS3_lilS0_lPT3_lili,comdat
.Lfunc_end381:
	.size	_ZL34rocblas_gemvn_sm_mn_batched_kernelILi32ELi24EDF16_fDF16_EviiT2_lPKT1_lilS3_lilS0_lPT3_lili, .Lfunc_end381-_ZL34rocblas_gemvn_sm_mn_batched_kernelILi32ELi24EDF16_fDF16_EviiT2_lPKT1_lilS3_lilS0_lPT3_lili
                                        ; -- End function
	.section	.AMDGPU.csdata,"",@progbits
; Kernel info:
; codeLenInByte = 4
; NumSgprs: 0
; NumVgprs: 0
; ScratchSize: 0
; MemoryBound: 0
; FloatMode: 240
; IeeeMode: 1
; LDSByteSize: 0 bytes/workgroup (compile time only)
; SGPRBlocks: 0
; VGPRBlocks: 0
; NumSGPRsForWavesPerEU: 1
; NumVGPRsForWavesPerEU: 1
; Occupancy: 12
; WaveLimiterHint : 0
; COMPUTE_PGM_RSRC2:SCRATCH_EN: 0
; COMPUTE_PGM_RSRC2:USER_SGPR: 15
; COMPUTE_PGM_RSRC2:TRAP_HANDLER: 0
; COMPUTE_PGM_RSRC2:TGID_X_EN: 1
; COMPUTE_PGM_RSRC2:TGID_Y_EN: 0
; COMPUTE_PGM_RSRC2:TGID_Z_EN: 0
; COMPUTE_PGM_RSRC2:TIDIG_COMP_CNT: 0
	.section	.text._ZL20rocblas_gemvn_kernelILi64ELi4EiDF16_PKfDF16_EviiT3_lPKT2_lT1_lS5_lS6_lS2_lPT4_lS6_li,"axG",@progbits,_ZL20rocblas_gemvn_kernelILi64ELi4EiDF16_PKfDF16_EviiT3_lPKT2_lT1_lS5_lS6_lS2_lPT4_lS6_li,comdat
	.globl	_ZL20rocblas_gemvn_kernelILi64ELi4EiDF16_PKfDF16_EviiT3_lPKT2_lT1_lS5_lS6_lS2_lPT4_lS6_li ; -- Begin function _ZL20rocblas_gemvn_kernelILi64ELi4EiDF16_PKfDF16_EviiT3_lPKT2_lT1_lS5_lS6_lS2_lPT4_lS6_li
	.p2align	8
	.type	_ZL20rocblas_gemvn_kernelILi64ELi4EiDF16_PKfDF16_EviiT3_lPKT2_lT1_lS5_lS6_lS2_lPT4_lS6_li,@function
_ZL20rocblas_gemvn_kernelILi64ELi4EiDF16_PKfDF16_EviiT3_lPKT2_lT1_lS5_lS6_lS2_lPT4_lS6_li: ; @_ZL20rocblas_gemvn_kernelILi64ELi4EiDF16_PKfDF16_EviiT3_lPKT2_lT1_lS5_lS6_lS2_lPT4_lS6_li
; %bb.0:
	s_load_b64 s[2:3], s[0:1], 0x9c
	s_waitcnt lgkmcnt(0)
	s_lshr_b32 s4, s2, 16
	s_and_b32 s2, s2, 0xffff
	s_and_b32 s3, s3, 0xffff
	s_mul_i32 s2, s4, s2
	s_delay_alu instid0(SALU_CYCLE_1) | instskip(NEXT) | instid1(SALU_CYCLE_1)
	s_mul_i32 s2, s2, s3
	s_cmpk_lg_i32 s2, 0x100
	s_cbranch_scc1 .LBB382_50
; %bb.1:
	s_clause 0x1
	s_load_b256 s[16:23], s[0:1], 0x8
	s_load_b256 s[4:11], s[0:1], 0x50
	s_waitcnt lgkmcnt(0)
	s_mul_i32 s3, s15, s19
	s_mul_hi_u32 s12, s15, s18
	s_mul_i32 s2, s15, s18
	s_add_i32 s3, s12, s3
	s_mul_i32 s9, s15, s9
	s_lshl_b64 s[2:3], s[2:3], 2
	s_mul_hi_u32 s12, s15, s8
	s_add_u32 s2, s16, s2
	s_addc_u32 s3, s17, s3
	s_add_i32 s9, s12, s9
	s_mul_i32 s8, s15, s8
	s_mov_b32 s16, 0
	s_lshl_b64 s[8:9], s[8:9], 2
	s_delay_alu instid0(SALU_CYCLE_1)
	s_add_u32 s6, s6, s8
	s_addc_u32 s7, s7, s9
	s_load_b32 s13, s[2:3], 0x0
	s_load_b32 s12, s[6:7], 0x0
	s_waitcnt lgkmcnt(0)
	v_cmp_eq_f32_e64 s2, s13, 0
	v_cmp_eq_f32_e64 s3, s12, 1.0
	s_delay_alu instid0(VALU_DEP_1) | instskip(NEXT) | instid1(SALU_CYCLE_1)
	s_and_b32 s2, s2, s3
	s_and_b32 vcc_lo, exec_lo, s2
	s_cbranch_vccnz .LBB382_50
; %bb.2:
	s_clause 0x3
	s_load_b64 s[2:3], s[0:1], 0x80
	s_load_b64 s[8:9], s[0:1], 0x70
	s_load_b32 s17, s[0:1], 0x78
	s_load_b64 s[6:7], s[0:1], 0x0
	v_and_b32_e32 v1, 0x3ff, v0
	v_bfe_u32 v13, v0, 10, 10
	s_delay_alu instid0(VALU_DEP_1)
	v_lshl_add_u32 v0, v13, 6, v1
	s_waitcnt lgkmcnt(0)
	s_mul_i32 s3, s15, s3
	s_mul_hi_u32 s18, s15, s2
	s_mul_i32 s2, s15, s2
	s_add_i32 s3, s18, s3
	v_cmp_neq_f32_e64 s18, s13, 0
	s_lshl_b64 s[2:3], s[2:3], 1
	s_delay_alu instid0(SALU_CYCLE_1) | instskip(SKIP_2) | instid1(SALU_CYCLE_1)
	s_add_u32 s10, s10, s2
	s_addc_u32 s11, s11, s3
	s_lshl_b64 s[2:3], s[8:9], 1
	s_add_u32 s8, s10, s2
	v_cmp_gt_u32_e64 s2, 0x100, v0
	s_addc_u32 s9, s11, s3
	s_and_b32 vcc_lo, exec_lo, s18
	s_cbranch_vccnz .LBB382_7
; %bb.3:
	s_mov_b32 s3, 0
                                        ; implicit-def: $vgpr5
                                        ; implicit-def: $vgpr2_vgpr3
	s_and_saveexec_b32 s10, s2
	s_cbranch_execz .LBB382_8
; %bb.4:
	v_lshl_or_b32 v4, s14, 8, v0
	v_mov_b32_e32 v5, 0
	s_ashr_i32 s19, s6, 31
	s_mov_b32 s18, s6
	s_mov_b32 s11, 0
                                        ; implicit-def: $vgpr2_vgpr3
	s_delay_alu instid0(VALU_DEP_1)
	v_cmp_gt_i64_e32 vcc_lo, s[18:19], v[4:5]
                                        ; implicit-def: $vgpr5
	s_and_saveexec_b32 s2, vcc_lo
	s_cbranch_execz .LBB382_10
; %bb.5:
	v_mad_u64_u32 v[2:3], null, s17, v4, 0
	s_ashr_i32 s11, s17, 31
	s_delay_alu instid0(VALU_DEP_1) | instid1(SALU_CYCLE_1)
	v_mad_u64_u32 v[5:6], null, s11, v4, v[3:4]
	v_cmp_eq_f32_e64 s11, s12, 0
	s_delay_alu instid0(VALU_DEP_1) | instskip(NEXT) | instid1(VALU_DEP_2)
	s_and_b32 vcc_lo, exec_lo, s11
	v_mov_b32_e32 v3, v5
	s_cbranch_vccnz .LBB382_9
; %bb.6:
	s_delay_alu instid0(VALU_DEP_1) | instskip(SKIP_1) | instid1(VALU_DEP_1)
	v_lshlrev_b64 v[4:5], 1, v[2:3]
	s_mov_b32 s11, exec_lo
	v_add_co_u32 v4, vcc_lo, s8, v4
	s_delay_alu instid0(VALU_DEP_2)
	v_add_co_ci_u32_e32 v5, vcc_lo, s9, v5, vcc_lo
	global_load_u16 v4, v[4:5], off
	s_waitcnt vmcnt(0)
	v_fma_mixlo_f16 v5, s12, v4, 0 op_sel_hi:[0,1,0]
	s_branch .LBB382_10
.LBB382_7:
                                        ; implicit-def: $vgpr5
                                        ; implicit-def: $vgpr2_vgpr3
	s_cbranch_execnz .LBB382_11
	s_branch .LBB382_48
.LBB382_8:
	s_or_b32 exec_lo, exec_lo, s10
	s_delay_alu instid0(SALU_CYCLE_1)
	s_and_b32 vcc_lo, exec_lo, s3
	s_cbranch_vccnz .LBB382_11
	s_branch .LBB382_48
.LBB382_9:
	v_mov_b32_e32 v5, 0
	s_mov_b32 s11, exec_lo
.LBB382_10:
	s_or_b32 exec_lo, exec_lo, s2
	s_delay_alu instid0(SALU_CYCLE_1) | instskip(SKIP_1) | instid1(SALU_CYCLE_1)
	s_and_b32 s16, s11, exec_lo
	s_or_b32 exec_lo, exec_lo, s10
	s_and_b32 vcc_lo, exec_lo, s3
	s_cbranch_vccz .LBB382_48
.LBB382_11:
	s_clause 0x2
	s_load_b128 s[24:27], s[0:1], 0x30
	s_load_b32 s18, s[0:1], 0x28
	s_load_b64 s[2:3], s[0:1], 0x40
	s_mul_i32 s5, s15, s5
	v_dual_mov_b32 v18, 0 :: v_dual_lshlrev_b32 v19, 2, v13
	v_dual_mov_b32 v15, 0 :: v_dual_mov_b32 v14, 0
	s_waitcnt lgkmcnt(0)
	s_mul_i32 s11, s15, s25
	s_mul_hi_u32 s19, s15, s24
	s_mul_i32 s10, s15, s24
	s_add_i32 s11, s19, s11
	s_mul_hi_u32 s19, s15, s4
	s_lshl_b64 s[10:11], s[10:11], 1
	s_delay_alu instid0(SALU_CYCLE_1) | instskip(SKIP_4) | instid1(SALU_CYCLE_1)
	s_add_u32 s24, s20, s10
	s_mul_i32 s20, s15, s4
	s_load_b32 s4, s[0:1], 0x48
	s_addc_u32 s21, s21, s11
	s_lshl_b64 s[10:11], s[22:23], 1
	s_add_u32 s10, s24, s10
	s_addc_u32 s11, s21, s11
	s_add_i32 s21, s19, s5
	s_delay_alu instid0(SALU_CYCLE_1) | instskip(SKIP_4) | instid1(SALU_CYCLE_1)
	s_lshl_b64 s[0:1], s[20:21], 1
	s_mov_b32 s20, exec_lo
	s_add_u32 s5, s26, s0
	s_addc_u32 s19, s27, s1
	s_lshl_b64 s[0:1], s[2:3], 1
	s_add_u32 s15, s5, s0
	s_addc_u32 s19, s19, s1
	s_ashr_i32 s0, s7, 31
	s_lshl_b32 s5, s14, 8
	s_lshr_b32 s0, s0, 28
	v_dual_mov_b32 v17, 0 :: v_dual_add_nc_u32 v16, s5, v1
	s_add_i32 s0, s7, s0
	s_delay_alu instid0(SALU_CYCLE_1) | instskip(NEXT) | instid1(SALU_CYCLE_1)
	s_and_b32 s14, s0, -16
	v_cmpx_gt_i32_e64 s14, v19
	s_cbranch_execz .LBB382_23
; %bb.12:
	v_mul_lo_u32 v3, s18, v19
	v_dual_mov_b32 v17, 0 :: v_dual_add_nc_u32 v2, 64, v16
	v_add_nc_u32_e32 v6, 2, v19
	v_dual_mov_b32 v18, 0 :: v_dual_add_nc_u32 v5, 0xc0, v16
	s_delay_alu instid0(VALU_DEP_3)
	v_cmp_gt_i32_e64 s0, s6, v2
	v_dual_mov_b32 v15, 0 :: v_dual_add_nc_u32 v4, 0x80, v16
	v_add3_u32 v20, v3, s18, v1
	v_mad_u64_u32 v[2:3], null, s18, v6, v[1:2]
	v_cmp_gt_i32_e64 s2, s6, v5
	v_mul_lo_u32 v5, v13, s18
	v_dual_mov_b32 v14, 0 :: v_dual_add_nc_u32 v7, 3, v19
	s_waitcnt lgkmcnt(0)
	v_mul_lo_u32 v8, v13, s4
	v_cmp_gt_i32_e64 s1, s6, v4
	v_mul_lo_u32 v22, s4, v6
	v_mad_u64_u32 v[3:4], null, s18, v7, v[1:2]
	v_lshl_add_u32 v21, v5, 2, v1
	v_mad_u64_u32 v[4:5], null, s4, v19, s[4:5]
	v_mul_lo_u32 v23, s4, v7
	v_cmp_gt_i32_e32 vcc_lo, s6, v16
	v_lshlrev_b32_e32 v24, 2, v8
	s_lshl_b32 s21, s18, 4
	s_lshl_b32 s23, s4, 4
	s_mov_b32 s22, 0
	s_mov_b32 s24, 0
	s_branch .LBB382_17
.LBB382_13:                             ;   in Loop: Header=BB382_17 Depth=1
	s_or_b32 exec_lo, exec_lo, s27
	s_waitcnt vmcnt(3)
	v_fma_mix_f32 v5, v37, v41, v15 op_sel_hi:[0,1,0]
	s_waitcnt vmcnt(2)
	s_delay_alu instid0(VALU_DEP_1) | instskip(SKIP_1) | instid1(VALU_DEP_1)
	v_fma_mix_f32 v5, v38, v42, v5 op_sel_hi:[0,1,0]
	s_waitcnt vmcnt(1)
	v_fma_mix_f32 v5, v39, v43, v5 op_sel_hi:[0,1,0]
	s_waitcnt vmcnt(0)
	s_delay_alu instid0(VALU_DEP_1)
	v_fma_mix_f32 v15, v40, v44, v5 op_sel_hi:[0,1,0]
.LBB382_14:                             ;   in Loop: Header=BB382_17 Depth=1
	s_or_b32 exec_lo, exec_lo, s26
	s_waitcnt vmcnt(3)
	v_fma_mix_f32 v5, v37, v33, v17 op_sel_hi:[0,1,0]
	s_waitcnt vmcnt(2)
	s_delay_alu instid0(VALU_DEP_1) | instskip(SKIP_1) | instid1(VALU_DEP_1)
	v_fma_mix_f32 v5, v38, v34, v5 op_sel_hi:[0,1,0]
	s_waitcnt vmcnt(1)
	v_fma_mix_f32 v5, v39, v35, v5 op_sel_hi:[0,1,0]
	s_waitcnt vmcnt(0)
	s_delay_alu instid0(VALU_DEP_1)
	v_fma_mix_f32 v17, v40, v36, v5 op_sel_hi:[0,1,0]
.LBB382_15:                             ;   in Loop: Header=BB382_17 Depth=1
	s_or_b32 exec_lo, exec_lo, s3
	s_waitcnt vmcnt(3)
	v_fma_mix_f32 v5, v25, v29, v18 op_sel_hi:[1,1,0]
	s_waitcnt vmcnt(2)
	s_delay_alu instid0(VALU_DEP_1) | instskip(SKIP_1) | instid1(VALU_DEP_1)
	v_fma_mix_f32 v5, v26, v30, v5 op_sel_hi:[1,1,0]
	s_waitcnt vmcnt(1)
	v_fma_mix_f32 v5, v27, v31, v5 op_sel_hi:[1,1,0]
	s_waitcnt vmcnt(0)
	s_delay_alu instid0(VALU_DEP_1)
	v_fma_mix_f32 v18, v28, v32, v5 op_sel_hi:[1,1,0]
.LBB382_16:                             ;   in Loop: Header=BB382_17 Depth=1
	s_or_b32 exec_lo, exec_lo, s25
	v_add_nc_u32_e32 v19, 16, v19
	v_add_nc_u32_e32 v20, s21, v20
	;; [unrolled: 1-line block ×5, first 2 shown]
	v_cmp_le_i32_e64 s3, s14, v19
	s_add_i32 s24, s24, s23
	s_delay_alu instid0(VALU_DEP_1) | instskip(NEXT) | instid1(SALU_CYCLE_1)
	s_or_b32 s22, s3, s22
	s_and_not1_b32 exec_lo, exec_lo, s22
	s_cbranch_execz .LBB382_22
.LBB382_17:                             ; =>This Inner Loop Header: Depth=1
	s_and_saveexec_b32 s25, vcc_lo
	s_cbranch_execz .LBB382_16
; %bb.18:                               ;   in Loop: Header=BB382_17 Depth=1
	v_add_nc_u32_e32 v5, s24, v24
	v_add_nc_u32_e32 v7, s24, v4
	;; [unrolled: 1-line block ×5, first 2 shown]
	v_ashrrev_i32_e32 v6, 31, v5
	v_ashrrev_i32_e32 v8, 31, v7
	;; [unrolled: 1-line block ×5, first 2 shown]
	v_lshlrev_b64 v[5:6], 1, v[5:6]
	v_lshlrev_b64 v[7:8], 1, v[7:8]
	;; [unrolled: 1-line block ×3, first 2 shown]
	s_delay_alu instid0(VALU_DEP_3) | instskip(NEXT) | instid1(VALU_DEP_1)
	v_add_co_u32 v27, s3, s15, v5
	v_add_co_ci_u32_e64 v28, s3, s19, v6, s3
	s_delay_alu instid0(VALU_DEP_4)
	v_add_co_u32 v29, s3, s15, v7
	v_add_nc_u32_e32 v7, s5, v20
	v_add_co_ci_u32_e64 v30, s3, s19, v8, s3
	v_lshlrev_b64 v[5:6], 1, v[11:12]
	v_add_co_u32 v31, s3, s15, v9
	v_add_nc_u32_e32 v11, s5, v2
	v_add_co_ci_u32_e64 v32, s3, s19, v10, s3
	v_lshlrev_b64 v[9:10], 1, v[25:26]
	v_ashrrev_i32_e32 v8, 31, v7
	v_add_nc_u32_e32 v25, s5, v3
	v_add_co_u32 v33, s3, s15, v5
	v_ashrrev_i32_e32 v12, 31, v11
	v_add_co_ci_u32_e64 v34, s3, s19, v6, s3
	v_lshlrev_b64 v[7:8], 1, v[7:8]
	v_add_co_u32 v5, s3, s10, v9
	v_ashrrev_i32_e32 v26, 31, v25
	v_add_co_ci_u32_e64 v6, s3, s11, v10, s3
	v_lshlrev_b64 v[9:10], 1, v[11:12]
	v_add_co_u32 v7, s3, s10, v7
	s_delay_alu instid0(VALU_DEP_4) | instskip(SKIP_1) | instid1(VALU_DEP_4)
	v_lshlrev_b64 v[11:12], 1, v[25:26]
	v_add_co_ci_u32_e64 v8, s3, s11, v8, s3
	v_add_co_u32 v9, s3, s10, v9
	s_delay_alu instid0(VALU_DEP_1) | instskip(NEXT) | instid1(VALU_DEP_4)
	v_add_co_ci_u32_e64 v10, s3, s11, v10, s3
	v_add_co_u32 v11, s3, s10, v11
	s_delay_alu instid0(VALU_DEP_1)
	v_add_co_ci_u32_e64 v12, s3, s11, v12, s3
	s_clause 0x3
	global_load_u16 v25, v[27:28], off
	global_load_u16 v26, v[29:30], off
	;; [unrolled: 1-line block ×4, first 2 shown]
	s_clause 0x3
	global_load_u16 v29, v[5:6], off
	global_load_u16 v30, v[7:8], off
	;; [unrolled: 1-line block ×4, first 2 shown]
	s_and_saveexec_b32 s3, s0
	s_cbranch_execz .LBB382_15
; %bb.19:                               ;   in Loop: Header=BB382_17 Depth=1
	s_clause 0x3
	global_load_u16 v33, v[5:6], off offset:128
	global_load_u16 v34, v[7:8], off offset:128
	;; [unrolled: 1-line block ×4, first 2 shown]
	s_waitcnt vmcnt(11)
	v_cvt_f32_f16_e32 v37, v25
	s_waitcnt vmcnt(10)
	v_cvt_f32_f16_e32 v38, v26
	;; [unrolled: 2-line block ×4, first 2 shown]
	s_and_saveexec_b32 s26, s1
	s_cbranch_execz .LBB382_14
; %bb.20:                               ;   in Loop: Header=BB382_17 Depth=1
	s_clause 0x3
	global_load_u16 v41, v[5:6], off offset:256
	global_load_u16 v42, v[7:8], off offset:256
	;; [unrolled: 1-line block ×4, first 2 shown]
	s_and_saveexec_b32 s27, s2
	s_cbranch_execz .LBB382_13
; %bb.21:                               ;   in Loop: Header=BB382_17 Depth=1
	s_clause 0x3
	global_load_u16 v5, v[5:6], off offset:384
	global_load_u16 v6, v[7:8], off offset:384
	;; [unrolled: 1-line block ×4, first 2 shown]
	s_waitcnt vmcnt(3)
	v_fma_mix_f32 v5, v37, v5, v14 op_sel_hi:[0,1,0]
	s_waitcnt vmcnt(2)
	s_delay_alu instid0(VALU_DEP_1) | instskip(SKIP_1) | instid1(VALU_DEP_1)
	v_fma_mix_f32 v5, v38, v6, v5 op_sel_hi:[0,1,0]
	s_waitcnt vmcnt(1)
	v_fma_mix_f32 v5, v39, v7, v5 op_sel_hi:[0,1,0]
	s_waitcnt vmcnt(0)
	s_delay_alu instid0(VALU_DEP_1)
	v_fma_mix_f32 v14, v40, v8, v5 op_sel_hi:[0,1,0]
	s_branch .LBB382_13
.LBB382_22:
	s_or_b32 exec_lo, exec_lo, s22
.LBB382_23:
	s_delay_alu instid0(SALU_CYCLE_1) | instskip(SKIP_1) | instid1(SALU_CYCLE_1)
	s_or_b32 exec_lo, exec_lo, s20
	s_sub_i32 s0, s7, s14
	s_cmp_lt_i32 s0, 1
	s_cbranch_scc1 .LBB382_41
; %bb.24:
	v_cmp_gt_i32_e32 vcc_lo, s7, v19
	v_dual_mov_b32 v10, 0 :: v_dual_mov_b32 v11, 0
	v_or_b32_e32 v2, 1, v19
	v_mov_b32_e32 v12, 0
	v_mov_b32_e32 v20, 0
	s_and_saveexec_b32 s1, vcc_lo
	s_cbranch_execz .LBB382_32
; %bb.25:
	s_waitcnt lgkmcnt(0)
	v_mul_lo_u32 v3, v19, s4
	v_dual_mov_b32 v12, 0 :: v_dual_mov_b32 v11, 0
	v_mov_b32_e32 v10, 0
	s_mov_b32 s2, exec_lo
	s_delay_alu instid0(VALU_DEP_3) | instskip(NEXT) | instid1(VALU_DEP_1)
	v_ashrrev_i32_e32 v4, 31, v3
	v_lshlrev_b64 v[3:4], 1, v[3:4]
	s_delay_alu instid0(VALU_DEP_1) | instskip(NEXT) | instid1(VALU_DEP_1)
	v_add_co_u32 v3, s0, s15, v3
	v_add_co_ci_u32_e64 v4, s0, s19, v4, s0
	global_load_u16 v3, v[3:4], off
	v_cmpx_gt_i32_e64 s7, v2
	s_cbranch_execz .LBB382_31
; %bb.26:
	v_mul_lo_u32 v4, v2, s4
	v_dual_mov_b32 v11, 0 :: v_dual_mov_b32 v10, 0
	s_mov_b32 s3, exec_lo
	s_delay_alu instid0(VALU_DEP_2) | instskip(NEXT) | instid1(VALU_DEP_1)
	v_ashrrev_i32_e32 v5, 31, v4
	v_lshlrev_b64 v[4:5], 1, v[4:5]
	s_delay_alu instid0(VALU_DEP_1) | instskip(NEXT) | instid1(VALU_DEP_1)
	v_add_co_u32 v4, s0, s15, v4
	v_add_co_ci_u32_e64 v5, s0, s19, v5, s0
	global_load_u16 v4, v[4:5], off
	v_or_b32_e32 v5, 2, v19
	s_delay_alu instid0(VALU_DEP_1)
	v_cmpx_gt_i32_e64 s7, v5
	s_cbranch_execz .LBB382_30
; %bb.27:
	v_mul_lo_u32 v5, v5, s4
	v_mov_b32_e32 v10, 0
	s_mov_b32 s14, exec_lo
	s_delay_alu instid0(VALU_DEP_2) | instskip(NEXT) | instid1(VALU_DEP_1)
	v_ashrrev_i32_e32 v6, 31, v5
	v_lshlrev_b64 v[5:6], 1, v[5:6]
	s_delay_alu instid0(VALU_DEP_1) | instskip(NEXT) | instid1(VALU_DEP_1)
	v_add_co_u32 v5, s0, s15, v5
	v_add_co_ci_u32_e64 v6, s0, s19, v6, s0
	global_load_u16 v5, v[5:6], off
	v_or_b32_e32 v6, 3, v19
	s_delay_alu instid0(VALU_DEP_1)
	v_cmpx_gt_i32_e64 s7, v6
	s_cbranch_execz .LBB382_29
; %bb.28:
	v_mul_lo_u32 v6, v6, s4
	s_delay_alu instid0(VALU_DEP_1) | instskip(NEXT) | instid1(VALU_DEP_1)
	v_ashrrev_i32_e32 v7, 31, v6
	v_lshlrev_b64 v[6:7], 1, v[6:7]
	s_delay_alu instid0(VALU_DEP_1) | instskip(NEXT) | instid1(VALU_DEP_1)
	v_add_co_u32 v6, s0, s15, v6
	v_add_co_ci_u32_e64 v7, s0, s19, v7, s0
	global_load_u16 v6, v[6:7], off
	s_waitcnt vmcnt(0)
	v_cvt_f32_f16_e32 v10, v6
.LBB382_29:
	s_or_b32 exec_lo, exec_lo, s14
	s_waitcnt vmcnt(0)
	v_cvt_f32_f16_e32 v11, v5
.LBB382_30:
	s_or_b32 exec_lo, exec_lo, s3
	s_waitcnt vmcnt(0)
	v_cvt_f32_f16_e32 v12, v4
.LBB382_31:
	s_or_b32 exec_lo, exec_lo, s2
	s_waitcnt vmcnt(0)
	v_cvt_f32_f16_e32 v20, v3
.LBB382_32:
	s_or_b32 exec_lo, exec_lo, s1
	s_delay_alu instid0(SALU_CYCLE_1)
	s_mov_b32 s1, exec_lo
	v_cmpx_gt_i32_e64 s6, v16
	s_cbranch_execz .LBB382_40
; %bb.33:
	v_mul_lo_u32 v3, v19, s18
	v_mul_lo_u32 v5, v2, s18
	v_or_b32_e32 v4, 2, v19
	v_or_b32_e32 v6, 3, v19
	s_mov_b32 s0, exec_lo
	s_delay_alu instid0(VALU_DEP_2)
	v_mul_lo_u32 v7, v4, s18
	v_cndmask_b32_e32 v3, 0, v3, vcc_lo
	v_cmp_gt_i32_e32 vcc_lo, s7, v2
	v_mul_lo_u32 v8, v6, s18
	v_cndmask_b32_e32 v5, 0, v5, vcc_lo
	v_cmp_gt_i32_e32 vcc_lo, s7, v4
	s_delay_alu instid0(VALU_DEP_2) | instskip(SKIP_2) | instid1(VALU_DEP_3)
	v_add_nc_u32_e32 v4, v5, v16
	v_dual_cndmask_b32 v7, 0, v7 :: v_dual_add_nc_u32 v2, v3, v16
	v_cmp_gt_i32_e32 vcc_lo, s7, v6
	v_ashrrev_i32_e32 v5, 31, v4
	s_delay_alu instid0(VALU_DEP_3) | instskip(SKIP_2) | instid1(VALU_DEP_4)
	v_ashrrev_i32_e32 v3, 31, v2
	v_cndmask_b32_e32 v8, 0, v8, vcc_lo
	v_add_nc_u32_e32 v6, v7, v16
	v_lshlrev_b64 v[4:5], 1, v[4:5]
	s_delay_alu instid0(VALU_DEP_4) | instskip(NEXT) | instid1(VALU_DEP_4)
	v_lshlrev_b64 v[2:3], 1, v[2:3]
	v_add_nc_u32_e32 v8, v8, v16
	s_delay_alu instid0(VALU_DEP_4) | instskip(NEXT) | instid1(VALU_DEP_3)
	v_ashrrev_i32_e32 v7, 31, v6
	v_add_co_u32 v2, vcc_lo, s10, v2
	s_delay_alu instid0(VALU_DEP_2)
	v_lshlrev_b64 v[6:7], 1, v[6:7]
	v_add_co_ci_u32_e32 v3, vcc_lo, s11, v3, vcc_lo
	v_ashrrev_i32_e32 v9, 31, v8
	v_add_co_u32 v4, vcc_lo, s10, v4
	v_add_co_ci_u32_e32 v5, vcc_lo, s11, v5, vcc_lo
	global_load_u16 v21, v[2:3], off
	v_add_co_u32 v6, vcc_lo, s10, v6
	v_add_co_ci_u32_e32 v7, vcc_lo, s11, v7, vcc_lo
	v_lshlrev_b64 v[8:9], 1, v[8:9]
	s_clause 0x1
	global_load_u16 v22, v[4:5], off
	global_load_u16 v23, v[6:7], off
	v_add_co_u32 v8, vcc_lo, s10, v8
	v_add_co_ci_u32_e32 v9, vcc_lo, s11, v9, vcc_lo
	global_load_u16 v19, v[8:9], off
	s_waitcnt vmcnt(3)
	v_fma_mix_f32 v18, v20, v21, v18 op_sel_hi:[0,1,0]
	v_add_nc_u32_e32 v21, 64, v16
	s_waitcnt vmcnt(2)
	s_delay_alu instid0(VALU_DEP_2) | instskip(SKIP_1) | instid1(VALU_DEP_1)
	v_fma_mix_f32 v18, v12, v22, v18 op_sel_hi:[0,1,0]
	s_waitcnt vmcnt(1)
	v_fma_mix_f32 v18, v11, v23, v18 op_sel_hi:[0,1,0]
	v_cmpx_gt_i32_e64 s6, v21
	s_cbranch_execz .LBB382_39
; %bb.34:
	s_clause 0x3
	global_load_u16 v22, v[2:3], off offset:128
	global_load_u16 v23, v[4:5], off offset:128
	;; [unrolled: 1-line block ×4, first 2 shown]
	s_mov_b32 s2, exec_lo
	s_waitcnt vmcnt(3)
	v_fma_mix_f32 v17, v20, v22, v17 op_sel_hi:[0,1,0]
	v_add_nc_u32_e32 v22, 0x80, v16
	s_waitcnt vmcnt(2)
	s_delay_alu instid0(VALU_DEP_2) | instskip(SKIP_1) | instid1(VALU_DEP_1)
	v_fma_mix_f32 v17, v12, v23, v17 op_sel_hi:[0,1,0]
	s_waitcnt vmcnt(1)
	v_fma_mix_f32 v17, v11, v24, v17 op_sel_hi:[0,1,0]
	v_cmpx_gt_i32_e64 s6, v22
	s_cbranch_execz .LBB382_38
; %bb.35:
	s_clause 0x3
	global_load_u16 v23, v[2:3], off offset:256
	global_load_u16 v24, v[4:5], off offset:256
	;; [unrolled: 1-line block ×4, first 2 shown]
	v_add_nc_u32_e32 v16, 0xc0, v16
	s_mov_b32 s3, exec_lo
	s_waitcnt vmcnt(3)
	v_fma_mix_f32 v15, v20, v23, v15 op_sel_hi:[0,1,0]
	s_waitcnt vmcnt(2)
	s_delay_alu instid0(VALU_DEP_1) | instskip(SKIP_1) | instid1(VALU_DEP_1)
	v_fma_mix_f32 v15, v12, v24, v15 op_sel_hi:[0,1,0]
	s_waitcnt vmcnt(1)
	v_fma_mix_f32 v15, v11, v25, v15 op_sel_hi:[0,1,0]
	v_cmpx_gt_i32_e64 s6, v16
	s_cbranch_execz .LBB382_37
; %bb.36:
	s_clause 0x3
	global_load_u16 v2, v[2:3], off offset:384
	global_load_u16 v3, v[4:5], off offset:384
	;; [unrolled: 1-line block ×4, first 2 shown]
	s_waitcnt vmcnt(3)
	v_fma_mix_f32 v2, v20, v2, v14 op_sel_hi:[0,1,0]
	s_waitcnt vmcnt(2)
	s_delay_alu instid0(VALU_DEP_1) | instskip(SKIP_1) | instid1(VALU_DEP_1)
	v_fma_mix_f32 v2, v12, v3, v2 op_sel_hi:[0,1,0]
	s_waitcnt vmcnt(1)
	v_fma_mix_f32 v2, v11, v4, v2 op_sel_hi:[0,1,0]
	s_waitcnt vmcnt(0)
	s_delay_alu instid0(VALU_DEP_1)
	v_fma_mix_f32 v14, v10, v5, v2 op_sel_hi:[0,1,0]
.LBB382_37:
	s_or_b32 exec_lo, exec_lo, s3
	s_waitcnt vmcnt(0)
	v_fma_mix_f32 v15, v10, v22, v15 op_sel_hi:[0,1,0]
.LBB382_38:
	s_or_b32 exec_lo, exec_lo, s2
	s_waitcnt vmcnt(0)
	v_fma_mix_f32 v17, v10, v21, v17 op_sel_hi:[0,1,0]
.LBB382_39:
	s_or_b32 exec_lo, exec_lo, s0
	s_waitcnt vmcnt(0)
	v_fma_mix_f32 v18, v10, v19, v18 op_sel_hi:[0,1,0]
.LBB382_40:
	s_or_b32 exec_lo, exec_lo, s1
.LBB382_41:
	v_lshlrev_b32_e32 v2, 8, v13
	s_mov_b32 s0, exec_lo
                                        ; implicit-def: $vgpr5
	s_delay_alu instid0(VALU_DEP_1)
	v_add_lshl_u32 v1, v2, v1, 2
                                        ; implicit-def: $vgpr2_vgpr3
	ds_store_2addr_stride64_b32 v1, v18, v17 offset1:1
	ds_store_2addr_stride64_b32 v1, v15, v14 offset0:2 offset1:3
	s_waitcnt lgkmcnt(0)
	s_barrier
	buffer_gl0_inv
	v_cmpx_gt_u32_e32 0x100, v0
	s_cbranch_execz .LBB382_47
; %bb.42:
	v_lshlrev_b32_e32 v5, 2, v0
	s_mov_b32 s2, s16
	s_mov_b32 s1, exec_lo
	ds_load_2addr_stride64_b32 v[1:2], v5 offset1:4
	ds_load_2addr_stride64_b32 v[3:4], v5 offset0:8 offset1:12
	s_waitcnt lgkmcnt(1)
	v_add_f32_e32 v1, v1, v2
	s_waitcnt lgkmcnt(0)
	s_delay_alu instid0(VALU_DEP_1) | instskip(SKIP_1) | instid1(VALU_DEP_2)
	v_add_f32_e32 v2, v3, v1
	v_or_b32_e32 v1, s5, v0
	v_add_f32_e32 v0, v4, v2
                                        ; implicit-def: $vgpr2_vgpr3
	ds_store_b32 v5, v0
                                        ; implicit-def: $vgpr5
	v_cmpx_gt_i32_e64 s6, v1
	s_cbranch_execz .LBB382_46
; %bb.43:
	v_mul_lo_u32 v2, v1, s17
	v_cmp_eq_f32_e64 s2, s12, 0
	v_mul_f32_e32 v0, s13, v0
	s_delay_alu instid0(VALU_DEP_2) | instskip(NEXT) | instid1(VALU_DEP_3)
	s_and_b32 vcc_lo, exec_lo, s2
	v_ashrrev_i32_e32 v3, 31, v2
	s_cbranch_vccnz .LBB382_45
; %bb.44:
	s_delay_alu instid0(VALU_DEP_1) | instskip(NEXT) | instid1(VALU_DEP_1)
	v_lshlrev_b64 v[4:5], 1, v[2:3]
	v_add_co_u32 v4, vcc_lo, s8, v4
	s_delay_alu instid0(VALU_DEP_2)
	v_add_co_ci_u32_e32 v5, vcc_lo, s9, v5, vcc_lo
	global_load_u16 v1, v[4:5], off
	s_waitcnt vmcnt(0)
	v_fma_mix_f32 v0, s12, v1, v0 op_sel_hi:[0,1,0]
.LBB382_45:
	s_delay_alu instid0(VALU_DEP_1)
	v_cvt_f16_f32_e32 v5, v0
	s_or_b32 s2, s16, exec_lo
.LBB382_46:
	s_or_b32 exec_lo, exec_lo, s1
	s_delay_alu instid0(SALU_CYCLE_1) | instskip(SKIP_1) | instid1(SALU_CYCLE_1)
	s_and_not1_b32 s1, s16, exec_lo
	s_and_b32 s2, s2, exec_lo
	s_or_b32 s16, s1, s2
.LBB382_47:
	s_or_b32 exec_lo, exec_lo, s0
.LBB382_48:
	s_and_saveexec_b32 s0, s16
	s_cbranch_execz .LBB382_50
; %bb.49:
	v_lshlrev_b64 v[0:1], 1, v[2:3]
	s_delay_alu instid0(VALU_DEP_1) | instskip(NEXT) | instid1(VALU_DEP_2)
	v_add_co_u32 v0, vcc_lo, s8, v0
	v_add_co_ci_u32_e32 v1, vcc_lo, s9, v1, vcc_lo
	global_store_b16 v[0:1], v5, off
.LBB382_50:
	s_nop 0
	s_sendmsg sendmsg(MSG_DEALLOC_VGPRS)
	s_endpgm
	.section	.rodata,"a",@progbits
	.p2align	6, 0x0
	.amdhsa_kernel _ZL20rocblas_gemvn_kernelILi64ELi4EiDF16_PKfDF16_EviiT3_lPKT2_lT1_lS5_lS6_lS2_lPT4_lS6_li
		.amdhsa_group_segment_fixed_size 4096
		.amdhsa_private_segment_fixed_size 0
		.amdhsa_kernarg_size 400
		.amdhsa_user_sgpr_count 14
		.amdhsa_user_sgpr_dispatch_ptr 0
		.amdhsa_user_sgpr_queue_ptr 0
		.amdhsa_user_sgpr_kernarg_segment_ptr 1
		.amdhsa_user_sgpr_dispatch_id 0
		.amdhsa_user_sgpr_private_segment_size 0
		.amdhsa_wavefront_size32 1
		.amdhsa_uses_dynamic_stack 0
		.amdhsa_enable_private_segment 0
		.amdhsa_system_sgpr_workgroup_id_x 1
		.amdhsa_system_sgpr_workgroup_id_y 0
		.amdhsa_system_sgpr_workgroup_id_z 1
		.amdhsa_system_sgpr_workgroup_info 0
		.amdhsa_system_vgpr_workitem_id 1
		.amdhsa_next_free_vgpr 45
		.amdhsa_next_free_sgpr 28
		.amdhsa_reserve_vcc 1
		.amdhsa_float_round_mode_32 0
		.amdhsa_float_round_mode_16_64 0
		.amdhsa_float_denorm_mode_32 3
		.amdhsa_float_denorm_mode_16_64 3
		.amdhsa_dx10_clamp 1
		.amdhsa_ieee_mode 1
		.amdhsa_fp16_overflow 0
		.amdhsa_workgroup_processor_mode 1
		.amdhsa_memory_ordered 1
		.amdhsa_forward_progress 0
		.amdhsa_shared_vgpr_count 0
		.amdhsa_exception_fp_ieee_invalid_op 0
		.amdhsa_exception_fp_denorm_src 0
		.amdhsa_exception_fp_ieee_div_zero 0
		.amdhsa_exception_fp_ieee_overflow 0
		.amdhsa_exception_fp_ieee_underflow 0
		.amdhsa_exception_fp_ieee_inexact 0
		.amdhsa_exception_int_div_zero 0
	.end_amdhsa_kernel
	.section	.text._ZL20rocblas_gemvn_kernelILi64ELi4EiDF16_PKfDF16_EviiT3_lPKT2_lT1_lS5_lS6_lS2_lPT4_lS6_li,"axG",@progbits,_ZL20rocblas_gemvn_kernelILi64ELi4EiDF16_PKfDF16_EviiT3_lPKT2_lT1_lS5_lS6_lS2_lPT4_lS6_li,comdat
.Lfunc_end382:
	.size	_ZL20rocblas_gemvn_kernelILi64ELi4EiDF16_PKfDF16_EviiT3_lPKT2_lT1_lS5_lS6_lS2_lPT4_lS6_li, .Lfunc_end382-_ZL20rocblas_gemvn_kernelILi64ELi4EiDF16_PKfDF16_EviiT3_lPKT2_lT1_lS5_lS6_lS2_lPT4_lS6_li
                                        ; -- End function
	.section	.AMDGPU.csdata,"",@progbits
; Kernel info:
; codeLenInByte = 3116
; NumSgprs: 30
; NumVgprs: 45
; ScratchSize: 0
; MemoryBound: 0
; FloatMode: 240
; IeeeMode: 1
; LDSByteSize: 4096 bytes/workgroup (compile time only)
; SGPRBlocks: 3
; VGPRBlocks: 5
; NumSGPRsForWavesPerEU: 30
; NumVGPRsForWavesPerEU: 45
; Occupancy: 16
; WaveLimiterHint : 1
; COMPUTE_PGM_RSRC2:SCRATCH_EN: 0
; COMPUTE_PGM_RSRC2:USER_SGPR: 14
; COMPUTE_PGM_RSRC2:TRAP_HANDLER: 0
; COMPUTE_PGM_RSRC2:TGID_X_EN: 1
; COMPUTE_PGM_RSRC2:TGID_Y_EN: 0
; COMPUTE_PGM_RSRC2:TGID_Z_EN: 1
; COMPUTE_PGM_RSRC2:TIDIG_COMP_CNT: 1
	.section	.text._ZL20rocblas_gemvn_kernelILi64ELi4ElDF16_PKfDF16_EviiT3_lPKT2_lT1_lS5_lS6_lS2_lPT4_lS6_li,"axG",@progbits,_ZL20rocblas_gemvn_kernelILi64ELi4ElDF16_PKfDF16_EviiT3_lPKT2_lT1_lS5_lS6_lS2_lPT4_lS6_li,comdat
	.globl	_ZL20rocblas_gemvn_kernelILi64ELi4ElDF16_PKfDF16_EviiT3_lPKT2_lT1_lS5_lS6_lS2_lPT4_lS6_li ; -- Begin function _ZL20rocblas_gemvn_kernelILi64ELi4ElDF16_PKfDF16_EviiT3_lPKT2_lT1_lS5_lS6_lS2_lPT4_lS6_li
	.p2align	8
	.type	_ZL20rocblas_gemvn_kernelILi64ELi4ElDF16_PKfDF16_EviiT3_lPKT2_lT1_lS5_lS6_lS2_lPT4_lS6_li,@function
_ZL20rocblas_gemvn_kernelILi64ELi4ElDF16_PKfDF16_EviiT3_lPKT2_lT1_lS5_lS6_lS2_lPT4_lS6_li: ; @_ZL20rocblas_gemvn_kernelILi64ELi4ElDF16_PKfDF16_EviiT3_lPKT2_lT1_lS5_lS6_lS2_lPT4_lS6_li
; %bb.0:
	s_load_b64 s[2:3], s[0:1], 0x9c
	s_waitcnt lgkmcnt(0)
	s_lshr_b32 s4, s2, 16
	s_and_b32 s2, s2, 0xffff
	s_and_b32 s3, s3, 0xffff
	s_mul_i32 s2, s4, s2
	s_delay_alu instid0(SALU_CYCLE_1) | instskip(NEXT) | instid1(SALU_CYCLE_1)
	s_mul_i32 s2, s2, s3
	s_cmpk_lg_i32 s2, 0x100
	s_cbranch_scc1 .LBB383_50
; %bb.1:
	s_clause 0x1
	s_load_b512 s[36:51], s[0:1], 0x8
	s_load_b512 s[16:31], s[0:1], 0x48
	s_waitcnt lgkmcnt(0)
	s_mul_i32 s3, s15, s39
	s_mul_hi_u32 s4, s15, s38
	s_mul_i32 s2, s15, s38
	s_add_i32 s3, s4, s3
	s_mul_i32 s4, s15, s23
	s_lshl_b64 s[2:3], s[2:3], 2
	s_mul_hi_u32 s5, s15, s22
	s_add_u32 s2, s36, s2
	s_addc_u32 s3, s37, s3
	s_add_i32 s5, s5, s4
	s_mul_i32 s4, s15, s22
	s_mov_b32 s23, 0
	s_lshl_b64 s[4:5], s[4:5], 2
	s_delay_alu instid0(SALU_CYCLE_1)
	s_add_u32 s4, s20, s4
	s_addc_u32 s5, s21, s5
	s_load_b32 s22, s[2:3], 0x0
	s_load_b32 s21, s[4:5], 0x0
	s_waitcnt lgkmcnt(0)
	v_cmp_eq_f32_e64 s2, s22, 0
	v_cmp_eq_f32_e64 s3, s21, 1.0
	s_delay_alu instid0(VALU_DEP_1) | instskip(NEXT) | instid1(SALU_CYCLE_1)
	s_and_b32 s2, s2, s3
	s_and_b32 vcc_lo, exec_lo, s2
	s_cbranch_vccnz .LBB383_50
; %bb.2:
	s_load_b64 s[6:7], s[0:1], 0x0
	v_and_b32_e32 v12, 0x3ff, v0
	v_bfe_u32 v13, v0, 10, 10
	s_mul_i32 s2, s15, s31
	s_mul_hi_u32 s3, s15, s30
	s_mul_i32 s0, s15, s30
	s_add_i32 s1, s3, s2
	v_lshl_add_u32 v11, v13, 6, v12
	s_lshl_b64 s[0:1], s[0:1], 1
	v_cmp_neq_f32_e64 s4, s22, 0
	s_add_u32 s2, s24, s0
	s_addc_u32 s3, s25, s1
	s_lshl_b64 s[0:1], s[26:27], 1
	s_delay_alu instid0(SALU_CYCLE_1)
	s_add_u32 s5, s2, s0
	v_cmp_gt_u32_e64 s0, 0x100, v11
	s_addc_u32 s20, s3, s1
	s_and_b32 vcc_lo, exec_lo, s4
	s_cbranch_vccnz .LBB383_7
; %bb.3:
	s_mov_b32 s1, 0
                                        ; implicit-def: $vgpr3
                                        ; implicit-def: $vgpr0_vgpr1
	s_and_saveexec_b32 s2, s0
	s_cbranch_execz .LBB383_8
; %bb.4:
	v_lshl_or_b32 v2, s14, 8, v11
	v_mov_b32_e32 v3, 0
	s_waitcnt lgkmcnt(0)
	s_ashr_i32 s9, s6, 31
	s_mov_b32 s8, s6
	s_mov_b32 s3, 0
                                        ; implicit-def: $vgpr0_vgpr1
	v_cmp_gt_i64_e32 vcc_lo, s[8:9], v[2:3]
                                        ; implicit-def: $vgpr3
	s_and_saveexec_b32 s0, vcc_lo
	s_cbranch_execz .LBB383_10
; %bb.5:
	v_mad_u64_u32 v[0:1], null, v2, s28, 0
	v_cmp_eq_f32_e64 s3, s21, 0
	s_delay_alu instid0(VALU_DEP_1) | instskip(NEXT) | instid1(VALU_DEP_2)
	s_and_b32 vcc_lo, exec_lo, s3
	v_mad_u64_u32 v[3:4], null, v2, s29, v[1:2]
	s_delay_alu instid0(VALU_DEP_1)
	v_mov_b32_e32 v1, v3
	s_cbranch_vccnz .LBB383_9
; %bb.6:
	s_delay_alu instid0(VALU_DEP_1) | instskip(SKIP_1) | instid1(VALU_DEP_1)
	v_lshlrev_b64 v[2:3], 1, v[0:1]
	s_mov_b32 s3, exec_lo
	v_add_co_u32 v2, vcc_lo, s5, v2
	s_delay_alu instid0(VALU_DEP_2)
	v_add_co_ci_u32_e32 v3, vcc_lo, s20, v3, vcc_lo
	global_load_u16 v2, v[2:3], off
	s_waitcnt vmcnt(0)
	v_fma_mixlo_f16 v3, s21, v2, 0 op_sel_hi:[0,1,0]
	s_branch .LBB383_10
.LBB383_7:
                                        ; implicit-def: $vgpr3
                                        ; implicit-def: $vgpr0_vgpr1
	s_cbranch_execnz .LBB383_11
	s_branch .LBB383_48
.LBB383_8:
	s_or_b32 exec_lo, exec_lo, s2
	s_delay_alu instid0(SALU_CYCLE_1)
	s_and_b32 vcc_lo, exec_lo, s1
	s_cbranch_vccnz .LBB383_11
	s_branch .LBB383_48
.LBB383_9:
	v_mov_b32_e32 v3, 0
	s_mov_b32 s3, exec_lo
.LBB383_10:
	s_or_b32 exec_lo, exec_lo, s0
	s_delay_alu instid0(SALU_CYCLE_1) | instskip(SKIP_1) | instid1(SALU_CYCLE_1)
	s_and_b32 s23, s3, exec_lo
	s_or_b32 exec_lo, exec_lo, s2
	s_and_b32 vcc_lo, exec_lo, s1
	s_cbranch_vccz .LBB383_48
.LBB383_11:
	s_mul_i32 s0, s15, s47
	s_mul_hi_u32 s1, s15, s46
	s_lshl_b32 s24, s14, 8
	s_add_i32 s9, s1, s0
	s_waitcnt lgkmcnt(0)
	s_ashr_i32 s1, s7, 31
	v_dual_mov_b32 v17, 0 :: v_dual_lshlrev_b32 v14, 2, v13
	s_lshr_b32 s1, s1, 28
	v_dual_mov_b32 v15, 0 :: v_dual_add_nc_u32 v0, s24, v12
	v_mov_b32_e32 v18, 0
	v_mov_b32_e32 v16, 0
	s_mul_i32 s0, s15, s19
	s_mul_hi_u32 s2, s15, s18
	s_add_i32 s1, s7, s1
	s_mul_i32 s8, s15, s46
	s_and_b32 s25, s1, -16
	s_add_i32 s11, s2, s0
	s_mul_i32 s10, s15, s18
	s_mov_b32 s26, exec_lo
	v_cmpx_gt_i32_e64 s25, v14
	s_cbranch_execz .LBB383_23
; %bb.12:
	v_lshlrev_b32_e32 v29, 2, v13
	v_mad_u64_u32 v[2:3], null, s16, v13, 0
	v_add_nc_u32_e32 v15, 64, v0
	s_lshl_b64 s[0:1], s[10:11], 1
	s_delay_alu instid0(VALU_DEP_3)
	v_or_b32_e32 v17, 3, v29
	s_lshl_b64 s[12:13], s[50:51], 1
	s_add_u32 s4, s48, s0
	s_addc_u32 s27, s49, s1
	v_cmp_gt_i32_e64 s0, s6, v15
	v_mad_u64_u32 v[4:5], null, s44, v17, 0
	s_lshl_b64 s[18:19], s[42:43], 1
	s_lshl_b64 s[14:15], s[16:17], 5
	;; [unrolled: 1-line block ×3, first 2 shown]
	v_ashrrev_i32_e32 v1, 31, v0
	v_cmp_gt_i32_e32 vcc_lo, s6, v0
	s_delay_alu instid0(VALU_DEP_3) | instskip(SKIP_3) | instid1(VALU_DEP_4)
	v_mad_u64_u32 v[6:7], null, s17, v13, v[3:4]
	v_add_nc_u32_e32 v16, 0x80, v0
	v_mad_u64_u32 v[7:8], null, s16, v17, 0
	v_add_nc_u32_e32 v18, 0xc0, v0
	v_mad_u64_u32 v[9:10], null, s45, v17, v[5:6]
	v_mov_b32_e32 v3, v6
	v_cmp_gt_i32_e64 s1, s6, v16
	s_delay_alu instid0(VALU_DEP_2)
	v_lshlrev_b64 v[15:16], 3, v[2:3]
	v_mov_b32_e32 v3, v8
	v_mov_b32_e32 v5, v9
	v_mad_u64_u32 v[9:10], null, s44, v13, 0
	v_cmp_gt_i32_e64 s2, s6, v18
	v_add_co_u32 v19, s3, s4, v15
	s_delay_alu instid0(VALU_DEP_4) | instskip(SKIP_4) | instid1(VALU_DEP_2)
	v_lshlrev_b64 v[4:5], 1, v[4:5]
	v_add_co_ci_u32_e64 v20, s3, s27, v16, s3
	s_add_u32 s3, s40, s18
	s_addc_u32 s18, s41, s19
	s_add_u32 s19, s3, s30
	v_mad_u64_u32 v[15:16], null, s17, v17, v[3:4]
	v_mov_b32_e32 v3, v10
	s_addc_u32 s18, s18, s31
	v_add_co_u32 v21, s3, s19, v4
	s_delay_alu instid0(VALU_DEP_1) | instskip(NEXT) | instid1(VALU_DEP_4)
	v_add_co_ci_u32_e64 v22, s3, s18, v5, s3
	v_mov_b32_e32 v8, v15
	v_or_b32_e32 v23, 2, v29
	v_mad_u64_u32 v[17:18], null, s45, v13, v[3:4]
	v_mad_u64_u32 v[31:32], null, s44, v29, s[44:45]
	s_delay_alu instid0(VALU_DEP_3)
	v_mad_u64_u32 v[15:16], null, s44, v23, 0
	v_lshlrev_b64 v[4:5], 1, v[7:8]
	v_mad_u64_u32 v[27:28], null, s16, v23, 0
	v_mov_b32_e32 v10, v17
	v_mad_u64_u32 v[17:18], null, s16, v29, s[16:17]
	v_mov_b32_e32 v3, v16
	v_lshlrev_b64 v[1:2], 1, v[0:1]
	v_mov_b32_e32 v6, v28
	s_delay_alu instid0(VALU_DEP_3) | instskip(SKIP_1) | instid1(VALU_DEP_2)
	v_mad_u64_u32 v[7:8], null, s45, v23, v[3:4]
	v_mov_b32_e32 v3, v18
	v_mad_u64_u32 v[25:26], null, s17, v23, v[6:7]
	v_add_co_u32 v23, s3, s4, v4
	s_delay_alu instid0(VALU_DEP_1) | instskip(SKIP_3) | instid1(VALU_DEP_3)
	v_add_co_ci_u32_e64 v24, s3, s27, v5, s3
	v_lshlrev_b64 v[4:5], 3, v[9:10]
	v_mov_b32_e32 v16, v7
	v_mov_b32_e32 v28, v25
	v_mad_u64_u32 v[6:7], null, s17, v29, v[3:4]
	v_add_co_u32 v25, s3, s19, v4
	s_delay_alu instid0(VALU_DEP_1) | instskip(SKIP_1) | instid1(VALU_DEP_4)
	v_add_co_ci_u32_e64 v26, s3, s18, v5, s3
	v_lshlrev_b64 v[4:5], 1, v[15:16]
	v_dual_mov_b32 v3, v32 :: v_dual_mov_b32 v18, v6
	v_dual_mov_b32 v16, 0 :: v_dual_mov_b32 v15, 0
	s_delay_alu instid0(VALU_DEP_2)
	v_mad_u64_u32 v[7:8], null, s45, v29, v[3:4]
	v_lshlrev_b64 v[8:9], 1, v[27:28]
	v_add_co_u32 v27, s3, s19, v4
	v_lshlrev_b64 v[3:4], 1, v[17:18]
	v_add_co_ci_u32_e64 v28, s3, s18, v5, s3
	v_mov_b32_e32 v32, v7
	v_add_co_u32 v29, s3, s4, v8
	s_delay_alu instid0(VALU_DEP_1) | instskip(NEXT) | instid1(VALU_DEP_3)
	v_add_co_ci_u32_e64 v30, s3, s27, v9, s3
	v_lshlrev_b64 v[5:6], 1, v[31:32]
	v_add_co_u32 v31, s3, s4, v3
	s_delay_alu instid0(VALU_DEP_1) | instskip(SKIP_1) | instid1(VALU_DEP_4)
	v_add_co_ci_u32_e64 v32, s3, s27, v4, s3
	v_dual_mov_b32 v18, 0 :: v_dual_mov_b32 v17, 0
	v_add_co_u32 v33, s3, s19, v5
	s_delay_alu instid0(VALU_DEP_1)
	v_add_co_ci_u32_e64 v34, s3, s18, v6, s3
	s_lshl_b64 s[18:19], s[44:45], 5
	s_mov_b32 s27, 0
	s_branch .LBB383_17
.LBB383_13:                             ;   in Loop: Header=BB383_17 Depth=1
	s_or_b32 exec_lo, exec_lo, s31
	s_waitcnt vmcnt(3)
	v_fma_mix_f32 v3, v47, v51, v16 op_sel_hi:[0,1,0]
	s_waitcnt vmcnt(2)
	s_delay_alu instid0(VALU_DEP_1) | instskip(SKIP_1) | instid1(VALU_DEP_1)
	v_fma_mix_f32 v3, v48, v52, v3 op_sel_hi:[0,1,0]
	s_waitcnt vmcnt(1)
	v_fma_mix_f32 v3, v49, v53, v3 op_sel_hi:[0,1,0]
	s_waitcnt vmcnt(0)
	s_delay_alu instid0(VALU_DEP_1)
	v_fma_mix_f32 v16, v50, v54, v3 op_sel_hi:[0,1,0]
.LBB383_14:                             ;   in Loop: Header=BB383_17 Depth=1
	s_or_b32 exec_lo, exec_lo, s30
	s_waitcnt vmcnt(3)
	v_fma_mix_f32 v3, v47, v43, v17 op_sel_hi:[0,1,0]
	s_waitcnt vmcnt(2)
	s_delay_alu instid0(VALU_DEP_1) | instskip(SKIP_1) | instid1(VALU_DEP_1)
	v_fma_mix_f32 v3, v48, v44, v3 op_sel_hi:[0,1,0]
	s_waitcnt vmcnt(1)
	v_fma_mix_f32 v3, v49, v45, v3 op_sel_hi:[0,1,0]
	s_waitcnt vmcnt(0)
	s_delay_alu instid0(VALU_DEP_1)
	v_fma_mix_f32 v17, v50, v46, v3 op_sel_hi:[0,1,0]
.LBB383_15:                             ;   in Loop: Header=BB383_17 Depth=1
	s_or_b32 exec_lo, exec_lo, s3
	s_waitcnt vmcnt(3)
	v_fma_mix_f32 v3, v35, v39, v18 op_sel_hi:[1,1,0]
	s_waitcnt vmcnt(2)
	s_delay_alu instid0(VALU_DEP_1) | instskip(SKIP_1) | instid1(VALU_DEP_1)
	v_fma_mix_f32 v3, v36, v40, v3 op_sel_hi:[1,1,0]
	s_waitcnt vmcnt(1)
	v_fma_mix_f32 v3, v37, v41, v3 op_sel_hi:[1,1,0]
	s_waitcnt vmcnt(0)
	s_delay_alu instid0(VALU_DEP_1)
	v_fma_mix_f32 v18, v38, v42, v3 op_sel_hi:[1,1,0]
.LBB383_16:                             ;   in Loop: Header=BB383_17 Depth=1
	s_or_b32 exec_lo, exec_lo, s4
	v_add_co_u32 v19, s3, v19, s14
	s_delay_alu instid0(VALU_DEP_1) | instskip(SKIP_1) | instid1(VALU_DEP_1)
	v_add_co_ci_u32_e64 v20, s3, s15, v20, s3
	v_add_co_u32 v21, s3, v21, s18
	v_add_co_ci_u32_e64 v22, s3, s19, v22, s3
	v_add_co_u32 v23, s3, v23, s14
	s_delay_alu instid0(VALU_DEP_1) | instskip(SKIP_1) | instid1(VALU_DEP_1)
	v_add_co_ci_u32_e64 v24, s3, s15, v24, s3
	v_add_co_u32 v25, s3, v25, s18
	v_add_co_ci_u32_e64 v26, s3, s19, v26, s3
	v_add_co_u32 v27, s3, v27, s18
	s_delay_alu instid0(VALU_DEP_1) | instskip(SKIP_4) | instid1(VALU_DEP_1)
	v_add_co_ci_u32_e64 v28, s3, s19, v28, s3
	v_add_co_u32 v29, s3, v29, s14
	v_add_nc_u32_e32 v14, 16, v14
	v_add_co_ci_u32_e64 v30, s3, s15, v30, s3
	v_add_co_u32 v31, s3, v31, s14
	v_add_co_ci_u32_e64 v32, s3, s15, v32, s3
	s_delay_alu instid0(VALU_DEP_4) | instskip(SKIP_1) | instid1(VALU_DEP_1)
	v_cmp_le_i32_e64 s3, s25, v14
	v_add_co_u32 v33, s4, v33, s18
	v_add_co_ci_u32_e64 v34, s4, s19, v34, s4
	s_delay_alu instid0(VALU_DEP_3) | instskip(NEXT) | instid1(SALU_CYCLE_1)
	s_or_b32 s27, s3, s27
	s_and_not1_b32 exec_lo, exec_lo, s27
	s_cbranch_execz .LBB383_22
.LBB383_17:                             ; =>This Inner Loop Header: Depth=1
	s_and_saveexec_b32 s4, vcc_lo
	s_cbranch_execz .LBB383_16
; %bb.18:                               ;   in Loop: Header=BB383_17 Depth=1
	v_add_co_u32 v3, s3, v19, s12
	s_delay_alu instid0(VALU_DEP_1) | instskip(SKIP_1) | instid1(VALU_DEP_1)
	v_add_co_ci_u32_e64 v4, s3, s13, v20, s3
	v_add_co_u32 v5, s3, v31, s12
	v_add_co_ci_u32_e64 v6, s3, s13, v32, s3
	v_add_co_u32 v7, s3, v29, s12
	s_delay_alu instid0(VALU_DEP_1) | instskip(SKIP_1) | instid1(VALU_DEP_1)
	v_add_co_ci_u32_e64 v8, s3, s13, v30, s3
	v_add_co_u32 v38, s3, v23, s12
	v_add_co_ci_u32_e64 v39, s3, s13, v24, s3
	global_load_u16 v35, v[3:4], off
	global_load_u16 v36, v[5:6], off
	;; [unrolled: 1-line block ×3, first 2 shown]
	v_add_co_u32 v3, s3, v25, v1
	s_delay_alu instid0(VALU_DEP_1) | instskip(SKIP_1) | instid1(VALU_DEP_1)
	v_add_co_ci_u32_e64 v4, s3, v26, v2, s3
	v_add_co_u32 v5, s3, v33, v1
	v_add_co_ci_u32_e64 v6, s3, v34, v2, s3
	v_add_co_u32 v7, s3, v27, v1
	s_delay_alu instid0(VALU_DEP_1) | instskip(SKIP_1) | instid1(VALU_DEP_1)
	v_add_co_ci_u32_e64 v8, s3, v28, v2, s3
	v_add_co_u32 v9, s3, v21, v1
	v_add_co_ci_u32_e64 v10, s3, v22, v2, s3
	global_load_u16 v38, v[38:39], off
	global_load_u16 v39, v[3:4], off
	;; [unrolled: 1-line block ×5, first 2 shown]
	s_and_saveexec_b32 s3, s0
	s_cbranch_execz .LBB383_15
; %bb.19:                               ;   in Loop: Header=BB383_17 Depth=1
	global_load_u16 v43, v[3:4], off offset:128
	global_load_u16 v44, v[5:6], off offset:128
	;; [unrolled: 1-line block ×4, first 2 shown]
	s_waitcnt vmcnt(11)
	v_cvt_f32_f16_e32 v47, v35
	s_waitcnt vmcnt(10)
	v_cvt_f32_f16_e32 v48, v36
	;; [unrolled: 2-line block ×4, first 2 shown]
	s_and_saveexec_b32 s30, s1
	s_cbranch_execz .LBB383_14
; %bb.20:                               ;   in Loop: Header=BB383_17 Depth=1
	global_load_u16 v51, v[3:4], off offset:256
	global_load_u16 v52, v[5:6], off offset:256
	global_load_u16 v53, v[7:8], off offset:256
	global_load_u16 v54, v[9:10], off offset:256
	s_and_saveexec_b32 s31, s2
	s_cbranch_execz .LBB383_13
; %bb.21:                               ;   in Loop: Header=BB383_17 Depth=1
	global_load_u16 v3, v[3:4], off offset:384
	global_load_u16 v4, v[5:6], off offset:384
	;; [unrolled: 1-line block ×4, first 2 shown]
	s_waitcnt vmcnt(3)
	v_fma_mix_f32 v3, v47, v3, v15 op_sel_hi:[0,1,0]
	s_waitcnt vmcnt(2)
	s_delay_alu instid0(VALU_DEP_1) | instskip(SKIP_1) | instid1(VALU_DEP_1)
	v_fma_mix_f32 v3, v48, v4, v3 op_sel_hi:[0,1,0]
	s_waitcnt vmcnt(1)
	v_fma_mix_f32 v3, v49, v5, v3 op_sel_hi:[0,1,0]
	s_waitcnt vmcnt(0)
	s_delay_alu instid0(VALU_DEP_1)
	v_fma_mix_f32 v15, v50, v6, v3 op_sel_hi:[0,1,0]
	s_branch .LBB383_13
.LBB383_22:
	s_or_b32 exec_lo, exec_lo, s27
.LBB383_23:
	s_delay_alu instid0(SALU_CYCLE_1) | instskip(SKIP_1) | instid1(SALU_CYCLE_1)
	s_or_b32 exec_lo, exec_lo, s26
	s_sub_i32 s0, s7, s25
	s_cmp_lt_i32 s0, 1
	s_cbranch_scc1 .LBB383_41
; %bb.24:
	v_cmp_gt_i32_e32 vcc_lo, s7, v14
	v_dual_mov_b32 v9, 0 :: v_dual_mov_b32 v10, 0
	v_or_b32_e32 v2, 1, v14
	v_dual_mov_b32 v19, 0 :: v_dual_mov_b32 v20, 0
	s_and_saveexec_b32 s1, vcc_lo
	s_cbranch_execz .LBB383_32
; %bb.25:
	v_mad_u64_u32 v[3:4], null, v14, s16, 0
	s_lshl_b64 s[2:3], s[10:11], 1
	v_mov_b32_e32 v19, 0
	s_add_u32 s0, s48, s2
	s_addc_u32 s2, s49, s3
	s_lshl_b64 s[10:11], s[50:51], 1
	v_mov_b32_e32 v9, 0
	s_delay_alu instid0(VALU_DEP_3) | instskip(SKIP_3) | instid1(VALU_DEP_1)
	v_dual_mov_b32 v1, v4 :: v_dual_mov_b32 v10, 0
	s_add_u32 s3, s0, s10
	s_addc_u32 s4, s2, s11
	s_mov_b32 s2, exec_lo
	v_mad_u64_u32 v[4:5], null, v14, s17, v[1:2]
	s_delay_alu instid0(VALU_DEP_1) | instskip(NEXT) | instid1(VALU_DEP_1)
	v_lshlrev_b64 v[3:4], 1, v[3:4]
	v_add_co_u32 v3, s0, s3, v3
	s_delay_alu instid0(VALU_DEP_1)
	v_add_co_ci_u32_e64 v4, s0, s4, v4, s0
	global_load_u16 v1, v[3:4], off
	v_cmpx_gt_i32_e64 s7, v2
	s_cbranch_execz .LBB383_31
; %bb.26:
	v_mad_u64_u32 v[3:4], null, v2, s16, 0
	v_mov_b32_e32 v10, 0
	s_mov_b32 s10, exec_lo
	v_mov_b32_e32 v9, 0
	s_delay_alu instid0(VALU_DEP_3) | instskip(NEXT) | instid1(VALU_DEP_1)
	v_mad_u64_u32 v[5:6], null, v2, s17, v[4:5]
	v_mov_b32_e32 v4, v5
	s_delay_alu instid0(VALU_DEP_1) | instskip(NEXT) | instid1(VALU_DEP_1)
	v_lshlrev_b64 v[3:4], 1, v[3:4]
	v_add_co_u32 v3, s0, s3, v3
	s_delay_alu instid0(VALU_DEP_1) | instskip(SKIP_2) | instid1(VALU_DEP_1)
	v_add_co_ci_u32_e64 v4, s0, s4, v4, s0
	global_load_u16 v3, v[3:4], off
	v_or_b32_e32 v4, 2, v14
	v_cmpx_gt_i32_e64 s7, v4
	s_cbranch_execz .LBB383_30
; %bb.27:
	v_mad_u64_u32 v[5:6], null, v4, s16, 0
	s_mov_b32 s11, exec_lo
	v_mov_b32_e32 v9, 0
	s_delay_alu instid0(VALU_DEP_2) | instskip(NEXT) | instid1(VALU_DEP_1)
	v_mad_u64_u32 v[7:8], null, v4, s17, v[6:7]
	v_mov_b32_e32 v6, v7
	s_delay_alu instid0(VALU_DEP_1) | instskip(NEXT) | instid1(VALU_DEP_1)
	v_lshlrev_b64 v[4:5], 1, v[5:6]
	v_add_co_u32 v4, s0, s3, v4
	s_delay_alu instid0(VALU_DEP_1) | instskip(SKIP_2) | instid1(VALU_DEP_1)
	v_add_co_ci_u32_e64 v5, s0, s4, v5, s0
	global_load_u16 v4, v[4:5], off
	v_or_b32_e32 v5, 3, v14
	v_cmpx_gt_i32_e64 s7, v5
	s_cbranch_execz .LBB383_29
; %bb.28:
	v_mad_u64_u32 v[6:7], null, v5, s16, 0
	s_delay_alu instid0(VALU_DEP_1) | instskip(NEXT) | instid1(VALU_DEP_1)
	v_mad_u64_u32 v[8:9], null, v5, s17, v[7:8]
	v_mov_b32_e32 v7, v8
	s_delay_alu instid0(VALU_DEP_1) | instskip(NEXT) | instid1(VALU_DEP_1)
	v_lshlrev_b64 v[5:6], 1, v[6:7]
	v_add_co_u32 v5, s0, s3, v5
	s_delay_alu instid0(VALU_DEP_1)
	v_add_co_ci_u32_e64 v6, s0, s4, v6, s0
	global_load_u16 v5, v[5:6], off
	s_waitcnt vmcnt(0)
	v_cvt_f32_f16_e32 v9, v5
.LBB383_29:
	s_or_b32 exec_lo, exec_lo, s11
	s_waitcnt vmcnt(0)
	v_cvt_f32_f16_e32 v10, v4
.LBB383_30:
	s_or_b32 exec_lo, exec_lo, s10
	s_waitcnt vmcnt(0)
	v_cvt_f32_f16_e32 v19, v3
.LBB383_31:
	s_or_b32 exec_lo, exec_lo, s2
	s_waitcnt vmcnt(0)
	v_cvt_f32_f16_e32 v20, v1
.LBB383_32:
	s_or_b32 exec_lo, exec_lo, s1
	s_delay_alu instid0(SALU_CYCLE_1)
	s_mov_b32 s1, exec_lo
	v_cmpx_gt_i32_e64 s6, v0
	s_cbranch_execz .LBB383_40
; %bb.33:
	v_mad_u64_u32 v[3:4], null, v14, s44, 0
	v_mad_u64_u32 v[5:6], null, v2, s44, 0
	v_ashrrev_i32_e32 v1, 31, v0
	s_lshl_b64 s[2:3], s[8:9], 1
	v_or_b32_e32 v28, 2, v14
	s_add_u32 s0, s40, s2
	s_delay_alu instid0(VALU_DEP_4)
	v_cndmask_b32_e32 v3, 0, v3, vcc_lo
	v_lshlrev_b64 v[21:22], 1, v[0:1]
	v_mad_u64_u32 v[7:8], null, v14, s45, v[4:5]
	s_addc_u32 s4, s41, s3
	s_lshl_b64 s[2:3], s[42:43], 1
	v_or_b32_e32 v14, 3, v14
	s_add_u32 s2, s0, s2
	v_mov_b32_e32 v1, v6
	v_mad_u64_u32 v[23:24], null, v28, s44, 0
	s_delay_alu instid0(VALU_DEP_4) | instskip(SKIP_1) | instid1(VALU_DEP_4)
	v_cndmask_b32_e32 v4, 0, v7, vcc_lo
	v_cmp_gt_i32_e32 vcc_lo, s7, v2
	v_mad_u64_u32 v[25:26], null, v2, s45, v[1:2]
	s_addc_u32 s3, s4, s3
	v_mad_u64_u32 v[6:7], null, v14, s44, 0
	v_cndmask_b32_e32 v26, 0, v5, vcc_lo
	v_lshlrev_b64 v[3:4], 1, v[3:4]
	s_delay_alu instid0(VALU_DEP_4) | instskip(NEXT) | instid1(VALU_DEP_2)
	v_cndmask_b32_e32 v27, 0, v25, vcc_lo
	v_add_co_u32 v1, s0, s2, v3
	s_delay_alu instid0(VALU_DEP_1) | instskip(NEXT) | instid1(VALU_DEP_3)
	v_add_co_ci_u32_e64 v2, s0, s3, v4, s0
	v_lshlrev_b64 v[3:4], 1, v[26:27]
	s_delay_alu instid0(VALU_DEP_3) | instskip(NEXT) | instid1(VALU_DEP_3)
	v_add_co_u32 v1, vcc_lo, v1, v21
	v_add_co_ci_u32_e32 v2, vcc_lo, v2, v22, vcc_lo
	v_cmp_gt_i32_e32 vcc_lo, s7, v28
	v_mov_b32_e32 v5, v24
	v_add_co_u32 v3, s0, s2, v3
	s_delay_alu instid0(VALU_DEP_1) | instskip(NEXT) | instid1(VALU_DEP_3)
	v_add_co_ci_u32_e64 v4, s0, s3, v4, s0
	v_mad_u64_u32 v[24:25], null, v28, s45, v[5:6]
	v_mov_b32_e32 v5, v7
	v_cndmask_b32_e32 v7, 0, v23, vcc_lo
	s_mov_b32 s0, exec_lo
	s_delay_alu instid0(VALU_DEP_3) | instskip(NEXT) | instid1(VALU_DEP_3)
	v_cndmask_b32_e32 v8, 0, v24, vcc_lo
	v_mad_u64_u32 v[23:24], null, v14, s45, v[5:6]
	v_add_co_u32 v3, vcc_lo, v3, v21
	v_add_co_ci_u32_e32 v4, vcc_lo, v4, v22, vcc_lo
	v_cmp_gt_i32_e32 vcc_lo, s7, v14
	v_lshlrev_b64 v[7:8], 1, v[7:8]
	s_clause 0x1
	global_load_u16 v24, v[1:2], off
	global_load_u16 v25, v[3:4], off
	v_dual_cndmask_b32 v5, 0, v6 :: v_dual_cndmask_b32 v6, 0, v23
	v_add_co_u32 v14, vcc_lo, s2, v7
	v_add_co_ci_u32_e32 v23, vcc_lo, s3, v8, vcc_lo
	s_delay_alu instid0(VALU_DEP_3) | instskip(NEXT) | instid1(VALU_DEP_3)
	v_lshlrev_b64 v[7:8], 1, v[5:6]
	v_add_co_u32 v5, vcc_lo, v14, v21
	s_delay_alu instid0(VALU_DEP_3) | instskip(NEXT) | instid1(VALU_DEP_3)
	v_add_co_ci_u32_e32 v6, vcc_lo, v23, v22, vcc_lo
	v_add_co_u32 v7, vcc_lo, s2, v7
	s_delay_alu instid0(VALU_DEP_4)
	v_add_co_ci_u32_e32 v8, vcc_lo, s3, v8, vcc_lo
	global_load_u16 v23, v[5:6], off
	v_add_co_u32 v7, vcc_lo, v7, v21
	v_add_co_ci_u32_e32 v8, vcc_lo, v8, v22, vcc_lo
	v_add_nc_u32_e32 v21, 64, v0
	global_load_u16 v14, v[7:8], off
	s_waitcnt vmcnt(3)
	v_fma_mix_f32 v18, v20, v24, v18 op_sel_hi:[0,1,0]
	s_waitcnt vmcnt(2)
	s_delay_alu instid0(VALU_DEP_1) | instskip(SKIP_1) | instid1(VALU_DEP_1)
	v_fma_mix_f32 v18, v19, v25, v18 op_sel_hi:[0,1,0]
	s_waitcnt vmcnt(1)
	v_fma_mix_f32 v18, v10, v23, v18 op_sel_hi:[0,1,0]
	v_cmpx_gt_i32_e64 s6, v21
	s_cbranch_execz .LBB383_39
; %bb.34:
	s_clause 0x3
	global_load_u16 v22, v[1:2], off offset:128
	global_load_u16 v23, v[3:4], off offset:128
	;; [unrolled: 1-line block ×4, first 2 shown]
	s_mov_b32 s2, exec_lo
	s_waitcnt vmcnt(3)
	v_fma_mix_f32 v17, v20, v22, v17 op_sel_hi:[0,1,0]
	v_add_nc_u32_e32 v22, 0x80, v0
	s_waitcnt vmcnt(2)
	s_delay_alu instid0(VALU_DEP_2) | instskip(SKIP_1) | instid1(VALU_DEP_1)
	v_fma_mix_f32 v17, v19, v23, v17 op_sel_hi:[0,1,0]
	s_waitcnt vmcnt(1)
	v_fma_mix_f32 v17, v10, v24, v17 op_sel_hi:[0,1,0]
	v_cmpx_gt_i32_e64 s6, v22
	s_cbranch_execz .LBB383_38
; %bb.35:
	s_clause 0x3
	global_load_u16 v23, v[1:2], off offset:256
	global_load_u16 v24, v[3:4], off offset:256
	;; [unrolled: 1-line block ×4, first 2 shown]
	s_mov_b32 s3, exec_lo
	s_waitcnt vmcnt(3)
	v_fma_mix_f32 v16, v20, v23, v16 op_sel_hi:[0,1,0]
	v_add_nc_u32_e32 v23, 0xc0, v0
	s_waitcnt vmcnt(2)
	s_delay_alu instid0(VALU_DEP_2) | instskip(SKIP_1) | instid1(VALU_DEP_1)
	v_fma_mix_f32 v16, v19, v24, v16 op_sel_hi:[0,1,0]
	s_waitcnt vmcnt(1)
	v_fma_mix_f32 v0, v10, v25, v16 op_sel_hi:[0,1,0]
	v_cmpx_gt_i32_e64 s6, v23
	s_cbranch_execz .LBB383_37
; %bb.36:
	s_clause 0x3
	global_load_u16 v1, v[1:2], off offset:384
	global_load_u16 v2, v[3:4], off offset:384
	;; [unrolled: 1-line block ×4, first 2 shown]
	s_waitcnt vmcnt(3)
	v_fma_mix_f32 v1, v20, v1, v15 op_sel_hi:[0,1,0]
	s_waitcnt vmcnt(2)
	s_delay_alu instid0(VALU_DEP_1) | instskip(SKIP_1) | instid1(VALU_DEP_1)
	v_fma_mix_f32 v1, v19, v2, v1 op_sel_hi:[0,1,0]
	s_waitcnt vmcnt(1)
	v_fma_mix_f32 v1, v10, v3, v1 op_sel_hi:[0,1,0]
	s_waitcnt vmcnt(0)
	s_delay_alu instid0(VALU_DEP_1)
	v_fma_mix_f32 v15, v9, v4, v1 op_sel_hi:[0,1,0]
.LBB383_37:
	s_or_b32 exec_lo, exec_lo, s3
	s_waitcnt vmcnt(0)
	v_fma_mix_f32 v16, v9, v22, v0 op_sel_hi:[0,1,0]
.LBB383_38:
	s_or_b32 exec_lo, exec_lo, s2
	s_waitcnt vmcnt(0)
	v_fma_mix_f32 v17, v9, v21, v17 op_sel_hi:[0,1,0]
.LBB383_39:
	s_or_b32 exec_lo, exec_lo, s0
	s_waitcnt vmcnt(0)
	v_fma_mix_f32 v18, v9, v14, v18 op_sel_hi:[0,1,0]
.LBB383_40:
	s_or_b32 exec_lo, exec_lo, s1
.LBB383_41:
	v_lshlrev_b32_e32 v0, 8, v13
	s_mov_b32 s0, exec_lo
                                        ; implicit-def: $vgpr3
	s_delay_alu instid0(VALU_DEP_1)
	v_add_lshl_u32 v0, v0, v12, 2
	ds_store_2addr_stride64_b32 v0, v18, v17 offset1:1
	ds_store_2addr_stride64_b32 v0, v16, v15 offset0:2 offset1:3
	s_waitcnt lgkmcnt(0)
	s_barrier
	buffer_gl0_inv
                                        ; implicit-def: $vgpr0_vgpr1
	v_cmpx_gt_u32_e32 0x100, v11
	s_cbranch_execz .LBB383_47
; %bb.42:
	v_lshlrev_b32_e32 v5, 2, v11
	v_or_b32_e32 v4, s24, v11
	s_mov_b32 s2, s23
	s_mov_b32 s1, exec_lo
	ds_load_2addr_stride64_b32 v[0:1], v5 offset1:4
	ds_load_2addr_stride64_b32 v[2:3], v5 offset0:8 offset1:12
	s_waitcnt lgkmcnt(1)
	v_add_f32_e32 v0, v0, v1
	s_waitcnt lgkmcnt(0)
	s_delay_alu instid0(VALU_DEP_1) | instskip(NEXT) | instid1(VALU_DEP_1)
	v_add_f32_e32 v0, v2, v0
	v_add_f32_e32 v2, v3, v0
                                        ; implicit-def: $vgpr3
                                        ; implicit-def: $vgpr0_vgpr1
	ds_store_b32 v5, v2
	v_cmpx_gt_i32_e64 s6, v4
	s_cbranch_execz .LBB383_46
; %bb.43:
	v_ashrrev_i32_e32 v3, 31, v4
	v_mul_lo_u32 v5, v4, s29
	v_mad_u64_u32 v[0:1], null, v4, s28, 0
	v_cmp_eq_f32_e64 s2, s21, 0
	s_delay_alu instid0(VALU_DEP_4) | instskip(SKIP_1) | instid1(VALU_DEP_3)
	v_mul_lo_u32 v3, v3, s28
	v_mul_f32_e32 v2, s22, v2
	s_and_b32 vcc_lo, exec_lo, s2
	s_delay_alu instid0(VALU_DEP_2)
	v_add3_u32 v1, v1, v5, v3
	s_cbranch_vccnz .LBB383_45
; %bb.44:
	s_delay_alu instid0(VALU_DEP_1) | instskip(NEXT) | instid1(VALU_DEP_1)
	v_lshlrev_b64 v[3:4], 1, v[0:1]
	v_add_co_u32 v3, vcc_lo, s5, v3
	s_delay_alu instid0(VALU_DEP_2)
	v_add_co_ci_u32_e32 v4, vcc_lo, s20, v4, vcc_lo
	global_load_u16 v3, v[3:4], off
	s_waitcnt vmcnt(0)
	v_fma_mix_f32 v2, s21, v3, v2 op_sel_hi:[0,1,0]
.LBB383_45:
	s_delay_alu instid0(VALU_DEP_1)
	v_cvt_f16_f32_e32 v3, v2
	s_or_b32 s2, s23, exec_lo
.LBB383_46:
	s_or_b32 exec_lo, exec_lo, s1
	s_delay_alu instid0(SALU_CYCLE_1) | instskip(SKIP_1) | instid1(SALU_CYCLE_1)
	s_and_not1_b32 s1, s23, exec_lo
	s_and_b32 s2, s2, exec_lo
	s_or_b32 s23, s1, s2
.LBB383_47:
	s_or_b32 exec_lo, exec_lo, s0
.LBB383_48:
	s_and_saveexec_b32 s0, s23
	s_cbranch_execz .LBB383_50
; %bb.49:
	v_lshlrev_b64 v[0:1], 1, v[0:1]
	s_delay_alu instid0(VALU_DEP_1) | instskip(NEXT) | instid1(VALU_DEP_2)
	v_add_co_u32 v0, vcc_lo, s5, v0
	v_add_co_ci_u32_e32 v1, vcc_lo, s20, v1, vcc_lo
	global_store_b16 v[0:1], v3, off
.LBB383_50:
	s_nop 0
	s_sendmsg sendmsg(MSG_DEALLOC_VGPRS)
	s_endpgm
	.section	.rodata,"a",@progbits
	.p2align	6, 0x0
	.amdhsa_kernel _ZL20rocblas_gemvn_kernelILi64ELi4ElDF16_PKfDF16_EviiT3_lPKT2_lT1_lS5_lS6_lS2_lPT4_lS6_li
		.amdhsa_group_segment_fixed_size 4096
		.amdhsa_private_segment_fixed_size 0
		.amdhsa_kernarg_size 400
		.amdhsa_user_sgpr_count 14
		.amdhsa_user_sgpr_dispatch_ptr 0
		.amdhsa_user_sgpr_queue_ptr 0
		.amdhsa_user_sgpr_kernarg_segment_ptr 1
		.amdhsa_user_sgpr_dispatch_id 0
		.amdhsa_user_sgpr_private_segment_size 0
		.amdhsa_wavefront_size32 1
		.amdhsa_uses_dynamic_stack 0
		.amdhsa_enable_private_segment 0
		.amdhsa_system_sgpr_workgroup_id_x 1
		.amdhsa_system_sgpr_workgroup_id_y 0
		.amdhsa_system_sgpr_workgroup_id_z 1
		.amdhsa_system_sgpr_workgroup_info 0
		.amdhsa_system_vgpr_workitem_id 1
		.amdhsa_next_free_vgpr 55
		.amdhsa_next_free_sgpr 52
		.amdhsa_reserve_vcc 1
		.amdhsa_float_round_mode_32 0
		.amdhsa_float_round_mode_16_64 0
		.amdhsa_float_denorm_mode_32 3
		.amdhsa_float_denorm_mode_16_64 3
		.amdhsa_dx10_clamp 1
		.amdhsa_ieee_mode 1
		.amdhsa_fp16_overflow 0
		.amdhsa_workgroup_processor_mode 1
		.amdhsa_memory_ordered 1
		.amdhsa_forward_progress 0
		.amdhsa_shared_vgpr_count 0
		.amdhsa_exception_fp_ieee_invalid_op 0
		.amdhsa_exception_fp_denorm_src 0
		.amdhsa_exception_fp_ieee_div_zero 0
		.amdhsa_exception_fp_ieee_overflow 0
		.amdhsa_exception_fp_ieee_underflow 0
		.amdhsa_exception_fp_ieee_inexact 0
		.amdhsa_exception_int_div_zero 0
	.end_amdhsa_kernel
	.section	.text._ZL20rocblas_gemvn_kernelILi64ELi4ElDF16_PKfDF16_EviiT3_lPKT2_lT1_lS5_lS6_lS2_lPT4_lS6_li,"axG",@progbits,_ZL20rocblas_gemvn_kernelILi64ELi4ElDF16_PKfDF16_EviiT3_lPKT2_lT1_lS5_lS6_lS2_lPT4_lS6_li,comdat
.Lfunc_end383:
	.size	_ZL20rocblas_gemvn_kernelILi64ELi4ElDF16_PKfDF16_EviiT3_lPKT2_lT1_lS5_lS6_lS2_lPT4_lS6_li, .Lfunc_end383-_ZL20rocblas_gemvn_kernelILi64ELi4ElDF16_PKfDF16_EviiT3_lPKT2_lT1_lS5_lS6_lS2_lPT4_lS6_li
                                        ; -- End function
	.section	.AMDGPU.csdata,"",@progbits
; Kernel info:
; codeLenInByte = 3564
; NumSgprs: 54
; NumVgprs: 55
; ScratchSize: 0
; MemoryBound: 0
; FloatMode: 240
; IeeeMode: 1
; LDSByteSize: 4096 bytes/workgroup (compile time only)
; SGPRBlocks: 6
; VGPRBlocks: 6
; NumSGPRsForWavesPerEU: 54
; NumVGPRsForWavesPerEU: 55
; Occupancy: 16
; WaveLimiterHint : 0
; COMPUTE_PGM_RSRC2:SCRATCH_EN: 0
; COMPUTE_PGM_RSRC2:USER_SGPR: 14
; COMPUTE_PGM_RSRC2:TRAP_HANDLER: 0
; COMPUTE_PGM_RSRC2:TGID_X_EN: 1
; COMPUTE_PGM_RSRC2:TGID_Y_EN: 0
; COMPUTE_PGM_RSRC2:TGID_Z_EN: 1
; COMPUTE_PGM_RSRC2:TIDIG_COMP_CNT: 1
	.section	.text._ZL20rocblas_gemvn_kernelILi64ELi4EiDF16_fDF16_EviiT3_lPKT2_lT1_lS3_lS4_lS0_lPT4_lS4_li,"axG",@progbits,_ZL20rocblas_gemvn_kernelILi64ELi4EiDF16_fDF16_EviiT3_lPKT2_lT1_lS3_lS4_lS0_lPT4_lS4_li,comdat
	.globl	_ZL20rocblas_gemvn_kernelILi64ELi4EiDF16_fDF16_EviiT3_lPKT2_lT1_lS3_lS4_lS0_lPT4_lS4_li ; -- Begin function _ZL20rocblas_gemvn_kernelILi64ELi4EiDF16_fDF16_EviiT3_lPKT2_lT1_lS3_lS4_lS0_lPT4_lS4_li
	.p2align	8
	.type	_ZL20rocblas_gemvn_kernelILi64ELi4EiDF16_fDF16_EviiT3_lPKT2_lT1_lS3_lS4_lS0_lPT4_lS4_li,@function
_ZL20rocblas_gemvn_kernelILi64ELi4EiDF16_fDF16_EviiT3_lPKT2_lT1_lS3_lS4_lS0_lPT4_lS4_li: ; @_ZL20rocblas_gemvn_kernelILi64ELi4EiDF16_fDF16_EviiT3_lPKT2_lT1_lS3_lS4_lS0_lPT4_lS4_li
; %bb.0:
	s_load_b64 s[2:3], s[0:1], 0x9c
	s_waitcnt lgkmcnt(0)
	s_lshr_b32 s4, s2, 16
	s_and_b32 s2, s2, 0xffff
	s_and_b32 s3, s3, 0xffff
	s_mul_i32 s2, s4, s2
	s_delay_alu instid0(SALU_CYCLE_1) | instskip(NEXT) | instid1(SALU_CYCLE_1)
	s_mul_i32 s2, s2, s3
	s_cmpk_lg_i32 s2, 0x100
	s_cbranch_scc1 .LBB384_50
; %bb.1:
	s_clause 0x1
	s_load_b128 s[4:7], s[0:1], 0x0
	s_load_b32 s13, s[0:1], 0x58
	s_mov_b32 s16, 0
	s_waitcnt lgkmcnt(0)
	v_cmp_eq_f32_e64 s2, s6, 0
	v_cmp_eq_f32_e64 s3, s13, 1.0
	s_delay_alu instid0(VALU_DEP_1) | instskip(NEXT) | instid1(SALU_CYCLE_1)
	s_and_b32 s2, s2, s3
	s_and_b32 vcc_lo, exec_lo, s2
	s_cbranch_vccnz .LBB384_50
; %bb.2:
	s_clause 0x2
	s_load_b64 s[2:3], s[0:1], 0x80
	s_load_b128 s[8:11], s[0:1], 0x68
	s_load_b32 s17, s[0:1], 0x78
	v_and_b32_e32 v1, 0x3ff, v0
	v_bfe_u32 v13, v0, 10, 10
	v_cmp_neq_f32_e64 s18, s6, 0
	s_delay_alu instid0(VALU_DEP_2)
	v_lshl_add_u32 v0, v13, 6, v1
	s_waitcnt lgkmcnt(0)
	s_mul_i32 s3, s15, s3
	s_mul_hi_u32 s7, s15, s2
	s_mul_i32 s2, s15, s2
	s_add_i32 s3, s7, s3
	s_delay_alu instid0(SALU_CYCLE_1) | instskip(NEXT) | instid1(SALU_CYCLE_1)
	s_lshl_b64 s[2:3], s[2:3], 1
	s_add_u32 s7, s8, s2
	s_addc_u32 s8, s9, s3
	s_lshl_b64 s[2:3], s[10:11], 1
	s_delay_alu instid0(SALU_CYCLE_1)
	s_add_u32 s7, s7, s2
	v_cmp_gt_u32_e64 s2, 0x100, v0
	s_addc_u32 s12, s8, s3
	s_and_b32 vcc_lo, exec_lo, s18
	s_cbranch_vccnz .LBB384_7
; %bb.3:
	s_mov_b32 s3, 0
                                        ; implicit-def: $vgpr5
                                        ; implicit-def: $vgpr2_vgpr3
	s_and_saveexec_b32 s8, s2
	s_cbranch_execz .LBB384_8
; %bb.4:
	v_lshl_or_b32 v4, s14, 8, v0
	v_mov_b32_e32 v5, 0
	s_ashr_i32 s11, s4, 31
	s_mov_b32 s10, s4
	s_mov_b32 s9, 0
                                        ; implicit-def: $vgpr2_vgpr3
	s_delay_alu instid0(VALU_DEP_1)
	v_cmp_gt_i64_e32 vcc_lo, s[10:11], v[4:5]
                                        ; implicit-def: $vgpr5
	s_and_saveexec_b32 s2, vcc_lo
	s_cbranch_execz .LBB384_10
; %bb.5:
	v_mad_u64_u32 v[2:3], null, s17, v4, 0
	s_ashr_i32 s9, s17, 31
	s_delay_alu instid0(VALU_DEP_1) | instid1(SALU_CYCLE_1)
	v_mad_u64_u32 v[5:6], null, s9, v4, v[3:4]
	v_cmp_eq_f32_e64 s9, s13, 0
	s_delay_alu instid0(VALU_DEP_1) | instskip(NEXT) | instid1(VALU_DEP_2)
	s_and_b32 vcc_lo, exec_lo, s9
	v_mov_b32_e32 v3, v5
	s_cbranch_vccnz .LBB384_9
; %bb.6:
	s_delay_alu instid0(VALU_DEP_1) | instskip(SKIP_1) | instid1(VALU_DEP_1)
	v_lshlrev_b64 v[4:5], 1, v[2:3]
	s_mov_b32 s9, exec_lo
	v_add_co_u32 v4, vcc_lo, s7, v4
	s_delay_alu instid0(VALU_DEP_2)
	v_add_co_ci_u32_e32 v5, vcc_lo, s12, v5, vcc_lo
	global_load_u16 v4, v[4:5], off
	s_waitcnt vmcnt(0)
	v_fma_mixlo_f16 v5, v4, s13, 0 op_sel_hi:[1,0,0]
	s_branch .LBB384_10
.LBB384_7:
                                        ; implicit-def: $vgpr5
                                        ; implicit-def: $vgpr2_vgpr3
	s_cbranch_execnz .LBB384_11
	s_branch .LBB384_48
.LBB384_8:
	s_or_b32 exec_lo, exec_lo, s8
	s_delay_alu instid0(SALU_CYCLE_1)
	s_and_b32 vcc_lo, exec_lo, s3
	s_cbranch_vccnz .LBB384_11
	s_branch .LBB384_48
.LBB384_9:
	v_mov_b32_e32 v5, 0
	s_mov_b32 s9, exec_lo
.LBB384_10:
	s_or_b32 exec_lo, exec_lo, s2
	s_delay_alu instid0(SALU_CYCLE_1) | instskip(SKIP_1) | instid1(SALU_CYCLE_1)
	s_and_b32 s16, s9, exec_lo
	s_or_b32 exec_lo, exec_lo, s8
	s_and_b32 vcc_lo, exec_lo, s3
	s_cbranch_vccz .LBB384_48
.LBB384_11:
	s_clause 0x4
	s_load_b128 s[8:11], s[0:1], 0x30
	s_load_b64 s[2:3], s[0:1], 0x50
	s_load_b128 s[20:23], s[0:1], 0x18
	s_load_b32 s19, s[0:1], 0x28
	s_load_b64 s[24:25], s[0:1], 0x40
	v_dual_mov_b32 v18, 0 :: v_dual_lshlrev_b32 v19, 2, v13
	v_dual_mov_b32 v15, 0 :: v_dual_mov_b32 v14, 0
	s_waitcnt lgkmcnt(0)
	s_mul_i32 s9, s15, s9
	s_mul_hi_u32 s18, s15, s8
	s_mul_i32 s8, s15, s8
	s_add_i32 s9, s18, s9
	s_mul_i32 s3, s15, s3
	s_lshl_b64 s[8:9], s[8:9], 1
	s_mul_hi_u32 s26, s15, s2
	s_add_u32 s18, s20, s8
	s_addc_u32 s20, s21, s9
	s_lshl_b64 s[8:9], s[22:23], 1
	s_mul_i32 s2, s15, s2
	s_add_u32 s15, s18, s8
	s_load_b32 s8, s[0:1], 0x48
	s_addc_u32 s18, s20, s9
	s_add_i32 s3, s26, s3
	s_mov_b32 s20, exec_lo
	s_lshl_b64 s[0:1], s[2:3], 1
	s_delay_alu instid0(SALU_CYCLE_1) | instskip(SKIP_2) | instid1(SALU_CYCLE_1)
	s_add_u32 s2, s10, s0
	s_addc_u32 s3, s11, s1
	s_lshl_b64 s[0:1], s[24:25], 1
	s_add_u32 s10, s2, s0
	s_addc_u32 s11, s3, s1
	s_ashr_i32 s0, s5, 31
	s_lshl_b32 s9, s14, 8
	s_lshr_b32 s0, s0, 28
	v_dual_mov_b32 v17, 0 :: v_dual_add_nc_u32 v16, s9, v1
	s_add_i32 s0, s5, s0
	s_delay_alu instid0(SALU_CYCLE_1) | instskip(NEXT) | instid1(SALU_CYCLE_1)
	s_and_b32 s14, s0, -16
	v_cmpx_gt_i32_e64 s14, v19
	s_cbranch_execz .LBB384_23
; %bb.12:
	v_mul_lo_u32 v3, s19, v19
	v_dual_mov_b32 v17, 0 :: v_dual_add_nc_u32 v2, 64, v16
	v_add_nc_u32_e32 v6, 2, v19
	v_dual_mov_b32 v18, 0 :: v_dual_add_nc_u32 v5, 0xc0, v16
	s_delay_alu instid0(VALU_DEP_3)
	v_cmp_gt_i32_e64 s0, s4, v2
	v_dual_mov_b32 v15, 0 :: v_dual_add_nc_u32 v4, 0x80, v16
	v_add3_u32 v20, v3, s19, v1
	v_mad_u64_u32 v[2:3], null, s19, v6, v[1:2]
	v_cmp_gt_i32_e64 s2, s4, v5
	v_mul_lo_u32 v5, v13, s19
	v_dual_mov_b32 v14, 0 :: v_dual_add_nc_u32 v7, 3, v19
	s_waitcnt lgkmcnt(0)
	v_mul_lo_u32 v8, v13, s8
	v_cmp_gt_i32_e64 s1, s4, v4
	v_mul_lo_u32 v22, s8, v6
	v_mad_u64_u32 v[3:4], null, s19, v7, v[1:2]
	v_lshl_add_u32 v21, v5, 2, v1
	v_mad_u64_u32 v[4:5], null, s8, v19, s[8:9]
	v_mul_lo_u32 v23, s8, v7
	v_cmp_gt_i32_e32 vcc_lo, s4, v16
	v_lshlrev_b32_e32 v24, 2, v8
	s_lshl_b32 s21, s19, 4
	s_lshl_b32 s23, s8, 4
	s_mov_b32 s22, 0
	s_mov_b32 s24, 0
	s_branch .LBB384_17
.LBB384_13:                             ;   in Loop: Header=BB384_17 Depth=1
	s_or_b32 exec_lo, exec_lo, s27
	s_waitcnt vmcnt(3)
	v_fma_mix_f32 v5, v37, v41, v15 op_sel_hi:[0,1,0]
	s_waitcnt vmcnt(2)
	s_delay_alu instid0(VALU_DEP_1) | instskip(SKIP_1) | instid1(VALU_DEP_1)
	v_fma_mix_f32 v5, v38, v42, v5 op_sel_hi:[0,1,0]
	s_waitcnt vmcnt(1)
	v_fma_mix_f32 v5, v39, v43, v5 op_sel_hi:[0,1,0]
	s_waitcnt vmcnt(0)
	s_delay_alu instid0(VALU_DEP_1)
	v_fma_mix_f32 v15, v40, v44, v5 op_sel_hi:[0,1,0]
.LBB384_14:                             ;   in Loop: Header=BB384_17 Depth=1
	s_or_b32 exec_lo, exec_lo, s26
	s_waitcnt vmcnt(3)
	v_fma_mix_f32 v5, v37, v33, v17 op_sel_hi:[0,1,0]
	s_waitcnt vmcnt(2)
	s_delay_alu instid0(VALU_DEP_1) | instskip(SKIP_1) | instid1(VALU_DEP_1)
	v_fma_mix_f32 v5, v38, v34, v5 op_sel_hi:[0,1,0]
	s_waitcnt vmcnt(1)
	v_fma_mix_f32 v5, v39, v35, v5 op_sel_hi:[0,1,0]
	s_waitcnt vmcnt(0)
	s_delay_alu instid0(VALU_DEP_1)
	v_fma_mix_f32 v17, v40, v36, v5 op_sel_hi:[0,1,0]
.LBB384_15:                             ;   in Loop: Header=BB384_17 Depth=1
	s_or_b32 exec_lo, exec_lo, s3
	s_waitcnt vmcnt(3)
	v_fma_mix_f32 v5, v25, v29, v18 op_sel_hi:[1,1,0]
	s_waitcnt vmcnt(2)
	s_delay_alu instid0(VALU_DEP_1) | instskip(SKIP_1) | instid1(VALU_DEP_1)
	v_fma_mix_f32 v5, v26, v30, v5 op_sel_hi:[1,1,0]
	s_waitcnt vmcnt(1)
	v_fma_mix_f32 v5, v27, v31, v5 op_sel_hi:[1,1,0]
	s_waitcnt vmcnt(0)
	s_delay_alu instid0(VALU_DEP_1)
	v_fma_mix_f32 v18, v28, v32, v5 op_sel_hi:[1,1,0]
.LBB384_16:                             ;   in Loop: Header=BB384_17 Depth=1
	s_or_b32 exec_lo, exec_lo, s25
	v_add_nc_u32_e32 v19, 16, v19
	v_add_nc_u32_e32 v20, s21, v20
	;; [unrolled: 1-line block ×5, first 2 shown]
	v_cmp_le_i32_e64 s3, s14, v19
	s_add_i32 s24, s24, s23
	s_delay_alu instid0(VALU_DEP_1) | instskip(NEXT) | instid1(SALU_CYCLE_1)
	s_or_b32 s22, s3, s22
	s_and_not1_b32 exec_lo, exec_lo, s22
	s_cbranch_execz .LBB384_22
.LBB384_17:                             ; =>This Inner Loop Header: Depth=1
	s_and_saveexec_b32 s25, vcc_lo
	s_cbranch_execz .LBB384_16
; %bb.18:                               ;   in Loop: Header=BB384_17 Depth=1
	v_add_nc_u32_e32 v5, s24, v24
	v_add_nc_u32_e32 v7, s24, v4
	;; [unrolled: 1-line block ×5, first 2 shown]
	v_ashrrev_i32_e32 v6, 31, v5
	v_ashrrev_i32_e32 v8, 31, v7
	;; [unrolled: 1-line block ×5, first 2 shown]
	v_lshlrev_b64 v[5:6], 1, v[5:6]
	v_lshlrev_b64 v[7:8], 1, v[7:8]
	;; [unrolled: 1-line block ×3, first 2 shown]
	s_delay_alu instid0(VALU_DEP_3) | instskip(NEXT) | instid1(VALU_DEP_1)
	v_add_co_u32 v27, s3, s10, v5
	v_add_co_ci_u32_e64 v28, s3, s11, v6, s3
	s_delay_alu instid0(VALU_DEP_4)
	v_add_co_u32 v29, s3, s10, v7
	v_add_nc_u32_e32 v7, s9, v20
	v_add_co_ci_u32_e64 v30, s3, s11, v8, s3
	v_lshlrev_b64 v[5:6], 1, v[11:12]
	v_add_co_u32 v31, s3, s10, v9
	v_add_nc_u32_e32 v11, s9, v2
	v_add_co_ci_u32_e64 v32, s3, s11, v10, s3
	v_lshlrev_b64 v[9:10], 1, v[25:26]
	v_ashrrev_i32_e32 v8, 31, v7
	v_add_nc_u32_e32 v25, s9, v3
	v_add_co_u32 v33, s3, s10, v5
	v_ashrrev_i32_e32 v12, 31, v11
	v_add_co_ci_u32_e64 v34, s3, s11, v6, s3
	v_lshlrev_b64 v[7:8], 1, v[7:8]
	v_add_co_u32 v5, s3, s15, v9
	v_ashrrev_i32_e32 v26, 31, v25
	v_add_co_ci_u32_e64 v6, s3, s18, v10, s3
	v_lshlrev_b64 v[9:10], 1, v[11:12]
	v_add_co_u32 v7, s3, s15, v7
	s_delay_alu instid0(VALU_DEP_4) | instskip(SKIP_1) | instid1(VALU_DEP_4)
	v_lshlrev_b64 v[11:12], 1, v[25:26]
	v_add_co_ci_u32_e64 v8, s3, s18, v8, s3
	v_add_co_u32 v9, s3, s15, v9
	s_delay_alu instid0(VALU_DEP_1) | instskip(NEXT) | instid1(VALU_DEP_4)
	v_add_co_ci_u32_e64 v10, s3, s18, v10, s3
	v_add_co_u32 v11, s3, s15, v11
	s_delay_alu instid0(VALU_DEP_1)
	v_add_co_ci_u32_e64 v12, s3, s18, v12, s3
	s_clause 0x3
	global_load_u16 v25, v[27:28], off
	global_load_u16 v26, v[29:30], off
	;; [unrolled: 1-line block ×4, first 2 shown]
	s_clause 0x3
	global_load_u16 v29, v[5:6], off
	global_load_u16 v30, v[7:8], off
	;; [unrolled: 1-line block ×4, first 2 shown]
	s_and_saveexec_b32 s3, s0
	s_cbranch_execz .LBB384_15
; %bb.19:                               ;   in Loop: Header=BB384_17 Depth=1
	s_clause 0x3
	global_load_u16 v33, v[5:6], off offset:128
	global_load_u16 v34, v[7:8], off offset:128
	;; [unrolled: 1-line block ×4, first 2 shown]
	s_waitcnt vmcnt(11)
	v_cvt_f32_f16_e32 v37, v25
	s_waitcnt vmcnt(10)
	v_cvt_f32_f16_e32 v38, v26
	;; [unrolled: 2-line block ×4, first 2 shown]
	s_and_saveexec_b32 s26, s1
	s_cbranch_execz .LBB384_14
; %bb.20:                               ;   in Loop: Header=BB384_17 Depth=1
	s_clause 0x3
	global_load_u16 v41, v[5:6], off offset:256
	global_load_u16 v42, v[7:8], off offset:256
	;; [unrolled: 1-line block ×4, first 2 shown]
	s_and_saveexec_b32 s27, s2
	s_cbranch_execz .LBB384_13
; %bb.21:                               ;   in Loop: Header=BB384_17 Depth=1
	s_clause 0x3
	global_load_u16 v5, v[5:6], off offset:384
	global_load_u16 v6, v[7:8], off offset:384
	;; [unrolled: 1-line block ×4, first 2 shown]
	s_waitcnt vmcnt(3)
	v_fma_mix_f32 v5, v37, v5, v14 op_sel_hi:[0,1,0]
	s_waitcnt vmcnt(2)
	s_delay_alu instid0(VALU_DEP_1) | instskip(SKIP_1) | instid1(VALU_DEP_1)
	v_fma_mix_f32 v5, v38, v6, v5 op_sel_hi:[0,1,0]
	s_waitcnt vmcnt(1)
	v_fma_mix_f32 v5, v39, v7, v5 op_sel_hi:[0,1,0]
	s_waitcnt vmcnt(0)
	s_delay_alu instid0(VALU_DEP_1)
	v_fma_mix_f32 v14, v40, v8, v5 op_sel_hi:[0,1,0]
	s_branch .LBB384_13
.LBB384_22:
	s_or_b32 exec_lo, exec_lo, s22
.LBB384_23:
	s_delay_alu instid0(SALU_CYCLE_1) | instskip(SKIP_1) | instid1(SALU_CYCLE_1)
	s_or_b32 exec_lo, exec_lo, s20
	s_sub_i32 s0, s5, s14
	s_cmp_lt_i32 s0, 1
	s_cbranch_scc1 .LBB384_41
; %bb.24:
	v_cmp_gt_i32_e32 vcc_lo, s5, v19
	v_dual_mov_b32 v10, 0 :: v_dual_mov_b32 v11, 0
	v_or_b32_e32 v2, 1, v19
	v_mov_b32_e32 v12, 0
	v_mov_b32_e32 v20, 0
	s_and_saveexec_b32 s1, vcc_lo
	s_cbranch_execz .LBB384_32
; %bb.25:
	s_waitcnt lgkmcnt(0)
	v_mul_lo_u32 v3, v19, s8
	v_dual_mov_b32 v12, 0 :: v_dual_mov_b32 v11, 0
	v_mov_b32_e32 v10, 0
	s_mov_b32 s2, exec_lo
	s_delay_alu instid0(VALU_DEP_3) | instskip(NEXT) | instid1(VALU_DEP_1)
	v_ashrrev_i32_e32 v4, 31, v3
	v_lshlrev_b64 v[3:4], 1, v[3:4]
	s_delay_alu instid0(VALU_DEP_1) | instskip(NEXT) | instid1(VALU_DEP_1)
	v_add_co_u32 v3, s0, s10, v3
	v_add_co_ci_u32_e64 v4, s0, s11, v4, s0
	global_load_u16 v3, v[3:4], off
	v_cmpx_gt_i32_e64 s5, v2
	s_cbranch_execz .LBB384_31
; %bb.26:
	v_mul_lo_u32 v4, v2, s8
	v_dual_mov_b32 v11, 0 :: v_dual_mov_b32 v10, 0
	s_mov_b32 s3, exec_lo
	s_delay_alu instid0(VALU_DEP_2) | instskip(NEXT) | instid1(VALU_DEP_1)
	v_ashrrev_i32_e32 v5, 31, v4
	v_lshlrev_b64 v[4:5], 1, v[4:5]
	s_delay_alu instid0(VALU_DEP_1) | instskip(NEXT) | instid1(VALU_DEP_1)
	v_add_co_u32 v4, s0, s10, v4
	v_add_co_ci_u32_e64 v5, s0, s11, v5, s0
	global_load_u16 v4, v[4:5], off
	v_or_b32_e32 v5, 2, v19
	s_delay_alu instid0(VALU_DEP_1)
	v_cmpx_gt_i32_e64 s5, v5
	s_cbranch_execz .LBB384_30
; %bb.27:
	v_mul_lo_u32 v5, v5, s8
	v_mov_b32_e32 v10, 0
	s_mov_b32 s14, exec_lo
	s_delay_alu instid0(VALU_DEP_2) | instskip(NEXT) | instid1(VALU_DEP_1)
	v_ashrrev_i32_e32 v6, 31, v5
	v_lshlrev_b64 v[5:6], 1, v[5:6]
	s_delay_alu instid0(VALU_DEP_1) | instskip(NEXT) | instid1(VALU_DEP_1)
	v_add_co_u32 v5, s0, s10, v5
	v_add_co_ci_u32_e64 v6, s0, s11, v6, s0
	global_load_u16 v5, v[5:6], off
	v_or_b32_e32 v6, 3, v19
	s_delay_alu instid0(VALU_DEP_1)
	v_cmpx_gt_i32_e64 s5, v6
	s_cbranch_execz .LBB384_29
; %bb.28:
	v_mul_lo_u32 v6, v6, s8
	s_delay_alu instid0(VALU_DEP_1) | instskip(NEXT) | instid1(VALU_DEP_1)
	v_ashrrev_i32_e32 v7, 31, v6
	v_lshlrev_b64 v[6:7], 1, v[6:7]
	s_delay_alu instid0(VALU_DEP_1) | instskip(NEXT) | instid1(VALU_DEP_1)
	v_add_co_u32 v6, s0, s10, v6
	v_add_co_ci_u32_e64 v7, s0, s11, v7, s0
	global_load_u16 v6, v[6:7], off
	s_waitcnt vmcnt(0)
	v_cvt_f32_f16_e32 v10, v6
.LBB384_29:
	s_or_b32 exec_lo, exec_lo, s14
	s_waitcnt vmcnt(0)
	v_cvt_f32_f16_e32 v11, v5
.LBB384_30:
	s_or_b32 exec_lo, exec_lo, s3
	s_waitcnt vmcnt(0)
	v_cvt_f32_f16_e32 v12, v4
.LBB384_31:
	s_or_b32 exec_lo, exec_lo, s2
	s_waitcnt vmcnt(0)
	v_cvt_f32_f16_e32 v20, v3
.LBB384_32:
	s_or_b32 exec_lo, exec_lo, s1
	s_delay_alu instid0(SALU_CYCLE_1)
	s_mov_b32 s1, exec_lo
	v_cmpx_gt_i32_e64 s4, v16
	s_cbranch_execz .LBB384_40
; %bb.33:
	v_mul_lo_u32 v3, v19, s19
	v_mul_lo_u32 v5, v2, s19
	v_or_b32_e32 v4, 2, v19
	v_or_b32_e32 v6, 3, v19
	s_mov_b32 s0, exec_lo
	s_delay_alu instid0(VALU_DEP_2)
	v_mul_lo_u32 v7, v4, s19
	v_cndmask_b32_e32 v3, 0, v3, vcc_lo
	v_cmp_gt_i32_e32 vcc_lo, s5, v2
	v_mul_lo_u32 v8, v6, s19
	v_cndmask_b32_e32 v5, 0, v5, vcc_lo
	v_cmp_gt_i32_e32 vcc_lo, s5, v4
	s_delay_alu instid0(VALU_DEP_2) | instskip(SKIP_2) | instid1(VALU_DEP_3)
	v_add_nc_u32_e32 v4, v5, v16
	v_dual_cndmask_b32 v7, 0, v7 :: v_dual_add_nc_u32 v2, v3, v16
	v_cmp_gt_i32_e32 vcc_lo, s5, v6
	v_ashrrev_i32_e32 v5, 31, v4
	s_delay_alu instid0(VALU_DEP_3) | instskip(SKIP_2) | instid1(VALU_DEP_4)
	v_ashrrev_i32_e32 v3, 31, v2
	v_cndmask_b32_e32 v8, 0, v8, vcc_lo
	v_add_nc_u32_e32 v6, v7, v16
	v_lshlrev_b64 v[4:5], 1, v[4:5]
	s_delay_alu instid0(VALU_DEP_4) | instskip(NEXT) | instid1(VALU_DEP_4)
	v_lshlrev_b64 v[2:3], 1, v[2:3]
	v_add_nc_u32_e32 v8, v8, v16
	s_delay_alu instid0(VALU_DEP_4) | instskip(NEXT) | instid1(VALU_DEP_3)
	v_ashrrev_i32_e32 v7, 31, v6
	v_add_co_u32 v2, vcc_lo, s15, v2
	s_delay_alu instid0(VALU_DEP_2)
	v_lshlrev_b64 v[6:7], 1, v[6:7]
	v_add_co_ci_u32_e32 v3, vcc_lo, s18, v3, vcc_lo
	v_ashrrev_i32_e32 v9, 31, v8
	v_add_co_u32 v4, vcc_lo, s15, v4
	v_add_co_ci_u32_e32 v5, vcc_lo, s18, v5, vcc_lo
	global_load_u16 v21, v[2:3], off
	v_add_co_u32 v6, vcc_lo, s15, v6
	v_add_co_ci_u32_e32 v7, vcc_lo, s18, v7, vcc_lo
	v_lshlrev_b64 v[8:9], 1, v[8:9]
	s_clause 0x1
	global_load_u16 v22, v[4:5], off
	global_load_u16 v23, v[6:7], off
	v_add_co_u32 v8, vcc_lo, s15, v8
	v_add_co_ci_u32_e32 v9, vcc_lo, s18, v9, vcc_lo
	global_load_u16 v19, v[8:9], off
	s_waitcnt vmcnt(3)
	v_fma_mix_f32 v18, v20, v21, v18 op_sel_hi:[0,1,0]
	v_add_nc_u32_e32 v21, 64, v16
	s_waitcnt vmcnt(2)
	s_delay_alu instid0(VALU_DEP_2) | instskip(SKIP_1) | instid1(VALU_DEP_1)
	v_fma_mix_f32 v18, v12, v22, v18 op_sel_hi:[0,1,0]
	s_waitcnt vmcnt(1)
	v_fma_mix_f32 v18, v11, v23, v18 op_sel_hi:[0,1,0]
	v_cmpx_gt_i32_e64 s4, v21
	s_cbranch_execz .LBB384_39
; %bb.34:
	s_clause 0x3
	global_load_u16 v22, v[2:3], off offset:128
	global_load_u16 v23, v[4:5], off offset:128
	;; [unrolled: 1-line block ×4, first 2 shown]
	s_mov_b32 s2, exec_lo
	s_waitcnt vmcnt(3)
	v_fma_mix_f32 v17, v20, v22, v17 op_sel_hi:[0,1,0]
	v_add_nc_u32_e32 v22, 0x80, v16
	s_waitcnt vmcnt(2)
	s_delay_alu instid0(VALU_DEP_2) | instskip(SKIP_1) | instid1(VALU_DEP_1)
	v_fma_mix_f32 v17, v12, v23, v17 op_sel_hi:[0,1,0]
	s_waitcnt vmcnt(1)
	v_fma_mix_f32 v17, v11, v24, v17 op_sel_hi:[0,1,0]
	v_cmpx_gt_i32_e64 s4, v22
	s_cbranch_execz .LBB384_38
; %bb.35:
	s_clause 0x3
	global_load_u16 v23, v[2:3], off offset:256
	global_load_u16 v24, v[4:5], off offset:256
	;; [unrolled: 1-line block ×4, first 2 shown]
	v_add_nc_u32_e32 v16, 0xc0, v16
	s_mov_b32 s3, exec_lo
	s_waitcnt vmcnt(3)
	v_fma_mix_f32 v15, v20, v23, v15 op_sel_hi:[0,1,0]
	s_waitcnt vmcnt(2)
	s_delay_alu instid0(VALU_DEP_1) | instskip(SKIP_1) | instid1(VALU_DEP_1)
	v_fma_mix_f32 v15, v12, v24, v15 op_sel_hi:[0,1,0]
	s_waitcnt vmcnt(1)
	v_fma_mix_f32 v15, v11, v25, v15 op_sel_hi:[0,1,0]
	v_cmpx_gt_i32_e64 s4, v16
	s_cbranch_execz .LBB384_37
; %bb.36:
	s_clause 0x3
	global_load_u16 v2, v[2:3], off offset:384
	global_load_u16 v3, v[4:5], off offset:384
	;; [unrolled: 1-line block ×4, first 2 shown]
	s_waitcnt vmcnt(3)
	v_fma_mix_f32 v2, v20, v2, v14 op_sel_hi:[0,1,0]
	s_waitcnt vmcnt(2)
	s_delay_alu instid0(VALU_DEP_1) | instskip(SKIP_1) | instid1(VALU_DEP_1)
	v_fma_mix_f32 v2, v12, v3, v2 op_sel_hi:[0,1,0]
	s_waitcnt vmcnt(1)
	v_fma_mix_f32 v2, v11, v4, v2 op_sel_hi:[0,1,0]
	s_waitcnt vmcnt(0)
	s_delay_alu instid0(VALU_DEP_1)
	v_fma_mix_f32 v14, v10, v5, v2 op_sel_hi:[0,1,0]
.LBB384_37:
	s_or_b32 exec_lo, exec_lo, s3
	s_waitcnt vmcnt(0)
	v_fma_mix_f32 v15, v10, v22, v15 op_sel_hi:[0,1,0]
.LBB384_38:
	s_or_b32 exec_lo, exec_lo, s2
	s_waitcnt vmcnt(0)
	v_fma_mix_f32 v17, v10, v21, v17 op_sel_hi:[0,1,0]
.LBB384_39:
	s_or_b32 exec_lo, exec_lo, s0
	s_waitcnt vmcnt(0)
	v_fma_mix_f32 v18, v10, v19, v18 op_sel_hi:[0,1,0]
.LBB384_40:
	s_or_b32 exec_lo, exec_lo, s1
.LBB384_41:
	v_lshlrev_b32_e32 v2, 8, v13
	s_mov_b32 s0, exec_lo
                                        ; implicit-def: $vgpr5
	s_delay_alu instid0(VALU_DEP_1)
	v_add_lshl_u32 v1, v2, v1, 2
                                        ; implicit-def: $vgpr2_vgpr3
	ds_store_2addr_stride64_b32 v1, v18, v17 offset1:1
	ds_store_2addr_stride64_b32 v1, v15, v14 offset0:2 offset1:3
	s_waitcnt lgkmcnt(0)
	s_barrier
	buffer_gl0_inv
	v_cmpx_gt_u32_e32 0x100, v0
	s_cbranch_execz .LBB384_47
; %bb.42:
	v_lshlrev_b32_e32 v5, 2, v0
	s_mov_b32 s2, s16
	s_mov_b32 s1, exec_lo
	ds_load_2addr_stride64_b32 v[1:2], v5 offset1:4
	ds_load_2addr_stride64_b32 v[3:4], v5 offset0:8 offset1:12
	s_waitcnt lgkmcnt(1)
	v_add_f32_e32 v1, v1, v2
	s_waitcnt lgkmcnt(0)
	s_delay_alu instid0(VALU_DEP_1) | instskip(SKIP_1) | instid1(VALU_DEP_2)
	v_add_f32_e32 v2, v3, v1
	v_or_b32_e32 v1, s9, v0
	v_add_f32_e32 v0, v4, v2
                                        ; implicit-def: $vgpr2_vgpr3
	ds_store_b32 v5, v0
                                        ; implicit-def: $vgpr5
	v_cmpx_gt_i32_e64 s4, v1
	s_cbranch_execz .LBB384_46
; %bb.43:
	v_mul_lo_u32 v2, v1, s17
	v_cmp_eq_f32_e64 s2, s13, 0
	v_mul_f32_e32 v0, s6, v0
	s_delay_alu instid0(VALU_DEP_2) | instskip(NEXT) | instid1(VALU_DEP_3)
	s_and_b32 vcc_lo, exec_lo, s2
	v_ashrrev_i32_e32 v3, 31, v2
	s_cbranch_vccnz .LBB384_45
; %bb.44:
	s_delay_alu instid0(VALU_DEP_1) | instskip(NEXT) | instid1(VALU_DEP_1)
	v_lshlrev_b64 v[4:5], 1, v[2:3]
	v_add_co_u32 v4, vcc_lo, s7, v4
	s_delay_alu instid0(VALU_DEP_2)
	v_add_co_ci_u32_e32 v5, vcc_lo, s12, v5, vcc_lo
	global_load_u16 v1, v[4:5], off
	s_waitcnt vmcnt(0)
	v_fma_mix_f32 v0, v1, s13, v0 op_sel_hi:[1,0,0]
.LBB384_45:
	s_delay_alu instid0(VALU_DEP_1)
	v_cvt_f16_f32_e32 v5, v0
	s_or_b32 s2, s16, exec_lo
.LBB384_46:
	s_or_b32 exec_lo, exec_lo, s1
	s_delay_alu instid0(SALU_CYCLE_1) | instskip(SKIP_1) | instid1(SALU_CYCLE_1)
	s_and_not1_b32 s1, s16, exec_lo
	s_and_b32 s2, s2, exec_lo
	s_or_b32 s16, s1, s2
.LBB384_47:
	s_or_b32 exec_lo, exec_lo, s0
.LBB384_48:
	s_and_saveexec_b32 s0, s16
	s_cbranch_execz .LBB384_50
; %bb.49:
	v_lshlrev_b64 v[0:1], 1, v[2:3]
	s_delay_alu instid0(VALU_DEP_1) | instskip(NEXT) | instid1(VALU_DEP_2)
	v_add_co_u32 v0, vcc_lo, s7, v0
	v_add_co_ci_u32_e32 v1, vcc_lo, s12, v1, vcc_lo
	global_store_b16 v[0:1], v5, off
.LBB384_50:
	s_nop 0
	s_sendmsg sendmsg(MSG_DEALLOC_VGPRS)
	s_endpgm
	.section	.rodata,"a",@progbits
	.p2align	6, 0x0
	.amdhsa_kernel _ZL20rocblas_gemvn_kernelILi64ELi4EiDF16_fDF16_EviiT3_lPKT2_lT1_lS3_lS4_lS0_lPT4_lS4_li
		.amdhsa_group_segment_fixed_size 4096
		.amdhsa_private_segment_fixed_size 0
		.amdhsa_kernarg_size 400
		.amdhsa_user_sgpr_count 14
		.amdhsa_user_sgpr_dispatch_ptr 0
		.amdhsa_user_sgpr_queue_ptr 0
		.amdhsa_user_sgpr_kernarg_segment_ptr 1
		.amdhsa_user_sgpr_dispatch_id 0
		.amdhsa_user_sgpr_private_segment_size 0
		.amdhsa_wavefront_size32 1
		.amdhsa_uses_dynamic_stack 0
		.amdhsa_enable_private_segment 0
		.amdhsa_system_sgpr_workgroup_id_x 1
		.amdhsa_system_sgpr_workgroup_id_y 0
		.amdhsa_system_sgpr_workgroup_id_z 1
		.amdhsa_system_sgpr_workgroup_info 0
		.amdhsa_system_vgpr_workitem_id 1
		.amdhsa_next_free_vgpr 45
		.amdhsa_next_free_sgpr 28
		.amdhsa_reserve_vcc 1
		.amdhsa_float_round_mode_32 0
		.amdhsa_float_round_mode_16_64 0
		.amdhsa_float_denorm_mode_32 3
		.amdhsa_float_denorm_mode_16_64 3
		.amdhsa_dx10_clamp 1
		.amdhsa_ieee_mode 1
		.amdhsa_fp16_overflow 0
		.amdhsa_workgroup_processor_mode 1
		.amdhsa_memory_ordered 1
		.amdhsa_forward_progress 0
		.amdhsa_shared_vgpr_count 0
		.amdhsa_exception_fp_ieee_invalid_op 0
		.amdhsa_exception_fp_denorm_src 0
		.amdhsa_exception_fp_ieee_div_zero 0
		.amdhsa_exception_fp_ieee_overflow 0
		.amdhsa_exception_fp_ieee_underflow 0
		.amdhsa_exception_fp_ieee_inexact 0
		.amdhsa_exception_int_div_zero 0
	.end_amdhsa_kernel
	.section	.text._ZL20rocblas_gemvn_kernelILi64ELi4EiDF16_fDF16_EviiT3_lPKT2_lT1_lS3_lS4_lS0_lPT4_lS4_li,"axG",@progbits,_ZL20rocblas_gemvn_kernelILi64ELi4EiDF16_fDF16_EviiT3_lPKT2_lT1_lS3_lS4_lS0_lPT4_lS4_li,comdat
.Lfunc_end384:
	.size	_ZL20rocblas_gemvn_kernelILi64ELi4EiDF16_fDF16_EviiT3_lPKT2_lT1_lS3_lS4_lS0_lPT4_lS4_li, .Lfunc_end384-_ZL20rocblas_gemvn_kernelILi64ELi4EiDF16_fDF16_EviiT3_lPKT2_lT1_lS3_lS4_lS0_lPT4_lS4_li
                                        ; -- End function
	.section	.AMDGPU.csdata,"",@progbits
; Kernel info:
; codeLenInByte = 3044
; NumSgprs: 30
; NumVgprs: 45
; ScratchSize: 0
; MemoryBound: 0
; FloatMode: 240
; IeeeMode: 1
; LDSByteSize: 4096 bytes/workgroup (compile time only)
; SGPRBlocks: 3
; VGPRBlocks: 5
; NumSGPRsForWavesPerEU: 30
; NumVGPRsForWavesPerEU: 45
; Occupancy: 16
; WaveLimiterHint : 1
; COMPUTE_PGM_RSRC2:SCRATCH_EN: 0
; COMPUTE_PGM_RSRC2:USER_SGPR: 14
; COMPUTE_PGM_RSRC2:TRAP_HANDLER: 0
; COMPUTE_PGM_RSRC2:TGID_X_EN: 1
; COMPUTE_PGM_RSRC2:TGID_Y_EN: 0
; COMPUTE_PGM_RSRC2:TGID_Z_EN: 1
; COMPUTE_PGM_RSRC2:TIDIG_COMP_CNT: 1
	.section	.text._ZL20rocblas_gemvn_kernelILi64ELi4ElDF16_fDF16_EviiT3_lPKT2_lT1_lS3_lS4_lS0_lPT4_lS4_li,"axG",@progbits,_ZL20rocblas_gemvn_kernelILi64ELi4ElDF16_fDF16_EviiT3_lPKT2_lT1_lS3_lS4_lS0_lPT4_lS4_li,comdat
	.globl	_ZL20rocblas_gemvn_kernelILi64ELi4ElDF16_fDF16_EviiT3_lPKT2_lT1_lS3_lS4_lS0_lPT4_lS4_li ; -- Begin function _ZL20rocblas_gemvn_kernelILi64ELi4ElDF16_fDF16_EviiT3_lPKT2_lT1_lS3_lS4_lS0_lPT4_lS4_li
	.p2align	8
	.type	_ZL20rocblas_gemvn_kernelILi64ELi4ElDF16_fDF16_EviiT3_lPKT2_lT1_lS3_lS4_lS0_lPT4_lS4_li,@function
_ZL20rocblas_gemvn_kernelILi64ELi4ElDF16_fDF16_EviiT3_lPKT2_lT1_lS3_lS4_lS0_lPT4_lS4_li: ; @_ZL20rocblas_gemvn_kernelILi64ELi4ElDF16_fDF16_EviiT3_lPKT2_lT1_lS3_lS4_lS0_lPT4_lS4_li
; %bb.0:
	s_load_b64 s[2:3], s[0:1], 0x9c
	s_waitcnt lgkmcnt(0)
	s_lshr_b32 s4, s2, 16
	s_and_b32 s2, s2, 0xffff
	s_and_b32 s3, s3, 0xffff
	s_mul_i32 s2, s4, s2
	s_delay_alu instid0(SALU_CYCLE_1) | instskip(NEXT) | instid1(SALU_CYCLE_1)
	s_mul_i32 s2, s2, s3
	s_cmpk_lg_i32 s2, 0x100
	s_cbranch_scc1 .LBB385_50
; %bb.1:
	s_clause 0x1
	s_load_b128 s[36:39], s[0:1], 0x0
	s_load_b32 s34, s[0:1], 0x58
	s_mov_b32 s35, 0
	s_waitcnt lgkmcnt(0)
	v_cmp_eq_f32_e64 s2, s38, 0
	v_cmp_eq_f32_e64 s3, s34, 1.0
	s_delay_alu instid0(VALU_DEP_1) | instskip(NEXT) | instid1(SALU_CYCLE_1)
	s_and_b32 s2, s2, s3
	s_and_b32 vcc_lo, exec_lo, s2
	s_cbranch_vccnz .LBB385_50
; %bb.2:
	s_load_b256 s[4:11], s[0:1], 0x68
	v_and_b32_e32 v12, 0x3ff, v0
	v_bfe_u32 v13, v0, 10, 10
	s_delay_alu instid0(VALU_DEP_1)
	v_lshl_add_u32 v11, v13, 6, v12
	s_waitcnt lgkmcnt(0)
	s_mul_i32 s3, s15, s11
	s_mul_hi_u32 s11, s15, s10
	s_mul_i32 s2, s15, s10
	s_add_i32 s3, s11, s3
	v_cmp_neq_f32_e64 s10, s38, 0
	s_lshl_b64 s[2:3], s[2:3], 1
	s_delay_alu instid0(SALU_CYCLE_1) | instskip(SKIP_2) | instid1(SALU_CYCLE_1)
	s_add_u32 s4, s4, s2
	s_addc_u32 s11, s5, s3
	s_lshl_b64 s[2:3], s[6:7], 1
	s_add_u32 s5, s4, s2
	v_cmp_gt_u32_e64 s2, 0x100, v11
	s_addc_u32 s33, s11, s3
	s_and_b32 vcc_lo, exec_lo, s10
	s_cbranch_vccnz .LBB385_7
; %bb.3:
	s_mov_b32 s3, 0
                                        ; implicit-def: $vgpr3
                                        ; implicit-def: $vgpr0_vgpr1
	s_and_saveexec_b32 s4, s2
	s_cbranch_execz .LBB385_8
; %bb.4:
	v_lshl_or_b32 v2, s14, 8, v11
	v_mov_b32_e32 v3, 0
	s_ashr_i32 s7, s36, 31
	s_mov_b32 s6, s36
                                        ; implicit-def: $vgpr0_vgpr1
	s_delay_alu instid0(VALU_DEP_1) | instid1(SALU_CYCLE_1)
	v_cmp_gt_i64_e32 vcc_lo, s[6:7], v[2:3]
	s_mov_b32 s6, 0
                                        ; implicit-def: $vgpr3
	s_and_saveexec_b32 s2, vcc_lo
	s_cbranch_execz .LBB385_10
; %bb.5:
	v_mad_u64_u32 v[0:1], null, v2, s8, 0
	v_cmp_eq_f32_e64 s6, s34, 0
	s_delay_alu instid0(VALU_DEP_1) | instskip(NEXT) | instid1(VALU_DEP_2)
	s_and_b32 vcc_lo, exec_lo, s6
	v_mad_u64_u32 v[3:4], null, v2, s9, v[1:2]
	s_delay_alu instid0(VALU_DEP_1)
	v_mov_b32_e32 v1, v3
	s_cbranch_vccnz .LBB385_9
; %bb.6:
	s_delay_alu instid0(VALU_DEP_1) | instskip(SKIP_1) | instid1(VALU_DEP_1)
	v_lshlrev_b64 v[2:3], 1, v[0:1]
	s_mov_b32 s6, exec_lo
	v_add_co_u32 v2, vcc_lo, s5, v2
	s_delay_alu instid0(VALU_DEP_2)
	v_add_co_ci_u32_e32 v3, vcc_lo, s33, v3, vcc_lo
	global_load_u16 v2, v[2:3], off
	s_waitcnt vmcnt(0)
	v_fma_mixlo_f16 v3, v2, s34, 0 op_sel_hi:[1,0,0]
	s_branch .LBB385_10
.LBB385_7:
                                        ; implicit-def: $vgpr3
                                        ; implicit-def: $vgpr0_vgpr1
	s_cbranch_execnz .LBB385_11
	s_branch .LBB385_48
.LBB385_8:
	s_or_b32 exec_lo, exec_lo, s4
	s_delay_alu instid0(SALU_CYCLE_1)
	s_and_b32 vcc_lo, exec_lo, s3
	s_cbranch_vccnz .LBB385_11
	s_branch .LBB385_48
.LBB385_9:
	v_mov_b32_e32 v3, 0
	s_mov_b32 s6, exec_lo
.LBB385_10:
	s_or_b32 exec_lo, exec_lo, s2
	s_delay_alu instid0(SALU_CYCLE_1) | instskip(SKIP_1) | instid1(SALU_CYCLE_1)
	s_and_b32 s35, s6, exec_lo
	s_or_b32 exec_lo, exec_lo, s4
	s_and_b32 vcc_lo, exec_lo, s3
	s_cbranch_vccz .LBB385_48
.LBB385_11:
	s_load_b512 s[16:31], s[0:1], 0x18
	s_ashr_i32 s0, s37, 31
	s_lshl_b32 s39, s14, 8
	s_lshr_b32 s0, s0, 28
	v_dual_mov_b32 v17, 0 :: v_dual_lshlrev_b32 v14, 2, v13
	s_add_i32 s0, s37, s0
	v_dual_mov_b32 v18, 0 :: v_dual_mov_b32 v15, 0
	v_mov_b32_e32 v16, 0
	v_add_nc_u32_e32 v0, s39, v12
	s_and_b32 s40, s0, -16
	s_waitcnt lgkmcnt(0)
	s_mul_i32 s0, s15, s23
	s_mul_hi_u32 s1, s15, s22
	s_mul_i32 s2, s15, s31
	s_mul_hi_u32 s3, s15, s30
	s_mul_i32 s6, s15, s22
	s_add_i32 s7, s1, s0
	s_add_i32 s11, s3, s2
	s_mul_i32 s10, s15, s30
	s_mov_b32 s30, exec_lo
	v_cmpx_gt_i32_e64 s40, v14
	s_cbranch_execz .LBB385_23
; %bb.12:
	v_lshlrev_b32_e32 v29, 2, v13
	v_mad_u64_u32 v[2:3], null, s28, v13, 0
	v_add_nc_u32_e32 v15, 64, v0
	s_lshl_b64 s[0:1], s[10:11], 1
	s_delay_alu instid0(VALU_DEP_3)
	v_or_b32_e32 v17, 3, v29
	s_lshl_b64 s[12:13], s[26:27], 1
	s_add_u32 s4, s24, s0
	s_addc_u32 s31, s25, s1
	v_cmp_gt_i32_e64 s0, s36, v15
	v_mad_u64_u32 v[4:5], null, s20, v17, 0
	s_lshl_b64 s[22:23], s[18:19], 1
	s_lshl_b64 s[14:15], s[28:29], 5
	;; [unrolled: 1-line block ×3, first 2 shown]
	v_ashrrev_i32_e32 v1, 31, v0
	v_cmp_gt_i32_e32 vcc_lo, s36, v0
	s_delay_alu instid0(VALU_DEP_3) | instskip(SKIP_3) | instid1(VALU_DEP_4)
	v_mad_u64_u32 v[6:7], null, s29, v13, v[3:4]
	v_add_nc_u32_e32 v16, 0x80, v0
	v_mad_u64_u32 v[7:8], null, s28, v17, 0
	v_add_nc_u32_e32 v18, 0xc0, v0
	v_mad_u64_u32 v[9:10], null, s21, v17, v[5:6]
	v_mov_b32_e32 v3, v6
	v_cmp_gt_i32_e64 s1, s36, v16
	s_delay_alu instid0(VALU_DEP_2)
	v_lshlrev_b64 v[15:16], 3, v[2:3]
	v_mov_b32_e32 v3, v8
	v_mov_b32_e32 v5, v9
	v_mad_u64_u32 v[9:10], null, s20, v13, 0
	v_cmp_gt_i32_e64 s2, s36, v18
	v_add_co_u32 v19, s3, s4, v15
	s_delay_alu instid0(VALU_DEP_4) | instskip(SKIP_4) | instid1(VALU_DEP_2)
	v_lshlrev_b64 v[4:5], 1, v[4:5]
	v_add_co_ci_u32_e64 v20, s3, s31, v16, s3
	s_add_u32 s3, s16, s22
	s_addc_u32 s22, s17, s23
	s_add_u32 s23, s3, s42
	v_mad_u64_u32 v[15:16], null, s29, v17, v[3:4]
	v_mov_b32_e32 v3, v10
	s_addc_u32 s22, s22, s43
	v_add_co_u32 v21, s3, s23, v4
	s_delay_alu instid0(VALU_DEP_1) | instskip(NEXT) | instid1(VALU_DEP_4)
	v_add_co_ci_u32_e64 v22, s3, s22, v5, s3
	v_mov_b32_e32 v8, v15
	v_or_b32_e32 v23, 2, v29
	v_mad_u64_u32 v[17:18], null, s21, v13, v[3:4]
	v_mad_u64_u32 v[31:32], null, s20, v29, s[20:21]
	s_delay_alu instid0(VALU_DEP_3)
	v_mad_u64_u32 v[15:16], null, s20, v23, 0
	v_lshlrev_b64 v[4:5], 1, v[7:8]
	v_mad_u64_u32 v[27:28], null, s28, v23, 0
	v_mov_b32_e32 v10, v17
	v_mad_u64_u32 v[17:18], null, s28, v29, s[28:29]
	v_mov_b32_e32 v3, v16
	v_lshlrev_b64 v[1:2], 1, v[0:1]
	v_mov_b32_e32 v6, v28
	s_delay_alu instid0(VALU_DEP_3) | instskip(SKIP_1) | instid1(VALU_DEP_2)
	v_mad_u64_u32 v[7:8], null, s21, v23, v[3:4]
	v_mov_b32_e32 v3, v18
	v_mad_u64_u32 v[25:26], null, s29, v23, v[6:7]
	v_add_co_u32 v23, s3, s4, v4
	s_delay_alu instid0(VALU_DEP_1) | instskip(SKIP_3) | instid1(VALU_DEP_3)
	v_add_co_ci_u32_e64 v24, s3, s31, v5, s3
	v_lshlrev_b64 v[4:5], 3, v[9:10]
	v_mov_b32_e32 v16, v7
	v_mov_b32_e32 v28, v25
	v_mad_u64_u32 v[6:7], null, s29, v29, v[3:4]
	v_add_co_u32 v25, s3, s23, v4
	s_delay_alu instid0(VALU_DEP_1) | instskip(SKIP_1) | instid1(VALU_DEP_4)
	v_add_co_ci_u32_e64 v26, s3, s22, v5, s3
	v_lshlrev_b64 v[4:5], 1, v[15:16]
	v_dual_mov_b32 v3, v32 :: v_dual_mov_b32 v18, v6
	v_dual_mov_b32 v16, 0 :: v_dual_mov_b32 v15, 0
	s_delay_alu instid0(VALU_DEP_2)
	v_mad_u64_u32 v[7:8], null, s21, v29, v[3:4]
	v_lshlrev_b64 v[8:9], 1, v[27:28]
	v_add_co_u32 v27, s3, s23, v4
	v_lshlrev_b64 v[3:4], 1, v[17:18]
	v_add_co_ci_u32_e64 v28, s3, s22, v5, s3
	v_mov_b32_e32 v32, v7
	v_add_co_u32 v29, s3, s4, v8
	s_delay_alu instid0(VALU_DEP_1) | instskip(NEXT) | instid1(VALU_DEP_3)
	v_add_co_ci_u32_e64 v30, s3, s31, v9, s3
	v_lshlrev_b64 v[5:6], 1, v[31:32]
	v_add_co_u32 v31, s3, s4, v3
	s_delay_alu instid0(VALU_DEP_1) | instskip(SKIP_1) | instid1(VALU_DEP_4)
	v_add_co_ci_u32_e64 v32, s3, s31, v4, s3
	v_dual_mov_b32 v18, 0 :: v_dual_mov_b32 v17, 0
	v_add_co_u32 v33, s3, s23, v5
	s_delay_alu instid0(VALU_DEP_1)
	v_add_co_ci_u32_e64 v34, s3, s22, v6, s3
	s_lshl_b64 s[22:23], s[20:21], 5
	s_mov_b32 s31, 0
	s_branch .LBB385_17
.LBB385_13:                             ;   in Loop: Header=BB385_17 Depth=1
	s_or_b32 exec_lo, exec_lo, s42
	s_waitcnt vmcnt(3)
	v_fma_mix_f32 v3, v47, v51, v16 op_sel_hi:[0,1,0]
	s_waitcnt vmcnt(2)
	s_delay_alu instid0(VALU_DEP_1) | instskip(SKIP_1) | instid1(VALU_DEP_1)
	v_fma_mix_f32 v3, v48, v52, v3 op_sel_hi:[0,1,0]
	s_waitcnt vmcnt(1)
	v_fma_mix_f32 v3, v49, v53, v3 op_sel_hi:[0,1,0]
	s_waitcnt vmcnt(0)
	s_delay_alu instid0(VALU_DEP_1)
	v_fma_mix_f32 v16, v50, v54, v3 op_sel_hi:[0,1,0]
.LBB385_14:                             ;   in Loop: Header=BB385_17 Depth=1
	s_or_b32 exec_lo, exec_lo, s41
	s_waitcnt vmcnt(3)
	v_fma_mix_f32 v3, v47, v43, v17 op_sel_hi:[0,1,0]
	s_waitcnt vmcnt(2)
	s_delay_alu instid0(VALU_DEP_1) | instskip(SKIP_1) | instid1(VALU_DEP_1)
	v_fma_mix_f32 v3, v48, v44, v3 op_sel_hi:[0,1,0]
	s_waitcnt vmcnt(1)
	v_fma_mix_f32 v3, v49, v45, v3 op_sel_hi:[0,1,0]
	s_waitcnt vmcnt(0)
	s_delay_alu instid0(VALU_DEP_1)
	v_fma_mix_f32 v17, v50, v46, v3 op_sel_hi:[0,1,0]
.LBB385_15:                             ;   in Loop: Header=BB385_17 Depth=1
	s_or_b32 exec_lo, exec_lo, s3
	s_waitcnt vmcnt(3)
	v_fma_mix_f32 v3, v35, v39, v18 op_sel_hi:[1,1,0]
	s_waitcnt vmcnt(2)
	s_delay_alu instid0(VALU_DEP_1) | instskip(SKIP_1) | instid1(VALU_DEP_1)
	v_fma_mix_f32 v3, v36, v40, v3 op_sel_hi:[1,1,0]
	s_waitcnt vmcnt(1)
	v_fma_mix_f32 v3, v37, v41, v3 op_sel_hi:[1,1,0]
	s_waitcnt vmcnt(0)
	s_delay_alu instid0(VALU_DEP_1)
	v_fma_mix_f32 v18, v38, v42, v3 op_sel_hi:[1,1,0]
.LBB385_16:                             ;   in Loop: Header=BB385_17 Depth=1
	s_or_b32 exec_lo, exec_lo, s4
	v_add_co_u32 v19, s3, v19, s14
	s_delay_alu instid0(VALU_DEP_1) | instskip(SKIP_1) | instid1(VALU_DEP_1)
	v_add_co_ci_u32_e64 v20, s3, s15, v20, s3
	v_add_co_u32 v21, s3, v21, s22
	v_add_co_ci_u32_e64 v22, s3, s23, v22, s3
	v_add_co_u32 v23, s3, v23, s14
	s_delay_alu instid0(VALU_DEP_1) | instskip(SKIP_1) | instid1(VALU_DEP_1)
	v_add_co_ci_u32_e64 v24, s3, s15, v24, s3
	v_add_co_u32 v25, s3, v25, s22
	v_add_co_ci_u32_e64 v26, s3, s23, v26, s3
	v_add_co_u32 v27, s3, v27, s22
	s_delay_alu instid0(VALU_DEP_1) | instskip(SKIP_4) | instid1(VALU_DEP_1)
	v_add_co_ci_u32_e64 v28, s3, s23, v28, s3
	v_add_co_u32 v29, s3, v29, s14
	v_add_nc_u32_e32 v14, 16, v14
	v_add_co_ci_u32_e64 v30, s3, s15, v30, s3
	v_add_co_u32 v31, s3, v31, s14
	v_add_co_ci_u32_e64 v32, s3, s15, v32, s3
	s_delay_alu instid0(VALU_DEP_4) | instskip(SKIP_1) | instid1(VALU_DEP_1)
	v_cmp_le_i32_e64 s3, s40, v14
	v_add_co_u32 v33, s4, v33, s22
	v_add_co_ci_u32_e64 v34, s4, s23, v34, s4
	s_delay_alu instid0(VALU_DEP_3) | instskip(NEXT) | instid1(SALU_CYCLE_1)
	s_or_b32 s31, s3, s31
	s_and_not1_b32 exec_lo, exec_lo, s31
	s_cbranch_execz .LBB385_22
.LBB385_17:                             ; =>This Inner Loop Header: Depth=1
	s_and_saveexec_b32 s4, vcc_lo
	s_cbranch_execz .LBB385_16
; %bb.18:                               ;   in Loop: Header=BB385_17 Depth=1
	v_add_co_u32 v3, s3, v19, s12
	s_delay_alu instid0(VALU_DEP_1) | instskip(SKIP_1) | instid1(VALU_DEP_1)
	v_add_co_ci_u32_e64 v4, s3, s13, v20, s3
	v_add_co_u32 v5, s3, v31, s12
	v_add_co_ci_u32_e64 v6, s3, s13, v32, s3
	v_add_co_u32 v7, s3, v29, s12
	s_delay_alu instid0(VALU_DEP_1) | instskip(SKIP_1) | instid1(VALU_DEP_1)
	v_add_co_ci_u32_e64 v8, s3, s13, v30, s3
	v_add_co_u32 v38, s3, v23, s12
	v_add_co_ci_u32_e64 v39, s3, s13, v24, s3
	global_load_u16 v35, v[3:4], off
	global_load_u16 v36, v[5:6], off
	;; [unrolled: 1-line block ×3, first 2 shown]
	v_add_co_u32 v3, s3, v25, v1
	s_delay_alu instid0(VALU_DEP_1) | instskip(SKIP_1) | instid1(VALU_DEP_1)
	v_add_co_ci_u32_e64 v4, s3, v26, v2, s3
	v_add_co_u32 v5, s3, v33, v1
	v_add_co_ci_u32_e64 v6, s3, v34, v2, s3
	v_add_co_u32 v7, s3, v27, v1
	s_delay_alu instid0(VALU_DEP_1) | instskip(SKIP_1) | instid1(VALU_DEP_1)
	v_add_co_ci_u32_e64 v8, s3, v28, v2, s3
	v_add_co_u32 v9, s3, v21, v1
	v_add_co_ci_u32_e64 v10, s3, v22, v2, s3
	global_load_u16 v38, v[38:39], off
	global_load_u16 v39, v[3:4], off
	;; [unrolled: 1-line block ×5, first 2 shown]
	s_and_saveexec_b32 s3, s0
	s_cbranch_execz .LBB385_15
; %bb.19:                               ;   in Loop: Header=BB385_17 Depth=1
	global_load_u16 v43, v[3:4], off offset:128
	global_load_u16 v44, v[5:6], off offset:128
	;; [unrolled: 1-line block ×4, first 2 shown]
	s_waitcnt vmcnt(11)
	v_cvt_f32_f16_e32 v47, v35
	s_waitcnt vmcnt(10)
	v_cvt_f32_f16_e32 v48, v36
	;; [unrolled: 2-line block ×4, first 2 shown]
	s_and_saveexec_b32 s41, s1
	s_cbranch_execz .LBB385_14
; %bb.20:                               ;   in Loop: Header=BB385_17 Depth=1
	global_load_u16 v51, v[3:4], off offset:256
	global_load_u16 v52, v[5:6], off offset:256
	;; [unrolled: 1-line block ×4, first 2 shown]
	s_and_saveexec_b32 s42, s2
	s_cbranch_execz .LBB385_13
; %bb.21:                               ;   in Loop: Header=BB385_17 Depth=1
	global_load_u16 v3, v[3:4], off offset:384
	global_load_u16 v4, v[5:6], off offset:384
	;; [unrolled: 1-line block ×4, first 2 shown]
	s_waitcnt vmcnt(3)
	v_fma_mix_f32 v3, v47, v3, v15 op_sel_hi:[0,1,0]
	s_waitcnt vmcnt(2)
	s_delay_alu instid0(VALU_DEP_1) | instskip(SKIP_1) | instid1(VALU_DEP_1)
	v_fma_mix_f32 v3, v48, v4, v3 op_sel_hi:[0,1,0]
	s_waitcnt vmcnt(1)
	v_fma_mix_f32 v3, v49, v5, v3 op_sel_hi:[0,1,0]
	s_waitcnt vmcnt(0)
	s_delay_alu instid0(VALU_DEP_1)
	v_fma_mix_f32 v15, v50, v6, v3 op_sel_hi:[0,1,0]
	s_branch .LBB385_13
.LBB385_22:
	s_or_b32 exec_lo, exec_lo, s31
.LBB385_23:
	s_delay_alu instid0(SALU_CYCLE_1) | instskip(SKIP_1) | instid1(SALU_CYCLE_1)
	s_or_b32 exec_lo, exec_lo, s30
	s_sub_i32 s0, s37, s40
	s_cmp_lt_i32 s0, 1
	s_cbranch_scc1 .LBB385_41
; %bb.24:
	v_cmp_gt_i32_e32 vcc_lo, s37, v14
	v_dual_mov_b32 v9, 0 :: v_dual_mov_b32 v10, 0
	v_or_b32_e32 v2, 1, v14
	v_dual_mov_b32 v19, 0 :: v_dual_mov_b32 v20, 0
	s_and_saveexec_b32 s1, vcc_lo
	s_cbranch_execz .LBB385_32
; %bb.25:
	v_mad_u64_u32 v[3:4], null, v14, s28, 0
	s_lshl_b64 s[2:3], s[10:11], 1
	v_mov_b32_e32 v19, 0
	s_add_u32 s0, s24, s2
	s_addc_u32 s2, s25, s3
	s_lshl_b64 s[10:11], s[26:27], 1
	v_mov_b32_e32 v9, 0
	s_delay_alu instid0(VALU_DEP_3) | instskip(SKIP_3) | instid1(VALU_DEP_1)
	v_dual_mov_b32 v1, v4 :: v_dual_mov_b32 v10, 0
	s_add_u32 s3, s0, s10
	s_addc_u32 s4, s2, s11
	s_mov_b32 s2, exec_lo
	v_mad_u64_u32 v[4:5], null, v14, s29, v[1:2]
	s_delay_alu instid0(VALU_DEP_1) | instskip(NEXT) | instid1(VALU_DEP_1)
	v_lshlrev_b64 v[3:4], 1, v[3:4]
	v_add_co_u32 v3, s0, s3, v3
	s_delay_alu instid0(VALU_DEP_1)
	v_add_co_ci_u32_e64 v4, s0, s4, v4, s0
	global_load_u16 v1, v[3:4], off
	v_cmpx_gt_i32_e64 s37, v2
	s_cbranch_execz .LBB385_31
; %bb.26:
	v_mad_u64_u32 v[3:4], null, v2, s28, 0
	v_mov_b32_e32 v10, 0
	s_mov_b32 s10, exec_lo
	v_mov_b32_e32 v9, 0
	s_delay_alu instid0(VALU_DEP_3) | instskip(NEXT) | instid1(VALU_DEP_1)
	v_mad_u64_u32 v[5:6], null, v2, s29, v[4:5]
	v_mov_b32_e32 v4, v5
	s_delay_alu instid0(VALU_DEP_1) | instskip(NEXT) | instid1(VALU_DEP_1)
	v_lshlrev_b64 v[3:4], 1, v[3:4]
	v_add_co_u32 v3, s0, s3, v3
	s_delay_alu instid0(VALU_DEP_1) | instskip(SKIP_2) | instid1(VALU_DEP_1)
	v_add_co_ci_u32_e64 v4, s0, s4, v4, s0
	global_load_u16 v3, v[3:4], off
	v_or_b32_e32 v4, 2, v14
	v_cmpx_gt_i32_e64 s37, v4
	s_cbranch_execz .LBB385_30
; %bb.27:
	v_mad_u64_u32 v[5:6], null, v4, s28, 0
	s_mov_b32 s11, exec_lo
	v_mov_b32_e32 v9, 0
	s_delay_alu instid0(VALU_DEP_2) | instskip(NEXT) | instid1(VALU_DEP_1)
	v_mad_u64_u32 v[7:8], null, v4, s29, v[6:7]
	v_mov_b32_e32 v6, v7
	s_delay_alu instid0(VALU_DEP_1) | instskip(NEXT) | instid1(VALU_DEP_1)
	v_lshlrev_b64 v[4:5], 1, v[5:6]
	v_add_co_u32 v4, s0, s3, v4
	s_delay_alu instid0(VALU_DEP_1) | instskip(SKIP_2) | instid1(VALU_DEP_1)
	v_add_co_ci_u32_e64 v5, s0, s4, v5, s0
	global_load_u16 v4, v[4:5], off
	v_or_b32_e32 v5, 3, v14
	v_cmpx_gt_i32_e64 s37, v5
	s_cbranch_execz .LBB385_29
; %bb.28:
	v_mad_u64_u32 v[6:7], null, v5, s28, 0
	s_delay_alu instid0(VALU_DEP_1) | instskip(NEXT) | instid1(VALU_DEP_1)
	v_mad_u64_u32 v[8:9], null, v5, s29, v[7:8]
	v_mov_b32_e32 v7, v8
	s_delay_alu instid0(VALU_DEP_1) | instskip(NEXT) | instid1(VALU_DEP_1)
	v_lshlrev_b64 v[5:6], 1, v[6:7]
	v_add_co_u32 v5, s0, s3, v5
	s_delay_alu instid0(VALU_DEP_1)
	v_add_co_ci_u32_e64 v6, s0, s4, v6, s0
	global_load_u16 v5, v[5:6], off
	s_waitcnt vmcnt(0)
	v_cvt_f32_f16_e32 v9, v5
.LBB385_29:
	s_or_b32 exec_lo, exec_lo, s11
	s_waitcnt vmcnt(0)
	v_cvt_f32_f16_e32 v10, v4
.LBB385_30:
	s_or_b32 exec_lo, exec_lo, s10
	s_waitcnt vmcnt(0)
	v_cvt_f32_f16_e32 v19, v3
.LBB385_31:
	s_or_b32 exec_lo, exec_lo, s2
	s_waitcnt vmcnt(0)
	v_cvt_f32_f16_e32 v20, v1
.LBB385_32:
	s_or_b32 exec_lo, exec_lo, s1
	s_delay_alu instid0(SALU_CYCLE_1)
	s_mov_b32 s1, exec_lo
	v_cmpx_gt_i32_e64 s36, v0
	s_cbranch_execz .LBB385_40
; %bb.33:
	v_mad_u64_u32 v[3:4], null, v14, s20, 0
	v_mad_u64_u32 v[5:6], null, v2, s20, 0
	v_ashrrev_i32_e32 v1, 31, v0
	s_lshl_b64 s[2:3], s[6:7], 1
	v_or_b32_e32 v28, 2, v14
	s_add_u32 s0, s16, s2
	s_delay_alu instid0(VALU_DEP_4)
	v_cndmask_b32_e32 v3, 0, v3, vcc_lo
	v_lshlrev_b64 v[21:22], 1, v[0:1]
	v_mad_u64_u32 v[7:8], null, v14, s21, v[4:5]
	s_addc_u32 s4, s17, s3
	s_lshl_b64 s[2:3], s[18:19], 1
	v_or_b32_e32 v14, 3, v14
	s_add_u32 s2, s0, s2
	v_mov_b32_e32 v1, v6
	v_mad_u64_u32 v[23:24], null, v28, s20, 0
	s_delay_alu instid0(VALU_DEP_4) | instskip(SKIP_1) | instid1(VALU_DEP_4)
	v_cndmask_b32_e32 v4, 0, v7, vcc_lo
	v_cmp_gt_i32_e32 vcc_lo, s37, v2
	v_mad_u64_u32 v[25:26], null, v2, s21, v[1:2]
	s_addc_u32 s3, s4, s3
	v_mad_u64_u32 v[6:7], null, v14, s20, 0
	v_cndmask_b32_e32 v26, 0, v5, vcc_lo
	v_lshlrev_b64 v[3:4], 1, v[3:4]
	s_delay_alu instid0(VALU_DEP_4) | instskip(NEXT) | instid1(VALU_DEP_2)
	v_cndmask_b32_e32 v27, 0, v25, vcc_lo
	v_add_co_u32 v1, s0, s2, v3
	s_delay_alu instid0(VALU_DEP_1) | instskip(NEXT) | instid1(VALU_DEP_3)
	v_add_co_ci_u32_e64 v2, s0, s3, v4, s0
	v_lshlrev_b64 v[3:4], 1, v[26:27]
	s_delay_alu instid0(VALU_DEP_3) | instskip(NEXT) | instid1(VALU_DEP_3)
	v_add_co_u32 v1, vcc_lo, v1, v21
	v_add_co_ci_u32_e32 v2, vcc_lo, v2, v22, vcc_lo
	v_cmp_gt_i32_e32 vcc_lo, s37, v28
	v_mov_b32_e32 v5, v24
	v_add_co_u32 v3, s0, s2, v3
	s_delay_alu instid0(VALU_DEP_1) | instskip(NEXT) | instid1(VALU_DEP_3)
	v_add_co_ci_u32_e64 v4, s0, s3, v4, s0
	v_mad_u64_u32 v[24:25], null, v28, s21, v[5:6]
	v_mov_b32_e32 v5, v7
	v_cndmask_b32_e32 v7, 0, v23, vcc_lo
	s_mov_b32 s0, exec_lo
	s_delay_alu instid0(VALU_DEP_3) | instskip(NEXT) | instid1(VALU_DEP_3)
	v_cndmask_b32_e32 v8, 0, v24, vcc_lo
	v_mad_u64_u32 v[23:24], null, v14, s21, v[5:6]
	v_add_co_u32 v3, vcc_lo, v3, v21
	v_add_co_ci_u32_e32 v4, vcc_lo, v4, v22, vcc_lo
	v_cmp_gt_i32_e32 vcc_lo, s37, v14
	v_lshlrev_b64 v[7:8], 1, v[7:8]
	s_clause 0x1
	global_load_u16 v24, v[1:2], off
	global_load_u16 v25, v[3:4], off
	v_dual_cndmask_b32 v5, 0, v6 :: v_dual_cndmask_b32 v6, 0, v23
	v_add_co_u32 v14, vcc_lo, s2, v7
	v_add_co_ci_u32_e32 v23, vcc_lo, s3, v8, vcc_lo
	s_delay_alu instid0(VALU_DEP_3) | instskip(NEXT) | instid1(VALU_DEP_3)
	v_lshlrev_b64 v[7:8], 1, v[5:6]
	v_add_co_u32 v5, vcc_lo, v14, v21
	s_delay_alu instid0(VALU_DEP_3) | instskip(NEXT) | instid1(VALU_DEP_3)
	v_add_co_ci_u32_e32 v6, vcc_lo, v23, v22, vcc_lo
	v_add_co_u32 v7, vcc_lo, s2, v7
	s_delay_alu instid0(VALU_DEP_4)
	v_add_co_ci_u32_e32 v8, vcc_lo, s3, v8, vcc_lo
	global_load_u16 v23, v[5:6], off
	v_add_co_u32 v7, vcc_lo, v7, v21
	v_add_co_ci_u32_e32 v8, vcc_lo, v8, v22, vcc_lo
	v_add_nc_u32_e32 v21, 64, v0
	global_load_u16 v14, v[7:8], off
	s_waitcnt vmcnt(3)
	v_fma_mix_f32 v18, v20, v24, v18 op_sel_hi:[0,1,0]
	s_waitcnt vmcnt(2)
	s_delay_alu instid0(VALU_DEP_1) | instskip(SKIP_1) | instid1(VALU_DEP_1)
	v_fma_mix_f32 v18, v19, v25, v18 op_sel_hi:[0,1,0]
	s_waitcnt vmcnt(1)
	v_fma_mix_f32 v18, v10, v23, v18 op_sel_hi:[0,1,0]
	v_cmpx_gt_i32_e64 s36, v21
	s_cbranch_execz .LBB385_39
; %bb.34:
	s_clause 0x3
	global_load_u16 v22, v[1:2], off offset:128
	global_load_u16 v23, v[3:4], off offset:128
	;; [unrolled: 1-line block ×4, first 2 shown]
	s_mov_b32 s2, exec_lo
	s_waitcnt vmcnt(3)
	v_fma_mix_f32 v17, v20, v22, v17 op_sel_hi:[0,1,0]
	v_add_nc_u32_e32 v22, 0x80, v0
	s_waitcnt vmcnt(2)
	s_delay_alu instid0(VALU_DEP_2) | instskip(SKIP_1) | instid1(VALU_DEP_1)
	v_fma_mix_f32 v17, v19, v23, v17 op_sel_hi:[0,1,0]
	s_waitcnt vmcnt(1)
	v_fma_mix_f32 v17, v10, v24, v17 op_sel_hi:[0,1,0]
	v_cmpx_gt_i32_e64 s36, v22
	s_cbranch_execz .LBB385_38
; %bb.35:
	s_clause 0x3
	global_load_u16 v23, v[1:2], off offset:256
	global_load_u16 v24, v[3:4], off offset:256
	;; [unrolled: 1-line block ×4, first 2 shown]
	s_mov_b32 s3, exec_lo
	s_waitcnt vmcnt(3)
	v_fma_mix_f32 v16, v20, v23, v16 op_sel_hi:[0,1,0]
	v_add_nc_u32_e32 v23, 0xc0, v0
	s_waitcnt vmcnt(2)
	s_delay_alu instid0(VALU_DEP_2) | instskip(SKIP_1) | instid1(VALU_DEP_1)
	v_fma_mix_f32 v16, v19, v24, v16 op_sel_hi:[0,1,0]
	s_waitcnt vmcnt(1)
	v_fma_mix_f32 v0, v10, v25, v16 op_sel_hi:[0,1,0]
	v_cmpx_gt_i32_e64 s36, v23
	s_cbranch_execz .LBB385_37
; %bb.36:
	s_clause 0x3
	global_load_u16 v1, v[1:2], off offset:384
	global_load_u16 v2, v[3:4], off offset:384
	;; [unrolled: 1-line block ×4, first 2 shown]
	s_waitcnt vmcnt(3)
	v_fma_mix_f32 v1, v20, v1, v15 op_sel_hi:[0,1,0]
	s_waitcnt vmcnt(2)
	s_delay_alu instid0(VALU_DEP_1) | instskip(SKIP_1) | instid1(VALU_DEP_1)
	v_fma_mix_f32 v1, v19, v2, v1 op_sel_hi:[0,1,0]
	s_waitcnt vmcnt(1)
	v_fma_mix_f32 v1, v10, v3, v1 op_sel_hi:[0,1,0]
	s_waitcnt vmcnt(0)
	s_delay_alu instid0(VALU_DEP_1)
	v_fma_mix_f32 v15, v9, v4, v1 op_sel_hi:[0,1,0]
.LBB385_37:
	s_or_b32 exec_lo, exec_lo, s3
	s_waitcnt vmcnt(0)
	v_fma_mix_f32 v16, v9, v22, v0 op_sel_hi:[0,1,0]
.LBB385_38:
	s_or_b32 exec_lo, exec_lo, s2
	s_waitcnt vmcnt(0)
	v_fma_mix_f32 v17, v9, v21, v17 op_sel_hi:[0,1,0]
.LBB385_39:
	s_or_b32 exec_lo, exec_lo, s0
	s_waitcnt vmcnt(0)
	v_fma_mix_f32 v18, v9, v14, v18 op_sel_hi:[0,1,0]
.LBB385_40:
	s_or_b32 exec_lo, exec_lo, s1
.LBB385_41:
	v_lshlrev_b32_e32 v0, 8, v13
	s_mov_b32 s0, exec_lo
                                        ; implicit-def: $vgpr3
	s_delay_alu instid0(VALU_DEP_1)
	v_add_lshl_u32 v0, v0, v12, 2
	ds_store_2addr_stride64_b32 v0, v18, v17 offset1:1
	ds_store_2addr_stride64_b32 v0, v16, v15 offset0:2 offset1:3
	s_waitcnt lgkmcnt(0)
	s_barrier
	buffer_gl0_inv
                                        ; implicit-def: $vgpr0_vgpr1
	v_cmpx_gt_u32_e32 0x100, v11
	s_cbranch_execz .LBB385_47
; %bb.42:
	v_lshlrev_b32_e32 v5, 2, v11
	v_or_b32_e32 v4, s39, v11
	s_mov_b32 s2, s35
	s_mov_b32 s1, exec_lo
	ds_load_2addr_stride64_b32 v[0:1], v5 offset1:4
	ds_load_2addr_stride64_b32 v[2:3], v5 offset0:8 offset1:12
	s_waitcnt lgkmcnt(1)
	v_add_f32_e32 v0, v0, v1
	s_waitcnt lgkmcnt(0)
	s_delay_alu instid0(VALU_DEP_1) | instskip(NEXT) | instid1(VALU_DEP_1)
	v_add_f32_e32 v0, v2, v0
	v_add_f32_e32 v2, v3, v0
                                        ; implicit-def: $vgpr3
                                        ; implicit-def: $vgpr0_vgpr1
	ds_store_b32 v5, v2
	v_cmpx_gt_i32_e64 s36, v4
	s_cbranch_execz .LBB385_46
; %bb.43:
	v_ashrrev_i32_e32 v3, 31, v4
	v_mul_lo_u32 v5, v4, s9
	v_mad_u64_u32 v[0:1], null, v4, s8, 0
	v_cmp_eq_f32_e64 s2, s34, 0
	s_delay_alu instid0(VALU_DEP_4) | instskip(SKIP_1) | instid1(VALU_DEP_3)
	v_mul_lo_u32 v3, v3, s8
	v_mul_f32_e32 v2, s38, v2
	s_and_b32 vcc_lo, exec_lo, s2
	s_delay_alu instid0(VALU_DEP_2)
	v_add3_u32 v1, v1, v5, v3
	s_cbranch_vccnz .LBB385_45
; %bb.44:
	s_delay_alu instid0(VALU_DEP_1) | instskip(NEXT) | instid1(VALU_DEP_1)
	v_lshlrev_b64 v[3:4], 1, v[0:1]
	v_add_co_u32 v3, vcc_lo, s5, v3
	s_delay_alu instid0(VALU_DEP_2)
	v_add_co_ci_u32_e32 v4, vcc_lo, s33, v4, vcc_lo
	global_load_u16 v3, v[3:4], off
	s_waitcnt vmcnt(0)
	v_fma_mix_f32 v2, v3, s34, v2 op_sel_hi:[1,0,0]
.LBB385_45:
	s_delay_alu instid0(VALU_DEP_1)
	v_cvt_f16_f32_e32 v3, v2
	s_or_b32 s2, s35, exec_lo
.LBB385_46:
	s_or_b32 exec_lo, exec_lo, s1
	s_delay_alu instid0(SALU_CYCLE_1) | instskip(SKIP_1) | instid1(SALU_CYCLE_1)
	s_and_not1_b32 s1, s35, exec_lo
	s_and_b32 s2, s2, exec_lo
	s_or_b32 s35, s1, s2
.LBB385_47:
	s_or_b32 exec_lo, exec_lo, s0
.LBB385_48:
	s_and_saveexec_b32 s0, s35
	s_cbranch_execz .LBB385_50
; %bb.49:
	v_lshlrev_b64 v[0:1], 1, v[0:1]
	s_delay_alu instid0(VALU_DEP_1) | instskip(NEXT) | instid1(VALU_DEP_2)
	v_add_co_u32 v0, vcc_lo, s5, v0
	v_add_co_ci_u32_e32 v1, vcc_lo, s33, v1, vcc_lo
	global_store_b16 v[0:1], v3, off
.LBB385_50:
	s_nop 0
	s_sendmsg sendmsg(MSG_DEALLOC_VGPRS)
	s_endpgm
	.section	.rodata,"a",@progbits
	.p2align	6, 0x0
	.amdhsa_kernel _ZL20rocblas_gemvn_kernelILi64ELi4ElDF16_fDF16_EviiT3_lPKT2_lT1_lS3_lS4_lS0_lPT4_lS4_li
		.amdhsa_group_segment_fixed_size 4096
		.amdhsa_private_segment_fixed_size 0
		.amdhsa_kernarg_size 400
		.amdhsa_user_sgpr_count 14
		.amdhsa_user_sgpr_dispatch_ptr 0
		.amdhsa_user_sgpr_queue_ptr 0
		.amdhsa_user_sgpr_kernarg_segment_ptr 1
		.amdhsa_user_sgpr_dispatch_id 0
		.amdhsa_user_sgpr_private_segment_size 0
		.amdhsa_wavefront_size32 1
		.amdhsa_uses_dynamic_stack 0
		.amdhsa_enable_private_segment 0
		.amdhsa_system_sgpr_workgroup_id_x 1
		.amdhsa_system_sgpr_workgroup_id_y 0
		.amdhsa_system_sgpr_workgroup_id_z 1
		.amdhsa_system_sgpr_workgroup_info 0
		.amdhsa_system_vgpr_workitem_id 1
		.amdhsa_next_free_vgpr 55
		.amdhsa_next_free_sgpr 44
		.amdhsa_reserve_vcc 1
		.amdhsa_float_round_mode_32 0
		.amdhsa_float_round_mode_16_64 0
		.amdhsa_float_denorm_mode_32 3
		.amdhsa_float_denorm_mode_16_64 3
		.amdhsa_dx10_clamp 1
		.amdhsa_ieee_mode 1
		.amdhsa_fp16_overflow 0
		.amdhsa_workgroup_processor_mode 1
		.amdhsa_memory_ordered 1
		.amdhsa_forward_progress 0
		.amdhsa_shared_vgpr_count 0
		.amdhsa_exception_fp_ieee_invalid_op 0
		.amdhsa_exception_fp_denorm_src 0
		.amdhsa_exception_fp_ieee_div_zero 0
		.amdhsa_exception_fp_ieee_overflow 0
		.amdhsa_exception_fp_ieee_underflow 0
		.amdhsa_exception_fp_ieee_inexact 0
		.amdhsa_exception_int_div_zero 0
	.end_amdhsa_kernel
	.section	.text._ZL20rocblas_gemvn_kernelILi64ELi4ElDF16_fDF16_EviiT3_lPKT2_lT1_lS3_lS4_lS0_lPT4_lS4_li,"axG",@progbits,_ZL20rocblas_gemvn_kernelILi64ELi4ElDF16_fDF16_EviiT3_lPKT2_lT1_lS3_lS4_lS0_lPT4_lS4_li,comdat
.Lfunc_end385:
	.size	_ZL20rocblas_gemvn_kernelILi64ELi4ElDF16_fDF16_EviiT3_lPKT2_lT1_lS3_lS4_lS0_lPT4_lS4_li, .Lfunc_end385-_ZL20rocblas_gemvn_kernelILi64ELi4ElDF16_fDF16_EviiT3_lPKT2_lT1_lS3_lS4_lS0_lPT4_lS4_li
                                        ; -- End function
	.section	.AMDGPU.csdata,"",@progbits
; Kernel info:
; codeLenInByte = 3500
; NumSgprs: 46
; NumVgprs: 55
; ScratchSize: 0
; MemoryBound: 0
; FloatMode: 240
; IeeeMode: 1
; LDSByteSize: 4096 bytes/workgroup (compile time only)
; SGPRBlocks: 5
; VGPRBlocks: 6
; NumSGPRsForWavesPerEU: 46
; NumVGPRsForWavesPerEU: 55
; Occupancy: 16
; WaveLimiterHint : 1
; COMPUTE_PGM_RSRC2:SCRATCH_EN: 0
; COMPUTE_PGM_RSRC2:USER_SGPR: 14
; COMPUTE_PGM_RSRC2:TRAP_HANDLER: 0
; COMPUTE_PGM_RSRC2:TGID_X_EN: 1
; COMPUTE_PGM_RSRC2:TGID_Y_EN: 0
; COMPUTE_PGM_RSRC2:TGID_Z_EN: 1
; COMPUTE_PGM_RSRC2:TIDIG_COMP_CNT: 1
	.section	.text._ZL20rocblas_gemvn_kernelILi32ELi16EiDF16_PKfDF16_EviiT3_lPKT2_lT1_lS5_lS6_lS2_lPT4_lS6_li,"axG",@progbits,_ZL20rocblas_gemvn_kernelILi32ELi16EiDF16_PKfDF16_EviiT3_lPKT2_lT1_lS5_lS6_lS2_lPT4_lS6_li,comdat
	.globl	_ZL20rocblas_gemvn_kernelILi32ELi16EiDF16_PKfDF16_EviiT3_lPKT2_lT1_lS5_lS6_lS2_lPT4_lS6_li ; -- Begin function _ZL20rocblas_gemvn_kernelILi32ELi16EiDF16_PKfDF16_EviiT3_lPKT2_lT1_lS5_lS6_lS2_lPT4_lS6_li
	.p2align	8
	.type	_ZL20rocblas_gemvn_kernelILi32ELi16EiDF16_PKfDF16_EviiT3_lPKT2_lT1_lS5_lS6_lS2_lPT4_lS6_li,@function
_ZL20rocblas_gemvn_kernelILi32ELi16EiDF16_PKfDF16_EviiT3_lPKT2_lT1_lS5_lS6_lS2_lPT4_lS6_li: ; @_ZL20rocblas_gemvn_kernelILi32ELi16EiDF16_PKfDF16_EviiT3_lPKT2_lT1_lS5_lS6_lS2_lPT4_lS6_li
; %bb.0:
	s_load_b64 s[2:3], s[0:1], 0x9c
	s_waitcnt lgkmcnt(0)
	s_lshr_b32 s4, s2, 16
	s_and_b32 s2, s2, 0xffff
	s_and_b32 s3, s3, 0xffff
	s_mul_i32 s2, s4, s2
	s_delay_alu instid0(SALU_CYCLE_1) | instskip(NEXT) | instid1(SALU_CYCLE_1)
	s_mul_i32 s2, s2, s3
	s_cmpk_lg_i32 s2, 0x200
	s_cbranch_scc1 .LBB386_50
; %bb.1:
	s_clause 0x1
	s_load_b256 s[16:23], s[0:1], 0x8
	s_load_b256 s[4:11], s[0:1], 0x50
	s_waitcnt lgkmcnt(0)
	s_mul_i32 s3, s15, s19
	s_mul_hi_u32 s12, s15, s18
	s_mul_i32 s2, s15, s18
	s_add_i32 s3, s12, s3
	s_mul_i32 s9, s15, s9
	s_lshl_b64 s[2:3], s[2:3], 2
	s_mul_hi_u32 s12, s15, s8
	s_add_u32 s2, s16, s2
	s_addc_u32 s3, s17, s3
	s_add_i32 s9, s12, s9
	s_mul_i32 s8, s15, s8
	s_mov_b32 s16, 0
	s_lshl_b64 s[8:9], s[8:9], 2
	s_delay_alu instid0(SALU_CYCLE_1)
	s_add_u32 s6, s6, s8
	s_addc_u32 s7, s7, s9
	s_load_b32 s13, s[2:3], 0x0
	s_load_b32 s12, s[6:7], 0x0
	s_waitcnt lgkmcnt(0)
	v_cmp_eq_f32_e64 s2, s13, 0
	v_cmp_eq_f32_e64 s3, s12, 1.0
	s_delay_alu instid0(VALU_DEP_1) | instskip(NEXT) | instid1(SALU_CYCLE_1)
	s_and_b32 s2, s2, s3
	s_and_b32 vcc_lo, exec_lo, s2
	s_cbranch_vccnz .LBB386_50
; %bb.2:
	s_clause 0x3
	s_load_b64 s[2:3], s[0:1], 0x80
	s_load_b64 s[8:9], s[0:1], 0x70
	s_load_b32 s17, s[0:1], 0x78
	s_load_b64 s[6:7], s[0:1], 0x0
	v_and_b32_e32 v1, 0x3ff, v0
	v_bfe_u32 v13, v0, 10, 10
	s_delay_alu instid0(VALU_DEP_1)
	v_lshl_add_u32 v0, v13, 5, v1
	s_waitcnt lgkmcnt(0)
	s_mul_i32 s3, s15, s3
	s_mul_hi_u32 s18, s15, s2
	s_mul_i32 s2, s15, s2
	s_add_i32 s3, s18, s3
	v_cmp_neq_f32_e64 s18, s13, 0
	s_lshl_b64 s[2:3], s[2:3], 1
	s_delay_alu instid0(SALU_CYCLE_1) | instskip(SKIP_2) | instid1(SALU_CYCLE_1)
	s_add_u32 s10, s10, s2
	s_addc_u32 s11, s11, s3
	s_lshl_b64 s[2:3], s[8:9], 1
	s_add_u32 s8, s10, s2
	v_cmp_gt_u32_e64 s2, 0x80, v0
	s_addc_u32 s9, s11, s3
	s_and_b32 vcc_lo, exec_lo, s18
	s_cbranch_vccnz .LBB386_7
; %bb.3:
	s_mov_b32 s3, 0
                                        ; implicit-def: $vgpr5
                                        ; implicit-def: $vgpr2_vgpr3
	s_and_saveexec_b32 s10, s2
	s_cbranch_execz .LBB386_8
; %bb.4:
	v_lshl_or_b32 v4, s14, 7, v0
	v_mov_b32_e32 v5, 0
	s_ashr_i32 s19, s6, 31
	s_mov_b32 s18, s6
	s_mov_b32 s11, 0
                                        ; implicit-def: $vgpr2_vgpr3
	s_delay_alu instid0(VALU_DEP_1)
	v_cmp_gt_i64_e32 vcc_lo, s[18:19], v[4:5]
                                        ; implicit-def: $vgpr5
	s_and_saveexec_b32 s2, vcc_lo
	s_cbranch_execz .LBB386_10
; %bb.5:
	v_mad_u64_u32 v[2:3], null, s17, v4, 0
	s_ashr_i32 s11, s17, 31
	s_delay_alu instid0(VALU_DEP_1) | instid1(SALU_CYCLE_1)
	v_mad_u64_u32 v[5:6], null, s11, v4, v[3:4]
	v_cmp_eq_f32_e64 s11, s12, 0
	s_delay_alu instid0(VALU_DEP_1) | instskip(NEXT) | instid1(VALU_DEP_2)
	s_and_b32 vcc_lo, exec_lo, s11
	v_mov_b32_e32 v3, v5
	s_cbranch_vccnz .LBB386_9
; %bb.6:
	s_delay_alu instid0(VALU_DEP_1) | instskip(SKIP_1) | instid1(VALU_DEP_1)
	v_lshlrev_b64 v[4:5], 1, v[2:3]
	s_mov_b32 s11, exec_lo
	v_add_co_u32 v4, vcc_lo, s8, v4
	s_delay_alu instid0(VALU_DEP_2)
	v_add_co_ci_u32_e32 v5, vcc_lo, s9, v5, vcc_lo
	global_load_u16 v4, v[4:5], off
	s_waitcnt vmcnt(0)
	v_fma_mixlo_f16 v5, s12, v4, 0 op_sel_hi:[0,1,0]
	s_branch .LBB386_10
.LBB386_7:
                                        ; implicit-def: $vgpr5
                                        ; implicit-def: $vgpr2_vgpr3
	s_cbranch_execnz .LBB386_11
	s_branch .LBB386_48
.LBB386_8:
	s_or_b32 exec_lo, exec_lo, s10
	s_delay_alu instid0(SALU_CYCLE_1)
	s_and_b32 vcc_lo, exec_lo, s3
	s_cbranch_vccnz .LBB386_11
	s_branch .LBB386_48
.LBB386_9:
	v_mov_b32_e32 v5, 0
	s_mov_b32 s11, exec_lo
.LBB386_10:
	s_or_b32 exec_lo, exec_lo, s2
	s_delay_alu instid0(SALU_CYCLE_1) | instskip(SKIP_1) | instid1(SALU_CYCLE_1)
	s_and_b32 s16, s11, exec_lo
	s_or_b32 exec_lo, exec_lo, s10
	s_and_b32 vcc_lo, exec_lo, s3
	s_cbranch_vccz .LBB386_48
.LBB386_11:
	s_clause 0x2
	s_load_b128 s[24:27], s[0:1], 0x30
	s_load_b32 s18, s[0:1], 0x28
	s_load_b64 s[2:3], s[0:1], 0x40
	s_mul_i32 s5, s15, s5
	v_dual_mov_b32 v18, 0 :: v_dual_lshlrev_b32 v19, 2, v13
	v_dual_mov_b32 v15, 0 :: v_dual_mov_b32 v14, 0
	s_waitcnt lgkmcnt(0)
	s_mul_i32 s11, s15, s25
	s_mul_hi_u32 s19, s15, s24
	s_mul_i32 s10, s15, s24
	s_add_i32 s11, s19, s11
	s_mul_hi_u32 s19, s15, s4
	s_lshl_b64 s[10:11], s[10:11], 1
	s_delay_alu instid0(SALU_CYCLE_1) | instskip(SKIP_4) | instid1(SALU_CYCLE_1)
	s_add_u32 s24, s20, s10
	s_mul_i32 s20, s15, s4
	s_load_b32 s4, s[0:1], 0x48
	s_addc_u32 s21, s21, s11
	s_lshl_b64 s[10:11], s[22:23], 1
	s_add_u32 s10, s24, s10
	s_addc_u32 s11, s21, s11
	s_add_i32 s21, s19, s5
	s_delay_alu instid0(SALU_CYCLE_1) | instskip(SKIP_4) | instid1(SALU_CYCLE_1)
	s_lshl_b64 s[0:1], s[20:21], 1
	s_mov_b32 s20, exec_lo
	s_add_u32 s5, s26, s0
	s_addc_u32 s19, s27, s1
	s_lshl_b64 s[0:1], s[2:3], 1
	s_add_u32 s15, s5, s0
	s_addc_u32 s19, s19, s1
	s_ashr_i32 s0, s7, 31
	s_lshl_b32 s5, s14, 7
	s_lshr_b32 s0, s0, 26
	v_dual_mov_b32 v17, 0 :: v_dual_add_nc_u32 v16, s5, v1
	s_add_i32 s0, s7, s0
	s_delay_alu instid0(SALU_CYCLE_1) | instskip(NEXT) | instid1(SALU_CYCLE_1)
	s_and_b32 s14, s0, 0xffffffc0
	v_cmpx_gt_i32_e64 s14, v19
	s_cbranch_execz .LBB386_23
; %bb.12:
	v_mul_lo_u32 v3, s18, v19
	v_dual_mov_b32 v17, 0 :: v_dual_add_nc_u32 v2, 32, v16
	v_add_nc_u32_e32 v6, 2, v19
	v_dual_mov_b32 v18, 0 :: v_dual_add_nc_u32 v5, 0x60, v16
	s_delay_alu instid0(VALU_DEP_3)
	v_cmp_gt_i32_e64 s0, s6, v2
	v_dual_mov_b32 v15, 0 :: v_dual_add_nc_u32 v4, 64, v16
	v_add3_u32 v20, v3, s18, v1
	v_mad_u64_u32 v[2:3], null, s18, v6, v[1:2]
	v_cmp_gt_i32_e64 s2, s6, v5
	v_mul_lo_u32 v5, v13, s18
	v_dual_mov_b32 v14, 0 :: v_dual_add_nc_u32 v7, 3, v19
	s_waitcnt lgkmcnt(0)
	v_mul_lo_u32 v8, v13, s4
	v_cmp_gt_i32_e64 s1, s6, v4
	v_mul_lo_u32 v22, s4, v6
	v_mad_u64_u32 v[3:4], null, s18, v7, v[1:2]
	v_lshl_add_u32 v21, v5, 2, v1
	v_mad_u64_u32 v[4:5], null, s4, v19, s[4:5]
	v_mul_lo_u32 v23, s4, v7
	v_cmp_gt_i32_e32 vcc_lo, s6, v16
	v_lshlrev_b32_e32 v24, 2, v8
	s_lshl_b32 s21, s18, 6
	s_lshl_b32 s23, s4, 6
	s_mov_b32 s22, 0
	s_mov_b32 s24, 0
	s_branch .LBB386_17
.LBB386_13:                             ;   in Loop: Header=BB386_17 Depth=1
	s_or_b32 exec_lo, exec_lo, s27
	s_waitcnt vmcnt(3)
	v_fma_mix_f32 v5, v37, v41, v15 op_sel_hi:[0,1,0]
	s_waitcnt vmcnt(2)
	s_delay_alu instid0(VALU_DEP_1) | instskip(SKIP_1) | instid1(VALU_DEP_1)
	v_fma_mix_f32 v5, v38, v42, v5 op_sel_hi:[0,1,0]
	s_waitcnt vmcnt(1)
	v_fma_mix_f32 v5, v39, v43, v5 op_sel_hi:[0,1,0]
	s_waitcnt vmcnt(0)
	s_delay_alu instid0(VALU_DEP_1)
	v_fma_mix_f32 v15, v40, v44, v5 op_sel_hi:[0,1,0]
.LBB386_14:                             ;   in Loop: Header=BB386_17 Depth=1
	s_or_b32 exec_lo, exec_lo, s26
	s_waitcnt vmcnt(3)
	v_fma_mix_f32 v5, v37, v33, v17 op_sel_hi:[0,1,0]
	s_waitcnt vmcnt(2)
	s_delay_alu instid0(VALU_DEP_1) | instskip(SKIP_1) | instid1(VALU_DEP_1)
	v_fma_mix_f32 v5, v38, v34, v5 op_sel_hi:[0,1,0]
	s_waitcnt vmcnt(1)
	v_fma_mix_f32 v5, v39, v35, v5 op_sel_hi:[0,1,0]
	s_waitcnt vmcnt(0)
	s_delay_alu instid0(VALU_DEP_1)
	v_fma_mix_f32 v17, v40, v36, v5 op_sel_hi:[0,1,0]
.LBB386_15:                             ;   in Loop: Header=BB386_17 Depth=1
	s_or_b32 exec_lo, exec_lo, s3
	s_waitcnt vmcnt(3)
	v_fma_mix_f32 v5, v25, v29, v18 op_sel_hi:[1,1,0]
	s_waitcnt vmcnt(2)
	s_delay_alu instid0(VALU_DEP_1) | instskip(SKIP_1) | instid1(VALU_DEP_1)
	v_fma_mix_f32 v5, v26, v30, v5 op_sel_hi:[1,1,0]
	s_waitcnt vmcnt(1)
	v_fma_mix_f32 v5, v27, v31, v5 op_sel_hi:[1,1,0]
	s_waitcnt vmcnt(0)
	s_delay_alu instid0(VALU_DEP_1)
	v_fma_mix_f32 v18, v28, v32, v5 op_sel_hi:[1,1,0]
.LBB386_16:                             ;   in Loop: Header=BB386_17 Depth=1
	s_or_b32 exec_lo, exec_lo, s25
	v_add_nc_u32_e32 v19, 64, v19
	v_add_nc_u32_e32 v20, s21, v20
	;; [unrolled: 1-line block ×5, first 2 shown]
	v_cmp_le_i32_e64 s3, s14, v19
	s_add_i32 s24, s24, s23
	s_delay_alu instid0(VALU_DEP_1) | instskip(NEXT) | instid1(SALU_CYCLE_1)
	s_or_b32 s22, s3, s22
	s_and_not1_b32 exec_lo, exec_lo, s22
	s_cbranch_execz .LBB386_22
.LBB386_17:                             ; =>This Inner Loop Header: Depth=1
	s_and_saveexec_b32 s25, vcc_lo
	s_cbranch_execz .LBB386_16
; %bb.18:                               ;   in Loop: Header=BB386_17 Depth=1
	v_add_nc_u32_e32 v5, s24, v24
	v_add_nc_u32_e32 v7, s24, v4
	;; [unrolled: 1-line block ×5, first 2 shown]
	v_ashrrev_i32_e32 v6, 31, v5
	v_ashrrev_i32_e32 v8, 31, v7
	;; [unrolled: 1-line block ×5, first 2 shown]
	v_lshlrev_b64 v[5:6], 1, v[5:6]
	v_lshlrev_b64 v[7:8], 1, v[7:8]
	;; [unrolled: 1-line block ×3, first 2 shown]
	s_delay_alu instid0(VALU_DEP_3) | instskip(NEXT) | instid1(VALU_DEP_1)
	v_add_co_u32 v27, s3, s15, v5
	v_add_co_ci_u32_e64 v28, s3, s19, v6, s3
	s_delay_alu instid0(VALU_DEP_4)
	v_add_co_u32 v29, s3, s15, v7
	v_add_nc_u32_e32 v7, s5, v20
	v_add_co_ci_u32_e64 v30, s3, s19, v8, s3
	v_lshlrev_b64 v[5:6], 1, v[11:12]
	v_add_co_u32 v31, s3, s15, v9
	v_add_nc_u32_e32 v11, s5, v2
	v_add_co_ci_u32_e64 v32, s3, s19, v10, s3
	v_lshlrev_b64 v[9:10], 1, v[25:26]
	v_ashrrev_i32_e32 v8, 31, v7
	v_add_nc_u32_e32 v25, s5, v3
	v_add_co_u32 v33, s3, s15, v5
	v_ashrrev_i32_e32 v12, 31, v11
	v_add_co_ci_u32_e64 v34, s3, s19, v6, s3
	v_lshlrev_b64 v[7:8], 1, v[7:8]
	v_add_co_u32 v5, s3, s10, v9
	v_ashrrev_i32_e32 v26, 31, v25
	v_add_co_ci_u32_e64 v6, s3, s11, v10, s3
	v_lshlrev_b64 v[9:10], 1, v[11:12]
	v_add_co_u32 v7, s3, s10, v7
	s_delay_alu instid0(VALU_DEP_4) | instskip(SKIP_1) | instid1(VALU_DEP_4)
	v_lshlrev_b64 v[11:12], 1, v[25:26]
	v_add_co_ci_u32_e64 v8, s3, s11, v8, s3
	v_add_co_u32 v9, s3, s10, v9
	s_delay_alu instid0(VALU_DEP_1) | instskip(NEXT) | instid1(VALU_DEP_4)
	v_add_co_ci_u32_e64 v10, s3, s11, v10, s3
	v_add_co_u32 v11, s3, s10, v11
	s_delay_alu instid0(VALU_DEP_1)
	v_add_co_ci_u32_e64 v12, s3, s11, v12, s3
	s_clause 0x3
	global_load_u16 v25, v[27:28], off
	global_load_u16 v26, v[29:30], off
	;; [unrolled: 1-line block ×4, first 2 shown]
	s_clause 0x3
	global_load_u16 v29, v[5:6], off
	global_load_u16 v30, v[7:8], off
	;; [unrolled: 1-line block ×4, first 2 shown]
	s_and_saveexec_b32 s3, s0
	s_cbranch_execz .LBB386_15
; %bb.19:                               ;   in Loop: Header=BB386_17 Depth=1
	s_clause 0x3
	global_load_u16 v33, v[5:6], off offset:64
	global_load_u16 v34, v[7:8], off offset:64
	;; [unrolled: 1-line block ×4, first 2 shown]
	s_waitcnt vmcnt(11)
	v_cvt_f32_f16_e32 v37, v25
	s_waitcnt vmcnt(10)
	v_cvt_f32_f16_e32 v38, v26
	;; [unrolled: 2-line block ×4, first 2 shown]
	s_and_saveexec_b32 s26, s1
	s_cbranch_execz .LBB386_14
; %bb.20:                               ;   in Loop: Header=BB386_17 Depth=1
	s_clause 0x3
	global_load_u16 v41, v[5:6], off offset:128
	global_load_u16 v42, v[7:8], off offset:128
	;; [unrolled: 1-line block ×4, first 2 shown]
	s_and_saveexec_b32 s27, s2
	s_cbranch_execz .LBB386_13
; %bb.21:                               ;   in Loop: Header=BB386_17 Depth=1
	s_clause 0x3
	global_load_u16 v5, v[5:6], off offset:192
	global_load_u16 v6, v[7:8], off offset:192
	global_load_u16 v7, v[9:10], off offset:192
	global_load_u16 v8, v[11:12], off offset:192
	s_waitcnt vmcnt(3)
	v_fma_mix_f32 v5, v37, v5, v14 op_sel_hi:[0,1,0]
	s_waitcnt vmcnt(2)
	s_delay_alu instid0(VALU_DEP_1) | instskip(SKIP_1) | instid1(VALU_DEP_1)
	v_fma_mix_f32 v5, v38, v6, v5 op_sel_hi:[0,1,0]
	s_waitcnt vmcnt(1)
	v_fma_mix_f32 v5, v39, v7, v5 op_sel_hi:[0,1,0]
	s_waitcnt vmcnt(0)
	s_delay_alu instid0(VALU_DEP_1)
	v_fma_mix_f32 v14, v40, v8, v5 op_sel_hi:[0,1,0]
	s_branch .LBB386_13
.LBB386_22:
	s_or_b32 exec_lo, exec_lo, s22
.LBB386_23:
	s_delay_alu instid0(SALU_CYCLE_1) | instskip(SKIP_1) | instid1(SALU_CYCLE_1)
	s_or_b32 exec_lo, exec_lo, s20
	s_sub_i32 s0, s7, s14
	s_cmp_lt_i32 s0, 1
	s_cbranch_scc1 .LBB386_41
; %bb.24:
	v_cmp_gt_i32_e32 vcc_lo, s7, v19
	v_dual_mov_b32 v10, 0 :: v_dual_mov_b32 v11, 0
	v_or_b32_e32 v2, 1, v19
	v_mov_b32_e32 v12, 0
	v_mov_b32_e32 v20, 0
	s_and_saveexec_b32 s1, vcc_lo
	s_cbranch_execz .LBB386_32
; %bb.25:
	s_waitcnt lgkmcnt(0)
	v_mul_lo_u32 v3, v19, s4
	v_dual_mov_b32 v12, 0 :: v_dual_mov_b32 v11, 0
	v_mov_b32_e32 v10, 0
	s_mov_b32 s2, exec_lo
	s_delay_alu instid0(VALU_DEP_3) | instskip(NEXT) | instid1(VALU_DEP_1)
	v_ashrrev_i32_e32 v4, 31, v3
	v_lshlrev_b64 v[3:4], 1, v[3:4]
	s_delay_alu instid0(VALU_DEP_1) | instskip(NEXT) | instid1(VALU_DEP_1)
	v_add_co_u32 v3, s0, s15, v3
	v_add_co_ci_u32_e64 v4, s0, s19, v4, s0
	global_load_u16 v3, v[3:4], off
	v_cmpx_gt_i32_e64 s7, v2
	s_cbranch_execz .LBB386_31
; %bb.26:
	v_mul_lo_u32 v4, v2, s4
	v_dual_mov_b32 v11, 0 :: v_dual_mov_b32 v10, 0
	s_mov_b32 s3, exec_lo
	s_delay_alu instid0(VALU_DEP_2) | instskip(NEXT) | instid1(VALU_DEP_1)
	v_ashrrev_i32_e32 v5, 31, v4
	v_lshlrev_b64 v[4:5], 1, v[4:5]
	s_delay_alu instid0(VALU_DEP_1) | instskip(NEXT) | instid1(VALU_DEP_1)
	v_add_co_u32 v4, s0, s15, v4
	v_add_co_ci_u32_e64 v5, s0, s19, v5, s0
	global_load_u16 v4, v[4:5], off
	v_or_b32_e32 v5, 2, v19
	s_delay_alu instid0(VALU_DEP_1)
	v_cmpx_gt_i32_e64 s7, v5
	s_cbranch_execz .LBB386_30
; %bb.27:
	v_mul_lo_u32 v5, v5, s4
	v_mov_b32_e32 v10, 0
	s_mov_b32 s14, exec_lo
	s_delay_alu instid0(VALU_DEP_2) | instskip(NEXT) | instid1(VALU_DEP_1)
	v_ashrrev_i32_e32 v6, 31, v5
	v_lshlrev_b64 v[5:6], 1, v[5:6]
	s_delay_alu instid0(VALU_DEP_1) | instskip(NEXT) | instid1(VALU_DEP_1)
	v_add_co_u32 v5, s0, s15, v5
	v_add_co_ci_u32_e64 v6, s0, s19, v6, s0
	global_load_u16 v5, v[5:6], off
	v_or_b32_e32 v6, 3, v19
	s_delay_alu instid0(VALU_DEP_1)
	v_cmpx_gt_i32_e64 s7, v6
	s_cbranch_execz .LBB386_29
; %bb.28:
	v_mul_lo_u32 v6, v6, s4
	s_delay_alu instid0(VALU_DEP_1) | instskip(NEXT) | instid1(VALU_DEP_1)
	v_ashrrev_i32_e32 v7, 31, v6
	v_lshlrev_b64 v[6:7], 1, v[6:7]
	s_delay_alu instid0(VALU_DEP_1) | instskip(NEXT) | instid1(VALU_DEP_1)
	v_add_co_u32 v6, s0, s15, v6
	v_add_co_ci_u32_e64 v7, s0, s19, v7, s0
	global_load_u16 v6, v[6:7], off
	s_waitcnt vmcnt(0)
	v_cvt_f32_f16_e32 v10, v6
.LBB386_29:
	s_or_b32 exec_lo, exec_lo, s14
	s_waitcnt vmcnt(0)
	v_cvt_f32_f16_e32 v11, v5
.LBB386_30:
	s_or_b32 exec_lo, exec_lo, s3
	s_waitcnt vmcnt(0)
	v_cvt_f32_f16_e32 v12, v4
.LBB386_31:
	s_or_b32 exec_lo, exec_lo, s2
	s_waitcnt vmcnt(0)
	v_cvt_f32_f16_e32 v20, v3
.LBB386_32:
	s_or_b32 exec_lo, exec_lo, s1
	s_delay_alu instid0(SALU_CYCLE_1)
	s_mov_b32 s1, exec_lo
	v_cmpx_gt_i32_e64 s6, v16
	s_cbranch_execz .LBB386_40
; %bb.33:
	v_mul_lo_u32 v3, v19, s18
	v_mul_lo_u32 v5, v2, s18
	v_or_b32_e32 v4, 2, v19
	v_or_b32_e32 v6, 3, v19
	s_mov_b32 s0, exec_lo
	s_delay_alu instid0(VALU_DEP_2)
	v_mul_lo_u32 v7, v4, s18
	v_cndmask_b32_e32 v3, 0, v3, vcc_lo
	v_cmp_gt_i32_e32 vcc_lo, s7, v2
	v_mul_lo_u32 v8, v6, s18
	v_cndmask_b32_e32 v5, 0, v5, vcc_lo
	v_cmp_gt_i32_e32 vcc_lo, s7, v4
	s_delay_alu instid0(VALU_DEP_2) | instskip(SKIP_2) | instid1(VALU_DEP_3)
	v_add_nc_u32_e32 v4, v5, v16
	v_dual_cndmask_b32 v7, 0, v7 :: v_dual_add_nc_u32 v2, v3, v16
	v_cmp_gt_i32_e32 vcc_lo, s7, v6
	v_ashrrev_i32_e32 v5, 31, v4
	s_delay_alu instid0(VALU_DEP_3) | instskip(SKIP_2) | instid1(VALU_DEP_4)
	v_ashrrev_i32_e32 v3, 31, v2
	v_cndmask_b32_e32 v8, 0, v8, vcc_lo
	v_add_nc_u32_e32 v6, v7, v16
	v_lshlrev_b64 v[4:5], 1, v[4:5]
	s_delay_alu instid0(VALU_DEP_4) | instskip(NEXT) | instid1(VALU_DEP_4)
	v_lshlrev_b64 v[2:3], 1, v[2:3]
	v_add_nc_u32_e32 v8, v8, v16
	s_delay_alu instid0(VALU_DEP_4) | instskip(NEXT) | instid1(VALU_DEP_3)
	v_ashrrev_i32_e32 v7, 31, v6
	v_add_co_u32 v2, vcc_lo, s10, v2
	s_delay_alu instid0(VALU_DEP_2)
	v_lshlrev_b64 v[6:7], 1, v[6:7]
	v_add_co_ci_u32_e32 v3, vcc_lo, s11, v3, vcc_lo
	v_ashrrev_i32_e32 v9, 31, v8
	v_add_co_u32 v4, vcc_lo, s10, v4
	v_add_co_ci_u32_e32 v5, vcc_lo, s11, v5, vcc_lo
	global_load_u16 v21, v[2:3], off
	v_add_co_u32 v6, vcc_lo, s10, v6
	v_add_co_ci_u32_e32 v7, vcc_lo, s11, v7, vcc_lo
	v_lshlrev_b64 v[8:9], 1, v[8:9]
	s_clause 0x1
	global_load_u16 v22, v[4:5], off
	global_load_u16 v23, v[6:7], off
	v_add_co_u32 v8, vcc_lo, s10, v8
	v_add_co_ci_u32_e32 v9, vcc_lo, s11, v9, vcc_lo
	global_load_u16 v19, v[8:9], off
	s_waitcnt vmcnt(3)
	v_fma_mix_f32 v18, v20, v21, v18 op_sel_hi:[0,1,0]
	v_add_nc_u32_e32 v21, 32, v16
	s_waitcnt vmcnt(2)
	s_delay_alu instid0(VALU_DEP_2) | instskip(SKIP_1) | instid1(VALU_DEP_1)
	v_fma_mix_f32 v18, v12, v22, v18 op_sel_hi:[0,1,0]
	s_waitcnt vmcnt(1)
	v_fma_mix_f32 v18, v11, v23, v18 op_sel_hi:[0,1,0]
	v_cmpx_gt_i32_e64 s6, v21
	s_cbranch_execz .LBB386_39
; %bb.34:
	s_clause 0x3
	global_load_u16 v22, v[2:3], off offset:64
	global_load_u16 v23, v[4:5], off offset:64
	;; [unrolled: 1-line block ×4, first 2 shown]
	s_mov_b32 s2, exec_lo
	s_waitcnt vmcnt(3)
	v_fma_mix_f32 v17, v20, v22, v17 op_sel_hi:[0,1,0]
	v_add_nc_u32_e32 v22, 64, v16
	s_waitcnt vmcnt(2)
	s_delay_alu instid0(VALU_DEP_2) | instskip(SKIP_1) | instid1(VALU_DEP_1)
	v_fma_mix_f32 v17, v12, v23, v17 op_sel_hi:[0,1,0]
	s_waitcnt vmcnt(1)
	v_fma_mix_f32 v17, v11, v24, v17 op_sel_hi:[0,1,0]
	v_cmpx_gt_i32_e64 s6, v22
	s_cbranch_execz .LBB386_38
; %bb.35:
	s_clause 0x3
	global_load_u16 v23, v[2:3], off offset:128
	global_load_u16 v24, v[4:5], off offset:128
	global_load_u16 v25, v[6:7], off offset:128
	global_load_u16 v22, v[8:9], off offset:128
	v_add_nc_u32_e32 v16, 0x60, v16
	s_mov_b32 s3, exec_lo
	s_waitcnt vmcnt(3)
	v_fma_mix_f32 v15, v20, v23, v15 op_sel_hi:[0,1,0]
	s_waitcnt vmcnt(2)
	s_delay_alu instid0(VALU_DEP_1) | instskip(SKIP_1) | instid1(VALU_DEP_1)
	v_fma_mix_f32 v15, v12, v24, v15 op_sel_hi:[0,1,0]
	s_waitcnt vmcnt(1)
	v_fma_mix_f32 v15, v11, v25, v15 op_sel_hi:[0,1,0]
	v_cmpx_gt_i32_e64 s6, v16
	s_cbranch_execz .LBB386_37
; %bb.36:
	s_clause 0x3
	global_load_u16 v2, v[2:3], off offset:192
	global_load_u16 v3, v[4:5], off offset:192
	;; [unrolled: 1-line block ×4, first 2 shown]
	s_waitcnt vmcnt(3)
	v_fma_mix_f32 v2, v20, v2, v14 op_sel_hi:[0,1,0]
	s_waitcnt vmcnt(2)
	s_delay_alu instid0(VALU_DEP_1) | instskip(SKIP_1) | instid1(VALU_DEP_1)
	v_fma_mix_f32 v2, v12, v3, v2 op_sel_hi:[0,1,0]
	s_waitcnt vmcnt(1)
	v_fma_mix_f32 v2, v11, v4, v2 op_sel_hi:[0,1,0]
	s_waitcnt vmcnt(0)
	s_delay_alu instid0(VALU_DEP_1)
	v_fma_mix_f32 v14, v10, v5, v2 op_sel_hi:[0,1,0]
.LBB386_37:
	s_or_b32 exec_lo, exec_lo, s3
	s_waitcnt vmcnt(0)
	v_fma_mix_f32 v15, v10, v22, v15 op_sel_hi:[0,1,0]
.LBB386_38:
	s_or_b32 exec_lo, exec_lo, s2
	s_waitcnt vmcnt(0)
	v_fma_mix_f32 v17, v10, v21, v17 op_sel_hi:[0,1,0]
.LBB386_39:
	s_or_b32 exec_lo, exec_lo, s0
	s_waitcnt vmcnt(0)
	v_fma_mix_f32 v18, v10, v19, v18 op_sel_hi:[0,1,0]
.LBB386_40:
	s_or_b32 exec_lo, exec_lo, s1
.LBB386_41:
	v_lshlrev_b32_e32 v2, 7, v13
	s_mov_b32 s0, exec_lo
                                        ; implicit-def: $vgpr5
	s_delay_alu instid0(VALU_DEP_1)
	v_add_lshl_u32 v1, v2, v1, 2
                                        ; implicit-def: $vgpr2_vgpr3
	ds_store_2addr_b32 v1, v18, v17 offset1:32
	ds_store_2addr_b32 v1, v15, v14 offset0:64 offset1:96
	s_waitcnt lgkmcnt(0)
	s_barrier
	buffer_gl0_inv
	v_cmpx_gt_u32_e32 0x80, v0
	s_cbranch_execz .LBB386_47
; %bb.42:
	v_lshlrev_b32_e32 v7, 2, v0
	s_mov_b32 s2, s16
	s_mov_b32 s1, exec_lo
	ds_load_2addr_stride64_b32 v[1:2], v7 offset1:2
	ds_load_2addr_stride64_b32 v[3:4], v7 offset0:4 offset1:6
	ds_load_2addr_stride64_b32 v[5:6], v7 offset0:8 offset1:10
	s_waitcnt lgkmcnt(2)
	v_add_f32_e32 v8, v1, v2
	ds_load_2addr_stride64_b32 v[1:2], v7 offset0:12 offset1:14
	s_waitcnt lgkmcnt(2)
	v_add_f32_e32 v3, v3, v8
	s_delay_alu instid0(VALU_DEP_1) | instskip(SKIP_3) | instid1(VALU_DEP_1)
	v_add_f32_e32 v8, v4, v3
	ds_load_2addr_stride64_b32 v[3:4], v7 offset0:16 offset1:18
	s_waitcnt lgkmcnt(2)
	v_add_f32_e32 v5, v5, v8
	v_add_f32_e32 v8, v6, v5
	ds_load_2addr_stride64_b32 v[5:6], v7 offset0:20 offset1:22
	s_waitcnt lgkmcnt(2)
	v_add_f32_e32 v1, v1, v8
	s_delay_alu instid0(VALU_DEP_1) | instskip(SKIP_1) | instid1(VALU_DEP_1)
	v_add_f32_e32 v1, v2, v1
	s_waitcnt lgkmcnt(1)
	v_add_f32_e32 v3, v3, v1
	ds_load_2addr_stride64_b32 v[1:2], v7 offset0:24 offset1:26
	v_add_f32_e32 v3, v4, v3
	s_waitcnt lgkmcnt(1)
	s_delay_alu instid0(VALU_DEP_1) | instskip(SKIP_3) | instid1(VALU_DEP_1)
	v_add_f32_e32 v5, v5, v3
	ds_load_2addr_stride64_b32 v[3:4], v7 offset0:28 offset1:30
	v_add_f32_e32 v5, v6, v5
	s_waitcnt lgkmcnt(1)
	v_add_f32_e32 v1, v1, v5
                                        ; implicit-def: $vgpr5
	s_delay_alu instid0(VALU_DEP_1) | instskip(SKIP_1) | instid1(VALU_DEP_1)
	v_add_f32_e32 v1, v2, v1
	s_waitcnt lgkmcnt(0)
	v_add_f32_e32 v2, v3, v1
	v_or_b32_e32 v1, s5, v0
	s_delay_alu instid0(VALU_DEP_2)
	v_add_f32_e32 v0, v4, v2
                                        ; implicit-def: $vgpr2_vgpr3
	ds_store_b32 v7, v0
	v_cmpx_gt_i32_e64 s6, v1
	s_cbranch_execz .LBB386_46
; %bb.43:
	v_mul_lo_u32 v2, v1, s17
	v_cmp_eq_f32_e64 s2, s12, 0
	v_mul_f32_e32 v0, s13, v0
	s_delay_alu instid0(VALU_DEP_2) | instskip(NEXT) | instid1(VALU_DEP_3)
	s_and_b32 vcc_lo, exec_lo, s2
	v_ashrrev_i32_e32 v3, 31, v2
	s_cbranch_vccnz .LBB386_45
; %bb.44:
	s_delay_alu instid0(VALU_DEP_1) | instskip(NEXT) | instid1(VALU_DEP_1)
	v_lshlrev_b64 v[4:5], 1, v[2:3]
	v_add_co_u32 v4, vcc_lo, s8, v4
	s_delay_alu instid0(VALU_DEP_2)
	v_add_co_ci_u32_e32 v5, vcc_lo, s9, v5, vcc_lo
	global_load_u16 v1, v[4:5], off
	s_waitcnt vmcnt(0)
	v_fma_mix_f32 v0, s12, v1, v0 op_sel_hi:[0,1,0]
.LBB386_45:
	s_delay_alu instid0(VALU_DEP_1)
	v_cvt_f16_f32_e32 v5, v0
	s_or_b32 s2, s16, exec_lo
.LBB386_46:
	s_or_b32 exec_lo, exec_lo, s1
	s_delay_alu instid0(SALU_CYCLE_1) | instskip(SKIP_1) | instid1(SALU_CYCLE_1)
	s_and_not1_b32 s1, s16, exec_lo
	s_and_b32 s2, s2, exec_lo
	s_or_b32 s16, s1, s2
.LBB386_47:
	s_or_b32 exec_lo, exec_lo, s0
.LBB386_48:
	s_and_saveexec_b32 s0, s16
	s_cbranch_execz .LBB386_50
; %bb.49:
	v_lshlrev_b64 v[0:1], 1, v[2:3]
	s_delay_alu instid0(VALU_DEP_1) | instskip(NEXT) | instid1(VALU_DEP_2)
	v_add_co_u32 v0, vcc_lo, s8, v0
	v_add_co_ci_u32_e32 v1, vcc_lo, s9, v1, vcc_lo
	global_store_b16 v[0:1], v5, off
.LBB386_50:
	s_nop 0
	s_sendmsg sendmsg(MSG_DEALLOC_VGPRS)
	s_endpgm
	.section	.rodata,"a",@progbits
	.p2align	6, 0x0
	.amdhsa_kernel _ZL20rocblas_gemvn_kernelILi32ELi16EiDF16_PKfDF16_EviiT3_lPKT2_lT1_lS5_lS6_lS2_lPT4_lS6_li
		.amdhsa_group_segment_fixed_size 8192
		.amdhsa_private_segment_fixed_size 0
		.amdhsa_kernarg_size 400
		.amdhsa_user_sgpr_count 14
		.amdhsa_user_sgpr_dispatch_ptr 0
		.amdhsa_user_sgpr_queue_ptr 0
		.amdhsa_user_sgpr_kernarg_segment_ptr 1
		.amdhsa_user_sgpr_dispatch_id 0
		.amdhsa_user_sgpr_private_segment_size 0
		.amdhsa_wavefront_size32 1
		.amdhsa_uses_dynamic_stack 0
		.amdhsa_enable_private_segment 0
		.amdhsa_system_sgpr_workgroup_id_x 1
		.amdhsa_system_sgpr_workgroup_id_y 0
		.amdhsa_system_sgpr_workgroup_id_z 1
		.amdhsa_system_sgpr_workgroup_info 0
		.amdhsa_system_vgpr_workitem_id 1
		.amdhsa_next_free_vgpr 45
		.amdhsa_next_free_sgpr 28
		.amdhsa_reserve_vcc 1
		.amdhsa_float_round_mode_32 0
		.amdhsa_float_round_mode_16_64 0
		.amdhsa_float_denorm_mode_32 3
		.amdhsa_float_denorm_mode_16_64 3
		.amdhsa_dx10_clamp 1
		.amdhsa_ieee_mode 1
		.amdhsa_fp16_overflow 0
		.amdhsa_workgroup_processor_mode 1
		.amdhsa_memory_ordered 1
		.amdhsa_forward_progress 0
		.amdhsa_shared_vgpr_count 0
		.amdhsa_exception_fp_ieee_invalid_op 0
		.amdhsa_exception_fp_denorm_src 0
		.amdhsa_exception_fp_ieee_div_zero 0
		.amdhsa_exception_fp_ieee_overflow 0
		.amdhsa_exception_fp_ieee_underflow 0
		.amdhsa_exception_fp_ieee_inexact 0
		.amdhsa_exception_int_div_zero 0
	.end_amdhsa_kernel
	.section	.text._ZL20rocblas_gemvn_kernelILi32ELi16EiDF16_PKfDF16_EviiT3_lPKT2_lT1_lS5_lS6_lS2_lPT4_lS6_li,"axG",@progbits,_ZL20rocblas_gemvn_kernelILi32ELi16EiDF16_PKfDF16_EviiT3_lPKT2_lT1_lS5_lS6_lS2_lPT4_lS6_li,comdat
.Lfunc_end386:
	.size	_ZL20rocblas_gemvn_kernelILi32ELi16EiDF16_PKfDF16_EviiT3_lPKT2_lT1_lS5_lS6_lS2_lPT4_lS6_li, .Lfunc_end386-_ZL20rocblas_gemvn_kernelILi32ELi16EiDF16_PKfDF16_EviiT3_lPKT2_lT1_lS5_lS6_lS2_lPT4_lS6_li
                                        ; -- End function
	.section	.AMDGPU.csdata,"",@progbits
; Kernel info:
; codeLenInByte = 3248
; NumSgprs: 30
; NumVgprs: 45
; ScratchSize: 0
; MemoryBound: 0
; FloatMode: 240
; IeeeMode: 1
; LDSByteSize: 8192 bytes/workgroup (compile time only)
; SGPRBlocks: 3
; VGPRBlocks: 5
; NumSGPRsForWavesPerEU: 30
; NumVGPRsForWavesPerEU: 45
; Occupancy: 16
; WaveLimiterHint : 1
; COMPUTE_PGM_RSRC2:SCRATCH_EN: 0
; COMPUTE_PGM_RSRC2:USER_SGPR: 14
; COMPUTE_PGM_RSRC2:TRAP_HANDLER: 0
; COMPUTE_PGM_RSRC2:TGID_X_EN: 1
; COMPUTE_PGM_RSRC2:TGID_Y_EN: 0
; COMPUTE_PGM_RSRC2:TGID_Z_EN: 1
; COMPUTE_PGM_RSRC2:TIDIG_COMP_CNT: 1
	.section	.text._ZL20rocblas_gemvn_kernelILi32ELi16ElDF16_PKfDF16_EviiT3_lPKT2_lT1_lS5_lS6_lS2_lPT4_lS6_li,"axG",@progbits,_ZL20rocblas_gemvn_kernelILi32ELi16ElDF16_PKfDF16_EviiT3_lPKT2_lT1_lS5_lS6_lS2_lPT4_lS6_li,comdat
	.globl	_ZL20rocblas_gemvn_kernelILi32ELi16ElDF16_PKfDF16_EviiT3_lPKT2_lT1_lS5_lS6_lS2_lPT4_lS6_li ; -- Begin function _ZL20rocblas_gemvn_kernelILi32ELi16ElDF16_PKfDF16_EviiT3_lPKT2_lT1_lS5_lS6_lS2_lPT4_lS6_li
	.p2align	8
	.type	_ZL20rocblas_gemvn_kernelILi32ELi16ElDF16_PKfDF16_EviiT3_lPKT2_lT1_lS5_lS6_lS2_lPT4_lS6_li,@function
_ZL20rocblas_gemvn_kernelILi32ELi16ElDF16_PKfDF16_EviiT3_lPKT2_lT1_lS5_lS6_lS2_lPT4_lS6_li: ; @_ZL20rocblas_gemvn_kernelILi32ELi16ElDF16_PKfDF16_EviiT3_lPKT2_lT1_lS5_lS6_lS2_lPT4_lS6_li
; %bb.0:
	s_load_b64 s[2:3], s[0:1], 0x9c
	s_waitcnt lgkmcnt(0)
	s_lshr_b32 s4, s2, 16
	s_and_b32 s2, s2, 0xffff
	s_and_b32 s3, s3, 0xffff
	s_mul_i32 s2, s4, s2
	s_delay_alu instid0(SALU_CYCLE_1) | instskip(NEXT) | instid1(SALU_CYCLE_1)
	s_mul_i32 s2, s2, s3
	s_cmpk_lg_i32 s2, 0x200
	s_cbranch_scc1 .LBB387_50
; %bb.1:
	s_clause 0x1
	s_load_b512 s[36:51], s[0:1], 0x8
	s_load_b512 s[16:31], s[0:1], 0x48
	s_waitcnt lgkmcnt(0)
	s_mul_i32 s3, s15, s39
	s_mul_hi_u32 s4, s15, s38
	s_mul_i32 s2, s15, s38
	s_add_i32 s3, s4, s3
	s_mul_i32 s4, s15, s23
	s_lshl_b64 s[2:3], s[2:3], 2
	s_mul_hi_u32 s5, s15, s22
	s_add_u32 s2, s36, s2
	s_addc_u32 s3, s37, s3
	s_add_i32 s5, s5, s4
	s_mul_i32 s4, s15, s22
	s_mov_b32 s23, 0
	s_lshl_b64 s[4:5], s[4:5], 2
	s_delay_alu instid0(SALU_CYCLE_1)
	s_add_u32 s4, s20, s4
	s_addc_u32 s5, s21, s5
	s_load_b32 s22, s[2:3], 0x0
	s_load_b32 s21, s[4:5], 0x0
	s_waitcnt lgkmcnt(0)
	v_cmp_eq_f32_e64 s2, s22, 0
	v_cmp_eq_f32_e64 s3, s21, 1.0
	s_delay_alu instid0(VALU_DEP_1) | instskip(NEXT) | instid1(SALU_CYCLE_1)
	s_and_b32 s2, s2, s3
	s_and_b32 vcc_lo, exec_lo, s2
	s_cbranch_vccnz .LBB387_50
; %bb.2:
	s_load_b64 s[6:7], s[0:1], 0x0
	v_and_b32_e32 v12, 0x3ff, v0
	v_bfe_u32 v13, v0, 10, 10
	s_mul_i32 s2, s15, s31
	s_mul_hi_u32 s3, s15, s30
	s_mul_i32 s0, s15, s30
	s_add_i32 s1, s3, s2
	v_lshl_add_u32 v11, v13, 5, v12
	s_lshl_b64 s[0:1], s[0:1], 1
	v_cmp_neq_f32_e64 s4, s22, 0
	s_add_u32 s2, s24, s0
	s_addc_u32 s3, s25, s1
	s_lshl_b64 s[0:1], s[26:27], 1
	s_delay_alu instid0(SALU_CYCLE_1)
	s_add_u32 s5, s2, s0
	v_cmp_gt_u32_e64 s0, 0x80, v11
	s_addc_u32 s20, s3, s1
	s_and_b32 vcc_lo, exec_lo, s4
	s_cbranch_vccnz .LBB387_7
; %bb.3:
	s_mov_b32 s1, 0
                                        ; implicit-def: $vgpr3
                                        ; implicit-def: $vgpr0_vgpr1
	s_and_saveexec_b32 s2, s0
	s_cbranch_execz .LBB387_8
; %bb.4:
	v_lshl_or_b32 v2, s14, 7, v11
	v_mov_b32_e32 v3, 0
	s_waitcnt lgkmcnt(0)
	s_ashr_i32 s9, s6, 31
	s_mov_b32 s8, s6
	s_mov_b32 s3, 0
                                        ; implicit-def: $vgpr0_vgpr1
	v_cmp_gt_i64_e32 vcc_lo, s[8:9], v[2:3]
                                        ; implicit-def: $vgpr3
	s_and_saveexec_b32 s0, vcc_lo
	s_cbranch_execz .LBB387_10
; %bb.5:
	v_mad_u64_u32 v[0:1], null, v2, s28, 0
	v_cmp_eq_f32_e64 s3, s21, 0
	s_delay_alu instid0(VALU_DEP_1) | instskip(NEXT) | instid1(VALU_DEP_2)
	s_and_b32 vcc_lo, exec_lo, s3
	v_mad_u64_u32 v[3:4], null, v2, s29, v[1:2]
	s_delay_alu instid0(VALU_DEP_1)
	v_mov_b32_e32 v1, v3
	s_cbranch_vccnz .LBB387_9
; %bb.6:
	s_delay_alu instid0(VALU_DEP_1) | instskip(SKIP_1) | instid1(VALU_DEP_1)
	v_lshlrev_b64 v[2:3], 1, v[0:1]
	s_mov_b32 s3, exec_lo
	v_add_co_u32 v2, vcc_lo, s5, v2
	s_delay_alu instid0(VALU_DEP_2)
	v_add_co_ci_u32_e32 v3, vcc_lo, s20, v3, vcc_lo
	global_load_u16 v2, v[2:3], off
	s_waitcnt vmcnt(0)
	v_fma_mixlo_f16 v3, s21, v2, 0 op_sel_hi:[0,1,0]
	s_branch .LBB387_10
.LBB387_7:
                                        ; implicit-def: $vgpr3
                                        ; implicit-def: $vgpr0_vgpr1
	s_cbranch_execnz .LBB387_11
	s_branch .LBB387_48
.LBB387_8:
	s_or_b32 exec_lo, exec_lo, s2
	s_delay_alu instid0(SALU_CYCLE_1)
	s_and_b32 vcc_lo, exec_lo, s1
	s_cbranch_vccnz .LBB387_11
	s_branch .LBB387_48
.LBB387_9:
	v_mov_b32_e32 v3, 0
	s_mov_b32 s3, exec_lo
.LBB387_10:
	s_or_b32 exec_lo, exec_lo, s0
	s_delay_alu instid0(SALU_CYCLE_1) | instskip(SKIP_1) | instid1(SALU_CYCLE_1)
	s_and_b32 s23, s3, exec_lo
	s_or_b32 exec_lo, exec_lo, s2
	s_and_b32 vcc_lo, exec_lo, s1
	s_cbranch_vccz .LBB387_48
.LBB387_11:
	s_mul_i32 s0, s15, s47
	s_mul_hi_u32 s1, s15, s46
	s_lshl_b32 s24, s14, 7
	s_add_i32 s9, s1, s0
	s_waitcnt lgkmcnt(0)
	s_ashr_i32 s1, s7, 31
	v_dual_mov_b32 v17, 0 :: v_dual_lshlrev_b32 v14, 2, v13
	s_lshr_b32 s1, s1, 26
	v_dual_mov_b32 v15, 0 :: v_dual_add_nc_u32 v0, s24, v12
	v_mov_b32_e32 v18, 0
	v_mov_b32_e32 v16, 0
	s_mul_i32 s0, s15, s19
	s_mul_hi_u32 s2, s15, s18
	s_add_i32 s25, s7, s1
	s_mul_i32 s8, s15, s46
	s_and_not1_b32 s25, s25, 63
	s_add_i32 s11, s2, s0
	s_mul_i32 s10, s15, s18
	s_mov_b32 s26, exec_lo
	v_cmpx_gt_i32_e64 s25, v14
	s_cbranch_execz .LBB387_23
; %bb.12:
	v_lshlrev_b32_e32 v29, 2, v13
	v_mad_u64_u32 v[2:3], null, s16, v13, 0
	v_add_nc_u32_e32 v15, 32, v0
	s_lshl_b64 s[0:1], s[10:11], 1
	s_delay_alu instid0(VALU_DEP_3)
	v_or_b32_e32 v17, 3, v29
	s_lshl_b64 s[12:13], s[50:51], 1
	s_add_u32 s4, s48, s0
	s_addc_u32 s27, s49, s1
	v_cmp_gt_i32_e64 s0, s6, v15
	v_mad_u64_u32 v[4:5], null, s44, v17, 0
	s_lshl_b64 s[18:19], s[42:43], 1
	s_lshl_b64 s[14:15], s[16:17], 7
	;; [unrolled: 1-line block ×3, first 2 shown]
	v_ashrrev_i32_e32 v1, 31, v0
	v_cmp_gt_i32_e32 vcc_lo, s6, v0
	s_delay_alu instid0(VALU_DEP_3) | instskip(SKIP_3) | instid1(VALU_DEP_4)
	v_mad_u64_u32 v[6:7], null, s17, v13, v[3:4]
	v_add_nc_u32_e32 v16, 64, v0
	v_mad_u64_u32 v[7:8], null, s16, v17, 0
	v_add_nc_u32_e32 v18, 0x60, v0
	v_mad_u64_u32 v[9:10], null, s45, v17, v[5:6]
	v_mov_b32_e32 v3, v6
	v_cmp_gt_i32_e64 s1, s6, v16
	s_delay_alu instid0(VALU_DEP_2)
	v_lshlrev_b64 v[15:16], 3, v[2:3]
	v_mov_b32_e32 v3, v8
	v_mov_b32_e32 v5, v9
	v_mad_u64_u32 v[9:10], null, s44, v13, 0
	v_cmp_gt_i32_e64 s2, s6, v18
	v_add_co_u32 v19, s3, s4, v15
	s_delay_alu instid0(VALU_DEP_4) | instskip(SKIP_4) | instid1(VALU_DEP_2)
	v_lshlrev_b64 v[4:5], 1, v[4:5]
	v_add_co_ci_u32_e64 v20, s3, s27, v16, s3
	s_add_u32 s3, s40, s18
	s_addc_u32 s18, s41, s19
	s_add_u32 s19, s3, s30
	v_mad_u64_u32 v[15:16], null, s17, v17, v[3:4]
	v_mov_b32_e32 v3, v10
	s_addc_u32 s18, s18, s31
	v_add_co_u32 v21, s3, s19, v4
	s_delay_alu instid0(VALU_DEP_1) | instskip(NEXT) | instid1(VALU_DEP_4)
	v_add_co_ci_u32_e64 v22, s3, s18, v5, s3
	v_mov_b32_e32 v8, v15
	v_or_b32_e32 v23, 2, v29
	v_mad_u64_u32 v[17:18], null, s45, v13, v[3:4]
	v_mad_u64_u32 v[31:32], null, s44, v29, s[44:45]
	s_delay_alu instid0(VALU_DEP_3)
	v_mad_u64_u32 v[15:16], null, s44, v23, 0
	v_lshlrev_b64 v[4:5], 1, v[7:8]
	v_mad_u64_u32 v[27:28], null, s16, v23, 0
	v_mov_b32_e32 v10, v17
	v_mad_u64_u32 v[17:18], null, s16, v29, s[16:17]
	v_mov_b32_e32 v3, v16
	v_lshlrev_b64 v[1:2], 1, v[0:1]
	v_mov_b32_e32 v6, v28
	s_delay_alu instid0(VALU_DEP_3) | instskip(SKIP_1) | instid1(VALU_DEP_2)
	v_mad_u64_u32 v[7:8], null, s45, v23, v[3:4]
	v_mov_b32_e32 v3, v18
	v_mad_u64_u32 v[25:26], null, s17, v23, v[6:7]
	v_add_co_u32 v23, s3, s4, v4
	s_delay_alu instid0(VALU_DEP_1) | instskip(SKIP_3) | instid1(VALU_DEP_3)
	v_add_co_ci_u32_e64 v24, s3, s27, v5, s3
	v_lshlrev_b64 v[4:5], 3, v[9:10]
	v_mov_b32_e32 v16, v7
	v_mov_b32_e32 v28, v25
	v_mad_u64_u32 v[6:7], null, s17, v29, v[3:4]
	v_add_co_u32 v25, s3, s19, v4
	s_delay_alu instid0(VALU_DEP_1) | instskip(SKIP_1) | instid1(VALU_DEP_4)
	v_add_co_ci_u32_e64 v26, s3, s18, v5, s3
	v_lshlrev_b64 v[4:5], 1, v[15:16]
	v_dual_mov_b32 v3, v32 :: v_dual_mov_b32 v18, v6
	v_dual_mov_b32 v16, 0 :: v_dual_mov_b32 v15, 0
	s_delay_alu instid0(VALU_DEP_2)
	v_mad_u64_u32 v[7:8], null, s45, v29, v[3:4]
	v_lshlrev_b64 v[8:9], 1, v[27:28]
	v_add_co_u32 v27, s3, s19, v4
	v_lshlrev_b64 v[3:4], 1, v[17:18]
	v_add_co_ci_u32_e64 v28, s3, s18, v5, s3
	v_mov_b32_e32 v32, v7
	v_add_co_u32 v29, s3, s4, v8
	s_delay_alu instid0(VALU_DEP_1) | instskip(NEXT) | instid1(VALU_DEP_3)
	v_add_co_ci_u32_e64 v30, s3, s27, v9, s3
	v_lshlrev_b64 v[5:6], 1, v[31:32]
	v_add_co_u32 v31, s3, s4, v3
	s_delay_alu instid0(VALU_DEP_1) | instskip(SKIP_1) | instid1(VALU_DEP_4)
	v_add_co_ci_u32_e64 v32, s3, s27, v4, s3
	v_dual_mov_b32 v18, 0 :: v_dual_mov_b32 v17, 0
	v_add_co_u32 v33, s3, s19, v5
	s_delay_alu instid0(VALU_DEP_1)
	v_add_co_ci_u32_e64 v34, s3, s18, v6, s3
	s_lshl_b64 s[18:19], s[44:45], 7
	s_mov_b32 s27, 0
	s_branch .LBB387_17
.LBB387_13:                             ;   in Loop: Header=BB387_17 Depth=1
	s_or_b32 exec_lo, exec_lo, s31
	s_waitcnt vmcnt(3)
	v_fma_mix_f32 v3, v47, v51, v16 op_sel_hi:[0,1,0]
	s_waitcnt vmcnt(2)
	s_delay_alu instid0(VALU_DEP_1) | instskip(SKIP_1) | instid1(VALU_DEP_1)
	v_fma_mix_f32 v3, v48, v52, v3 op_sel_hi:[0,1,0]
	s_waitcnt vmcnt(1)
	v_fma_mix_f32 v3, v49, v53, v3 op_sel_hi:[0,1,0]
	s_waitcnt vmcnt(0)
	s_delay_alu instid0(VALU_DEP_1)
	v_fma_mix_f32 v16, v50, v54, v3 op_sel_hi:[0,1,0]
.LBB387_14:                             ;   in Loop: Header=BB387_17 Depth=1
	s_or_b32 exec_lo, exec_lo, s30
	s_waitcnt vmcnt(3)
	v_fma_mix_f32 v3, v47, v43, v17 op_sel_hi:[0,1,0]
	s_waitcnt vmcnt(2)
	s_delay_alu instid0(VALU_DEP_1) | instskip(SKIP_1) | instid1(VALU_DEP_1)
	v_fma_mix_f32 v3, v48, v44, v3 op_sel_hi:[0,1,0]
	s_waitcnt vmcnt(1)
	v_fma_mix_f32 v3, v49, v45, v3 op_sel_hi:[0,1,0]
	s_waitcnt vmcnt(0)
	s_delay_alu instid0(VALU_DEP_1)
	v_fma_mix_f32 v17, v50, v46, v3 op_sel_hi:[0,1,0]
.LBB387_15:                             ;   in Loop: Header=BB387_17 Depth=1
	s_or_b32 exec_lo, exec_lo, s3
	s_waitcnt vmcnt(3)
	v_fma_mix_f32 v3, v35, v39, v18 op_sel_hi:[1,1,0]
	s_waitcnt vmcnt(2)
	s_delay_alu instid0(VALU_DEP_1) | instskip(SKIP_1) | instid1(VALU_DEP_1)
	v_fma_mix_f32 v3, v36, v40, v3 op_sel_hi:[1,1,0]
	s_waitcnt vmcnt(1)
	v_fma_mix_f32 v3, v37, v41, v3 op_sel_hi:[1,1,0]
	s_waitcnt vmcnt(0)
	s_delay_alu instid0(VALU_DEP_1)
	v_fma_mix_f32 v18, v38, v42, v3 op_sel_hi:[1,1,0]
.LBB387_16:                             ;   in Loop: Header=BB387_17 Depth=1
	s_or_b32 exec_lo, exec_lo, s4
	v_add_co_u32 v19, s3, v19, s14
	s_delay_alu instid0(VALU_DEP_1) | instskip(SKIP_1) | instid1(VALU_DEP_1)
	v_add_co_ci_u32_e64 v20, s3, s15, v20, s3
	v_add_co_u32 v21, s3, v21, s18
	v_add_co_ci_u32_e64 v22, s3, s19, v22, s3
	v_add_co_u32 v23, s3, v23, s14
	s_delay_alu instid0(VALU_DEP_1) | instskip(SKIP_1) | instid1(VALU_DEP_1)
	v_add_co_ci_u32_e64 v24, s3, s15, v24, s3
	v_add_co_u32 v25, s3, v25, s18
	v_add_co_ci_u32_e64 v26, s3, s19, v26, s3
	v_add_co_u32 v27, s3, v27, s18
	s_delay_alu instid0(VALU_DEP_1) | instskip(SKIP_4) | instid1(VALU_DEP_1)
	v_add_co_ci_u32_e64 v28, s3, s19, v28, s3
	v_add_co_u32 v29, s3, v29, s14
	v_add_nc_u32_e32 v14, 64, v14
	v_add_co_ci_u32_e64 v30, s3, s15, v30, s3
	v_add_co_u32 v31, s3, v31, s14
	v_add_co_ci_u32_e64 v32, s3, s15, v32, s3
	s_delay_alu instid0(VALU_DEP_4) | instskip(SKIP_1) | instid1(VALU_DEP_1)
	v_cmp_le_i32_e64 s3, s25, v14
	v_add_co_u32 v33, s4, v33, s18
	v_add_co_ci_u32_e64 v34, s4, s19, v34, s4
	s_delay_alu instid0(VALU_DEP_3) | instskip(NEXT) | instid1(SALU_CYCLE_1)
	s_or_b32 s27, s3, s27
	s_and_not1_b32 exec_lo, exec_lo, s27
	s_cbranch_execz .LBB387_22
.LBB387_17:                             ; =>This Inner Loop Header: Depth=1
	s_and_saveexec_b32 s4, vcc_lo
	s_cbranch_execz .LBB387_16
; %bb.18:                               ;   in Loop: Header=BB387_17 Depth=1
	v_add_co_u32 v3, s3, v19, s12
	s_delay_alu instid0(VALU_DEP_1) | instskip(SKIP_1) | instid1(VALU_DEP_1)
	v_add_co_ci_u32_e64 v4, s3, s13, v20, s3
	v_add_co_u32 v5, s3, v31, s12
	v_add_co_ci_u32_e64 v6, s3, s13, v32, s3
	v_add_co_u32 v7, s3, v29, s12
	s_delay_alu instid0(VALU_DEP_1) | instskip(SKIP_1) | instid1(VALU_DEP_1)
	v_add_co_ci_u32_e64 v8, s3, s13, v30, s3
	v_add_co_u32 v38, s3, v23, s12
	v_add_co_ci_u32_e64 v39, s3, s13, v24, s3
	global_load_u16 v35, v[3:4], off
	global_load_u16 v36, v[5:6], off
	;; [unrolled: 1-line block ×3, first 2 shown]
	v_add_co_u32 v3, s3, v25, v1
	s_delay_alu instid0(VALU_DEP_1) | instskip(SKIP_1) | instid1(VALU_DEP_1)
	v_add_co_ci_u32_e64 v4, s3, v26, v2, s3
	v_add_co_u32 v5, s3, v33, v1
	v_add_co_ci_u32_e64 v6, s3, v34, v2, s3
	v_add_co_u32 v7, s3, v27, v1
	s_delay_alu instid0(VALU_DEP_1) | instskip(SKIP_1) | instid1(VALU_DEP_1)
	v_add_co_ci_u32_e64 v8, s3, v28, v2, s3
	v_add_co_u32 v9, s3, v21, v1
	v_add_co_ci_u32_e64 v10, s3, v22, v2, s3
	global_load_u16 v38, v[38:39], off
	global_load_u16 v39, v[3:4], off
	;; [unrolled: 1-line block ×5, first 2 shown]
	s_and_saveexec_b32 s3, s0
	s_cbranch_execz .LBB387_15
; %bb.19:                               ;   in Loop: Header=BB387_17 Depth=1
	global_load_u16 v43, v[3:4], off offset:64
	global_load_u16 v44, v[5:6], off offset:64
	;; [unrolled: 1-line block ×4, first 2 shown]
	s_waitcnt vmcnt(11)
	v_cvt_f32_f16_e32 v47, v35
	s_waitcnt vmcnt(10)
	v_cvt_f32_f16_e32 v48, v36
	;; [unrolled: 2-line block ×4, first 2 shown]
	s_and_saveexec_b32 s30, s1
	s_cbranch_execz .LBB387_14
; %bb.20:                               ;   in Loop: Header=BB387_17 Depth=1
	global_load_u16 v51, v[3:4], off offset:128
	global_load_u16 v52, v[5:6], off offset:128
	;; [unrolled: 1-line block ×4, first 2 shown]
	s_and_saveexec_b32 s31, s2
	s_cbranch_execz .LBB387_13
; %bb.21:                               ;   in Loop: Header=BB387_17 Depth=1
	global_load_u16 v3, v[3:4], off offset:192
	global_load_u16 v4, v[5:6], off offset:192
	;; [unrolled: 1-line block ×4, first 2 shown]
	s_waitcnt vmcnt(3)
	v_fma_mix_f32 v3, v47, v3, v15 op_sel_hi:[0,1,0]
	s_waitcnt vmcnt(2)
	s_delay_alu instid0(VALU_DEP_1) | instskip(SKIP_1) | instid1(VALU_DEP_1)
	v_fma_mix_f32 v3, v48, v4, v3 op_sel_hi:[0,1,0]
	s_waitcnt vmcnt(1)
	v_fma_mix_f32 v3, v49, v5, v3 op_sel_hi:[0,1,0]
	s_waitcnt vmcnt(0)
	s_delay_alu instid0(VALU_DEP_1)
	v_fma_mix_f32 v15, v50, v6, v3 op_sel_hi:[0,1,0]
	s_branch .LBB387_13
.LBB387_22:
	s_or_b32 exec_lo, exec_lo, s27
.LBB387_23:
	s_delay_alu instid0(SALU_CYCLE_1) | instskip(SKIP_1) | instid1(SALU_CYCLE_1)
	s_or_b32 exec_lo, exec_lo, s26
	s_sub_i32 s0, s7, s25
	s_cmp_lt_i32 s0, 1
	s_cbranch_scc1 .LBB387_41
; %bb.24:
	v_cmp_gt_i32_e32 vcc_lo, s7, v14
	v_dual_mov_b32 v9, 0 :: v_dual_mov_b32 v10, 0
	v_or_b32_e32 v2, 1, v14
	v_dual_mov_b32 v19, 0 :: v_dual_mov_b32 v20, 0
	s_and_saveexec_b32 s1, vcc_lo
	s_cbranch_execz .LBB387_32
; %bb.25:
	v_mad_u64_u32 v[3:4], null, v14, s16, 0
	s_lshl_b64 s[2:3], s[10:11], 1
	v_mov_b32_e32 v19, 0
	s_add_u32 s0, s48, s2
	s_addc_u32 s2, s49, s3
	s_lshl_b64 s[10:11], s[50:51], 1
	v_mov_b32_e32 v9, 0
	s_delay_alu instid0(VALU_DEP_3) | instskip(SKIP_3) | instid1(VALU_DEP_1)
	v_dual_mov_b32 v1, v4 :: v_dual_mov_b32 v10, 0
	s_add_u32 s3, s0, s10
	s_addc_u32 s4, s2, s11
	s_mov_b32 s2, exec_lo
	v_mad_u64_u32 v[4:5], null, v14, s17, v[1:2]
	s_delay_alu instid0(VALU_DEP_1) | instskip(NEXT) | instid1(VALU_DEP_1)
	v_lshlrev_b64 v[3:4], 1, v[3:4]
	v_add_co_u32 v3, s0, s3, v3
	s_delay_alu instid0(VALU_DEP_1)
	v_add_co_ci_u32_e64 v4, s0, s4, v4, s0
	global_load_u16 v1, v[3:4], off
	v_cmpx_gt_i32_e64 s7, v2
	s_cbranch_execz .LBB387_31
; %bb.26:
	v_mad_u64_u32 v[3:4], null, v2, s16, 0
	v_mov_b32_e32 v10, 0
	s_mov_b32 s10, exec_lo
	v_mov_b32_e32 v9, 0
	s_delay_alu instid0(VALU_DEP_3) | instskip(NEXT) | instid1(VALU_DEP_1)
	v_mad_u64_u32 v[5:6], null, v2, s17, v[4:5]
	v_mov_b32_e32 v4, v5
	s_delay_alu instid0(VALU_DEP_1) | instskip(NEXT) | instid1(VALU_DEP_1)
	v_lshlrev_b64 v[3:4], 1, v[3:4]
	v_add_co_u32 v3, s0, s3, v3
	s_delay_alu instid0(VALU_DEP_1) | instskip(SKIP_2) | instid1(VALU_DEP_1)
	v_add_co_ci_u32_e64 v4, s0, s4, v4, s0
	global_load_u16 v3, v[3:4], off
	v_or_b32_e32 v4, 2, v14
	v_cmpx_gt_i32_e64 s7, v4
	s_cbranch_execz .LBB387_30
; %bb.27:
	v_mad_u64_u32 v[5:6], null, v4, s16, 0
	s_mov_b32 s11, exec_lo
	v_mov_b32_e32 v9, 0
	s_delay_alu instid0(VALU_DEP_2) | instskip(NEXT) | instid1(VALU_DEP_1)
	v_mad_u64_u32 v[7:8], null, v4, s17, v[6:7]
	v_mov_b32_e32 v6, v7
	s_delay_alu instid0(VALU_DEP_1) | instskip(NEXT) | instid1(VALU_DEP_1)
	v_lshlrev_b64 v[4:5], 1, v[5:6]
	v_add_co_u32 v4, s0, s3, v4
	s_delay_alu instid0(VALU_DEP_1) | instskip(SKIP_2) | instid1(VALU_DEP_1)
	v_add_co_ci_u32_e64 v5, s0, s4, v5, s0
	global_load_u16 v4, v[4:5], off
	v_or_b32_e32 v5, 3, v14
	v_cmpx_gt_i32_e64 s7, v5
	s_cbranch_execz .LBB387_29
; %bb.28:
	v_mad_u64_u32 v[6:7], null, v5, s16, 0
	s_delay_alu instid0(VALU_DEP_1) | instskip(NEXT) | instid1(VALU_DEP_1)
	v_mad_u64_u32 v[8:9], null, v5, s17, v[7:8]
	v_mov_b32_e32 v7, v8
	s_delay_alu instid0(VALU_DEP_1) | instskip(NEXT) | instid1(VALU_DEP_1)
	v_lshlrev_b64 v[5:6], 1, v[6:7]
	v_add_co_u32 v5, s0, s3, v5
	s_delay_alu instid0(VALU_DEP_1)
	v_add_co_ci_u32_e64 v6, s0, s4, v6, s0
	global_load_u16 v5, v[5:6], off
	s_waitcnt vmcnt(0)
	v_cvt_f32_f16_e32 v9, v5
.LBB387_29:
	s_or_b32 exec_lo, exec_lo, s11
	s_waitcnt vmcnt(0)
	v_cvt_f32_f16_e32 v10, v4
.LBB387_30:
	s_or_b32 exec_lo, exec_lo, s10
	s_waitcnt vmcnt(0)
	v_cvt_f32_f16_e32 v19, v3
.LBB387_31:
	s_or_b32 exec_lo, exec_lo, s2
	s_waitcnt vmcnt(0)
	v_cvt_f32_f16_e32 v20, v1
.LBB387_32:
	s_or_b32 exec_lo, exec_lo, s1
	s_delay_alu instid0(SALU_CYCLE_1)
	s_mov_b32 s1, exec_lo
	v_cmpx_gt_i32_e64 s6, v0
	s_cbranch_execz .LBB387_40
; %bb.33:
	v_mad_u64_u32 v[3:4], null, v14, s44, 0
	v_mad_u64_u32 v[5:6], null, v2, s44, 0
	v_ashrrev_i32_e32 v1, 31, v0
	s_lshl_b64 s[2:3], s[8:9], 1
	v_or_b32_e32 v28, 2, v14
	s_add_u32 s0, s40, s2
	s_delay_alu instid0(VALU_DEP_4)
	v_cndmask_b32_e32 v3, 0, v3, vcc_lo
	v_lshlrev_b64 v[21:22], 1, v[0:1]
	v_mad_u64_u32 v[7:8], null, v14, s45, v[4:5]
	s_addc_u32 s4, s41, s3
	s_lshl_b64 s[2:3], s[42:43], 1
	v_or_b32_e32 v14, 3, v14
	s_add_u32 s2, s0, s2
	v_mov_b32_e32 v1, v6
	v_mad_u64_u32 v[23:24], null, v28, s44, 0
	s_delay_alu instid0(VALU_DEP_4) | instskip(SKIP_1) | instid1(VALU_DEP_4)
	v_cndmask_b32_e32 v4, 0, v7, vcc_lo
	v_cmp_gt_i32_e32 vcc_lo, s7, v2
	v_mad_u64_u32 v[25:26], null, v2, s45, v[1:2]
	s_addc_u32 s3, s4, s3
	v_mad_u64_u32 v[6:7], null, v14, s44, 0
	v_cndmask_b32_e32 v26, 0, v5, vcc_lo
	v_lshlrev_b64 v[3:4], 1, v[3:4]
	s_delay_alu instid0(VALU_DEP_4) | instskip(NEXT) | instid1(VALU_DEP_2)
	v_cndmask_b32_e32 v27, 0, v25, vcc_lo
	v_add_co_u32 v1, s0, s2, v3
	s_delay_alu instid0(VALU_DEP_1) | instskip(NEXT) | instid1(VALU_DEP_3)
	v_add_co_ci_u32_e64 v2, s0, s3, v4, s0
	v_lshlrev_b64 v[3:4], 1, v[26:27]
	s_delay_alu instid0(VALU_DEP_3) | instskip(NEXT) | instid1(VALU_DEP_3)
	v_add_co_u32 v1, vcc_lo, v1, v21
	v_add_co_ci_u32_e32 v2, vcc_lo, v2, v22, vcc_lo
	v_cmp_gt_i32_e32 vcc_lo, s7, v28
	v_mov_b32_e32 v5, v24
	v_add_co_u32 v3, s0, s2, v3
	s_delay_alu instid0(VALU_DEP_1) | instskip(NEXT) | instid1(VALU_DEP_3)
	v_add_co_ci_u32_e64 v4, s0, s3, v4, s0
	v_mad_u64_u32 v[24:25], null, v28, s45, v[5:6]
	v_mov_b32_e32 v5, v7
	v_cndmask_b32_e32 v7, 0, v23, vcc_lo
	s_mov_b32 s0, exec_lo
	s_delay_alu instid0(VALU_DEP_3) | instskip(NEXT) | instid1(VALU_DEP_3)
	v_cndmask_b32_e32 v8, 0, v24, vcc_lo
	v_mad_u64_u32 v[23:24], null, v14, s45, v[5:6]
	v_add_co_u32 v3, vcc_lo, v3, v21
	v_add_co_ci_u32_e32 v4, vcc_lo, v4, v22, vcc_lo
	v_cmp_gt_i32_e32 vcc_lo, s7, v14
	v_lshlrev_b64 v[7:8], 1, v[7:8]
	s_clause 0x1
	global_load_u16 v24, v[1:2], off
	global_load_u16 v25, v[3:4], off
	v_dual_cndmask_b32 v5, 0, v6 :: v_dual_cndmask_b32 v6, 0, v23
	v_add_co_u32 v14, vcc_lo, s2, v7
	v_add_co_ci_u32_e32 v23, vcc_lo, s3, v8, vcc_lo
	s_delay_alu instid0(VALU_DEP_3) | instskip(NEXT) | instid1(VALU_DEP_3)
	v_lshlrev_b64 v[7:8], 1, v[5:6]
	v_add_co_u32 v5, vcc_lo, v14, v21
	s_delay_alu instid0(VALU_DEP_3) | instskip(NEXT) | instid1(VALU_DEP_3)
	v_add_co_ci_u32_e32 v6, vcc_lo, v23, v22, vcc_lo
	v_add_co_u32 v7, vcc_lo, s2, v7
	s_delay_alu instid0(VALU_DEP_4)
	v_add_co_ci_u32_e32 v8, vcc_lo, s3, v8, vcc_lo
	global_load_u16 v23, v[5:6], off
	v_add_co_u32 v7, vcc_lo, v7, v21
	v_add_co_ci_u32_e32 v8, vcc_lo, v8, v22, vcc_lo
	v_add_nc_u32_e32 v21, 32, v0
	global_load_u16 v14, v[7:8], off
	s_waitcnt vmcnt(3)
	v_fma_mix_f32 v18, v20, v24, v18 op_sel_hi:[0,1,0]
	s_waitcnt vmcnt(2)
	s_delay_alu instid0(VALU_DEP_1) | instskip(SKIP_1) | instid1(VALU_DEP_1)
	v_fma_mix_f32 v18, v19, v25, v18 op_sel_hi:[0,1,0]
	s_waitcnt vmcnt(1)
	v_fma_mix_f32 v18, v10, v23, v18 op_sel_hi:[0,1,0]
	v_cmpx_gt_i32_e64 s6, v21
	s_cbranch_execz .LBB387_39
; %bb.34:
	s_clause 0x3
	global_load_u16 v22, v[1:2], off offset:64
	global_load_u16 v23, v[3:4], off offset:64
	;; [unrolled: 1-line block ×4, first 2 shown]
	s_mov_b32 s2, exec_lo
	s_waitcnt vmcnt(3)
	v_fma_mix_f32 v17, v20, v22, v17 op_sel_hi:[0,1,0]
	v_add_nc_u32_e32 v22, 64, v0
	s_waitcnt vmcnt(2)
	s_delay_alu instid0(VALU_DEP_2) | instskip(SKIP_1) | instid1(VALU_DEP_1)
	v_fma_mix_f32 v17, v19, v23, v17 op_sel_hi:[0,1,0]
	s_waitcnt vmcnt(1)
	v_fma_mix_f32 v17, v10, v24, v17 op_sel_hi:[0,1,0]
	v_cmpx_gt_i32_e64 s6, v22
	s_cbranch_execz .LBB387_38
; %bb.35:
	s_clause 0x3
	global_load_u16 v23, v[1:2], off offset:128
	global_load_u16 v24, v[3:4], off offset:128
	;; [unrolled: 1-line block ×4, first 2 shown]
	s_mov_b32 s3, exec_lo
	s_waitcnt vmcnt(3)
	v_fma_mix_f32 v16, v20, v23, v16 op_sel_hi:[0,1,0]
	v_add_nc_u32_e32 v23, 0x60, v0
	s_waitcnt vmcnt(2)
	s_delay_alu instid0(VALU_DEP_2) | instskip(SKIP_1) | instid1(VALU_DEP_1)
	v_fma_mix_f32 v16, v19, v24, v16 op_sel_hi:[0,1,0]
	s_waitcnt vmcnt(1)
	v_fma_mix_f32 v0, v10, v25, v16 op_sel_hi:[0,1,0]
	v_cmpx_gt_i32_e64 s6, v23
	s_cbranch_execz .LBB387_37
; %bb.36:
	s_clause 0x3
	global_load_u16 v1, v[1:2], off offset:192
	global_load_u16 v2, v[3:4], off offset:192
	;; [unrolled: 1-line block ×4, first 2 shown]
	s_waitcnt vmcnt(3)
	v_fma_mix_f32 v1, v20, v1, v15 op_sel_hi:[0,1,0]
	s_waitcnt vmcnt(2)
	s_delay_alu instid0(VALU_DEP_1) | instskip(SKIP_1) | instid1(VALU_DEP_1)
	v_fma_mix_f32 v1, v19, v2, v1 op_sel_hi:[0,1,0]
	s_waitcnt vmcnt(1)
	v_fma_mix_f32 v1, v10, v3, v1 op_sel_hi:[0,1,0]
	s_waitcnt vmcnt(0)
	s_delay_alu instid0(VALU_DEP_1)
	v_fma_mix_f32 v15, v9, v4, v1 op_sel_hi:[0,1,0]
.LBB387_37:
	s_or_b32 exec_lo, exec_lo, s3
	s_waitcnt vmcnt(0)
	v_fma_mix_f32 v16, v9, v22, v0 op_sel_hi:[0,1,0]
.LBB387_38:
	s_or_b32 exec_lo, exec_lo, s2
	s_waitcnt vmcnt(0)
	v_fma_mix_f32 v17, v9, v21, v17 op_sel_hi:[0,1,0]
.LBB387_39:
	s_or_b32 exec_lo, exec_lo, s0
	s_waitcnt vmcnt(0)
	v_fma_mix_f32 v18, v9, v14, v18 op_sel_hi:[0,1,0]
.LBB387_40:
	s_or_b32 exec_lo, exec_lo, s1
.LBB387_41:
	v_lshlrev_b32_e32 v0, 7, v13
	s_mov_b32 s0, exec_lo
                                        ; implicit-def: $vgpr3
	s_delay_alu instid0(VALU_DEP_1)
	v_add_lshl_u32 v0, v0, v12, 2
	ds_store_2addr_b32 v0, v18, v17 offset1:32
	ds_store_2addr_b32 v0, v16, v15 offset0:64 offset1:96
	s_waitcnt lgkmcnt(0)
	s_barrier
	buffer_gl0_inv
                                        ; implicit-def: $vgpr0_vgpr1
	v_cmpx_gt_u32_e32 0x80, v11
	s_cbranch_execz .LBB387_47
; %bb.42:
	v_lshlrev_b32_e32 v6, 2, v11
	s_mov_b32 s2, s23
	s_mov_b32 s1, exec_lo
	ds_load_2addr_stride64_b32 v[0:1], v6 offset1:2
	ds_load_2addr_stride64_b32 v[2:3], v6 offset0:4 offset1:6
	ds_load_2addr_stride64_b32 v[4:5], v6 offset0:8 offset1:10
	s_waitcnt lgkmcnt(2)
	v_add_f32_e32 v7, v0, v1
	ds_load_2addr_stride64_b32 v[0:1], v6 offset0:12 offset1:14
	s_waitcnt lgkmcnt(2)
	v_add_f32_e32 v2, v2, v7
	s_delay_alu instid0(VALU_DEP_1) | instskip(SKIP_3) | instid1(VALU_DEP_1)
	v_add_f32_e32 v7, v3, v2
	ds_load_2addr_stride64_b32 v[2:3], v6 offset0:16 offset1:18
	s_waitcnt lgkmcnt(2)
	v_add_f32_e32 v4, v4, v7
	v_add_f32_e32 v7, v5, v4
	ds_load_2addr_stride64_b32 v[4:5], v6 offset0:20 offset1:22
	s_waitcnt lgkmcnt(2)
	v_add_f32_e32 v0, v0, v7
	s_delay_alu instid0(VALU_DEP_1) | instskip(SKIP_1) | instid1(VALU_DEP_1)
	v_add_f32_e32 v0, v1, v0
	s_waitcnt lgkmcnt(1)
	v_add_f32_e32 v2, v2, v0
	ds_load_2addr_stride64_b32 v[0:1], v6 offset0:24 offset1:26
	v_add_f32_e32 v2, v3, v2
	s_waitcnt lgkmcnt(1)
	s_delay_alu instid0(VALU_DEP_1) | instskip(SKIP_3) | instid1(VALU_DEP_1)
	v_add_f32_e32 v4, v4, v2
	ds_load_2addr_stride64_b32 v[2:3], v6 offset0:28 offset1:30
	v_add_f32_e32 v4, v5, v4
	s_waitcnt lgkmcnt(1)
	v_add_f32_e32 v0, v0, v4
	v_or_b32_e32 v4, s24, v11
	s_delay_alu instid0(VALU_DEP_2) | instskip(SKIP_1) | instid1(VALU_DEP_1)
	v_add_f32_e32 v0, v1, v0
	s_waitcnt lgkmcnt(0)
	v_add_f32_e32 v0, v2, v0
	s_delay_alu instid0(VALU_DEP_1)
	v_add_f32_e32 v2, v3, v0
                                        ; implicit-def: $vgpr3
                                        ; implicit-def: $vgpr0_vgpr1
	ds_store_b32 v6, v2
	v_cmpx_gt_i32_e64 s6, v4
	s_cbranch_execz .LBB387_46
; %bb.43:
	v_ashrrev_i32_e32 v3, 31, v4
	v_mul_lo_u32 v5, v4, s29
	v_mad_u64_u32 v[0:1], null, v4, s28, 0
	v_cmp_eq_f32_e64 s2, s21, 0
	s_delay_alu instid0(VALU_DEP_4) | instskip(SKIP_1) | instid1(VALU_DEP_3)
	v_mul_lo_u32 v3, v3, s28
	v_mul_f32_e32 v2, s22, v2
	s_and_b32 vcc_lo, exec_lo, s2
	s_delay_alu instid0(VALU_DEP_2)
	v_add3_u32 v1, v1, v5, v3
	s_cbranch_vccnz .LBB387_45
; %bb.44:
	s_delay_alu instid0(VALU_DEP_1) | instskip(NEXT) | instid1(VALU_DEP_1)
	v_lshlrev_b64 v[3:4], 1, v[0:1]
	v_add_co_u32 v3, vcc_lo, s5, v3
	s_delay_alu instid0(VALU_DEP_2)
	v_add_co_ci_u32_e32 v4, vcc_lo, s20, v4, vcc_lo
	global_load_u16 v3, v[3:4], off
	s_waitcnt vmcnt(0)
	v_fma_mix_f32 v2, s21, v3, v2 op_sel_hi:[0,1,0]
.LBB387_45:
	s_delay_alu instid0(VALU_DEP_1)
	v_cvt_f16_f32_e32 v3, v2
	s_or_b32 s2, s23, exec_lo
.LBB387_46:
	s_or_b32 exec_lo, exec_lo, s1
	s_delay_alu instid0(SALU_CYCLE_1) | instskip(SKIP_1) | instid1(SALU_CYCLE_1)
	s_and_not1_b32 s1, s23, exec_lo
	s_and_b32 s2, s2, exec_lo
	s_or_b32 s23, s1, s2
.LBB387_47:
	s_or_b32 exec_lo, exec_lo, s0
.LBB387_48:
	s_and_saveexec_b32 s0, s23
	s_cbranch_execz .LBB387_50
; %bb.49:
	v_lshlrev_b64 v[0:1], 1, v[0:1]
	s_delay_alu instid0(VALU_DEP_1) | instskip(NEXT) | instid1(VALU_DEP_2)
	v_add_co_u32 v0, vcc_lo, s5, v0
	v_add_co_ci_u32_e32 v1, vcc_lo, s20, v1, vcc_lo
	global_store_b16 v[0:1], v3, off
.LBB387_50:
	s_nop 0
	s_sendmsg sendmsg(MSG_DEALLOC_VGPRS)
	s_endpgm
	.section	.rodata,"a",@progbits
	.p2align	6, 0x0
	.amdhsa_kernel _ZL20rocblas_gemvn_kernelILi32ELi16ElDF16_PKfDF16_EviiT3_lPKT2_lT1_lS5_lS6_lS2_lPT4_lS6_li
		.amdhsa_group_segment_fixed_size 8192
		.amdhsa_private_segment_fixed_size 0
		.amdhsa_kernarg_size 400
		.amdhsa_user_sgpr_count 14
		.amdhsa_user_sgpr_dispatch_ptr 0
		.amdhsa_user_sgpr_queue_ptr 0
		.amdhsa_user_sgpr_kernarg_segment_ptr 1
		.amdhsa_user_sgpr_dispatch_id 0
		.amdhsa_user_sgpr_private_segment_size 0
		.amdhsa_wavefront_size32 1
		.amdhsa_uses_dynamic_stack 0
		.amdhsa_enable_private_segment 0
		.amdhsa_system_sgpr_workgroup_id_x 1
		.amdhsa_system_sgpr_workgroup_id_y 0
		.amdhsa_system_sgpr_workgroup_id_z 1
		.amdhsa_system_sgpr_workgroup_info 0
		.amdhsa_system_vgpr_workitem_id 1
		.amdhsa_next_free_vgpr 55
		.amdhsa_next_free_sgpr 52
		.amdhsa_reserve_vcc 1
		.amdhsa_float_round_mode_32 0
		.amdhsa_float_round_mode_16_64 0
		.amdhsa_float_denorm_mode_32 3
		.amdhsa_float_denorm_mode_16_64 3
		.amdhsa_dx10_clamp 1
		.amdhsa_ieee_mode 1
		.amdhsa_fp16_overflow 0
		.amdhsa_workgroup_processor_mode 1
		.amdhsa_memory_ordered 1
		.amdhsa_forward_progress 0
		.amdhsa_shared_vgpr_count 0
		.amdhsa_exception_fp_ieee_invalid_op 0
		.amdhsa_exception_fp_denorm_src 0
		.amdhsa_exception_fp_ieee_div_zero 0
		.amdhsa_exception_fp_ieee_overflow 0
		.amdhsa_exception_fp_ieee_underflow 0
		.amdhsa_exception_fp_ieee_inexact 0
		.amdhsa_exception_int_div_zero 0
	.end_amdhsa_kernel
	.section	.text._ZL20rocblas_gemvn_kernelILi32ELi16ElDF16_PKfDF16_EviiT3_lPKT2_lT1_lS5_lS6_lS2_lPT4_lS6_li,"axG",@progbits,_ZL20rocblas_gemvn_kernelILi32ELi16ElDF16_PKfDF16_EviiT3_lPKT2_lT1_lS5_lS6_lS2_lPT4_lS6_li,comdat
.Lfunc_end387:
	.size	_ZL20rocblas_gemvn_kernelILi32ELi16ElDF16_PKfDF16_EviiT3_lPKT2_lT1_lS5_lS6_lS2_lPT4_lS6_li, .Lfunc_end387-_ZL20rocblas_gemvn_kernelILi32ELi16ElDF16_PKfDF16_EviiT3_lPKT2_lT1_lS5_lS6_lS2_lPT4_lS6_li
                                        ; -- End function
	.section	.AMDGPU.csdata,"",@progbits
; Kernel info:
; codeLenInByte = 3692
; NumSgprs: 54
; NumVgprs: 55
; ScratchSize: 0
; MemoryBound: 0
; FloatMode: 240
; IeeeMode: 1
; LDSByteSize: 8192 bytes/workgroup (compile time only)
; SGPRBlocks: 6
; VGPRBlocks: 6
; NumSGPRsForWavesPerEU: 54
; NumVGPRsForWavesPerEU: 55
; Occupancy: 16
; WaveLimiterHint : 0
; COMPUTE_PGM_RSRC2:SCRATCH_EN: 0
; COMPUTE_PGM_RSRC2:USER_SGPR: 14
; COMPUTE_PGM_RSRC2:TRAP_HANDLER: 0
; COMPUTE_PGM_RSRC2:TGID_X_EN: 1
; COMPUTE_PGM_RSRC2:TGID_Y_EN: 0
; COMPUTE_PGM_RSRC2:TGID_Z_EN: 1
; COMPUTE_PGM_RSRC2:TIDIG_COMP_CNT: 1
	.section	.text._ZL20rocblas_gemvn_kernelILi32ELi16EiDF16_fDF16_EviiT3_lPKT2_lT1_lS3_lS4_lS0_lPT4_lS4_li,"axG",@progbits,_ZL20rocblas_gemvn_kernelILi32ELi16EiDF16_fDF16_EviiT3_lPKT2_lT1_lS3_lS4_lS0_lPT4_lS4_li,comdat
	.globl	_ZL20rocblas_gemvn_kernelILi32ELi16EiDF16_fDF16_EviiT3_lPKT2_lT1_lS3_lS4_lS0_lPT4_lS4_li ; -- Begin function _ZL20rocblas_gemvn_kernelILi32ELi16EiDF16_fDF16_EviiT3_lPKT2_lT1_lS3_lS4_lS0_lPT4_lS4_li
	.p2align	8
	.type	_ZL20rocblas_gemvn_kernelILi32ELi16EiDF16_fDF16_EviiT3_lPKT2_lT1_lS3_lS4_lS0_lPT4_lS4_li,@function
_ZL20rocblas_gemvn_kernelILi32ELi16EiDF16_fDF16_EviiT3_lPKT2_lT1_lS3_lS4_lS0_lPT4_lS4_li: ; @_ZL20rocblas_gemvn_kernelILi32ELi16EiDF16_fDF16_EviiT3_lPKT2_lT1_lS3_lS4_lS0_lPT4_lS4_li
; %bb.0:
	s_load_b64 s[2:3], s[0:1], 0x9c
	s_waitcnt lgkmcnt(0)
	s_lshr_b32 s4, s2, 16
	s_and_b32 s2, s2, 0xffff
	s_and_b32 s3, s3, 0xffff
	s_mul_i32 s2, s4, s2
	s_delay_alu instid0(SALU_CYCLE_1) | instskip(NEXT) | instid1(SALU_CYCLE_1)
	s_mul_i32 s2, s2, s3
	s_cmpk_lg_i32 s2, 0x200
	s_cbranch_scc1 .LBB388_50
; %bb.1:
	s_clause 0x1
	s_load_b128 s[4:7], s[0:1], 0x0
	s_load_b32 s13, s[0:1], 0x58
	s_mov_b32 s16, 0
	s_waitcnt lgkmcnt(0)
	v_cmp_eq_f32_e64 s2, s6, 0
	v_cmp_eq_f32_e64 s3, s13, 1.0
	s_delay_alu instid0(VALU_DEP_1) | instskip(NEXT) | instid1(SALU_CYCLE_1)
	s_and_b32 s2, s2, s3
	s_and_b32 vcc_lo, exec_lo, s2
	s_cbranch_vccnz .LBB388_50
; %bb.2:
	s_clause 0x2
	s_load_b64 s[2:3], s[0:1], 0x80
	s_load_b128 s[8:11], s[0:1], 0x68
	s_load_b32 s17, s[0:1], 0x78
	v_and_b32_e32 v1, 0x3ff, v0
	v_bfe_u32 v13, v0, 10, 10
	v_cmp_neq_f32_e64 s18, s6, 0
	s_delay_alu instid0(VALU_DEP_2)
	v_lshl_add_u32 v0, v13, 5, v1
	s_waitcnt lgkmcnt(0)
	s_mul_i32 s3, s15, s3
	s_mul_hi_u32 s7, s15, s2
	s_mul_i32 s2, s15, s2
	s_add_i32 s3, s7, s3
	s_delay_alu instid0(SALU_CYCLE_1) | instskip(NEXT) | instid1(SALU_CYCLE_1)
	s_lshl_b64 s[2:3], s[2:3], 1
	s_add_u32 s7, s8, s2
	s_addc_u32 s8, s9, s3
	s_lshl_b64 s[2:3], s[10:11], 1
	s_delay_alu instid0(SALU_CYCLE_1)
	s_add_u32 s7, s7, s2
	v_cmp_gt_u32_e64 s2, 0x80, v0
	s_addc_u32 s12, s8, s3
	s_and_b32 vcc_lo, exec_lo, s18
	s_cbranch_vccnz .LBB388_7
; %bb.3:
	s_mov_b32 s3, 0
                                        ; implicit-def: $vgpr5
                                        ; implicit-def: $vgpr2_vgpr3
	s_and_saveexec_b32 s8, s2
	s_cbranch_execz .LBB388_8
; %bb.4:
	v_lshl_or_b32 v4, s14, 7, v0
	v_mov_b32_e32 v5, 0
	s_ashr_i32 s11, s4, 31
	s_mov_b32 s10, s4
	s_mov_b32 s9, 0
                                        ; implicit-def: $vgpr2_vgpr3
	s_delay_alu instid0(VALU_DEP_1)
	v_cmp_gt_i64_e32 vcc_lo, s[10:11], v[4:5]
                                        ; implicit-def: $vgpr5
	s_and_saveexec_b32 s2, vcc_lo
	s_cbranch_execz .LBB388_10
; %bb.5:
	v_mad_u64_u32 v[2:3], null, s17, v4, 0
	s_ashr_i32 s9, s17, 31
	s_delay_alu instid0(VALU_DEP_1) | instid1(SALU_CYCLE_1)
	v_mad_u64_u32 v[5:6], null, s9, v4, v[3:4]
	v_cmp_eq_f32_e64 s9, s13, 0
	s_delay_alu instid0(VALU_DEP_1) | instskip(NEXT) | instid1(VALU_DEP_2)
	s_and_b32 vcc_lo, exec_lo, s9
	v_mov_b32_e32 v3, v5
	s_cbranch_vccnz .LBB388_9
; %bb.6:
	s_delay_alu instid0(VALU_DEP_1) | instskip(SKIP_1) | instid1(VALU_DEP_1)
	v_lshlrev_b64 v[4:5], 1, v[2:3]
	s_mov_b32 s9, exec_lo
	v_add_co_u32 v4, vcc_lo, s7, v4
	s_delay_alu instid0(VALU_DEP_2)
	v_add_co_ci_u32_e32 v5, vcc_lo, s12, v5, vcc_lo
	global_load_u16 v4, v[4:5], off
	s_waitcnt vmcnt(0)
	v_fma_mixlo_f16 v5, v4, s13, 0 op_sel_hi:[1,0,0]
	s_branch .LBB388_10
.LBB388_7:
                                        ; implicit-def: $vgpr5
                                        ; implicit-def: $vgpr2_vgpr3
	s_cbranch_execnz .LBB388_11
	s_branch .LBB388_48
.LBB388_8:
	s_or_b32 exec_lo, exec_lo, s8
	s_delay_alu instid0(SALU_CYCLE_1)
	s_and_b32 vcc_lo, exec_lo, s3
	s_cbranch_vccnz .LBB388_11
	s_branch .LBB388_48
.LBB388_9:
	v_mov_b32_e32 v5, 0
	s_mov_b32 s9, exec_lo
.LBB388_10:
	s_or_b32 exec_lo, exec_lo, s2
	s_delay_alu instid0(SALU_CYCLE_1) | instskip(SKIP_1) | instid1(SALU_CYCLE_1)
	s_and_b32 s16, s9, exec_lo
	s_or_b32 exec_lo, exec_lo, s8
	s_and_b32 vcc_lo, exec_lo, s3
	s_cbranch_vccz .LBB388_48
.LBB388_11:
	s_clause 0x4
	s_load_b128 s[8:11], s[0:1], 0x30
	s_load_b64 s[2:3], s[0:1], 0x50
	s_load_b128 s[20:23], s[0:1], 0x18
	s_load_b32 s19, s[0:1], 0x28
	s_load_b64 s[24:25], s[0:1], 0x40
	v_dual_mov_b32 v18, 0 :: v_dual_lshlrev_b32 v19, 2, v13
	v_dual_mov_b32 v15, 0 :: v_dual_mov_b32 v14, 0
	s_waitcnt lgkmcnt(0)
	s_mul_i32 s9, s15, s9
	s_mul_hi_u32 s18, s15, s8
	s_mul_i32 s8, s15, s8
	s_add_i32 s9, s18, s9
	s_mul_i32 s3, s15, s3
	s_lshl_b64 s[8:9], s[8:9], 1
	s_mul_hi_u32 s26, s15, s2
	s_add_u32 s18, s20, s8
	s_addc_u32 s20, s21, s9
	s_lshl_b64 s[8:9], s[22:23], 1
	s_mul_i32 s2, s15, s2
	s_add_u32 s15, s18, s8
	s_load_b32 s8, s[0:1], 0x48
	s_addc_u32 s18, s20, s9
	s_add_i32 s3, s26, s3
	s_mov_b32 s20, exec_lo
	s_lshl_b64 s[0:1], s[2:3], 1
	s_delay_alu instid0(SALU_CYCLE_1) | instskip(SKIP_2) | instid1(SALU_CYCLE_1)
	s_add_u32 s2, s10, s0
	s_addc_u32 s3, s11, s1
	s_lshl_b64 s[0:1], s[24:25], 1
	s_add_u32 s10, s2, s0
	s_addc_u32 s11, s3, s1
	s_ashr_i32 s0, s5, 31
	s_lshl_b32 s9, s14, 7
	s_lshr_b32 s0, s0, 26
	v_dual_mov_b32 v17, 0 :: v_dual_add_nc_u32 v16, s9, v1
	s_add_i32 s0, s5, s0
	s_delay_alu instid0(SALU_CYCLE_1) | instskip(NEXT) | instid1(SALU_CYCLE_1)
	s_and_b32 s14, s0, 0xffffffc0
	v_cmpx_gt_i32_e64 s14, v19
	s_cbranch_execz .LBB388_23
; %bb.12:
	v_mul_lo_u32 v3, s19, v19
	v_dual_mov_b32 v17, 0 :: v_dual_add_nc_u32 v2, 32, v16
	v_add_nc_u32_e32 v6, 2, v19
	v_dual_mov_b32 v18, 0 :: v_dual_add_nc_u32 v5, 0x60, v16
	s_delay_alu instid0(VALU_DEP_3)
	v_cmp_gt_i32_e64 s0, s4, v2
	v_dual_mov_b32 v15, 0 :: v_dual_add_nc_u32 v4, 64, v16
	v_add3_u32 v20, v3, s19, v1
	v_mad_u64_u32 v[2:3], null, s19, v6, v[1:2]
	v_cmp_gt_i32_e64 s2, s4, v5
	v_mul_lo_u32 v5, v13, s19
	v_dual_mov_b32 v14, 0 :: v_dual_add_nc_u32 v7, 3, v19
	s_waitcnt lgkmcnt(0)
	v_mul_lo_u32 v8, v13, s8
	v_cmp_gt_i32_e64 s1, s4, v4
	v_mul_lo_u32 v22, s8, v6
	v_mad_u64_u32 v[3:4], null, s19, v7, v[1:2]
	v_lshl_add_u32 v21, v5, 2, v1
	v_mad_u64_u32 v[4:5], null, s8, v19, s[8:9]
	v_mul_lo_u32 v23, s8, v7
	v_cmp_gt_i32_e32 vcc_lo, s4, v16
	v_lshlrev_b32_e32 v24, 2, v8
	s_lshl_b32 s21, s19, 6
	s_lshl_b32 s23, s8, 6
	s_mov_b32 s22, 0
	s_mov_b32 s24, 0
	s_branch .LBB388_17
.LBB388_13:                             ;   in Loop: Header=BB388_17 Depth=1
	s_or_b32 exec_lo, exec_lo, s27
	s_waitcnt vmcnt(3)
	v_fma_mix_f32 v5, v37, v41, v15 op_sel_hi:[0,1,0]
	s_waitcnt vmcnt(2)
	s_delay_alu instid0(VALU_DEP_1) | instskip(SKIP_1) | instid1(VALU_DEP_1)
	v_fma_mix_f32 v5, v38, v42, v5 op_sel_hi:[0,1,0]
	s_waitcnt vmcnt(1)
	v_fma_mix_f32 v5, v39, v43, v5 op_sel_hi:[0,1,0]
	s_waitcnt vmcnt(0)
	s_delay_alu instid0(VALU_DEP_1)
	v_fma_mix_f32 v15, v40, v44, v5 op_sel_hi:[0,1,0]
.LBB388_14:                             ;   in Loop: Header=BB388_17 Depth=1
	s_or_b32 exec_lo, exec_lo, s26
	s_waitcnt vmcnt(3)
	v_fma_mix_f32 v5, v37, v33, v17 op_sel_hi:[0,1,0]
	s_waitcnt vmcnt(2)
	s_delay_alu instid0(VALU_DEP_1) | instskip(SKIP_1) | instid1(VALU_DEP_1)
	v_fma_mix_f32 v5, v38, v34, v5 op_sel_hi:[0,1,0]
	s_waitcnt vmcnt(1)
	v_fma_mix_f32 v5, v39, v35, v5 op_sel_hi:[0,1,0]
	s_waitcnt vmcnt(0)
	s_delay_alu instid0(VALU_DEP_1)
	v_fma_mix_f32 v17, v40, v36, v5 op_sel_hi:[0,1,0]
.LBB388_15:                             ;   in Loop: Header=BB388_17 Depth=1
	s_or_b32 exec_lo, exec_lo, s3
	s_waitcnt vmcnt(3)
	v_fma_mix_f32 v5, v25, v29, v18 op_sel_hi:[1,1,0]
	s_waitcnt vmcnt(2)
	s_delay_alu instid0(VALU_DEP_1) | instskip(SKIP_1) | instid1(VALU_DEP_1)
	v_fma_mix_f32 v5, v26, v30, v5 op_sel_hi:[1,1,0]
	s_waitcnt vmcnt(1)
	v_fma_mix_f32 v5, v27, v31, v5 op_sel_hi:[1,1,0]
	s_waitcnt vmcnt(0)
	s_delay_alu instid0(VALU_DEP_1)
	v_fma_mix_f32 v18, v28, v32, v5 op_sel_hi:[1,1,0]
.LBB388_16:                             ;   in Loop: Header=BB388_17 Depth=1
	s_or_b32 exec_lo, exec_lo, s25
	v_add_nc_u32_e32 v19, 64, v19
	v_add_nc_u32_e32 v20, s21, v20
	;; [unrolled: 1-line block ×5, first 2 shown]
	v_cmp_le_i32_e64 s3, s14, v19
	s_add_i32 s24, s24, s23
	s_delay_alu instid0(VALU_DEP_1) | instskip(NEXT) | instid1(SALU_CYCLE_1)
	s_or_b32 s22, s3, s22
	s_and_not1_b32 exec_lo, exec_lo, s22
	s_cbranch_execz .LBB388_22
.LBB388_17:                             ; =>This Inner Loop Header: Depth=1
	s_and_saveexec_b32 s25, vcc_lo
	s_cbranch_execz .LBB388_16
; %bb.18:                               ;   in Loop: Header=BB388_17 Depth=1
	v_add_nc_u32_e32 v5, s24, v24
	v_add_nc_u32_e32 v7, s24, v4
	;; [unrolled: 1-line block ×5, first 2 shown]
	v_ashrrev_i32_e32 v6, 31, v5
	v_ashrrev_i32_e32 v8, 31, v7
	;; [unrolled: 1-line block ×5, first 2 shown]
	v_lshlrev_b64 v[5:6], 1, v[5:6]
	v_lshlrev_b64 v[7:8], 1, v[7:8]
	;; [unrolled: 1-line block ×3, first 2 shown]
	s_delay_alu instid0(VALU_DEP_3) | instskip(NEXT) | instid1(VALU_DEP_1)
	v_add_co_u32 v27, s3, s10, v5
	v_add_co_ci_u32_e64 v28, s3, s11, v6, s3
	s_delay_alu instid0(VALU_DEP_4)
	v_add_co_u32 v29, s3, s10, v7
	v_add_nc_u32_e32 v7, s9, v20
	v_add_co_ci_u32_e64 v30, s3, s11, v8, s3
	v_lshlrev_b64 v[5:6], 1, v[11:12]
	v_add_co_u32 v31, s3, s10, v9
	v_add_nc_u32_e32 v11, s9, v2
	v_add_co_ci_u32_e64 v32, s3, s11, v10, s3
	v_lshlrev_b64 v[9:10], 1, v[25:26]
	v_ashrrev_i32_e32 v8, 31, v7
	v_add_nc_u32_e32 v25, s9, v3
	v_add_co_u32 v33, s3, s10, v5
	v_ashrrev_i32_e32 v12, 31, v11
	v_add_co_ci_u32_e64 v34, s3, s11, v6, s3
	v_lshlrev_b64 v[7:8], 1, v[7:8]
	v_add_co_u32 v5, s3, s15, v9
	v_ashrrev_i32_e32 v26, 31, v25
	v_add_co_ci_u32_e64 v6, s3, s18, v10, s3
	v_lshlrev_b64 v[9:10], 1, v[11:12]
	v_add_co_u32 v7, s3, s15, v7
	s_delay_alu instid0(VALU_DEP_4) | instskip(SKIP_1) | instid1(VALU_DEP_4)
	v_lshlrev_b64 v[11:12], 1, v[25:26]
	v_add_co_ci_u32_e64 v8, s3, s18, v8, s3
	v_add_co_u32 v9, s3, s15, v9
	s_delay_alu instid0(VALU_DEP_1) | instskip(NEXT) | instid1(VALU_DEP_4)
	v_add_co_ci_u32_e64 v10, s3, s18, v10, s3
	v_add_co_u32 v11, s3, s15, v11
	s_delay_alu instid0(VALU_DEP_1)
	v_add_co_ci_u32_e64 v12, s3, s18, v12, s3
	s_clause 0x3
	global_load_u16 v25, v[27:28], off
	global_load_u16 v26, v[29:30], off
	;; [unrolled: 1-line block ×4, first 2 shown]
	s_clause 0x3
	global_load_u16 v29, v[5:6], off
	global_load_u16 v30, v[7:8], off
	;; [unrolled: 1-line block ×4, first 2 shown]
	s_and_saveexec_b32 s3, s0
	s_cbranch_execz .LBB388_15
; %bb.19:                               ;   in Loop: Header=BB388_17 Depth=1
	s_clause 0x3
	global_load_u16 v33, v[5:6], off offset:64
	global_load_u16 v34, v[7:8], off offset:64
	;; [unrolled: 1-line block ×4, first 2 shown]
	s_waitcnt vmcnt(11)
	v_cvt_f32_f16_e32 v37, v25
	s_waitcnt vmcnt(10)
	v_cvt_f32_f16_e32 v38, v26
	;; [unrolled: 2-line block ×4, first 2 shown]
	s_and_saveexec_b32 s26, s1
	s_cbranch_execz .LBB388_14
; %bb.20:                               ;   in Loop: Header=BB388_17 Depth=1
	s_clause 0x3
	global_load_u16 v41, v[5:6], off offset:128
	global_load_u16 v42, v[7:8], off offset:128
	;; [unrolled: 1-line block ×4, first 2 shown]
	s_and_saveexec_b32 s27, s2
	s_cbranch_execz .LBB388_13
; %bb.21:                               ;   in Loop: Header=BB388_17 Depth=1
	s_clause 0x3
	global_load_u16 v5, v[5:6], off offset:192
	global_load_u16 v6, v[7:8], off offset:192
	;; [unrolled: 1-line block ×4, first 2 shown]
	s_waitcnt vmcnt(3)
	v_fma_mix_f32 v5, v37, v5, v14 op_sel_hi:[0,1,0]
	s_waitcnt vmcnt(2)
	s_delay_alu instid0(VALU_DEP_1) | instskip(SKIP_1) | instid1(VALU_DEP_1)
	v_fma_mix_f32 v5, v38, v6, v5 op_sel_hi:[0,1,0]
	s_waitcnt vmcnt(1)
	v_fma_mix_f32 v5, v39, v7, v5 op_sel_hi:[0,1,0]
	s_waitcnt vmcnt(0)
	s_delay_alu instid0(VALU_DEP_1)
	v_fma_mix_f32 v14, v40, v8, v5 op_sel_hi:[0,1,0]
	s_branch .LBB388_13
.LBB388_22:
	s_or_b32 exec_lo, exec_lo, s22
.LBB388_23:
	s_delay_alu instid0(SALU_CYCLE_1) | instskip(SKIP_1) | instid1(SALU_CYCLE_1)
	s_or_b32 exec_lo, exec_lo, s20
	s_sub_i32 s0, s5, s14
	s_cmp_lt_i32 s0, 1
	s_cbranch_scc1 .LBB388_41
; %bb.24:
	v_cmp_gt_i32_e32 vcc_lo, s5, v19
	v_dual_mov_b32 v10, 0 :: v_dual_mov_b32 v11, 0
	v_or_b32_e32 v2, 1, v19
	v_mov_b32_e32 v12, 0
	v_mov_b32_e32 v20, 0
	s_and_saveexec_b32 s1, vcc_lo
	s_cbranch_execz .LBB388_32
; %bb.25:
	s_waitcnt lgkmcnt(0)
	v_mul_lo_u32 v3, v19, s8
	v_dual_mov_b32 v12, 0 :: v_dual_mov_b32 v11, 0
	v_mov_b32_e32 v10, 0
	s_mov_b32 s2, exec_lo
	s_delay_alu instid0(VALU_DEP_3) | instskip(NEXT) | instid1(VALU_DEP_1)
	v_ashrrev_i32_e32 v4, 31, v3
	v_lshlrev_b64 v[3:4], 1, v[3:4]
	s_delay_alu instid0(VALU_DEP_1) | instskip(NEXT) | instid1(VALU_DEP_1)
	v_add_co_u32 v3, s0, s10, v3
	v_add_co_ci_u32_e64 v4, s0, s11, v4, s0
	global_load_u16 v3, v[3:4], off
	v_cmpx_gt_i32_e64 s5, v2
	s_cbranch_execz .LBB388_31
; %bb.26:
	v_mul_lo_u32 v4, v2, s8
	v_dual_mov_b32 v11, 0 :: v_dual_mov_b32 v10, 0
	s_mov_b32 s3, exec_lo
	s_delay_alu instid0(VALU_DEP_2) | instskip(NEXT) | instid1(VALU_DEP_1)
	v_ashrrev_i32_e32 v5, 31, v4
	v_lshlrev_b64 v[4:5], 1, v[4:5]
	s_delay_alu instid0(VALU_DEP_1) | instskip(NEXT) | instid1(VALU_DEP_1)
	v_add_co_u32 v4, s0, s10, v4
	v_add_co_ci_u32_e64 v5, s0, s11, v5, s0
	global_load_u16 v4, v[4:5], off
	v_or_b32_e32 v5, 2, v19
	s_delay_alu instid0(VALU_DEP_1)
	v_cmpx_gt_i32_e64 s5, v5
	s_cbranch_execz .LBB388_30
; %bb.27:
	v_mul_lo_u32 v5, v5, s8
	v_mov_b32_e32 v10, 0
	s_mov_b32 s14, exec_lo
	s_delay_alu instid0(VALU_DEP_2) | instskip(NEXT) | instid1(VALU_DEP_1)
	v_ashrrev_i32_e32 v6, 31, v5
	v_lshlrev_b64 v[5:6], 1, v[5:6]
	s_delay_alu instid0(VALU_DEP_1) | instskip(NEXT) | instid1(VALU_DEP_1)
	v_add_co_u32 v5, s0, s10, v5
	v_add_co_ci_u32_e64 v6, s0, s11, v6, s0
	global_load_u16 v5, v[5:6], off
	v_or_b32_e32 v6, 3, v19
	s_delay_alu instid0(VALU_DEP_1)
	v_cmpx_gt_i32_e64 s5, v6
	s_cbranch_execz .LBB388_29
; %bb.28:
	v_mul_lo_u32 v6, v6, s8
	s_delay_alu instid0(VALU_DEP_1) | instskip(NEXT) | instid1(VALU_DEP_1)
	v_ashrrev_i32_e32 v7, 31, v6
	v_lshlrev_b64 v[6:7], 1, v[6:7]
	s_delay_alu instid0(VALU_DEP_1) | instskip(NEXT) | instid1(VALU_DEP_1)
	v_add_co_u32 v6, s0, s10, v6
	v_add_co_ci_u32_e64 v7, s0, s11, v7, s0
	global_load_u16 v6, v[6:7], off
	s_waitcnt vmcnt(0)
	v_cvt_f32_f16_e32 v10, v6
.LBB388_29:
	s_or_b32 exec_lo, exec_lo, s14
	s_waitcnt vmcnt(0)
	v_cvt_f32_f16_e32 v11, v5
.LBB388_30:
	s_or_b32 exec_lo, exec_lo, s3
	s_waitcnt vmcnt(0)
	v_cvt_f32_f16_e32 v12, v4
.LBB388_31:
	s_or_b32 exec_lo, exec_lo, s2
	s_waitcnt vmcnt(0)
	v_cvt_f32_f16_e32 v20, v3
.LBB388_32:
	s_or_b32 exec_lo, exec_lo, s1
	s_delay_alu instid0(SALU_CYCLE_1)
	s_mov_b32 s1, exec_lo
	v_cmpx_gt_i32_e64 s4, v16
	s_cbranch_execz .LBB388_40
; %bb.33:
	v_mul_lo_u32 v3, v19, s19
	v_mul_lo_u32 v5, v2, s19
	v_or_b32_e32 v4, 2, v19
	v_or_b32_e32 v6, 3, v19
	s_mov_b32 s0, exec_lo
	s_delay_alu instid0(VALU_DEP_2)
	v_mul_lo_u32 v7, v4, s19
	v_cndmask_b32_e32 v3, 0, v3, vcc_lo
	v_cmp_gt_i32_e32 vcc_lo, s5, v2
	v_mul_lo_u32 v8, v6, s19
	v_cndmask_b32_e32 v5, 0, v5, vcc_lo
	v_cmp_gt_i32_e32 vcc_lo, s5, v4
	s_delay_alu instid0(VALU_DEP_2) | instskip(SKIP_2) | instid1(VALU_DEP_3)
	v_add_nc_u32_e32 v4, v5, v16
	v_dual_cndmask_b32 v7, 0, v7 :: v_dual_add_nc_u32 v2, v3, v16
	v_cmp_gt_i32_e32 vcc_lo, s5, v6
	v_ashrrev_i32_e32 v5, 31, v4
	s_delay_alu instid0(VALU_DEP_3) | instskip(SKIP_2) | instid1(VALU_DEP_4)
	v_ashrrev_i32_e32 v3, 31, v2
	v_cndmask_b32_e32 v8, 0, v8, vcc_lo
	v_add_nc_u32_e32 v6, v7, v16
	v_lshlrev_b64 v[4:5], 1, v[4:5]
	s_delay_alu instid0(VALU_DEP_4) | instskip(NEXT) | instid1(VALU_DEP_4)
	v_lshlrev_b64 v[2:3], 1, v[2:3]
	v_add_nc_u32_e32 v8, v8, v16
	s_delay_alu instid0(VALU_DEP_4) | instskip(NEXT) | instid1(VALU_DEP_3)
	v_ashrrev_i32_e32 v7, 31, v6
	v_add_co_u32 v2, vcc_lo, s15, v2
	s_delay_alu instid0(VALU_DEP_2)
	v_lshlrev_b64 v[6:7], 1, v[6:7]
	v_add_co_ci_u32_e32 v3, vcc_lo, s18, v3, vcc_lo
	v_ashrrev_i32_e32 v9, 31, v8
	v_add_co_u32 v4, vcc_lo, s15, v4
	v_add_co_ci_u32_e32 v5, vcc_lo, s18, v5, vcc_lo
	global_load_u16 v21, v[2:3], off
	v_add_co_u32 v6, vcc_lo, s15, v6
	v_add_co_ci_u32_e32 v7, vcc_lo, s18, v7, vcc_lo
	v_lshlrev_b64 v[8:9], 1, v[8:9]
	s_clause 0x1
	global_load_u16 v22, v[4:5], off
	global_load_u16 v23, v[6:7], off
	v_add_co_u32 v8, vcc_lo, s15, v8
	v_add_co_ci_u32_e32 v9, vcc_lo, s18, v9, vcc_lo
	global_load_u16 v19, v[8:9], off
	s_waitcnt vmcnt(3)
	v_fma_mix_f32 v18, v20, v21, v18 op_sel_hi:[0,1,0]
	v_add_nc_u32_e32 v21, 32, v16
	s_waitcnt vmcnt(2)
	s_delay_alu instid0(VALU_DEP_2) | instskip(SKIP_1) | instid1(VALU_DEP_1)
	v_fma_mix_f32 v18, v12, v22, v18 op_sel_hi:[0,1,0]
	s_waitcnt vmcnt(1)
	v_fma_mix_f32 v18, v11, v23, v18 op_sel_hi:[0,1,0]
	v_cmpx_gt_i32_e64 s4, v21
	s_cbranch_execz .LBB388_39
; %bb.34:
	s_clause 0x3
	global_load_u16 v22, v[2:3], off offset:64
	global_load_u16 v23, v[4:5], off offset:64
	;; [unrolled: 1-line block ×4, first 2 shown]
	s_mov_b32 s2, exec_lo
	s_waitcnt vmcnt(3)
	v_fma_mix_f32 v17, v20, v22, v17 op_sel_hi:[0,1,0]
	v_add_nc_u32_e32 v22, 64, v16
	s_waitcnt vmcnt(2)
	s_delay_alu instid0(VALU_DEP_2) | instskip(SKIP_1) | instid1(VALU_DEP_1)
	v_fma_mix_f32 v17, v12, v23, v17 op_sel_hi:[0,1,0]
	s_waitcnt vmcnt(1)
	v_fma_mix_f32 v17, v11, v24, v17 op_sel_hi:[0,1,0]
	v_cmpx_gt_i32_e64 s4, v22
	s_cbranch_execz .LBB388_38
; %bb.35:
	s_clause 0x3
	global_load_u16 v23, v[2:3], off offset:128
	global_load_u16 v24, v[4:5], off offset:128
	;; [unrolled: 1-line block ×4, first 2 shown]
	v_add_nc_u32_e32 v16, 0x60, v16
	s_mov_b32 s3, exec_lo
	s_waitcnt vmcnt(3)
	v_fma_mix_f32 v15, v20, v23, v15 op_sel_hi:[0,1,0]
	s_waitcnt vmcnt(2)
	s_delay_alu instid0(VALU_DEP_1) | instskip(SKIP_1) | instid1(VALU_DEP_1)
	v_fma_mix_f32 v15, v12, v24, v15 op_sel_hi:[0,1,0]
	s_waitcnt vmcnt(1)
	v_fma_mix_f32 v15, v11, v25, v15 op_sel_hi:[0,1,0]
	v_cmpx_gt_i32_e64 s4, v16
	s_cbranch_execz .LBB388_37
; %bb.36:
	s_clause 0x3
	global_load_u16 v2, v[2:3], off offset:192
	global_load_u16 v3, v[4:5], off offset:192
	;; [unrolled: 1-line block ×4, first 2 shown]
	s_waitcnt vmcnt(3)
	v_fma_mix_f32 v2, v20, v2, v14 op_sel_hi:[0,1,0]
	s_waitcnt vmcnt(2)
	s_delay_alu instid0(VALU_DEP_1) | instskip(SKIP_1) | instid1(VALU_DEP_1)
	v_fma_mix_f32 v2, v12, v3, v2 op_sel_hi:[0,1,0]
	s_waitcnt vmcnt(1)
	v_fma_mix_f32 v2, v11, v4, v2 op_sel_hi:[0,1,0]
	s_waitcnt vmcnt(0)
	s_delay_alu instid0(VALU_DEP_1)
	v_fma_mix_f32 v14, v10, v5, v2 op_sel_hi:[0,1,0]
.LBB388_37:
	s_or_b32 exec_lo, exec_lo, s3
	s_waitcnt vmcnt(0)
	v_fma_mix_f32 v15, v10, v22, v15 op_sel_hi:[0,1,0]
.LBB388_38:
	s_or_b32 exec_lo, exec_lo, s2
	s_waitcnt vmcnt(0)
	v_fma_mix_f32 v17, v10, v21, v17 op_sel_hi:[0,1,0]
.LBB388_39:
	s_or_b32 exec_lo, exec_lo, s0
	s_waitcnt vmcnt(0)
	v_fma_mix_f32 v18, v10, v19, v18 op_sel_hi:[0,1,0]
.LBB388_40:
	s_or_b32 exec_lo, exec_lo, s1
.LBB388_41:
	v_lshlrev_b32_e32 v2, 7, v13
	s_mov_b32 s0, exec_lo
                                        ; implicit-def: $vgpr5
	s_delay_alu instid0(VALU_DEP_1)
	v_add_lshl_u32 v1, v2, v1, 2
                                        ; implicit-def: $vgpr2_vgpr3
	ds_store_2addr_b32 v1, v18, v17 offset1:32
	ds_store_2addr_b32 v1, v15, v14 offset0:64 offset1:96
	s_waitcnt lgkmcnt(0)
	s_barrier
	buffer_gl0_inv
	v_cmpx_gt_u32_e32 0x80, v0
	s_cbranch_execz .LBB388_47
; %bb.42:
	v_lshlrev_b32_e32 v7, 2, v0
	s_mov_b32 s2, s16
	s_mov_b32 s1, exec_lo
	ds_load_2addr_stride64_b32 v[1:2], v7 offset1:2
	ds_load_2addr_stride64_b32 v[3:4], v7 offset0:4 offset1:6
	ds_load_2addr_stride64_b32 v[5:6], v7 offset0:8 offset1:10
	s_waitcnt lgkmcnt(2)
	v_add_f32_e32 v8, v1, v2
	ds_load_2addr_stride64_b32 v[1:2], v7 offset0:12 offset1:14
	s_waitcnt lgkmcnt(2)
	v_add_f32_e32 v3, v3, v8
	s_delay_alu instid0(VALU_DEP_1) | instskip(SKIP_3) | instid1(VALU_DEP_1)
	v_add_f32_e32 v8, v4, v3
	ds_load_2addr_stride64_b32 v[3:4], v7 offset0:16 offset1:18
	s_waitcnt lgkmcnt(2)
	v_add_f32_e32 v5, v5, v8
	v_add_f32_e32 v8, v6, v5
	ds_load_2addr_stride64_b32 v[5:6], v7 offset0:20 offset1:22
	s_waitcnt lgkmcnt(2)
	v_add_f32_e32 v1, v1, v8
	s_delay_alu instid0(VALU_DEP_1) | instskip(SKIP_1) | instid1(VALU_DEP_1)
	v_add_f32_e32 v1, v2, v1
	s_waitcnt lgkmcnt(1)
	v_add_f32_e32 v3, v3, v1
	ds_load_2addr_stride64_b32 v[1:2], v7 offset0:24 offset1:26
	v_add_f32_e32 v3, v4, v3
	s_waitcnt lgkmcnt(1)
	s_delay_alu instid0(VALU_DEP_1) | instskip(SKIP_3) | instid1(VALU_DEP_1)
	v_add_f32_e32 v5, v5, v3
	ds_load_2addr_stride64_b32 v[3:4], v7 offset0:28 offset1:30
	v_add_f32_e32 v5, v6, v5
	s_waitcnt lgkmcnt(1)
	v_add_f32_e32 v1, v1, v5
                                        ; implicit-def: $vgpr5
	s_delay_alu instid0(VALU_DEP_1) | instskip(SKIP_1) | instid1(VALU_DEP_1)
	v_add_f32_e32 v1, v2, v1
	s_waitcnt lgkmcnt(0)
	v_add_f32_e32 v2, v3, v1
	v_or_b32_e32 v1, s9, v0
	s_delay_alu instid0(VALU_DEP_2)
	v_add_f32_e32 v0, v4, v2
                                        ; implicit-def: $vgpr2_vgpr3
	ds_store_b32 v7, v0
	v_cmpx_gt_i32_e64 s4, v1
	s_cbranch_execz .LBB388_46
; %bb.43:
	v_mul_lo_u32 v2, v1, s17
	v_cmp_eq_f32_e64 s2, s13, 0
	v_mul_f32_e32 v0, s6, v0
	s_delay_alu instid0(VALU_DEP_2) | instskip(NEXT) | instid1(VALU_DEP_3)
	s_and_b32 vcc_lo, exec_lo, s2
	v_ashrrev_i32_e32 v3, 31, v2
	s_cbranch_vccnz .LBB388_45
; %bb.44:
	s_delay_alu instid0(VALU_DEP_1) | instskip(NEXT) | instid1(VALU_DEP_1)
	v_lshlrev_b64 v[4:5], 1, v[2:3]
	v_add_co_u32 v4, vcc_lo, s7, v4
	s_delay_alu instid0(VALU_DEP_2)
	v_add_co_ci_u32_e32 v5, vcc_lo, s12, v5, vcc_lo
	global_load_u16 v1, v[4:5], off
	s_waitcnt vmcnt(0)
	v_fma_mix_f32 v0, v1, s13, v0 op_sel_hi:[1,0,0]
.LBB388_45:
	s_delay_alu instid0(VALU_DEP_1)
	v_cvt_f16_f32_e32 v5, v0
	s_or_b32 s2, s16, exec_lo
.LBB388_46:
	s_or_b32 exec_lo, exec_lo, s1
	s_delay_alu instid0(SALU_CYCLE_1) | instskip(SKIP_1) | instid1(SALU_CYCLE_1)
	s_and_not1_b32 s1, s16, exec_lo
	s_and_b32 s2, s2, exec_lo
	s_or_b32 s16, s1, s2
.LBB388_47:
	s_or_b32 exec_lo, exec_lo, s0
.LBB388_48:
	s_and_saveexec_b32 s0, s16
	s_cbranch_execz .LBB388_50
; %bb.49:
	v_lshlrev_b64 v[0:1], 1, v[2:3]
	s_delay_alu instid0(VALU_DEP_1) | instskip(NEXT) | instid1(VALU_DEP_2)
	v_add_co_u32 v0, vcc_lo, s7, v0
	v_add_co_ci_u32_e32 v1, vcc_lo, s12, v1, vcc_lo
	global_store_b16 v[0:1], v5, off
.LBB388_50:
	s_nop 0
	s_sendmsg sendmsg(MSG_DEALLOC_VGPRS)
	s_endpgm
	.section	.rodata,"a",@progbits
	.p2align	6, 0x0
	.amdhsa_kernel _ZL20rocblas_gemvn_kernelILi32ELi16EiDF16_fDF16_EviiT3_lPKT2_lT1_lS3_lS4_lS0_lPT4_lS4_li
		.amdhsa_group_segment_fixed_size 8192
		.amdhsa_private_segment_fixed_size 0
		.amdhsa_kernarg_size 400
		.amdhsa_user_sgpr_count 14
		.amdhsa_user_sgpr_dispatch_ptr 0
		.amdhsa_user_sgpr_queue_ptr 0
		.amdhsa_user_sgpr_kernarg_segment_ptr 1
		.amdhsa_user_sgpr_dispatch_id 0
		.amdhsa_user_sgpr_private_segment_size 0
		.amdhsa_wavefront_size32 1
		.amdhsa_uses_dynamic_stack 0
		.amdhsa_enable_private_segment 0
		.amdhsa_system_sgpr_workgroup_id_x 1
		.amdhsa_system_sgpr_workgroup_id_y 0
		.amdhsa_system_sgpr_workgroup_id_z 1
		.amdhsa_system_sgpr_workgroup_info 0
		.amdhsa_system_vgpr_workitem_id 1
		.amdhsa_next_free_vgpr 45
		.amdhsa_next_free_sgpr 28
		.amdhsa_reserve_vcc 1
		.amdhsa_float_round_mode_32 0
		.amdhsa_float_round_mode_16_64 0
		.amdhsa_float_denorm_mode_32 3
		.amdhsa_float_denorm_mode_16_64 3
		.amdhsa_dx10_clamp 1
		.amdhsa_ieee_mode 1
		.amdhsa_fp16_overflow 0
		.amdhsa_workgroup_processor_mode 1
		.amdhsa_memory_ordered 1
		.amdhsa_forward_progress 0
		.amdhsa_shared_vgpr_count 0
		.amdhsa_exception_fp_ieee_invalid_op 0
		.amdhsa_exception_fp_denorm_src 0
		.amdhsa_exception_fp_ieee_div_zero 0
		.amdhsa_exception_fp_ieee_overflow 0
		.amdhsa_exception_fp_ieee_underflow 0
		.amdhsa_exception_fp_ieee_inexact 0
		.amdhsa_exception_int_div_zero 0
	.end_amdhsa_kernel
	.section	.text._ZL20rocblas_gemvn_kernelILi32ELi16EiDF16_fDF16_EviiT3_lPKT2_lT1_lS3_lS4_lS0_lPT4_lS4_li,"axG",@progbits,_ZL20rocblas_gemvn_kernelILi32ELi16EiDF16_fDF16_EviiT3_lPKT2_lT1_lS3_lS4_lS0_lPT4_lS4_li,comdat
.Lfunc_end388:
	.size	_ZL20rocblas_gemvn_kernelILi32ELi16EiDF16_fDF16_EviiT3_lPKT2_lT1_lS3_lS4_lS0_lPT4_lS4_li, .Lfunc_end388-_ZL20rocblas_gemvn_kernelILi32ELi16EiDF16_fDF16_EviiT3_lPKT2_lT1_lS3_lS4_lS0_lPT4_lS4_li
                                        ; -- End function
	.section	.AMDGPU.csdata,"",@progbits
; Kernel info:
; codeLenInByte = 3176
; NumSgprs: 30
; NumVgprs: 45
; ScratchSize: 0
; MemoryBound: 0
; FloatMode: 240
; IeeeMode: 1
; LDSByteSize: 8192 bytes/workgroup (compile time only)
; SGPRBlocks: 3
; VGPRBlocks: 5
; NumSGPRsForWavesPerEU: 30
; NumVGPRsForWavesPerEU: 45
; Occupancy: 16
; WaveLimiterHint : 1
; COMPUTE_PGM_RSRC2:SCRATCH_EN: 0
; COMPUTE_PGM_RSRC2:USER_SGPR: 14
; COMPUTE_PGM_RSRC2:TRAP_HANDLER: 0
; COMPUTE_PGM_RSRC2:TGID_X_EN: 1
; COMPUTE_PGM_RSRC2:TGID_Y_EN: 0
; COMPUTE_PGM_RSRC2:TGID_Z_EN: 1
; COMPUTE_PGM_RSRC2:TIDIG_COMP_CNT: 1
	.section	.text._ZL20rocblas_gemvn_kernelILi32ELi16ElDF16_fDF16_EviiT3_lPKT2_lT1_lS3_lS4_lS0_lPT4_lS4_li,"axG",@progbits,_ZL20rocblas_gemvn_kernelILi32ELi16ElDF16_fDF16_EviiT3_lPKT2_lT1_lS3_lS4_lS0_lPT4_lS4_li,comdat
	.globl	_ZL20rocblas_gemvn_kernelILi32ELi16ElDF16_fDF16_EviiT3_lPKT2_lT1_lS3_lS4_lS0_lPT4_lS4_li ; -- Begin function _ZL20rocblas_gemvn_kernelILi32ELi16ElDF16_fDF16_EviiT3_lPKT2_lT1_lS3_lS4_lS0_lPT4_lS4_li
	.p2align	8
	.type	_ZL20rocblas_gemvn_kernelILi32ELi16ElDF16_fDF16_EviiT3_lPKT2_lT1_lS3_lS4_lS0_lPT4_lS4_li,@function
_ZL20rocblas_gemvn_kernelILi32ELi16ElDF16_fDF16_EviiT3_lPKT2_lT1_lS3_lS4_lS0_lPT4_lS4_li: ; @_ZL20rocblas_gemvn_kernelILi32ELi16ElDF16_fDF16_EviiT3_lPKT2_lT1_lS3_lS4_lS0_lPT4_lS4_li
; %bb.0:
	s_load_b64 s[2:3], s[0:1], 0x9c
	s_waitcnt lgkmcnt(0)
	s_lshr_b32 s4, s2, 16
	s_and_b32 s2, s2, 0xffff
	s_and_b32 s3, s3, 0xffff
	s_mul_i32 s2, s4, s2
	s_delay_alu instid0(SALU_CYCLE_1) | instskip(NEXT) | instid1(SALU_CYCLE_1)
	s_mul_i32 s2, s2, s3
	s_cmpk_lg_i32 s2, 0x200
	s_cbranch_scc1 .LBB389_50
; %bb.1:
	s_clause 0x1
	s_load_b128 s[36:39], s[0:1], 0x0
	s_load_b32 s34, s[0:1], 0x58
	s_mov_b32 s35, 0
	s_waitcnt lgkmcnt(0)
	v_cmp_eq_f32_e64 s2, s38, 0
	v_cmp_eq_f32_e64 s3, s34, 1.0
	s_delay_alu instid0(VALU_DEP_1) | instskip(NEXT) | instid1(SALU_CYCLE_1)
	s_and_b32 s2, s2, s3
	s_and_b32 vcc_lo, exec_lo, s2
	s_cbranch_vccnz .LBB389_50
; %bb.2:
	s_load_b256 s[4:11], s[0:1], 0x68
	v_and_b32_e32 v12, 0x3ff, v0
	v_bfe_u32 v13, v0, 10, 10
	s_delay_alu instid0(VALU_DEP_1)
	v_lshl_add_u32 v11, v13, 5, v12
	s_waitcnt lgkmcnt(0)
	s_mul_i32 s3, s15, s11
	s_mul_hi_u32 s11, s15, s10
	s_mul_i32 s2, s15, s10
	s_add_i32 s3, s11, s3
	v_cmp_neq_f32_e64 s10, s38, 0
	s_lshl_b64 s[2:3], s[2:3], 1
	s_delay_alu instid0(SALU_CYCLE_1) | instskip(SKIP_2) | instid1(SALU_CYCLE_1)
	s_add_u32 s4, s4, s2
	s_addc_u32 s11, s5, s3
	s_lshl_b64 s[2:3], s[6:7], 1
	s_add_u32 s5, s4, s2
	v_cmp_gt_u32_e64 s2, 0x80, v11
	s_addc_u32 s33, s11, s3
	s_and_b32 vcc_lo, exec_lo, s10
	s_cbranch_vccnz .LBB389_7
; %bb.3:
	s_mov_b32 s3, 0
                                        ; implicit-def: $vgpr3
                                        ; implicit-def: $vgpr0_vgpr1
	s_and_saveexec_b32 s4, s2
	s_cbranch_execz .LBB389_8
; %bb.4:
	v_lshl_or_b32 v2, s14, 7, v11
	v_mov_b32_e32 v3, 0
	s_ashr_i32 s7, s36, 31
	s_mov_b32 s6, s36
                                        ; implicit-def: $vgpr0_vgpr1
	s_delay_alu instid0(VALU_DEP_1) | instid1(SALU_CYCLE_1)
	v_cmp_gt_i64_e32 vcc_lo, s[6:7], v[2:3]
	s_mov_b32 s6, 0
                                        ; implicit-def: $vgpr3
	s_and_saveexec_b32 s2, vcc_lo
	s_cbranch_execz .LBB389_10
; %bb.5:
	v_mad_u64_u32 v[0:1], null, v2, s8, 0
	v_cmp_eq_f32_e64 s6, s34, 0
	s_delay_alu instid0(VALU_DEP_1) | instskip(NEXT) | instid1(VALU_DEP_2)
	s_and_b32 vcc_lo, exec_lo, s6
	v_mad_u64_u32 v[3:4], null, v2, s9, v[1:2]
	s_delay_alu instid0(VALU_DEP_1)
	v_mov_b32_e32 v1, v3
	s_cbranch_vccnz .LBB389_9
; %bb.6:
	s_delay_alu instid0(VALU_DEP_1) | instskip(SKIP_1) | instid1(VALU_DEP_1)
	v_lshlrev_b64 v[2:3], 1, v[0:1]
	s_mov_b32 s6, exec_lo
	v_add_co_u32 v2, vcc_lo, s5, v2
	s_delay_alu instid0(VALU_DEP_2)
	v_add_co_ci_u32_e32 v3, vcc_lo, s33, v3, vcc_lo
	global_load_u16 v2, v[2:3], off
	s_waitcnt vmcnt(0)
	v_fma_mixlo_f16 v3, v2, s34, 0 op_sel_hi:[1,0,0]
	s_branch .LBB389_10
.LBB389_7:
                                        ; implicit-def: $vgpr3
                                        ; implicit-def: $vgpr0_vgpr1
	s_cbranch_execnz .LBB389_11
	s_branch .LBB389_48
.LBB389_8:
	s_or_b32 exec_lo, exec_lo, s4
	s_delay_alu instid0(SALU_CYCLE_1)
	s_and_b32 vcc_lo, exec_lo, s3
	s_cbranch_vccnz .LBB389_11
	s_branch .LBB389_48
.LBB389_9:
	v_mov_b32_e32 v3, 0
	s_mov_b32 s6, exec_lo
.LBB389_10:
	s_or_b32 exec_lo, exec_lo, s2
	s_delay_alu instid0(SALU_CYCLE_1) | instskip(SKIP_1) | instid1(SALU_CYCLE_1)
	s_and_b32 s35, s6, exec_lo
	s_or_b32 exec_lo, exec_lo, s4
	s_and_b32 vcc_lo, exec_lo, s3
	s_cbranch_vccz .LBB389_48
.LBB389_11:
	s_load_b512 s[16:31], s[0:1], 0x18
	s_ashr_i32 s0, s37, 31
	s_lshl_b32 s39, s14, 7
	s_lshr_b32 s0, s0, 26
	v_dual_mov_b32 v17, 0 :: v_dual_lshlrev_b32 v14, 2, v13
	v_dual_mov_b32 v18, 0 :: v_dual_mov_b32 v15, 0
	v_mov_b32_e32 v16, 0
	v_add_nc_u32_e32 v0, s39, v12
	s_add_i32 s40, s37, s0
	s_delay_alu instid0(SALU_CYCLE_1)
	s_and_not1_b32 s40, s40, 63
	s_waitcnt lgkmcnt(0)
	s_mul_i32 s0, s15, s23
	s_mul_hi_u32 s1, s15, s22
	s_mul_i32 s2, s15, s31
	s_mul_hi_u32 s3, s15, s30
	s_mul_i32 s6, s15, s22
	s_add_i32 s7, s1, s0
	s_add_i32 s11, s3, s2
	s_mul_i32 s10, s15, s30
	s_mov_b32 s30, exec_lo
	v_cmpx_gt_i32_e64 s40, v14
	s_cbranch_execz .LBB389_23
; %bb.12:
	v_lshlrev_b32_e32 v29, 2, v13
	v_mad_u64_u32 v[2:3], null, s28, v13, 0
	v_add_nc_u32_e32 v15, 32, v0
	s_lshl_b64 s[0:1], s[10:11], 1
	s_delay_alu instid0(VALU_DEP_3)
	v_or_b32_e32 v17, 3, v29
	s_lshl_b64 s[12:13], s[26:27], 1
	s_add_u32 s4, s24, s0
	s_addc_u32 s31, s25, s1
	v_cmp_gt_i32_e64 s0, s36, v15
	v_mad_u64_u32 v[4:5], null, s20, v17, 0
	s_lshl_b64 s[22:23], s[18:19], 1
	s_lshl_b64 s[14:15], s[28:29], 7
	;; [unrolled: 1-line block ×3, first 2 shown]
	v_ashrrev_i32_e32 v1, 31, v0
	v_cmp_gt_i32_e32 vcc_lo, s36, v0
	s_delay_alu instid0(VALU_DEP_3) | instskip(SKIP_3) | instid1(VALU_DEP_4)
	v_mad_u64_u32 v[6:7], null, s29, v13, v[3:4]
	v_add_nc_u32_e32 v16, 64, v0
	v_mad_u64_u32 v[7:8], null, s28, v17, 0
	v_add_nc_u32_e32 v18, 0x60, v0
	v_mad_u64_u32 v[9:10], null, s21, v17, v[5:6]
	v_mov_b32_e32 v3, v6
	v_cmp_gt_i32_e64 s1, s36, v16
	s_delay_alu instid0(VALU_DEP_2)
	v_lshlrev_b64 v[15:16], 3, v[2:3]
	v_mov_b32_e32 v3, v8
	v_mov_b32_e32 v5, v9
	v_mad_u64_u32 v[9:10], null, s20, v13, 0
	v_cmp_gt_i32_e64 s2, s36, v18
	v_add_co_u32 v19, s3, s4, v15
	s_delay_alu instid0(VALU_DEP_4) | instskip(SKIP_4) | instid1(VALU_DEP_2)
	v_lshlrev_b64 v[4:5], 1, v[4:5]
	v_add_co_ci_u32_e64 v20, s3, s31, v16, s3
	s_add_u32 s3, s16, s22
	s_addc_u32 s22, s17, s23
	s_add_u32 s23, s3, s42
	v_mad_u64_u32 v[15:16], null, s29, v17, v[3:4]
	v_mov_b32_e32 v3, v10
	s_addc_u32 s22, s22, s43
	v_add_co_u32 v21, s3, s23, v4
	s_delay_alu instid0(VALU_DEP_1) | instskip(NEXT) | instid1(VALU_DEP_4)
	v_add_co_ci_u32_e64 v22, s3, s22, v5, s3
	v_mov_b32_e32 v8, v15
	v_or_b32_e32 v23, 2, v29
	v_mad_u64_u32 v[17:18], null, s21, v13, v[3:4]
	v_mad_u64_u32 v[31:32], null, s20, v29, s[20:21]
	s_delay_alu instid0(VALU_DEP_3)
	v_mad_u64_u32 v[15:16], null, s20, v23, 0
	v_lshlrev_b64 v[4:5], 1, v[7:8]
	v_mad_u64_u32 v[27:28], null, s28, v23, 0
	v_mov_b32_e32 v10, v17
	v_mad_u64_u32 v[17:18], null, s28, v29, s[28:29]
	v_mov_b32_e32 v3, v16
	v_lshlrev_b64 v[1:2], 1, v[0:1]
	v_mov_b32_e32 v6, v28
	s_delay_alu instid0(VALU_DEP_3) | instskip(SKIP_1) | instid1(VALU_DEP_2)
	v_mad_u64_u32 v[7:8], null, s21, v23, v[3:4]
	v_mov_b32_e32 v3, v18
	v_mad_u64_u32 v[25:26], null, s29, v23, v[6:7]
	v_add_co_u32 v23, s3, s4, v4
	s_delay_alu instid0(VALU_DEP_1) | instskip(SKIP_3) | instid1(VALU_DEP_3)
	v_add_co_ci_u32_e64 v24, s3, s31, v5, s3
	v_lshlrev_b64 v[4:5], 3, v[9:10]
	v_mov_b32_e32 v16, v7
	v_mov_b32_e32 v28, v25
	v_mad_u64_u32 v[6:7], null, s29, v29, v[3:4]
	v_add_co_u32 v25, s3, s23, v4
	s_delay_alu instid0(VALU_DEP_1) | instskip(SKIP_1) | instid1(VALU_DEP_4)
	v_add_co_ci_u32_e64 v26, s3, s22, v5, s3
	v_lshlrev_b64 v[4:5], 1, v[15:16]
	v_dual_mov_b32 v3, v32 :: v_dual_mov_b32 v18, v6
	v_dual_mov_b32 v16, 0 :: v_dual_mov_b32 v15, 0
	s_delay_alu instid0(VALU_DEP_2)
	v_mad_u64_u32 v[7:8], null, s21, v29, v[3:4]
	v_lshlrev_b64 v[8:9], 1, v[27:28]
	v_add_co_u32 v27, s3, s23, v4
	v_lshlrev_b64 v[3:4], 1, v[17:18]
	v_add_co_ci_u32_e64 v28, s3, s22, v5, s3
	v_mov_b32_e32 v32, v7
	v_add_co_u32 v29, s3, s4, v8
	s_delay_alu instid0(VALU_DEP_1) | instskip(NEXT) | instid1(VALU_DEP_3)
	v_add_co_ci_u32_e64 v30, s3, s31, v9, s3
	v_lshlrev_b64 v[5:6], 1, v[31:32]
	v_add_co_u32 v31, s3, s4, v3
	s_delay_alu instid0(VALU_DEP_1) | instskip(SKIP_1) | instid1(VALU_DEP_4)
	v_add_co_ci_u32_e64 v32, s3, s31, v4, s3
	v_dual_mov_b32 v18, 0 :: v_dual_mov_b32 v17, 0
	v_add_co_u32 v33, s3, s23, v5
	s_delay_alu instid0(VALU_DEP_1)
	v_add_co_ci_u32_e64 v34, s3, s22, v6, s3
	s_lshl_b64 s[22:23], s[20:21], 7
	s_mov_b32 s31, 0
	s_branch .LBB389_17
.LBB389_13:                             ;   in Loop: Header=BB389_17 Depth=1
	s_or_b32 exec_lo, exec_lo, s42
	s_waitcnt vmcnt(3)
	v_fma_mix_f32 v3, v47, v51, v16 op_sel_hi:[0,1,0]
	s_waitcnt vmcnt(2)
	s_delay_alu instid0(VALU_DEP_1) | instskip(SKIP_1) | instid1(VALU_DEP_1)
	v_fma_mix_f32 v3, v48, v52, v3 op_sel_hi:[0,1,0]
	s_waitcnt vmcnt(1)
	v_fma_mix_f32 v3, v49, v53, v3 op_sel_hi:[0,1,0]
	s_waitcnt vmcnt(0)
	s_delay_alu instid0(VALU_DEP_1)
	v_fma_mix_f32 v16, v50, v54, v3 op_sel_hi:[0,1,0]
.LBB389_14:                             ;   in Loop: Header=BB389_17 Depth=1
	s_or_b32 exec_lo, exec_lo, s41
	s_waitcnt vmcnt(3)
	v_fma_mix_f32 v3, v47, v43, v17 op_sel_hi:[0,1,0]
	s_waitcnt vmcnt(2)
	s_delay_alu instid0(VALU_DEP_1) | instskip(SKIP_1) | instid1(VALU_DEP_1)
	v_fma_mix_f32 v3, v48, v44, v3 op_sel_hi:[0,1,0]
	s_waitcnt vmcnt(1)
	v_fma_mix_f32 v3, v49, v45, v3 op_sel_hi:[0,1,0]
	s_waitcnt vmcnt(0)
	s_delay_alu instid0(VALU_DEP_1)
	v_fma_mix_f32 v17, v50, v46, v3 op_sel_hi:[0,1,0]
.LBB389_15:                             ;   in Loop: Header=BB389_17 Depth=1
	s_or_b32 exec_lo, exec_lo, s3
	s_waitcnt vmcnt(3)
	v_fma_mix_f32 v3, v35, v39, v18 op_sel_hi:[1,1,0]
	s_waitcnt vmcnt(2)
	s_delay_alu instid0(VALU_DEP_1) | instskip(SKIP_1) | instid1(VALU_DEP_1)
	v_fma_mix_f32 v3, v36, v40, v3 op_sel_hi:[1,1,0]
	s_waitcnt vmcnt(1)
	v_fma_mix_f32 v3, v37, v41, v3 op_sel_hi:[1,1,0]
	s_waitcnt vmcnt(0)
	s_delay_alu instid0(VALU_DEP_1)
	v_fma_mix_f32 v18, v38, v42, v3 op_sel_hi:[1,1,0]
.LBB389_16:                             ;   in Loop: Header=BB389_17 Depth=1
	s_or_b32 exec_lo, exec_lo, s4
	v_add_co_u32 v19, s3, v19, s14
	s_delay_alu instid0(VALU_DEP_1) | instskip(SKIP_1) | instid1(VALU_DEP_1)
	v_add_co_ci_u32_e64 v20, s3, s15, v20, s3
	v_add_co_u32 v21, s3, v21, s22
	v_add_co_ci_u32_e64 v22, s3, s23, v22, s3
	v_add_co_u32 v23, s3, v23, s14
	s_delay_alu instid0(VALU_DEP_1) | instskip(SKIP_1) | instid1(VALU_DEP_1)
	v_add_co_ci_u32_e64 v24, s3, s15, v24, s3
	v_add_co_u32 v25, s3, v25, s22
	v_add_co_ci_u32_e64 v26, s3, s23, v26, s3
	v_add_co_u32 v27, s3, v27, s22
	s_delay_alu instid0(VALU_DEP_1) | instskip(SKIP_4) | instid1(VALU_DEP_1)
	v_add_co_ci_u32_e64 v28, s3, s23, v28, s3
	v_add_co_u32 v29, s3, v29, s14
	v_add_nc_u32_e32 v14, 64, v14
	v_add_co_ci_u32_e64 v30, s3, s15, v30, s3
	v_add_co_u32 v31, s3, v31, s14
	v_add_co_ci_u32_e64 v32, s3, s15, v32, s3
	s_delay_alu instid0(VALU_DEP_4) | instskip(SKIP_1) | instid1(VALU_DEP_1)
	v_cmp_le_i32_e64 s3, s40, v14
	v_add_co_u32 v33, s4, v33, s22
	v_add_co_ci_u32_e64 v34, s4, s23, v34, s4
	s_delay_alu instid0(VALU_DEP_3) | instskip(NEXT) | instid1(SALU_CYCLE_1)
	s_or_b32 s31, s3, s31
	s_and_not1_b32 exec_lo, exec_lo, s31
	s_cbranch_execz .LBB389_22
.LBB389_17:                             ; =>This Inner Loop Header: Depth=1
	s_and_saveexec_b32 s4, vcc_lo
	s_cbranch_execz .LBB389_16
; %bb.18:                               ;   in Loop: Header=BB389_17 Depth=1
	v_add_co_u32 v3, s3, v19, s12
	s_delay_alu instid0(VALU_DEP_1) | instskip(SKIP_1) | instid1(VALU_DEP_1)
	v_add_co_ci_u32_e64 v4, s3, s13, v20, s3
	v_add_co_u32 v5, s3, v31, s12
	v_add_co_ci_u32_e64 v6, s3, s13, v32, s3
	v_add_co_u32 v7, s3, v29, s12
	s_delay_alu instid0(VALU_DEP_1) | instskip(SKIP_1) | instid1(VALU_DEP_1)
	v_add_co_ci_u32_e64 v8, s3, s13, v30, s3
	v_add_co_u32 v38, s3, v23, s12
	v_add_co_ci_u32_e64 v39, s3, s13, v24, s3
	global_load_u16 v35, v[3:4], off
	global_load_u16 v36, v[5:6], off
	;; [unrolled: 1-line block ×3, first 2 shown]
	v_add_co_u32 v3, s3, v25, v1
	s_delay_alu instid0(VALU_DEP_1) | instskip(SKIP_1) | instid1(VALU_DEP_1)
	v_add_co_ci_u32_e64 v4, s3, v26, v2, s3
	v_add_co_u32 v5, s3, v33, v1
	v_add_co_ci_u32_e64 v6, s3, v34, v2, s3
	v_add_co_u32 v7, s3, v27, v1
	s_delay_alu instid0(VALU_DEP_1) | instskip(SKIP_1) | instid1(VALU_DEP_1)
	v_add_co_ci_u32_e64 v8, s3, v28, v2, s3
	v_add_co_u32 v9, s3, v21, v1
	v_add_co_ci_u32_e64 v10, s3, v22, v2, s3
	global_load_u16 v38, v[38:39], off
	global_load_u16 v39, v[3:4], off
	global_load_u16 v40, v[5:6], off
	global_load_u16 v41, v[7:8], off
	global_load_u16 v42, v[9:10], off
	s_and_saveexec_b32 s3, s0
	s_cbranch_execz .LBB389_15
; %bb.19:                               ;   in Loop: Header=BB389_17 Depth=1
	global_load_u16 v43, v[3:4], off offset:64
	global_load_u16 v44, v[5:6], off offset:64
	;; [unrolled: 1-line block ×4, first 2 shown]
	s_waitcnt vmcnt(11)
	v_cvt_f32_f16_e32 v47, v35
	s_waitcnt vmcnt(10)
	v_cvt_f32_f16_e32 v48, v36
	;; [unrolled: 2-line block ×4, first 2 shown]
	s_and_saveexec_b32 s41, s1
	s_cbranch_execz .LBB389_14
; %bb.20:                               ;   in Loop: Header=BB389_17 Depth=1
	global_load_u16 v51, v[3:4], off offset:128
	global_load_u16 v52, v[5:6], off offset:128
	;; [unrolled: 1-line block ×4, first 2 shown]
	s_and_saveexec_b32 s42, s2
	s_cbranch_execz .LBB389_13
; %bb.21:                               ;   in Loop: Header=BB389_17 Depth=1
	global_load_u16 v3, v[3:4], off offset:192
	global_load_u16 v4, v[5:6], off offset:192
	;; [unrolled: 1-line block ×4, first 2 shown]
	s_waitcnt vmcnt(3)
	v_fma_mix_f32 v3, v47, v3, v15 op_sel_hi:[0,1,0]
	s_waitcnt vmcnt(2)
	s_delay_alu instid0(VALU_DEP_1) | instskip(SKIP_1) | instid1(VALU_DEP_1)
	v_fma_mix_f32 v3, v48, v4, v3 op_sel_hi:[0,1,0]
	s_waitcnt vmcnt(1)
	v_fma_mix_f32 v3, v49, v5, v3 op_sel_hi:[0,1,0]
	s_waitcnt vmcnt(0)
	s_delay_alu instid0(VALU_DEP_1)
	v_fma_mix_f32 v15, v50, v6, v3 op_sel_hi:[0,1,0]
	s_branch .LBB389_13
.LBB389_22:
	s_or_b32 exec_lo, exec_lo, s31
.LBB389_23:
	s_delay_alu instid0(SALU_CYCLE_1) | instskip(SKIP_1) | instid1(SALU_CYCLE_1)
	s_or_b32 exec_lo, exec_lo, s30
	s_sub_i32 s0, s37, s40
	s_cmp_lt_i32 s0, 1
	s_cbranch_scc1 .LBB389_41
; %bb.24:
	v_cmp_gt_i32_e32 vcc_lo, s37, v14
	v_dual_mov_b32 v9, 0 :: v_dual_mov_b32 v10, 0
	v_or_b32_e32 v2, 1, v14
	v_dual_mov_b32 v19, 0 :: v_dual_mov_b32 v20, 0
	s_and_saveexec_b32 s1, vcc_lo
	s_cbranch_execz .LBB389_32
; %bb.25:
	v_mad_u64_u32 v[3:4], null, v14, s28, 0
	s_lshl_b64 s[2:3], s[10:11], 1
	v_mov_b32_e32 v19, 0
	s_add_u32 s0, s24, s2
	s_addc_u32 s2, s25, s3
	s_lshl_b64 s[10:11], s[26:27], 1
	v_mov_b32_e32 v9, 0
	s_delay_alu instid0(VALU_DEP_3) | instskip(SKIP_3) | instid1(VALU_DEP_1)
	v_dual_mov_b32 v1, v4 :: v_dual_mov_b32 v10, 0
	s_add_u32 s3, s0, s10
	s_addc_u32 s4, s2, s11
	s_mov_b32 s2, exec_lo
	v_mad_u64_u32 v[4:5], null, v14, s29, v[1:2]
	s_delay_alu instid0(VALU_DEP_1) | instskip(NEXT) | instid1(VALU_DEP_1)
	v_lshlrev_b64 v[3:4], 1, v[3:4]
	v_add_co_u32 v3, s0, s3, v3
	s_delay_alu instid0(VALU_DEP_1)
	v_add_co_ci_u32_e64 v4, s0, s4, v4, s0
	global_load_u16 v1, v[3:4], off
	v_cmpx_gt_i32_e64 s37, v2
	s_cbranch_execz .LBB389_31
; %bb.26:
	v_mad_u64_u32 v[3:4], null, v2, s28, 0
	v_mov_b32_e32 v10, 0
	s_mov_b32 s10, exec_lo
	v_mov_b32_e32 v9, 0
	s_delay_alu instid0(VALU_DEP_3) | instskip(NEXT) | instid1(VALU_DEP_1)
	v_mad_u64_u32 v[5:6], null, v2, s29, v[4:5]
	v_mov_b32_e32 v4, v5
	s_delay_alu instid0(VALU_DEP_1) | instskip(NEXT) | instid1(VALU_DEP_1)
	v_lshlrev_b64 v[3:4], 1, v[3:4]
	v_add_co_u32 v3, s0, s3, v3
	s_delay_alu instid0(VALU_DEP_1) | instskip(SKIP_2) | instid1(VALU_DEP_1)
	v_add_co_ci_u32_e64 v4, s0, s4, v4, s0
	global_load_u16 v3, v[3:4], off
	v_or_b32_e32 v4, 2, v14
	v_cmpx_gt_i32_e64 s37, v4
	s_cbranch_execz .LBB389_30
; %bb.27:
	v_mad_u64_u32 v[5:6], null, v4, s28, 0
	s_mov_b32 s11, exec_lo
	v_mov_b32_e32 v9, 0
	s_delay_alu instid0(VALU_DEP_2) | instskip(NEXT) | instid1(VALU_DEP_1)
	v_mad_u64_u32 v[7:8], null, v4, s29, v[6:7]
	v_mov_b32_e32 v6, v7
	s_delay_alu instid0(VALU_DEP_1) | instskip(NEXT) | instid1(VALU_DEP_1)
	v_lshlrev_b64 v[4:5], 1, v[5:6]
	v_add_co_u32 v4, s0, s3, v4
	s_delay_alu instid0(VALU_DEP_1) | instskip(SKIP_2) | instid1(VALU_DEP_1)
	v_add_co_ci_u32_e64 v5, s0, s4, v5, s0
	global_load_u16 v4, v[4:5], off
	v_or_b32_e32 v5, 3, v14
	v_cmpx_gt_i32_e64 s37, v5
	s_cbranch_execz .LBB389_29
; %bb.28:
	v_mad_u64_u32 v[6:7], null, v5, s28, 0
	s_delay_alu instid0(VALU_DEP_1) | instskip(NEXT) | instid1(VALU_DEP_1)
	v_mad_u64_u32 v[8:9], null, v5, s29, v[7:8]
	v_mov_b32_e32 v7, v8
	s_delay_alu instid0(VALU_DEP_1) | instskip(NEXT) | instid1(VALU_DEP_1)
	v_lshlrev_b64 v[5:6], 1, v[6:7]
	v_add_co_u32 v5, s0, s3, v5
	s_delay_alu instid0(VALU_DEP_1)
	v_add_co_ci_u32_e64 v6, s0, s4, v6, s0
	global_load_u16 v5, v[5:6], off
	s_waitcnt vmcnt(0)
	v_cvt_f32_f16_e32 v9, v5
.LBB389_29:
	s_or_b32 exec_lo, exec_lo, s11
	s_waitcnt vmcnt(0)
	v_cvt_f32_f16_e32 v10, v4
.LBB389_30:
	s_or_b32 exec_lo, exec_lo, s10
	s_waitcnt vmcnt(0)
	v_cvt_f32_f16_e32 v19, v3
.LBB389_31:
	s_or_b32 exec_lo, exec_lo, s2
	s_waitcnt vmcnt(0)
	v_cvt_f32_f16_e32 v20, v1
.LBB389_32:
	s_or_b32 exec_lo, exec_lo, s1
	s_delay_alu instid0(SALU_CYCLE_1)
	s_mov_b32 s1, exec_lo
	v_cmpx_gt_i32_e64 s36, v0
	s_cbranch_execz .LBB389_40
; %bb.33:
	v_mad_u64_u32 v[3:4], null, v14, s20, 0
	v_mad_u64_u32 v[5:6], null, v2, s20, 0
	v_ashrrev_i32_e32 v1, 31, v0
	s_lshl_b64 s[2:3], s[6:7], 1
	v_or_b32_e32 v28, 2, v14
	s_add_u32 s0, s16, s2
	s_delay_alu instid0(VALU_DEP_4)
	v_cndmask_b32_e32 v3, 0, v3, vcc_lo
	v_lshlrev_b64 v[21:22], 1, v[0:1]
	v_mad_u64_u32 v[7:8], null, v14, s21, v[4:5]
	s_addc_u32 s4, s17, s3
	s_lshl_b64 s[2:3], s[18:19], 1
	v_or_b32_e32 v14, 3, v14
	s_add_u32 s2, s0, s2
	v_mov_b32_e32 v1, v6
	v_mad_u64_u32 v[23:24], null, v28, s20, 0
	s_delay_alu instid0(VALU_DEP_4) | instskip(SKIP_1) | instid1(VALU_DEP_4)
	v_cndmask_b32_e32 v4, 0, v7, vcc_lo
	v_cmp_gt_i32_e32 vcc_lo, s37, v2
	v_mad_u64_u32 v[25:26], null, v2, s21, v[1:2]
	s_addc_u32 s3, s4, s3
	v_mad_u64_u32 v[6:7], null, v14, s20, 0
	v_cndmask_b32_e32 v26, 0, v5, vcc_lo
	v_lshlrev_b64 v[3:4], 1, v[3:4]
	s_delay_alu instid0(VALU_DEP_4) | instskip(NEXT) | instid1(VALU_DEP_2)
	v_cndmask_b32_e32 v27, 0, v25, vcc_lo
	v_add_co_u32 v1, s0, s2, v3
	s_delay_alu instid0(VALU_DEP_1) | instskip(NEXT) | instid1(VALU_DEP_3)
	v_add_co_ci_u32_e64 v2, s0, s3, v4, s0
	v_lshlrev_b64 v[3:4], 1, v[26:27]
	s_delay_alu instid0(VALU_DEP_3) | instskip(NEXT) | instid1(VALU_DEP_3)
	v_add_co_u32 v1, vcc_lo, v1, v21
	v_add_co_ci_u32_e32 v2, vcc_lo, v2, v22, vcc_lo
	v_cmp_gt_i32_e32 vcc_lo, s37, v28
	v_mov_b32_e32 v5, v24
	v_add_co_u32 v3, s0, s2, v3
	s_delay_alu instid0(VALU_DEP_1) | instskip(NEXT) | instid1(VALU_DEP_3)
	v_add_co_ci_u32_e64 v4, s0, s3, v4, s0
	v_mad_u64_u32 v[24:25], null, v28, s21, v[5:6]
	v_mov_b32_e32 v5, v7
	v_cndmask_b32_e32 v7, 0, v23, vcc_lo
	s_mov_b32 s0, exec_lo
	s_delay_alu instid0(VALU_DEP_3) | instskip(NEXT) | instid1(VALU_DEP_3)
	v_cndmask_b32_e32 v8, 0, v24, vcc_lo
	v_mad_u64_u32 v[23:24], null, v14, s21, v[5:6]
	v_add_co_u32 v3, vcc_lo, v3, v21
	v_add_co_ci_u32_e32 v4, vcc_lo, v4, v22, vcc_lo
	v_cmp_gt_i32_e32 vcc_lo, s37, v14
	v_lshlrev_b64 v[7:8], 1, v[7:8]
	s_clause 0x1
	global_load_u16 v24, v[1:2], off
	global_load_u16 v25, v[3:4], off
	v_dual_cndmask_b32 v5, 0, v6 :: v_dual_cndmask_b32 v6, 0, v23
	v_add_co_u32 v14, vcc_lo, s2, v7
	v_add_co_ci_u32_e32 v23, vcc_lo, s3, v8, vcc_lo
	s_delay_alu instid0(VALU_DEP_3) | instskip(NEXT) | instid1(VALU_DEP_3)
	v_lshlrev_b64 v[7:8], 1, v[5:6]
	v_add_co_u32 v5, vcc_lo, v14, v21
	s_delay_alu instid0(VALU_DEP_3) | instskip(NEXT) | instid1(VALU_DEP_3)
	v_add_co_ci_u32_e32 v6, vcc_lo, v23, v22, vcc_lo
	v_add_co_u32 v7, vcc_lo, s2, v7
	s_delay_alu instid0(VALU_DEP_4)
	v_add_co_ci_u32_e32 v8, vcc_lo, s3, v8, vcc_lo
	global_load_u16 v23, v[5:6], off
	v_add_co_u32 v7, vcc_lo, v7, v21
	v_add_co_ci_u32_e32 v8, vcc_lo, v8, v22, vcc_lo
	v_add_nc_u32_e32 v21, 32, v0
	global_load_u16 v14, v[7:8], off
	s_waitcnt vmcnt(3)
	v_fma_mix_f32 v18, v20, v24, v18 op_sel_hi:[0,1,0]
	s_waitcnt vmcnt(2)
	s_delay_alu instid0(VALU_DEP_1) | instskip(SKIP_1) | instid1(VALU_DEP_1)
	v_fma_mix_f32 v18, v19, v25, v18 op_sel_hi:[0,1,0]
	s_waitcnt vmcnt(1)
	v_fma_mix_f32 v18, v10, v23, v18 op_sel_hi:[0,1,0]
	v_cmpx_gt_i32_e64 s36, v21
	s_cbranch_execz .LBB389_39
; %bb.34:
	s_clause 0x3
	global_load_u16 v22, v[1:2], off offset:64
	global_load_u16 v23, v[3:4], off offset:64
	;; [unrolled: 1-line block ×4, first 2 shown]
	s_mov_b32 s2, exec_lo
	s_waitcnt vmcnt(3)
	v_fma_mix_f32 v17, v20, v22, v17 op_sel_hi:[0,1,0]
	v_add_nc_u32_e32 v22, 64, v0
	s_waitcnt vmcnt(2)
	s_delay_alu instid0(VALU_DEP_2) | instskip(SKIP_1) | instid1(VALU_DEP_1)
	v_fma_mix_f32 v17, v19, v23, v17 op_sel_hi:[0,1,0]
	s_waitcnt vmcnt(1)
	v_fma_mix_f32 v17, v10, v24, v17 op_sel_hi:[0,1,0]
	v_cmpx_gt_i32_e64 s36, v22
	s_cbranch_execz .LBB389_38
; %bb.35:
	s_clause 0x3
	global_load_u16 v23, v[1:2], off offset:128
	global_load_u16 v24, v[3:4], off offset:128
	;; [unrolled: 1-line block ×4, first 2 shown]
	s_mov_b32 s3, exec_lo
	s_waitcnt vmcnt(3)
	v_fma_mix_f32 v16, v20, v23, v16 op_sel_hi:[0,1,0]
	v_add_nc_u32_e32 v23, 0x60, v0
	s_waitcnt vmcnt(2)
	s_delay_alu instid0(VALU_DEP_2) | instskip(SKIP_1) | instid1(VALU_DEP_1)
	v_fma_mix_f32 v16, v19, v24, v16 op_sel_hi:[0,1,0]
	s_waitcnt vmcnt(1)
	v_fma_mix_f32 v0, v10, v25, v16 op_sel_hi:[0,1,0]
	v_cmpx_gt_i32_e64 s36, v23
	s_cbranch_execz .LBB389_37
; %bb.36:
	s_clause 0x3
	global_load_u16 v1, v[1:2], off offset:192
	global_load_u16 v2, v[3:4], off offset:192
	;; [unrolled: 1-line block ×4, first 2 shown]
	s_waitcnt vmcnt(3)
	v_fma_mix_f32 v1, v20, v1, v15 op_sel_hi:[0,1,0]
	s_waitcnt vmcnt(2)
	s_delay_alu instid0(VALU_DEP_1) | instskip(SKIP_1) | instid1(VALU_DEP_1)
	v_fma_mix_f32 v1, v19, v2, v1 op_sel_hi:[0,1,0]
	s_waitcnt vmcnt(1)
	v_fma_mix_f32 v1, v10, v3, v1 op_sel_hi:[0,1,0]
	s_waitcnt vmcnt(0)
	s_delay_alu instid0(VALU_DEP_1)
	v_fma_mix_f32 v15, v9, v4, v1 op_sel_hi:[0,1,0]
.LBB389_37:
	s_or_b32 exec_lo, exec_lo, s3
	s_waitcnt vmcnt(0)
	v_fma_mix_f32 v16, v9, v22, v0 op_sel_hi:[0,1,0]
.LBB389_38:
	s_or_b32 exec_lo, exec_lo, s2
	s_waitcnt vmcnt(0)
	v_fma_mix_f32 v17, v9, v21, v17 op_sel_hi:[0,1,0]
.LBB389_39:
	s_or_b32 exec_lo, exec_lo, s0
	s_waitcnt vmcnt(0)
	v_fma_mix_f32 v18, v9, v14, v18 op_sel_hi:[0,1,0]
.LBB389_40:
	s_or_b32 exec_lo, exec_lo, s1
.LBB389_41:
	v_lshlrev_b32_e32 v0, 7, v13
	s_mov_b32 s0, exec_lo
                                        ; implicit-def: $vgpr3
	s_delay_alu instid0(VALU_DEP_1)
	v_add_lshl_u32 v0, v0, v12, 2
	ds_store_2addr_b32 v0, v18, v17 offset1:32
	ds_store_2addr_b32 v0, v16, v15 offset0:64 offset1:96
	s_waitcnt lgkmcnt(0)
	s_barrier
	buffer_gl0_inv
                                        ; implicit-def: $vgpr0_vgpr1
	v_cmpx_gt_u32_e32 0x80, v11
	s_cbranch_execz .LBB389_47
; %bb.42:
	v_lshlrev_b32_e32 v6, 2, v11
	s_mov_b32 s2, s35
	s_mov_b32 s1, exec_lo
	ds_load_2addr_stride64_b32 v[0:1], v6 offset1:2
	ds_load_2addr_stride64_b32 v[2:3], v6 offset0:4 offset1:6
	ds_load_2addr_stride64_b32 v[4:5], v6 offset0:8 offset1:10
	s_waitcnt lgkmcnt(2)
	v_add_f32_e32 v7, v0, v1
	ds_load_2addr_stride64_b32 v[0:1], v6 offset0:12 offset1:14
	s_waitcnt lgkmcnt(2)
	v_add_f32_e32 v2, v2, v7
	s_delay_alu instid0(VALU_DEP_1) | instskip(SKIP_3) | instid1(VALU_DEP_1)
	v_add_f32_e32 v7, v3, v2
	ds_load_2addr_stride64_b32 v[2:3], v6 offset0:16 offset1:18
	s_waitcnt lgkmcnt(2)
	v_add_f32_e32 v4, v4, v7
	v_add_f32_e32 v7, v5, v4
	ds_load_2addr_stride64_b32 v[4:5], v6 offset0:20 offset1:22
	s_waitcnt lgkmcnt(2)
	v_add_f32_e32 v0, v0, v7
	s_delay_alu instid0(VALU_DEP_1) | instskip(SKIP_1) | instid1(VALU_DEP_1)
	v_add_f32_e32 v0, v1, v0
	s_waitcnt lgkmcnt(1)
	v_add_f32_e32 v2, v2, v0
	ds_load_2addr_stride64_b32 v[0:1], v6 offset0:24 offset1:26
	v_add_f32_e32 v2, v3, v2
	s_waitcnt lgkmcnt(1)
	s_delay_alu instid0(VALU_DEP_1) | instskip(SKIP_3) | instid1(VALU_DEP_1)
	v_add_f32_e32 v4, v4, v2
	ds_load_2addr_stride64_b32 v[2:3], v6 offset0:28 offset1:30
	v_add_f32_e32 v4, v5, v4
	s_waitcnt lgkmcnt(1)
	v_add_f32_e32 v0, v0, v4
	v_or_b32_e32 v4, s39, v11
	s_delay_alu instid0(VALU_DEP_2) | instskip(SKIP_1) | instid1(VALU_DEP_1)
	v_add_f32_e32 v0, v1, v0
	s_waitcnt lgkmcnt(0)
	v_add_f32_e32 v0, v2, v0
	s_delay_alu instid0(VALU_DEP_1)
	v_add_f32_e32 v2, v3, v0
                                        ; implicit-def: $vgpr3
                                        ; implicit-def: $vgpr0_vgpr1
	ds_store_b32 v6, v2
	v_cmpx_gt_i32_e64 s36, v4
	s_cbranch_execz .LBB389_46
; %bb.43:
	v_ashrrev_i32_e32 v3, 31, v4
	v_mul_lo_u32 v5, v4, s9
	v_mad_u64_u32 v[0:1], null, v4, s8, 0
	v_cmp_eq_f32_e64 s2, s34, 0
	s_delay_alu instid0(VALU_DEP_4) | instskip(SKIP_1) | instid1(VALU_DEP_3)
	v_mul_lo_u32 v3, v3, s8
	v_mul_f32_e32 v2, s38, v2
	s_and_b32 vcc_lo, exec_lo, s2
	s_delay_alu instid0(VALU_DEP_2)
	v_add3_u32 v1, v1, v5, v3
	s_cbranch_vccnz .LBB389_45
; %bb.44:
	s_delay_alu instid0(VALU_DEP_1) | instskip(NEXT) | instid1(VALU_DEP_1)
	v_lshlrev_b64 v[3:4], 1, v[0:1]
	v_add_co_u32 v3, vcc_lo, s5, v3
	s_delay_alu instid0(VALU_DEP_2)
	v_add_co_ci_u32_e32 v4, vcc_lo, s33, v4, vcc_lo
	global_load_u16 v3, v[3:4], off
	s_waitcnt vmcnt(0)
	v_fma_mix_f32 v2, v3, s34, v2 op_sel_hi:[1,0,0]
.LBB389_45:
	s_delay_alu instid0(VALU_DEP_1)
	v_cvt_f16_f32_e32 v3, v2
	s_or_b32 s2, s35, exec_lo
.LBB389_46:
	s_or_b32 exec_lo, exec_lo, s1
	s_delay_alu instid0(SALU_CYCLE_1) | instskip(SKIP_1) | instid1(SALU_CYCLE_1)
	s_and_not1_b32 s1, s35, exec_lo
	s_and_b32 s2, s2, exec_lo
	s_or_b32 s35, s1, s2
.LBB389_47:
	s_or_b32 exec_lo, exec_lo, s0
.LBB389_48:
	s_and_saveexec_b32 s0, s35
	s_cbranch_execz .LBB389_50
; %bb.49:
	v_lshlrev_b64 v[0:1], 1, v[0:1]
	s_delay_alu instid0(VALU_DEP_1) | instskip(NEXT) | instid1(VALU_DEP_2)
	v_add_co_u32 v0, vcc_lo, s5, v0
	v_add_co_ci_u32_e32 v1, vcc_lo, s33, v1, vcc_lo
	global_store_b16 v[0:1], v3, off
.LBB389_50:
	s_nop 0
	s_sendmsg sendmsg(MSG_DEALLOC_VGPRS)
	s_endpgm
	.section	.rodata,"a",@progbits
	.p2align	6, 0x0
	.amdhsa_kernel _ZL20rocblas_gemvn_kernelILi32ELi16ElDF16_fDF16_EviiT3_lPKT2_lT1_lS3_lS4_lS0_lPT4_lS4_li
		.amdhsa_group_segment_fixed_size 8192
		.amdhsa_private_segment_fixed_size 0
		.amdhsa_kernarg_size 400
		.amdhsa_user_sgpr_count 14
		.amdhsa_user_sgpr_dispatch_ptr 0
		.amdhsa_user_sgpr_queue_ptr 0
		.amdhsa_user_sgpr_kernarg_segment_ptr 1
		.amdhsa_user_sgpr_dispatch_id 0
		.amdhsa_user_sgpr_private_segment_size 0
		.amdhsa_wavefront_size32 1
		.amdhsa_uses_dynamic_stack 0
		.amdhsa_enable_private_segment 0
		.amdhsa_system_sgpr_workgroup_id_x 1
		.amdhsa_system_sgpr_workgroup_id_y 0
		.amdhsa_system_sgpr_workgroup_id_z 1
		.amdhsa_system_sgpr_workgroup_info 0
		.amdhsa_system_vgpr_workitem_id 1
		.amdhsa_next_free_vgpr 55
		.amdhsa_next_free_sgpr 44
		.amdhsa_reserve_vcc 1
		.amdhsa_float_round_mode_32 0
		.amdhsa_float_round_mode_16_64 0
		.amdhsa_float_denorm_mode_32 3
		.amdhsa_float_denorm_mode_16_64 3
		.amdhsa_dx10_clamp 1
		.amdhsa_ieee_mode 1
		.amdhsa_fp16_overflow 0
		.amdhsa_workgroup_processor_mode 1
		.amdhsa_memory_ordered 1
		.amdhsa_forward_progress 0
		.amdhsa_shared_vgpr_count 0
		.amdhsa_exception_fp_ieee_invalid_op 0
		.amdhsa_exception_fp_denorm_src 0
		.amdhsa_exception_fp_ieee_div_zero 0
		.amdhsa_exception_fp_ieee_overflow 0
		.amdhsa_exception_fp_ieee_underflow 0
		.amdhsa_exception_fp_ieee_inexact 0
		.amdhsa_exception_int_div_zero 0
	.end_amdhsa_kernel
	.section	.text._ZL20rocblas_gemvn_kernelILi32ELi16ElDF16_fDF16_EviiT3_lPKT2_lT1_lS3_lS4_lS0_lPT4_lS4_li,"axG",@progbits,_ZL20rocblas_gemvn_kernelILi32ELi16ElDF16_fDF16_EviiT3_lPKT2_lT1_lS3_lS4_lS0_lPT4_lS4_li,comdat
.Lfunc_end389:
	.size	_ZL20rocblas_gemvn_kernelILi32ELi16ElDF16_fDF16_EviiT3_lPKT2_lT1_lS3_lS4_lS0_lPT4_lS4_li, .Lfunc_end389-_ZL20rocblas_gemvn_kernelILi32ELi16ElDF16_fDF16_EviiT3_lPKT2_lT1_lS3_lS4_lS0_lPT4_lS4_li
                                        ; -- End function
	.section	.AMDGPU.csdata,"",@progbits
; Kernel info:
; codeLenInByte = 3632
; NumSgprs: 46
; NumVgprs: 55
; ScratchSize: 0
; MemoryBound: 0
; FloatMode: 240
; IeeeMode: 1
; LDSByteSize: 8192 bytes/workgroup (compile time only)
; SGPRBlocks: 5
; VGPRBlocks: 6
; NumSGPRsForWavesPerEU: 46
; NumVGPRsForWavesPerEU: 55
; Occupancy: 16
; WaveLimiterHint : 1
; COMPUTE_PGM_RSRC2:SCRATCH_EN: 0
; COMPUTE_PGM_RSRC2:USER_SGPR: 14
; COMPUTE_PGM_RSRC2:TRAP_HANDLER: 0
; COMPUTE_PGM_RSRC2:TGID_X_EN: 1
; COMPUTE_PGM_RSRC2:TGID_Y_EN: 0
; COMPUTE_PGM_RSRC2:TGID_Z_EN: 1
; COMPUTE_PGM_RSRC2:TIDIG_COMP_CNT: 1
	.section	.text._ZL20rocblas_gemvn_kernelILi64ELi16EiDF16_PKfDF16_EviiT3_lPKT2_lT1_lS5_lS6_lS2_lPT4_lS6_li,"axG",@progbits,_ZL20rocblas_gemvn_kernelILi64ELi16EiDF16_PKfDF16_EviiT3_lPKT2_lT1_lS5_lS6_lS2_lPT4_lS6_li,comdat
	.globl	_ZL20rocblas_gemvn_kernelILi64ELi16EiDF16_PKfDF16_EviiT3_lPKT2_lT1_lS5_lS6_lS2_lPT4_lS6_li ; -- Begin function _ZL20rocblas_gemvn_kernelILi64ELi16EiDF16_PKfDF16_EviiT3_lPKT2_lT1_lS5_lS6_lS2_lPT4_lS6_li
	.p2align	8
	.type	_ZL20rocblas_gemvn_kernelILi64ELi16EiDF16_PKfDF16_EviiT3_lPKT2_lT1_lS5_lS6_lS2_lPT4_lS6_li,@function
_ZL20rocblas_gemvn_kernelILi64ELi16EiDF16_PKfDF16_EviiT3_lPKT2_lT1_lS5_lS6_lS2_lPT4_lS6_li: ; @_ZL20rocblas_gemvn_kernelILi64ELi16EiDF16_PKfDF16_EviiT3_lPKT2_lT1_lS5_lS6_lS2_lPT4_lS6_li
; %bb.0:
	s_load_b64 s[2:3], s[0:1], 0x9c
	s_waitcnt lgkmcnt(0)
	s_lshr_b32 s4, s2, 16
	s_and_b32 s2, s2, 0xffff
	s_and_b32 s3, s3, 0xffff
	s_mul_i32 s2, s4, s2
	s_delay_alu instid0(SALU_CYCLE_1) | instskip(NEXT) | instid1(SALU_CYCLE_1)
	s_mul_i32 s2, s2, s3
	s_cmpk_lg_i32 s2, 0x400
	s_cbranch_scc1 .LBB390_50
; %bb.1:
	s_clause 0x1
	s_load_b256 s[16:23], s[0:1], 0x8
	s_load_b256 s[4:11], s[0:1], 0x50
	s_waitcnt lgkmcnt(0)
	s_mul_i32 s3, s15, s19
	s_mul_hi_u32 s12, s15, s18
	s_mul_i32 s2, s15, s18
	s_add_i32 s3, s12, s3
	s_mul_i32 s9, s15, s9
	s_lshl_b64 s[2:3], s[2:3], 2
	s_mul_hi_u32 s12, s15, s8
	s_add_u32 s2, s16, s2
	s_addc_u32 s3, s17, s3
	s_add_i32 s9, s12, s9
	s_mul_i32 s8, s15, s8
	s_mov_b32 s16, 0
	s_lshl_b64 s[8:9], s[8:9], 2
	s_delay_alu instid0(SALU_CYCLE_1)
	s_add_u32 s6, s6, s8
	s_addc_u32 s7, s7, s9
	s_load_b32 s13, s[2:3], 0x0
	s_load_b32 s12, s[6:7], 0x0
	s_waitcnt lgkmcnt(0)
	v_cmp_eq_f32_e64 s2, s13, 0
	v_cmp_eq_f32_e64 s3, s12, 1.0
	s_delay_alu instid0(VALU_DEP_1) | instskip(NEXT) | instid1(SALU_CYCLE_1)
	s_and_b32 s2, s2, s3
	s_and_b32 vcc_lo, exec_lo, s2
	s_cbranch_vccnz .LBB390_50
; %bb.2:
	s_clause 0x3
	s_load_b64 s[2:3], s[0:1], 0x80
	s_load_b64 s[8:9], s[0:1], 0x70
	s_load_b32 s17, s[0:1], 0x78
	s_load_b64 s[6:7], s[0:1], 0x0
	v_and_b32_e32 v1, 0x3ff, v0
	v_bfe_u32 v13, v0, 10, 10
	s_delay_alu instid0(VALU_DEP_1)
	v_lshl_add_u32 v0, v13, 6, v1
	s_waitcnt lgkmcnt(0)
	s_mul_i32 s3, s15, s3
	s_mul_hi_u32 s18, s15, s2
	s_mul_i32 s2, s15, s2
	s_add_i32 s3, s18, s3
	v_cmp_neq_f32_e64 s18, s13, 0
	s_lshl_b64 s[2:3], s[2:3], 1
	s_delay_alu instid0(SALU_CYCLE_1) | instskip(SKIP_2) | instid1(SALU_CYCLE_1)
	s_add_u32 s10, s10, s2
	s_addc_u32 s11, s11, s3
	s_lshl_b64 s[2:3], s[8:9], 1
	s_add_u32 s8, s10, s2
	v_cmp_gt_u32_e64 s2, 0x100, v0
	s_addc_u32 s9, s11, s3
	s_and_b32 vcc_lo, exec_lo, s18
	s_cbranch_vccnz .LBB390_7
; %bb.3:
	s_mov_b32 s3, 0
                                        ; implicit-def: $vgpr5
                                        ; implicit-def: $vgpr2_vgpr3
	s_and_saveexec_b32 s10, s2
	s_cbranch_execz .LBB390_8
; %bb.4:
	v_lshl_or_b32 v4, s14, 8, v0
	v_mov_b32_e32 v5, 0
	s_ashr_i32 s19, s6, 31
	s_mov_b32 s18, s6
	s_mov_b32 s11, 0
                                        ; implicit-def: $vgpr2_vgpr3
	s_delay_alu instid0(VALU_DEP_1)
	v_cmp_gt_i64_e32 vcc_lo, s[18:19], v[4:5]
                                        ; implicit-def: $vgpr5
	s_and_saveexec_b32 s2, vcc_lo
	s_cbranch_execz .LBB390_10
; %bb.5:
	v_mad_u64_u32 v[2:3], null, s17, v4, 0
	s_ashr_i32 s11, s17, 31
	s_delay_alu instid0(VALU_DEP_1) | instid1(SALU_CYCLE_1)
	v_mad_u64_u32 v[5:6], null, s11, v4, v[3:4]
	v_cmp_eq_f32_e64 s11, s12, 0
	s_delay_alu instid0(VALU_DEP_1) | instskip(NEXT) | instid1(VALU_DEP_2)
	s_and_b32 vcc_lo, exec_lo, s11
	v_mov_b32_e32 v3, v5
	s_cbranch_vccnz .LBB390_9
; %bb.6:
	s_delay_alu instid0(VALU_DEP_1) | instskip(SKIP_1) | instid1(VALU_DEP_1)
	v_lshlrev_b64 v[4:5], 1, v[2:3]
	s_mov_b32 s11, exec_lo
	v_add_co_u32 v4, vcc_lo, s8, v4
	s_delay_alu instid0(VALU_DEP_2)
	v_add_co_ci_u32_e32 v5, vcc_lo, s9, v5, vcc_lo
	global_load_u16 v4, v[4:5], off
	s_waitcnt vmcnt(0)
	v_fma_mixlo_f16 v5, s12, v4, 0 op_sel_hi:[0,1,0]
	s_branch .LBB390_10
.LBB390_7:
                                        ; implicit-def: $vgpr5
                                        ; implicit-def: $vgpr2_vgpr3
	s_cbranch_execnz .LBB390_11
	s_branch .LBB390_48
.LBB390_8:
	s_or_b32 exec_lo, exec_lo, s10
	s_delay_alu instid0(SALU_CYCLE_1)
	s_and_b32 vcc_lo, exec_lo, s3
	s_cbranch_vccnz .LBB390_11
	s_branch .LBB390_48
.LBB390_9:
	v_mov_b32_e32 v5, 0
	s_mov_b32 s11, exec_lo
.LBB390_10:
	s_or_b32 exec_lo, exec_lo, s2
	s_delay_alu instid0(SALU_CYCLE_1) | instskip(SKIP_1) | instid1(SALU_CYCLE_1)
	s_and_b32 s16, s11, exec_lo
	s_or_b32 exec_lo, exec_lo, s10
	s_and_b32 vcc_lo, exec_lo, s3
	s_cbranch_vccz .LBB390_48
.LBB390_11:
	s_clause 0x2
	s_load_b128 s[24:27], s[0:1], 0x30
	s_load_b32 s18, s[0:1], 0x28
	s_load_b64 s[2:3], s[0:1], 0x40
	s_mul_i32 s5, s15, s5
	v_dual_mov_b32 v18, 0 :: v_dual_lshlrev_b32 v19, 2, v13
	v_dual_mov_b32 v15, 0 :: v_dual_mov_b32 v14, 0
	s_waitcnt lgkmcnt(0)
	s_mul_i32 s11, s15, s25
	s_mul_hi_u32 s19, s15, s24
	s_mul_i32 s10, s15, s24
	s_add_i32 s11, s19, s11
	s_mul_hi_u32 s19, s15, s4
	s_lshl_b64 s[10:11], s[10:11], 1
	s_delay_alu instid0(SALU_CYCLE_1) | instskip(SKIP_4) | instid1(SALU_CYCLE_1)
	s_add_u32 s24, s20, s10
	s_mul_i32 s20, s15, s4
	s_load_b32 s4, s[0:1], 0x48
	s_addc_u32 s21, s21, s11
	s_lshl_b64 s[10:11], s[22:23], 1
	s_add_u32 s10, s24, s10
	s_addc_u32 s11, s21, s11
	s_add_i32 s21, s19, s5
	s_delay_alu instid0(SALU_CYCLE_1) | instskip(SKIP_4) | instid1(SALU_CYCLE_1)
	s_lshl_b64 s[0:1], s[20:21], 1
	s_mov_b32 s20, exec_lo
	s_add_u32 s5, s26, s0
	s_addc_u32 s19, s27, s1
	s_lshl_b64 s[0:1], s[2:3], 1
	s_add_u32 s15, s5, s0
	s_addc_u32 s19, s19, s1
	s_ashr_i32 s0, s7, 31
	s_lshl_b32 s5, s14, 8
	s_lshr_b32 s0, s0, 26
	v_dual_mov_b32 v17, 0 :: v_dual_add_nc_u32 v16, s5, v1
	s_add_i32 s0, s7, s0
	s_delay_alu instid0(SALU_CYCLE_1) | instskip(NEXT) | instid1(SALU_CYCLE_1)
	s_and_b32 s14, s0, 0xffffffc0
	v_cmpx_gt_i32_e64 s14, v19
	s_cbranch_execz .LBB390_23
; %bb.12:
	v_mul_lo_u32 v3, s18, v19
	v_dual_mov_b32 v17, 0 :: v_dual_add_nc_u32 v2, 64, v16
	v_add_nc_u32_e32 v6, 2, v19
	v_dual_mov_b32 v18, 0 :: v_dual_add_nc_u32 v5, 0xc0, v16
	s_delay_alu instid0(VALU_DEP_3)
	v_cmp_gt_i32_e64 s0, s6, v2
	v_dual_mov_b32 v15, 0 :: v_dual_add_nc_u32 v4, 0x80, v16
	v_add3_u32 v20, v3, s18, v1
	v_mad_u64_u32 v[2:3], null, s18, v6, v[1:2]
	v_cmp_gt_i32_e64 s2, s6, v5
	v_mul_lo_u32 v5, v13, s18
	v_dual_mov_b32 v14, 0 :: v_dual_add_nc_u32 v7, 3, v19
	s_waitcnt lgkmcnt(0)
	v_mul_lo_u32 v8, v13, s4
	v_cmp_gt_i32_e64 s1, s6, v4
	v_mul_lo_u32 v22, s4, v6
	v_mad_u64_u32 v[3:4], null, s18, v7, v[1:2]
	v_lshl_add_u32 v21, v5, 2, v1
	v_mad_u64_u32 v[4:5], null, s4, v19, s[4:5]
	v_mul_lo_u32 v23, s4, v7
	v_cmp_gt_i32_e32 vcc_lo, s6, v16
	v_lshlrev_b32_e32 v24, 2, v8
	s_lshl_b32 s21, s18, 6
	s_lshl_b32 s23, s4, 6
	s_mov_b32 s22, 0
	s_mov_b32 s24, 0
	s_branch .LBB390_17
.LBB390_13:                             ;   in Loop: Header=BB390_17 Depth=1
	s_or_b32 exec_lo, exec_lo, s27
	s_waitcnt vmcnt(3)
	v_fma_mix_f32 v5, v37, v41, v15 op_sel_hi:[0,1,0]
	s_waitcnt vmcnt(2)
	s_delay_alu instid0(VALU_DEP_1) | instskip(SKIP_1) | instid1(VALU_DEP_1)
	v_fma_mix_f32 v5, v38, v42, v5 op_sel_hi:[0,1,0]
	s_waitcnt vmcnt(1)
	v_fma_mix_f32 v5, v39, v43, v5 op_sel_hi:[0,1,0]
	s_waitcnt vmcnt(0)
	s_delay_alu instid0(VALU_DEP_1)
	v_fma_mix_f32 v15, v40, v44, v5 op_sel_hi:[0,1,0]
.LBB390_14:                             ;   in Loop: Header=BB390_17 Depth=1
	s_or_b32 exec_lo, exec_lo, s26
	s_waitcnt vmcnt(3)
	v_fma_mix_f32 v5, v37, v33, v17 op_sel_hi:[0,1,0]
	s_waitcnt vmcnt(2)
	s_delay_alu instid0(VALU_DEP_1) | instskip(SKIP_1) | instid1(VALU_DEP_1)
	v_fma_mix_f32 v5, v38, v34, v5 op_sel_hi:[0,1,0]
	s_waitcnt vmcnt(1)
	v_fma_mix_f32 v5, v39, v35, v5 op_sel_hi:[0,1,0]
	s_waitcnt vmcnt(0)
	s_delay_alu instid0(VALU_DEP_1)
	v_fma_mix_f32 v17, v40, v36, v5 op_sel_hi:[0,1,0]
.LBB390_15:                             ;   in Loop: Header=BB390_17 Depth=1
	s_or_b32 exec_lo, exec_lo, s3
	s_waitcnt vmcnt(3)
	v_fma_mix_f32 v5, v25, v29, v18 op_sel_hi:[1,1,0]
	s_waitcnt vmcnt(2)
	s_delay_alu instid0(VALU_DEP_1) | instskip(SKIP_1) | instid1(VALU_DEP_1)
	v_fma_mix_f32 v5, v26, v30, v5 op_sel_hi:[1,1,0]
	s_waitcnt vmcnt(1)
	v_fma_mix_f32 v5, v27, v31, v5 op_sel_hi:[1,1,0]
	s_waitcnt vmcnt(0)
	s_delay_alu instid0(VALU_DEP_1)
	v_fma_mix_f32 v18, v28, v32, v5 op_sel_hi:[1,1,0]
.LBB390_16:                             ;   in Loop: Header=BB390_17 Depth=1
	s_or_b32 exec_lo, exec_lo, s25
	v_add_nc_u32_e32 v19, 64, v19
	v_add_nc_u32_e32 v20, s21, v20
	;; [unrolled: 1-line block ×5, first 2 shown]
	v_cmp_le_i32_e64 s3, s14, v19
	s_add_i32 s24, s24, s23
	s_delay_alu instid0(VALU_DEP_1) | instskip(NEXT) | instid1(SALU_CYCLE_1)
	s_or_b32 s22, s3, s22
	s_and_not1_b32 exec_lo, exec_lo, s22
	s_cbranch_execz .LBB390_22
.LBB390_17:                             ; =>This Inner Loop Header: Depth=1
	s_and_saveexec_b32 s25, vcc_lo
	s_cbranch_execz .LBB390_16
; %bb.18:                               ;   in Loop: Header=BB390_17 Depth=1
	v_add_nc_u32_e32 v5, s24, v24
	v_add_nc_u32_e32 v7, s24, v4
	;; [unrolled: 1-line block ×5, first 2 shown]
	v_ashrrev_i32_e32 v6, 31, v5
	v_ashrrev_i32_e32 v8, 31, v7
	;; [unrolled: 1-line block ×5, first 2 shown]
	v_lshlrev_b64 v[5:6], 1, v[5:6]
	v_lshlrev_b64 v[7:8], 1, v[7:8]
	;; [unrolled: 1-line block ×3, first 2 shown]
	s_delay_alu instid0(VALU_DEP_3) | instskip(NEXT) | instid1(VALU_DEP_1)
	v_add_co_u32 v27, s3, s15, v5
	v_add_co_ci_u32_e64 v28, s3, s19, v6, s3
	s_delay_alu instid0(VALU_DEP_4)
	v_add_co_u32 v29, s3, s15, v7
	v_add_nc_u32_e32 v7, s5, v20
	v_add_co_ci_u32_e64 v30, s3, s19, v8, s3
	v_lshlrev_b64 v[5:6], 1, v[11:12]
	v_add_co_u32 v31, s3, s15, v9
	v_add_nc_u32_e32 v11, s5, v2
	v_add_co_ci_u32_e64 v32, s3, s19, v10, s3
	v_lshlrev_b64 v[9:10], 1, v[25:26]
	v_ashrrev_i32_e32 v8, 31, v7
	v_add_nc_u32_e32 v25, s5, v3
	v_add_co_u32 v33, s3, s15, v5
	v_ashrrev_i32_e32 v12, 31, v11
	v_add_co_ci_u32_e64 v34, s3, s19, v6, s3
	v_lshlrev_b64 v[7:8], 1, v[7:8]
	v_add_co_u32 v5, s3, s10, v9
	v_ashrrev_i32_e32 v26, 31, v25
	v_add_co_ci_u32_e64 v6, s3, s11, v10, s3
	v_lshlrev_b64 v[9:10], 1, v[11:12]
	v_add_co_u32 v7, s3, s10, v7
	s_delay_alu instid0(VALU_DEP_4) | instskip(SKIP_1) | instid1(VALU_DEP_4)
	v_lshlrev_b64 v[11:12], 1, v[25:26]
	v_add_co_ci_u32_e64 v8, s3, s11, v8, s3
	v_add_co_u32 v9, s3, s10, v9
	s_delay_alu instid0(VALU_DEP_1) | instskip(NEXT) | instid1(VALU_DEP_4)
	v_add_co_ci_u32_e64 v10, s3, s11, v10, s3
	v_add_co_u32 v11, s3, s10, v11
	s_delay_alu instid0(VALU_DEP_1)
	v_add_co_ci_u32_e64 v12, s3, s11, v12, s3
	s_clause 0x3
	global_load_u16 v25, v[27:28], off
	global_load_u16 v26, v[29:30], off
	;; [unrolled: 1-line block ×4, first 2 shown]
	s_clause 0x3
	global_load_u16 v29, v[5:6], off
	global_load_u16 v30, v[7:8], off
	;; [unrolled: 1-line block ×4, first 2 shown]
	s_and_saveexec_b32 s3, s0
	s_cbranch_execz .LBB390_15
; %bb.19:                               ;   in Loop: Header=BB390_17 Depth=1
	s_clause 0x3
	global_load_u16 v33, v[5:6], off offset:128
	global_load_u16 v34, v[7:8], off offset:128
	;; [unrolled: 1-line block ×4, first 2 shown]
	s_waitcnt vmcnt(11)
	v_cvt_f32_f16_e32 v37, v25
	s_waitcnt vmcnt(10)
	v_cvt_f32_f16_e32 v38, v26
	s_waitcnt vmcnt(9)
	v_cvt_f32_f16_e32 v39, v27
	s_waitcnt vmcnt(8)
	v_cvt_f32_f16_e32 v40, v28
	s_and_saveexec_b32 s26, s1
	s_cbranch_execz .LBB390_14
; %bb.20:                               ;   in Loop: Header=BB390_17 Depth=1
	s_clause 0x3
	global_load_u16 v41, v[5:6], off offset:256
	global_load_u16 v42, v[7:8], off offset:256
	;; [unrolled: 1-line block ×4, first 2 shown]
	s_and_saveexec_b32 s27, s2
	s_cbranch_execz .LBB390_13
; %bb.21:                               ;   in Loop: Header=BB390_17 Depth=1
	s_clause 0x3
	global_load_u16 v5, v[5:6], off offset:384
	global_load_u16 v6, v[7:8], off offset:384
	;; [unrolled: 1-line block ×4, first 2 shown]
	s_waitcnt vmcnt(3)
	v_fma_mix_f32 v5, v37, v5, v14 op_sel_hi:[0,1,0]
	s_waitcnt vmcnt(2)
	s_delay_alu instid0(VALU_DEP_1) | instskip(SKIP_1) | instid1(VALU_DEP_1)
	v_fma_mix_f32 v5, v38, v6, v5 op_sel_hi:[0,1,0]
	s_waitcnt vmcnt(1)
	v_fma_mix_f32 v5, v39, v7, v5 op_sel_hi:[0,1,0]
	s_waitcnt vmcnt(0)
	s_delay_alu instid0(VALU_DEP_1)
	v_fma_mix_f32 v14, v40, v8, v5 op_sel_hi:[0,1,0]
	s_branch .LBB390_13
.LBB390_22:
	s_or_b32 exec_lo, exec_lo, s22
.LBB390_23:
	s_delay_alu instid0(SALU_CYCLE_1) | instskip(SKIP_1) | instid1(SALU_CYCLE_1)
	s_or_b32 exec_lo, exec_lo, s20
	s_sub_i32 s0, s7, s14
	s_cmp_lt_i32 s0, 1
	s_cbranch_scc1 .LBB390_41
; %bb.24:
	v_cmp_gt_i32_e32 vcc_lo, s7, v19
	v_dual_mov_b32 v10, 0 :: v_dual_mov_b32 v11, 0
	v_or_b32_e32 v2, 1, v19
	v_mov_b32_e32 v12, 0
	v_mov_b32_e32 v20, 0
	s_and_saveexec_b32 s1, vcc_lo
	s_cbranch_execz .LBB390_32
; %bb.25:
	s_waitcnt lgkmcnt(0)
	v_mul_lo_u32 v3, v19, s4
	v_dual_mov_b32 v12, 0 :: v_dual_mov_b32 v11, 0
	v_mov_b32_e32 v10, 0
	s_mov_b32 s2, exec_lo
	s_delay_alu instid0(VALU_DEP_3) | instskip(NEXT) | instid1(VALU_DEP_1)
	v_ashrrev_i32_e32 v4, 31, v3
	v_lshlrev_b64 v[3:4], 1, v[3:4]
	s_delay_alu instid0(VALU_DEP_1) | instskip(NEXT) | instid1(VALU_DEP_1)
	v_add_co_u32 v3, s0, s15, v3
	v_add_co_ci_u32_e64 v4, s0, s19, v4, s0
	global_load_u16 v3, v[3:4], off
	v_cmpx_gt_i32_e64 s7, v2
	s_cbranch_execz .LBB390_31
; %bb.26:
	v_mul_lo_u32 v4, v2, s4
	v_dual_mov_b32 v11, 0 :: v_dual_mov_b32 v10, 0
	s_mov_b32 s3, exec_lo
	s_delay_alu instid0(VALU_DEP_2) | instskip(NEXT) | instid1(VALU_DEP_1)
	v_ashrrev_i32_e32 v5, 31, v4
	v_lshlrev_b64 v[4:5], 1, v[4:5]
	s_delay_alu instid0(VALU_DEP_1) | instskip(NEXT) | instid1(VALU_DEP_1)
	v_add_co_u32 v4, s0, s15, v4
	v_add_co_ci_u32_e64 v5, s0, s19, v5, s0
	global_load_u16 v4, v[4:5], off
	v_or_b32_e32 v5, 2, v19
	s_delay_alu instid0(VALU_DEP_1)
	v_cmpx_gt_i32_e64 s7, v5
	s_cbranch_execz .LBB390_30
; %bb.27:
	v_mul_lo_u32 v5, v5, s4
	v_mov_b32_e32 v10, 0
	s_mov_b32 s14, exec_lo
	s_delay_alu instid0(VALU_DEP_2) | instskip(NEXT) | instid1(VALU_DEP_1)
	v_ashrrev_i32_e32 v6, 31, v5
	v_lshlrev_b64 v[5:6], 1, v[5:6]
	s_delay_alu instid0(VALU_DEP_1) | instskip(NEXT) | instid1(VALU_DEP_1)
	v_add_co_u32 v5, s0, s15, v5
	v_add_co_ci_u32_e64 v6, s0, s19, v6, s0
	global_load_u16 v5, v[5:6], off
	v_or_b32_e32 v6, 3, v19
	s_delay_alu instid0(VALU_DEP_1)
	v_cmpx_gt_i32_e64 s7, v6
	s_cbranch_execz .LBB390_29
; %bb.28:
	v_mul_lo_u32 v6, v6, s4
	s_delay_alu instid0(VALU_DEP_1) | instskip(NEXT) | instid1(VALU_DEP_1)
	v_ashrrev_i32_e32 v7, 31, v6
	v_lshlrev_b64 v[6:7], 1, v[6:7]
	s_delay_alu instid0(VALU_DEP_1) | instskip(NEXT) | instid1(VALU_DEP_1)
	v_add_co_u32 v6, s0, s15, v6
	v_add_co_ci_u32_e64 v7, s0, s19, v7, s0
	global_load_u16 v6, v[6:7], off
	s_waitcnt vmcnt(0)
	v_cvt_f32_f16_e32 v10, v6
.LBB390_29:
	s_or_b32 exec_lo, exec_lo, s14
	s_waitcnt vmcnt(0)
	v_cvt_f32_f16_e32 v11, v5
.LBB390_30:
	s_or_b32 exec_lo, exec_lo, s3
	s_waitcnt vmcnt(0)
	v_cvt_f32_f16_e32 v12, v4
.LBB390_31:
	s_or_b32 exec_lo, exec_lo, s2
	s_waitcnt vmcnt(0)
	v_cvt_f32_f16_e32 v20, v3
.LBB390_32:
	s_or_b32 exec_lo, exec_lo, s1
	s_delay_alu instid0(SALU_CYCLE_1)
	s_mov_b32 s1, exec_lo
	v_cmpx_gt_i32_e64 s6, v16
	s_cbranch_execz .LBB390_40
; %bb.33:
	v_mul_lo_u32 v3, v19, s18
	v_mul_lo_u32 v5, v2, s18
	v_or_b32_e32 v4, 2, v19
	v_or_b32_e32 v6, 3, v19
	s_mov_b32 s0, exec_lo
	s_delay_alu instid0(VALU_DEP_2)
	v_mul_lo_u32 v7, v4, s18
	v_cndmask_b32_e32 v3, 0, v3, vcc_lo
	v_cmp_gt_i32_e32 vcc_lo, s7, v2
	v_mul_lo_u32 v8, v6, s18
	v_cndmask_b32_e32 v5, 0, v5, vcc_lo
	v_cmp_gt_i32_e32 vcc_lo, s7, v4
	s_delay_alu instid0(VALU_DEP_2) | instskip(SKIP_2) | instid1(VALU_DEP_3)
	v_add_nc_u32_e32 v4, v5, v16
	v_dual_cndmask_b32 v7, 0, v7 :: v_dual_add_nc_u32 v2, v3, v16
	v_cmp_gt_i32_e32 vcc_lo, s7, v6
	v_ashrrev_i32_e32 v5, 31, v4
	s_delay_alu instid0(VALU_DEP_3) | instskip(SKIP_2) | instid1(VALU_DEP_4)
	v_ashrrev_i32_e32 v3, 31, v2
	v_cndmask_b32_e32 v8, 0, v8, vcc_lo
	v_add_nc_u32_e32 v6, v7, v16
	v_lshlrev_b64 v[4:5], 1, v[4:5]
	s_delay_alu instid0(VALU_DEP_4) | instskip(NEXT) | instid1(VALU_DEP_4)
	v_lshlrev_b64 v[2:3], 1, v[2:3]
	v_add_nc_u32_e32 v8, v8, v16
	s_delay_alu instid0(VALU_DEP_4) | instskip(NEXT) | instid1(VALU_DEP_3)
	v_ashrrev_i32_e32 v7, 31, v6
	v_add_co_u32 v2, vcc_lo, s10, v2
	s_delay_alu instid0(VALU_DEP_2)
	v_lshlrev_b64 v[6:7], 1, v[6:7]
	v_add_co_ci_u32_e32 v3, vcc_lo, s11, v3, vcc_lo
	v_ashrrev_i32_e32 v9, 31, v8
	v_add_co_u32 v4, vcc_lo, s10, v4
	v_add_co_ci_u32_e32 v5, vcc_lo, s11, v5, vcc_lo
	global_load_u16 v21, v[2:3], off
	v_add_co_u32 v6, vcc_lo, s10, v6
	v_add_co_ci_u32_e32 v7, vcc_lo, s11, v7, vcc_lo
	v_lshlrev_b64 v[8:9], 1, v[8:9]
	s_clause 0x1
	global_load_u16 v22, v[4:5], off
	global_load_u16 v23, v[6:7], off
	v_add_co_u32 v8, vcc_lo, s10, v8
	v_add_co_ci_u32_e32 v9, vcc_lo, s11, v9, vcc_lo
	global_load_u16 v19, v[8:9], off
	s_waitcnt vmcnt(3)
	v_fma_mix_f32 v18, v20, v21, v18 op_sel_hi:[0,1,0]
	v_add_nc_u32_e32 v21, 64, v16
	s_waitcnt vmcnt(2)
	s_delay_alu instid0(VALU_DEP_2) | instskip(SKIP_1) | instid1(VALU_DEP_1)
	v_fma_mix_f32 v18, v12, v22, v18 op_sel_hi:[0,1,0]
	s_waitcnt vmcnt(1)
	v_fma_mix_f32 v18, v11, v23, v18 op_sel_hi:[0,1,0]
	v_cmpx_gt_i32_e64 s6, v21
	s_cbranch_execz .LBB390_39
; %bb.34:
	s_clause 0x3
	global_load_u16 v22, v[2:3], off offset:128
	global_load_u16 v23, v[4:5], off offset:128
	global_load_u16 v24, v[6:7], off offset:128
	global_load_u16 v21, v[8:9], off offset:128
	s_mov_b32 s2, exec_lo
	s_waitcnt vmcnt(3)
	v_fma_mix_f32 v17, v20, v22, v17 op_sel_hi:[0,1,0]
	v_add_nc_u32_e32 v22, 0x80, v16
	s_waitcnt vmcnt(2)
	s_delay_alu instid0(VALU_DEP_2) | instskip(SKIP_1) | instid1(VALU_DEP_1)
	v_fma_mix_f32 v17, v12, v23, v17 op_sel_hi:[0,1,0]
	s_waitcnt vmcnt(1)
	v_fma_mix_f32 v17, v11, v24, v17 op_sel_hi:[0,1,0]
	v_cmpx_gt_i32_e64 s6, v22
	s_cbranch_execz .LBB390_38
; %bb.35:
	s_clause 0x3
	global_load_u16 v23, v[2:3], off offset:256
	global_load_u16 v24, v[4:5], off offset:256
	;; [unrolled: 1-line block ×4, first 2 shown]
	v_add_nc_u32_e32 v16, 0xc0, v16
	s_mov_b32 s3, exec_lo
	s_waitcnt vmcnt(3)
	v_fma_mix_f32 v15, v20, v23, v15 op_sel_hi:[0,1,0]
	s_waitcnt vmcnt(2)
	s_delay_alu instid0(VALU_DEP_1) | instskip(SKIP_1) | instid1(VALU_DEP_1)
	v_fma_mix_f32 v15, v12, v24, v15 op_sel_hi:[0,1,0]
	s_waitcnt vmcnt(1)
	v_fma_mix_f32 v15, v11, v25, v15 op_sel_hi:[0,1,0]
	v_cmpx_gt_i32_e64 s6, v16
	s_cbranch_execz .LBB390_37
; %bb.36:
	s_clause 0x3
	global_load_u16 v2, v[2:3], off offset:384
	global_load_u16 v3, v[4:5], off offset:384
	;; [unrolled: 1-line block ×4, first 2 shown]
	s_waitcnt vmcnt(3)
	v_fma_mix_f32 v2, v20, v2, v14 op_sel_hi:[0,1,0]
	s_waitcnt vmcnt(2)
	s_delay_alu instid0(VALU_DEP_1) | instskip(SKIP_1) | instid1(VALU_DEP_1)
	v_fma_mix_f32 v2, v12, v3, v2 op_sel_hi:[0,1,0]
	s_waitcnt vmcnt(1)
	v_fma_mix_f32 v2, v11, v4, v2 op_sel_hi:[0,1,0]
	s_waitcnt vmcnt(0)
	s_delay_alu instid0(VALU_DEP_1)
	v_fma_mix_f32 v14, v10, v5, v2 op_sel_hi:[0,1,0]
.LBB390_37:
	s_or_b32 exec_lo, exec_lo, s3
	s_waitcnt vmcnt(0)
	v_fma_mix_f32 v15, v10, v22, v15 op_sel_hi:[0,1,0]
.LBB390_38:
	s_or_b32 exec_lo, exec_lo, s2
	s_waitcnt vmcnt(0)
	v_fma_mix_f32 v17, v10, v21, v17 op_sel_hi:[0,1,0]
.LBB390_39:
	s_or_b32 exec_lo, exec_lo, s0
	s_waitcnt vmcnt(0)
	v_fma_mix_f32 v18, v10, v19, v18 op_sel_hi:[0,1,0]
.LBB390_40:
	s_or_b32 exec_lo, exec_lo, s1
.LBB390_41:
	v_lshlrev_b32_e32 v2, 8, v13
	s_mov_b32 s0, exec_lo
                                        ; implicit-def: $vgpr5
	s_delay_alu instid0(VALU_DEP_1)
	v_add_lshl_u32 v1, v2, v1, 2
                                        ; implicit-def: $vgpr2_vgpr3
	ds_store_2addr_stride64_b32 v1, v18, v17 offset1:1
	ds_store_2addr_stride64_b32 v1, v15, v14 offset0:2 offset1:3
	s_waitcnt lgkmcnt(0)
	s_barrier
	buffer_gl0_inv
	v_cmpx_gt_u32_e32 0x100, v0
	s_cbranch_execz .LBB390_47
; %bb.42:
	v_lshlrev_b32_e32 v7, 2, v0
	s_mov_b32 s2, s16
	s_mov_b32 s1, exec_lo
	ds_load_2addr_stride64_b32 v[1:2], v7 offset1:4
	ds_load_2addr_stride64_b32 v[3:4], v7 offset0:8 offset1:12
	ds_load_2addr_stride64_b32 v[5:6], v7 offset0:16 offset1:20
	s_waitcnt lgkmcnt(2)
	v_add_f32_e32 v8, v1, v2
	ds_load_2addr_stride64_b32 v[1:2], v7 offset0:24 offset1:28
	s_waitcnt lgkmcnt(2)
	v_add_f32_e32 v3, v3, v8
	s_delay_alu instid0(VALU_DEP_1) | instskip(SKIP_3) | instid1(VALU_DEP_1)
	v_add_f32_e32 v8, v4, v3
	ds_load_2addr_stride64_b32 v[3:4], v7 offset0:32 offset1:36
	s_waitcnt lgkmcnt(2)
	v_add_f32_e32 v5, v5, v8
	v_add_f32_e32 v8, v6, v5
	ds_load_2addr_stride64_b32 v[5:6], v7 offset0:40 offset1:44
	s_waitcnt lgkmcnt(2)
	v_add_f32_e32 v1, v1, v8
	s_delay_alu instid0(VALU_DEP_1) | instskip(SKIP_1) | instid1(VALU_DEP_1)
	v_add_f32_e32 v1, v2, v1
	s_waitcnt lgkmcnt(1)
	v_add_f32_e32 v3, v3, v1
	ds_load_2addr_stride64_b32 v[1:2], v7 offset0:48 offset1:52
	v_add_f32_e32 v3, v4, v3
	s_waitcnt lgkmcnt(1)
	s_delay_alu instid0(VALU_DEP_1) | instskip(SKIP_3) | instid1(VALU_DEP_1)
	v_add_f32_e32 v5, v5, v3
	ds_load_2addr_stride64_b32 v[3:4], v7 offset0:56 offset1:60
	v_add_f32_e32 v5, v6, v5
	s_waitcnt lgkmcnt(1)
	v_add_f32_e32 v1, v1, v5
                                        ; implicit-def: $vgpr5
	s_delay_alu instid0(VALU_DEP_1) | instskip(SKIP_1) | instid1(VALU_DEP_1)
	v_add_f32_e32 v1, v2, v1
	s_waitcnt lgkmcnt(0)
	v_add_f32_e32 v2, v3, v1
	v_or_b32_e32 v1, s5, v0
	s_delay_alu instid0(VALU_DEP_2)
	v_add_f32_e32 v0, v4, v2
                                        ; implicit-def: $vgpr2_vgpr3
	ds_store_b32 v7, v0
	v_cmpx_gt_i32_e64 s6, v1
	s_cbranch_execz .LBB390_46
; %bb.43:
	v_mul_lo_u32 v2, v1, s17
	v_cmp_eq_f32_e64 s2, s12, 0
	v_mul_f32_e32 v0, s13, v0
	s_delay_alu instid0(VALU_DEP_2) | instskip(NEXT) | instid1(VALU_DEP_3)
	s_and_b32 vcc_lo, exec_lo, s2
	v_ashrrev_i32_e32 v3, 31, v2
	s_cbranch_vccnz .LBB390_45
; %bb.44:
	s_delay_alu instid0(VALU_DEP_1) | instskip(NEXT) | instid1(VALU_DEP_1)
	v_lshlrev_b64 v[4:5], 1, v[2:3]
	v_add_co_u32 v4, vcc_lo, s8, v4
	s_delay_alu instid0(VALU_DEP_2)
	v_add_co_ci_u32_e32 v5, vcc_lo, s9, v5, vcc_lo
	global_load_u16 v1, v[4:5], off
	s_waitcnt vmcnt(0)
	v_fma_mix_f32 v0, s12, v1, v0 op_sel_hi:[0,1,0]
.LBB390_45:
	s_delay_alu instid0(VALU_DEP_1)
	v_cvt_f16_f32_e32 v5, v0
	s_or_b32 s2, s16, exec_lo
.LBB390_46:
	s_or_b32 exec_lo, exec_lo, s1
	s_delay_alu instid0(SALU_CYCLE_1) | instskip(SKIP_1) | instid1(SALU_CYCLE_1)
	s_and_not1_b32 s1, s16, exec_lo
	s_and_b32 s2, s2, exec_lo
	s_or_b32 s16, s1, s2
.LBB390_47:
	s_or_b32 exec_lo, exec_lo, s0
.LBB390_48:
	s_and_saveexec_b32 s0, s16
	s_cbranch_execz .LBB390_50
; %bb.49:
	v_lshlrev_b64 v[0:1], 1, v[2:3]
	s_delay_alu instid0(VALU_DEP_1) | instskip(NEXT) | instid1(VALU_DEP_2)
	v_add_co_u32 v0, vcc_lo, s8, v0
	v_add_co_ci_u32_e32 v1, vcc_lo, s9, v1, vcc_lo
	global_store_b16 v[0:1], v5, off
.LBB390_50:
	s_nop 0
	s_sendmsg sendmsg(MSG_DEALLOC_VGPRS)
	s_endpgm
	.section	.rodata,"a",@progbits
	.p2align	6, 0x0
	.amdhsa_kernel _ZL20rocblas_gemvn_kernelILi64ELi16EiDF16_PKfDF16_EviiT3_lPKT2_lT1_lS5_lS6_lS2_lPT4_lS6_li
		.amdhsa_group_segment_fixed_size 16384
		.amdhsa_private_segment_fixed_size 0
		.amdhsa_kernarg_size 400
		.amdhsa_user_sgpr_count 14
		.amdhsa_user_sgpr_dispatch_ptr 0
		.amdhsa_user_sgpr_queue_ptr 0
		.amdhsa_user_sgpr_kernarg_segment_ptr 1
		.amdhsa_user_sgpr_dispatch_id 0
		.amdhsa_user_sgpr_private_segment_size 0
		.amdhsa_wavefront_size32 1
		.amdhsa_uses_dynamic_stack 0
		.amdhsa_enable_private_segment 0
		.amdhsa_system_sgpr_workgroup_id_x 1
		.amdhsa_system_sgpr_workgroup_id_y 0
		.amdhsa_system_sgpr_workgroup_id_z 1
		.amdhsa_system_sgpr_workgroup_info 0
		.amdhsa_system_vgpr_workitem_id 1
		.amdhsa_next_free_vgpr 45
		.amdhsa_next_free_sgpr 28
		.amdhsa_reserve_vcc 1
		.amdhsa_float_round_mode_32 0
		.amdhsa_float_round_mode_16_64 0
		.amdhsa_float_denorm_mode_32 3
		.amdhsa_float_denorm_mode_16_64 3
		.amdhsa_dx10_clamp 1
		.amdhsa_ieee_mode 1
		.amdhsa_fp16_overflow 0
		.amdhsa_workgroup_processor_mode 1
		.amdhsa_memory_ordered 1
		.amdhsa_forward_progress 0
		.amdhsa_shared_vgpr_count 0
		.amdhsa_exception_fp_ieee_invalid_op 0
		.amdhsa_exception_fp_denorm_src 0
		.amdhsa_exception_fp_ieee_div_zero 0
		.amdhsa_exception_fp_ieee_overflow 0
		.amdhsa_exception_fp_ieee_underflow 0
		.amdhsa_exception_fp_ieee_inexact 0
		.amdhsa_exception_int_div_zero 0
	.end_amdhsa_kernel
	.section	.text._ZL20rocblas_gemvn_kernelILi64ELi16EiDF16_PKfDF16_EviiT3_lPKT2_lT1_lS5_lS6_lS2_lPT4_lS6_li,"axG",@progbits,_ZL20rocblas_gemvn_kernelILi64ELi16EiDF16_PKfDF16_EviiT3_lPKT2_lT1_lS5_lS6_lS2_lPT4_lS6_li,comdat
.Lfunc_end390:
	.size	_ZL20rocblas_gemvn_kernelILi64ELi16EiDF16_PKfDF16_EviiT3_lPKT2_lT1_lS5_lS6_lS2_lPT4_lS6_li, .Lfunc_end390-_ZL20rocblas_gemvn_kernelILi64ELi16EiDF16_PKfDF16_EviiT3_lPKT2_lT1_lS5_lS6_lS2_lPT4_lS6_li
                                        ; -- End function
	.section	.AMDGPU.csdata,"",@progbits
; Kernel info:
; codeLenInByte = 3256
; NumSgprs: 30
; NumVgprs: 45
; ScratchSize: 0
; MemoryBound: 0
; FloatMode: 240
; IeeeMode: 1
; LDSByteSize: 16384 bytes/workgroup (compile time only)
; SGPRBlocks: 3
; VGPRBlocks: 5
; NumSGPRsForWavesPerEU: 30
; NumVGPRsForWavesPerEU: 45
; Occupancy: 16
; WaveLimiterHint : 1
; COMPUTE_PGM_RSRC2:SCRATCH_EN: 0
; COMPUTE_PGM_RSRC2:USER_SGPR: 14
; COMPUTE_PGM_RSRC2:TRAP_HANDLER: 0
; COMPUTE_PGM_RSRC2:TGID_X_EN: 1
; COMPUTE_PGM_RSRC2:TGID_Y_EN: 0
; COMPUTE_PGM_RSRC2:TGID_Z_EN: 1
; COMPUTE_PGM_RSRC2:TIDIG_COMP_CNT: 1
	.section	.text._ZL20rocblas_gemvn_kernelILi64ELi16ElDF16_PKfDF16_EviiT3_lPKT2_lT1_lS5_lS6_lS2_lPT4_lS6_li,"axG",@progbits,_ZL20rocblas_gemvn_kernelILi64ELi16ElDF16_PKfDF16_EviiT3_lPKT2_lT1_lS5_lS6_lS2_lPT4_lS6_li,comdat
	.globl	_ZL20rocblas_gemvn_kernelILi64ELi16ElDF16_PKfDF16_EviiT3_lPKT2_lT1_lS5_lS6_lS2_lPT4_lS6_li ; -- Begin function _ZL20rocblas_gemvn_kernelILi64ELi16ElDF16_PKfDF16_EviiT3_lPKT2_lT1_lS5_lS6_lS2_lPT4_lS6_li
	.p2align	8
	.type	_ZL20rocblas_gemvn_kernelILi64ELi16ElDF16_PKfDF16_EviiT3_lPKT2_lT1_lS5_lS6_lS2_lPT4_lS6_li,@function
_ZL20rocblas_gemvn_kernelILi64ELi16ElDF16_PKfDF16_EviiT3_lPKT2_lT1_lS5_lS6_lS2_lPT4_lS6_li: ; @_ZL20rocblas_gemvn_kernelILi64ELi16ElDF16_PKfDF16_EviiT3_lPKT2_lT1_lS5_lS6_lS2_lPT4_lS6_li
; %bb.0:
	s_load_b64 s[2:3], s[0:1], 0x9c
	s_waitcnt lgkmcnt(0)
	s_lshr_b32 s4, s2, 16
	s_and_b32 s2, s2, 0xffff
	s_and_b32 s3, s3, 0xffff
	s_mul_i32 s2, s4, s2
	s_delay_alu instid0(SALU_CYCLE_1) | instskip(NEXT) | instid1(SALU_CYCLE_1)
	s_mul_i32 s2, s2, s3
	s_cmpk_lg_i32 s2, 0x400
	s_cbranch_scc1 .LBB391_50
; %bb.1:
	s_clause 0x1
	s_load_b512 s[36:51], s[0:1], 0x8
	s_load_b512 s[16:31], s[0:1], 0x48
	s_waitcnt lgkmcnt(0)
	s_mul_i32 s3, s15, s39
	s_mul_hi_u32 s4, s15, s38
	s_mul_i32 s2, s15, s38
	s_add_i32 s3, s4, s3
	s_mul_i32 s4, s15, s23
	s_lshl_b64 s[2:3], s[2:3], 2
	s_mul_hi_u32 s5, s15, s22
	s_add_u32 s2, s36, s2
	s_addc_u32 s3, s37, s3
	s_add_i32 s5, s5, s4
	s_mul_i32 s4, s15, s22
	s_mov_b32 s23, 0
	s_lshl_b64 s[4:5], s[4:5], 2
	s_delay_alu instid0(SALU_CYCLE_1)
	s_add_u32 s4, s20, s4
	s_addc_u32 s5, s21, s5
	s_load_b32 s22, s[2:3], 0x0
	s_load_b32 s21, s[4:5], 0x0
	s_waitcnt lgkmcnt(0)
	v_cmp_eq_f32_e64 s2, s22, 0
	v_cmp_eq_f32_e64 s3, s21, 1.0
	s_delay_alu instid0(VALU_DEP_1) | instskip(NEXT) | instid1(SALU_CYCLE_1)
	s_and_b32 s2, s2, s3
	s_and_b32 vcc_lo, exec_lo, s2
	s_cbranch_vccnz .LBB391_50
; %bb.2:
	s_load_b64 s[6:7], s[0:1], 0x0
	v_and_b32_e32 v12, 0x3ff, v0
	v_bfe_u32 v13, v0, 10, 10
	s_mul_i32 s2, s15, s31
	s_mul_hi_u32 s3, s15, s30
	s_mul_i32 s0, s15, s30
	s_add_i32 s1, s3, s2
	v_lshl_add_u32 v11, v13, 6, v12
	s_lshl_b64 s[0:1], s[0:1], 1
	v_cmp_neq_f32_e64 s4, s22, 0
	s_add_u32 s2, s24, s0
	s_addc_u32 s3, s25, s1
	s_lshl_b64 s[0:1], s[26:27], 1
	s_delay_alu instid0(SALU_CYCLE_1)
	s_add_u32 s5, s2, s0
	v_cmp_gt_u32_e64 s0, 0x100, v11
	s_addc_u32 s20, s3, s1
	s_and_b32 vcc_lo, exec_lo, s4
	s_cbranch_vccnz .LBB391_7
; %bb.3:
	s_mov_b32 s1, 0
                                        ; implicit-def: $vgpr3
                                        ; implicit-def: $vgpr0_vgpr1
	s_and_saveexec_b32 s2, s0
	s_cbranch_execz .LBB391_8
; %bb.4:
	v_lshl_or_b32 v2, s14, 8, v11
	v_mov_b32_e32 v3, 0
	s_waitcnt lgkmcnt(0)
	s_ashr_i32 s9, s6, 31
	s_mov_b32 s8, s6
	s_mov_b32 s3, 0
                                        ; implicit-def: $vgpr0_vgpr1
	v_cmp_gt_i64_e32 vcc_lo, s[8:9], v[2:3]
                                        ; implicit-def: $vgpr3
	s_and_saveexec_b32 s0, vcc_lo
	s_cbranch_execz .LBB391_10
; %bb.5:
	v_mad_u64_u32 v[0:1], null, v2, s28, 0
	v_cmp_eq_f32_e64 s3, s21, 0
	s_delay_alu instid0(VALU_DEP_1) | instskip(NEXT) | instid1(VALU_DEP_2)
	s_and_b32 vcc_lo, exec_lo, s3
	v_mad_u64_u32 v[3:4], null, v2, s29, v[1:2]
	s_delay_alu instid0(VALU_DEP_1)
	v_mov_b32_e32 v1, v3
	s_cbranch_vccnz .LBB391_9
; %bb.6:
	s_delay_alu instid0(VALU_DEP_1) | instskip(SKIP_1) | instid1(VALU_DEP_1)
	v_lshlrev_b64 v[2:3], 1, v[0:1]
	s_mov_b32 s3, exec_lo
	v_add_co_u32 v2, vcc_lo, s5, v2
	s_delay_alu instid0(VALU_DEP_2)
	v_add_co_ci_u32_e32 v3, vcc_lo, s20, v3, vcc_lo
	global_load_u16 v2, v[2:3], off
	s_waitcnt vmcnt(0)
	v_fma_mixlo_f16 v3, s21, v2, 0 op_sel_hi:[0,1,0]
	s_branch .LBB391_10
.LBB391_7:
                                        ; implicit-def: $vgpr3
                                        ; implicit-def: $vgpr0_vgpr1
	s_cbranch_execnz .LBB391_11
	s_branch .LBB391_48
.LBB391_8:
	s_or_b32 exec_lo, exec_lo, s2
	s_delay_alu instid0(SALU_CYCLE_1)
	s_and_b32 vcc_lo, exec_lo, s1
	s_cbranch_vccnz .LBB391_11
	s_branch .LBB391_48
.LBB391_9:
	v_mov_b32_e32 v3, 0
	s_mov_b32 s3, exec_lo
.LBB391_10:
	s_or_b32 exec_lo, exec_lo, s0
	s_delay_alu instid0(SALU_CYCLE_1) | instskip(SKIP_1) | instid1(SALU_CYCLE_1)
	s_and_b32 s23, s3, exec_lo
	s_or_b32 exec_lo, exec_lo, s2
	s_and_b32 vcc_lo, exec_lo, s1
	s_cbranch_vccz .LBB391_48
.LBB391_11:
	s_mul_i32 s0, s15, s47
	s_mul_hi_u32 s1, s15, s46
	s_lshl_b32 s24, s14, 8
	s_add_i32 s9, s1, s0
	s_waitcnt lgkmcnt(0)
	s_ashr_i32 s1, s7, 31
	v_dual_mov_b32 v17, 0 :: v_dual_lshlrev_b32 v14, 2, v13
	s_lshr_b32 s1, s1, 26
	v_dual_mov_b32 v15, 0 :: v_dual_add_nc_u32 v0, s24, v12
	v_mov_b32_e32 v18, 0
	v_mov_b32_e32 v16, 0
	s_mul_i32 s0, s15, s19
	s_mul_hi_u32 s2, s15, s18
	s_add_i32 s25, s7, s1
	s_mul_i32 s8, s15, s46
	s_and_not1_b32 s25, s25, 63
	s_add_i32 s11, s2, s0
	s_mul_i32 s10, s15, s18
	s_mov_b32 s26, exec_lo
	v_cmpx_gt_i32_e64 s25, v14
	s_cbranch_execz .LBB391_23
; %bb.12:
	v_lshlrev_b32_e32 v29, 2, v13
	v_mad_u64_u32 v[2:3], null, s16, v13, 0
	v_add_nc_u32_e32 v15, 64, v0
	s_lshl_b64 s[0:1], s[10:11], 1
	s_delay_alu instid0(VALU_DEP_3)
	v_or_b32_e32 v17, 3, v29
	s_lshl_b64 s[12:13], s[50:51], 1
	s_add_u32 s4, s48, s0
	s_addc_u32 s27, s49, s1
	v_cmp_gt_i32_e64 s0, s6, v15
	v_mad_u64_u32 v[4:5], null, s44, v17, 0
	s_lshl_b64 s[18:19], s[42:43], 1
	s_lshl_b64 s[14:15], s[16:17], 7
	;; [unrolled: 1-line block ×3, first 2 shown]
	v_ashrrev_i32_e32 v1, 31, v0
	v_cmp_gt_i32_e32 vcc_lo, s6, v0
	s_delay_alu instid0(VALU_DEP_3) | instskip(SKIP_3) | instid1(VALU_DEP_4)
	v_mad_u64_u32 v[6:7], null, s17, v13, v[3:4]
	v_add_nc_u32_e32 v16, 0x80, v0
	v_mad_u64_u32 v[7:8], null, s16, v17, 0
	v_add_nc_u32_e32 v18, 0xc0, v0
	v_mad_u64_u32 v[9:10], null, s45, v17, v[5:6]
	v_mov_b32_e32 v3, v6
	v_cmp_gt_i32_e64 s1, s6, v16
	s_delay_alu instid0(VALU_DEP_2)
	v_lshlrev_b64 v[15:16], 3, v[2:3]
	v_mov_b32_e32 v3, v8
	v_mov_b32_e32 v5, v9
	v_mad_u64_u32 v[9:10], null, s44, v13, 0
	v_cmp_gt_i32_e64 s2, s6, v18
	v_add_co_u32 v19, s3, s4, v15
	s_delay_alu instid0(VALU_DEP_4) | instskip(SKIP_4) | instid1(VALU_DEP_2)
	v_lshlrev_b64 v[4:5], 1, v[4:5]
	v_add_co_ci_u32_e64 v20, s3, s27, v16, s3
	s_add_u32 s3, s40, s18
	s_addc_u32 s18, s41, s19
	s_add_u32 s19, s3, s30
	v_mad_u64_u32 v[15:16], null, s17, v17, v[3:4]
	v_mov_b32_e32 v3, v10
	s_addc_u32 s18, s18, s31
	v_add_co_u32 v21, s3, s19, v4
	s_delay_alu instid0(VALU_DEP_1) | instskip(NEXT) | instid1(VALU_DEP_4)
	v_add_co_ci_u32_e64 v22, s3, s18, v5, s3
	v_mov_b32_e32 v8, v15
	v_or_b32_e32 v23, 2, v29
	v_mad_u64_u32 v[17:18], null, s45, v13, v[3:4]
	v_mad_u64_u32 v[31:32], null, s44, v29, s[44:45]
	s_delay_alu instid0(VALU_DEP_3)
	v_mad_u64_u32 v[15:16], null, s44, v23, 0
	v_lshlrev_b64 v[4:5], 1, v[7:8]
	v_mad_u64_u32 v[27:28], null, s16, v23, 0
	v_mov_b32_e32 v10, v17
	v_mad_u64_u32 v[17:18], null, s16, v29, s[16:17]
	v_mov_b32_e32 v3, v16
	v_lshlrev_b64 v[1:2], 1, v[0:1]
	v_mov_b32_e32 v6, v28
	s_delay_alu instid0(VALU_DEP_3) | instskip(SKIP_1) | instid1(VALU_DEP_2)
	v_mad_u64_u32 v[7:8], null, s45, v23, v[3:4]
	v_mov_b32_e32 v3, v18
	v_mad_u64_u32 v[25:26], null, s17, v23, v[6:7]
	v_add_co_u32 v23, s3, s4, v4
	s_delay_alu instid0(VALU_DEP_1) | instskip(SKIP_3) | instid1(VALU_DEP_3)
	v_add_co_ci_u32_e64 v24, s3, s27, v5, s3
	v_lshlrev_b64 v[4:5], 3, v[9:10]
	v_mov_b32_e32 v16, v7
	v_mov_b32_e32 v28, v25
	v_mad_u64_u32 v[6:7], null, s17, v29, v[3:4]
	v_add_co_u32 v25, s3, s19, v4
	s_delay_alu instid0(VALU_DEP_1) | instskip(SKIP_1) | instid1(VALU_DEP_4)
	v_add_co_ci_u32_e64 v26, s3, s18, v5, s3
	v_lshlrev_b64 v[4:5], 1, v[15:16]
	v_dual_mov_b32 v3, v32 :: v_dual_mov_b32 v18, v6
	v_dual_mov_b32 v16, 0 :: v_dual_mov_b32 v15, 0
	s_delay_alu instid0(VALU_DEP_2)
	v_mad_u64_u32 v[7:8], null, s45, v29, v[3:4]
	v_lshlrev_b64 v[8:9], 1, v[27:28]
	v_add_co_u32 v27, s3, s19, v4
	v_lshlrev_b64 v[3:4], 1, v[17:18]
	v_add_co_ci_u32_e64 v28, s3, s18, v5, s3
	v_mov_b32_e32 v32, v7
	v_add_co_u32 v29, s3, s4, v8
	s_delay_alu instid0(VALU_DEP_1) | instskip(NEXT) | instid1(VALU_DEP_3)
	v_add_co_ci_u32_e64 v30, s3, s27, v9, s3
	v_lshlrev_b64 v[5:6], 1, v[31:32]
	v_add_co_u32 v31, s3, s4, v3
	s_delay_alu instid0(VALU_DEP_1) | instskip(SKIP_1) | instid1(VALU_DEP_4)
	v_add_co_ci_u32_e64 v32, s3, s27, v4, s3
	v_dual_mov_b32 v18, 0 :: v_dual_mov_b32 v17, 0
	v_add_co_u32 v33, s3, s19, v5
	s_delay_alu instid0(VALU_DEP_1)
	v_add_co_ci_u32_e64 v34, s3, s18, v6, s3
	s_lshl_b64 s[18:19], s[44:45], 7
	s_mov_b32 s27, 0
	s_branch .LBB391_17
.LBB391_13:                             ;   in Loop: Header=BB391_17 Depth=1
	s_or_b32 exec_lo, exec_lo, s31
	s_waitcnt vmcnt(3)
	v_fma_mix_f32 v3, v47, v51, v16 op_sel_hi:[0,1,0]
	s_waitcnt vmcnt(2)
	s_delay_alu instid0(VALU_DEP_1) | instskip(SKIP_1) | instid1(VALU_DEP_1)
	v_fma_mix_f32 v3, v48, v52, v3 op_sel_hi:[0,1,0]
	s_waitcnt vmcnt(1)
	v_fma_mix_f32 v3, v49, v53, v3 op_sel_hi:[0,1,0]
	s_waitcnt vmcnt(0)
	s_delay_alu instid0(VALU_DEP_1)
	v_fma_mix_f32 v16, v50, v54, v3 op_sel_hi:[0,1,0]
.LBB391_14:                             ;   in Loop: Header=BB391_17 Depth=1
	s_or_b32 exec_lo, exec_lo, s30
	s_waitcnt vmcnt(3)
	v_fma_mix_f32 v3, v47, v43, v17 op_sel_hi:[0,1,0]
	s_waitcnt vmcnt(2)
	s_delay_alu instid0(VALU_DEP_1) | instskip(SKIP_1) | instid1(VALU_DEP_1)
	v_fma_mix_f32 v3, v48, v44, v3 op_sel_hi:[0,1,0]
	s_waitcnt vmcnt(1)
	v_fma_mix_f32 v3, v49, v45, v3 op_sel_hi:[0,1,0]
	s_waitcnt vmcnt(0)
	s_delay_alu instid0(VALU_DEP_1)
	v_fma_mix_f32 v17, v50, v46, v3 op_sel_hi:[0,1,0]
.LBB391_15:                             ;   in Loop: Header=BB391_17 Depth=1
	s_or_b32 exec_lo, exec_lo, s3
	s_waitcnt vmcnt(3)
	v_fma_mix_f32 v3, v35, v39, v18 op_sel_hi:[1,1,0]
	s_waitcnt vmcnt(2)
	s_delay_alu instid0(VALU_DEP_1) | instskip(SKIP_1) | instid1(VALU_DEP_1)
	v_fma_mix_f32 v3, v36, v40, v3 op_sel_hi:[1,1,0]
	s_waitcnt vmcnt(1)
	v_fma_mix_f32 v3, v37, v41, v3 op_sel_hi:[1,1,0]
	s_waitcnt vmcnt(0)
	s_delay_alu instid0(VALU_DEP_1)
	v_fma_mix_f32 v18, v38, v42, v3 op_sel_hi:[1,1,0]
.LBB391_16:                             ;   in Loop: Header=BB391_17 Depth=1
	s_or_b32 exec_lo, exec_lo, s4
	v_add_co_u32 v19, s3, v19, s14
	s_delay_alu instid0(VALU_DEP_1) | instskip(SKIP_1) | instid1(VALU_DEP_1)
	v_add_co_ci_u32_e64 v20, s3, s15, v20, s3
	v_add_co_u32 v21, s3, v21, s18
	v_add_co_ci_u32_e64 v22, s3, s19, v22, s3
	v_add_co_u32 v23, s3, v23, s14
	s_delay_alu instid0(VALU_DEP_1) | instskip(SKIP_1) | instid1(VALU_DEP_1)
	v_add_co_ci_u32_e64 v24, s3, s15, v24, s3
	v_add_co_u32 v25, s3, v25, s18
	v_add_co_ci_u32_e64 v26, s3, s19, v26, s3
	v_add_co_u32 v27, s3, v27, s18
	s_delay_alu instid0(VALU_DEP_1) | instskip(SKIP_4) | instid1(VALU_DEP_1)
	v_add_co_ci_u32_e64 v28, s3, s19, v28, s3
	v_add_co_u32 v29, s3, v29, s14
	v_add_nc_u32_e32 v14, 64, v14
	v_add_co_ci_u32_e64 v30, s3, s15, v30, s3
	v_add_co_u32 v31, s3, v31, s14
	v_add_co_ci_u32_e64 v32, s3, s15, v32, s3
	s_delay_alu instid0(VALU_DEP_4) | instskip(SKIP_1) | instid1(VALU_DEP_1)
	v_cmp_le_i32_e64 s3, s25, v14
	v_add_co_u32 v33, s4, v33, s18
	v_add_co_ci_u32_e64 v34, s4, s19, v34, s4
	s_delay_alu instid0(VALU_DEP_3) | instskip(NEXT) | instid1(SALU_CYCLE_1)
	s_or_b32 s27, s3, s27
	s_and_not1_b32 exec_lo, exec_lo, s27
	s_cbranch_execz .LBB391_22
.LBB391_17:                             ; =>This Inner Loop Header: Depth=1
	s_and_saveexec_b32 s4, vcc_lo
	s_cbranch_execz .LBB391_16
; %bb.18:                               ;   in Loop: Header=BB391_17 Depth=1
	v_add_co_u32 v3, s3, v19, s12
	s_delay_alu instid0(VALU_DEP_1) | instskip(SKIP_1) | instid1(VALU_DEP_1)
	v_add_co_ci_u32_e64 v4, s3, s13, v20, s3
	v_add_co_u32 v5, s3, v31, s12
	v_add_co_ci_u32_e64 v6, s3, s13, v32, s3
	v_add_co_u32 v7, s3, v29, s12
	s_delay_alu instid0(VALU_DEP_1) | instskip(SKIP_1) | instid1(VALU_DEP_1)
	v_add_co_ci_u32_e64 v8, s3, s13, v30, s3
	v_add_co_u32 v38, s3, v23, s12
	v_add_co_ci_u32_e64 v39, s3, s13, v24, s3
	global_load_u16 v35, v[3:4], off
	global_load_u16 v36, v[5:6], off
	;; [unrolled: 1-line block ×3, first 2 shown]
	v_add_co_u32 v3, s3, v25, v1
	s_delay_alu instid0(VALU_DEP_1) | instskip(SKIP_1) | instid1(VALU_DEP_1)
	v_add_co_ci_u32_e64 v4, s3, v26, v2, s3
	v_add_co_u32 v5, s3, v33, v1
	v_add_co_ci_u32_e64 v6, s3, v34, v2, s3
	v_add_co_u32 v7, s3, v27, v1
	s_delay_alu instid0(VALU_DEP_1) | instskip(SKIP_1) | instid1(VALU_DEP_1)
	v_add_co_ci_u32_e64 v8, s3, v28, v2, s3
	v_add_co_u32 v9, s3, v21, v1
	v_add_co_ci_u32_e64 v10, s3, v22, v2, s3
	global_load_u16 v38, v[38:39], off
	global_load_u16 v39, v[3:4], off
	;; [unrolled: 1-line block ×5, first 2 shown]
	s_and_saveexec_b32 s3, s0
	s_cbranch_execz .LBB391_15
; %bb.19:                               ;   in Loop: Header=BB391_17 Depth=1
	global_load_u16 v43, v[3:4], off offset:128
	global_load_u16 v44, v[5:6], off offset:128
	;; [unrolled: 1-line block ×4, first 2 shown]
	s_waitcnt vmcnt(11)
	v_cvt_f32_f16_e32 v47, v35
	s_waitcnt vmcnt(10)
	v_cvt_f32_f16_e32 v48, v36
	;; [unrolled: 2-line block ×4, first 2 shown]
	s_and_saveexec_b32 s30, s1
	s_cbranch_execz .LBB391_14
; %bb.20:                               ;   in Loop: Header=BB391_17 Depth=1
	global_load_u16 v51, v[3:4], off offset:256
	global_load_u16 v52, v[5:6], off offset:256
	;; [unrolled: 1-line block ×4, first 2 shown]
	s_and_saveexec_b32 s31, s2
	s_cbranch_execz .LBB391_13
; %bb.21:                               ;   in Loop: Header=BB391_17 Depth=1
	global_load_u16 v3, v[3:4], off offset:384
	global_load_u16 v4, v[5:6], off offset:384
	;; [unrolled: 1-line block ×4, first 2 shown]
	s_waitcnt vmcnt(3)
	v_fma_mix_f32 v3, v47, v3, v15 op_sel_hi:[0,1,0]
	s_waitcnt vmcnt(2)
	s_delay_alu instid0(VALU_DEP_1) | instskip(SKIP_1) | instid1(VALU_DEP_1)
	v_fma_mix_f32 v3, v48, v4, v3 op_sel_hi:[0,1,0]
	s_waitcnt vmcnt(1)
	v_fma_mix_f32 v3, v49, v5, v3 op_sel_hi:[0,1,0]
	s_waitcnt vmcnt(0)
	s_delay_alu instid0(VALU_DEP_1)
	v_fma_mix_f32 v15, v50, v6, v3 op_sel_hi:[0,1,0]
	s_branch .LBB391_13
.LBB391_22:
	s_or_b32 exec_lo, exec_lo, s27
.LBB391_23:
	s_delay_alu instid0(SALU_CYCLE_1) | instskip(SKIP_1) | instid1(SALU_CYCLE_1)
	s_or_b32 exec_lo, exec_lo, s26
	s_sub_i32 s0, s7, s25
	s_cmp_lt_i32 s0, 1
	s_cbranch_scc1 .LBB391_41
; %bb.24:
	v_cmp_gt_i32_e32 vcc_lo, s7, v14
	v_dual_mov_b32 v9, 0 :: v_dual_mov_b32 v10, 0
	v_or_b32_e32 v2, 1, v14
	v_dual_mov_b32 v19, 0 :: v_dual_mov_b32 v20, 0
	s_and_saveexec_b32 s1, vcc_lo
	s_cbranch_execz .LBB391_32
; %bb.25:
	v_mad_u64_u32 v[3:4], null, v14, s16, 0
	s_lshl_b64 s[2:3], s[10:11], 1
	v_mov_b32_e32 v19, 0
	s_add_u32 s0, s48, s2
	s_addc_u32 s2, s49, s3
	s_lshl_b64 s[10:11], s[50:51], 1
	v_mov_b32_e32 v9, 0
	s_delay_alu instid0(VALU_DEP_3) | instskip(SKIP_3) | instid1(VALU_DEP_1)
	v_dual_mov_b32 v1, v4 :: v_dual_mov_b32 v10, 0
	s_add_u32 s3, s0, s10
	s_addc_u32 s4, s2, s11
	s_mov_b32 s2, exec_lo
	v_mad_u64_u32 v[4:5], null, v14, s17, v[1:2]
	s_delay_alu instid0(VALU_DEP_1) | instskip(NEXT) | instid1(VALU_DEP_1)
	v_lshlrev_b64 v[3:4], 1, v[3:4]
	v_add_co_u32 v3, s0, s3, v3
	s_delay_alu instid0(VALU_DEP_1)
	v_add_co_ci_u32_e64 v4, s0, s4, v4, s0
	global_load_u16 v1, v[3:4], off
	v_cmpx_gt_i32_e64 s7, v2
	s_cbranch_execz .LBB391_31
; %bb.26:
	v_mad_u64_u32 v[3:4], null, v2, s16, 0
	v_mov_b32_e32 v10, 0
	s_mov_b32 s10, exec_lo
	v_mov_b32_e32 v9, 0
	s_delay_alu instid0(VALU_DEP_3) | instskip(NEXT) | instid1(VALU_DEP_1)
	v_mad_u64_u32 v[5:6], null, v2, s17, v[4:5]
	v_mov_b32_e32 v4, v5
	s_delay_alu instid0(VALU_DEP_1) | instskip(NEXT) | instid1(VALU_DEP_1)
	v_lshlrev_b64 v[3:4], 1, v[3:4]
	v_add_co_u32 v3, s0, s3, v3
	s_delay_alu instid0(VALU_DEP_1) | instskip(SKIP_2) | instid1(VALU_DEP_1)
	v_add_co_ci_u32_e64 v4, s0, s4, v4, s0
	global_load_u16 v3, v[3:4], off
	v_or_b32_e32 v4, 2, v14
	v_cmpx_gt_i32_e64 s7, v4
	s_cbranch_execz .LBB391_30
; %bb.27:
	v_mad_u64_u32 v[5:6], null, v4, s16, 0
	s_mov_b32 s11, exec_lo
	v_mov_b32_e32 v9, 0
	s_delay_alu instid0(VALU_DEP_2) | instskip(NEXT) | instid1(VALU_DEP_1)
	v_mad_u64_u32 v[7:8], null, v4, s17, v[6:7]
	v_mov_b32_e32 v6, v7
	s_delay_alu instid0(VALU_DEP_1) | instskip(NEXT) | instid1(VALU_DEP_1)
	v_lshlrev_b64 v[4:5], 1, v[5:6]
	v_add_co_u32 v4, s0, s3, v4
	s_delay_alu instid0(VALU_DEP_1) | instskip(SKIP_2) | instid1(VALU_DEP_1)
	v_add_co_ci_u32_e64 v5, s0, s4, v5, s0
	global_load_u16 v4, v[4:5], off
	v_or_b32_e32 v5, 3, v14
	v_cmpx_gt_i32_e64 s7, v5
	s_cbranch_execz .LBB391_29
; %bb.28:
	v_mad_u64_u32 v[6:7], null, v5, s16, 0
	s_delay_alu instid0(VALU_DEP_1) | instskip(NEXT) | instid1(VALU_DEP_1)
	v_mad_u64_u32 v[8:9], null, v5, s17, v[7:8]
	v_mov_b32_e32 v7, v8
	s_delay_alu instid0(VALU_DEP_1) | instskip(NEXT) | instid1(VALU_DEP_1)
	v_lshlrev_b64 v[5:6], 1, v[6:7]
	v_add_co_u32 v5, s0, s3, v5
	s_delay_alu instid0(VALU_DEP_1)
	v_add_co_ci_u32_e64 v6, s0, s4, v6, s0
	global_load_u16 v5, v[5:6], off
	s_waitcnt vmcnt(0)
	v_cvt_f32_f16_e32 v9, v5
.LBB391_29:
	s_or_b32 exec_lo, exec_lo, s11
	s_waitcnt vmcnt(0)
	v_cvt_f32_f16_e32 v10, v4
.LBB391_30:
	s_or_b32 exec_lo, exec_lo, s10
	s_waitcnt vmcnt(0)
	v_cvt_f32_f16_e32 v19, v3
.LBB391_31:
	s_or_b32 exec_lo, exec_lo, s2
	s_waitcnt vmcnt(0)
	v_cvt_f32_f16_e32 v20, v1
.LBB391_32:
	s_or_b32 exec_lo, exec_lo, s1
	s_delay_alu instid0(SALU_CYCLE_1)
	s_mov_b32 s1, exec_lo
	v_cmpx_gt_i32_e64 s6, v0
	s_cbranch_execz .LBB391_40
; %bb.33:
	v_mad_u64_u32 v[3:4], null, v14, s44, 0
	v_mad_u64_u32 v[5:6], null, v2, s44, 0
	v_ashrrev_i32_e32 v1, 31, v0
	s_lshl_b64 s[2:3], s[8:9], 1
	v_or_b32_e32 v28, 2, v14
	s_add_u32 s0, s40, s2
	s_delay_alu instid0(VALU_DEP_4)
	v_cndmask_b32_e32 v3, 0, v3, vcc_lo
	v_lshlrev_b64 v[21:22], 1, v[0:1]
	v_mad_u64_u32 v[7:8], null, v14, s45, v[4:5]
	s_addc_u32 s4, s41, s3
	s_lshl_b64 s[2:3], s[42:43], 1
	v_or_b32_e32 v14, 3, v14
	s_add_u32 s2, s0, s2
	v_mov_b32_e32 v1, v6
	v_mad_u64_u32 v[23:24], null, v28, s44, 0
	s_delay_alu instid0(VALU_DEP_4) | instskip(SKIP_1) | instid1(VALU_DEP_4)
	v_cndmask_b32_e32 v4, 0, v7, vcc_lo
	v_cmp_gt_i32_e32 vcc_lo, s7, v2
	v_mad_u64_u32 v[25:26], null, v2, s45, v[1:2]
	s_addc_u32 s3, s4, s3
	v_mad_u64_u32 v[6:7], null, v14, s44, 0
	v_cndmask_b32_e32 v26, 0, v5, vcc_lo
	v_lshlrev_b64 v[3:4], 1, v[3:4]
	s_delay_alu instid0(VALU_DEP_4) | instskip(NEXT) | instid1(VALU_DEP_2)
	v_cndmask_b32_e32 v27, 0, v25, vcc_lo
	v_add_co_u32 v1, s0, s2, v3
	s_delay_alu instid0(VALU_DEP_1) | instskip(NEXT) | instid1(VALU_DEP_3)
	v_add_co_ci_u32_e64 v2, s0, s3, v4, s0
	v_lshlrev_b64 v[3:4], 1, v[26:27]
	s_delay_alu instid0(VALU_DEP_3) | instskip(NEXT) | instid1(VALU_DEP_3)
	v_add_co_u32 v1, vcc_lo, v1, v21
	v_add_co_ci_u32_e32 v2, vcc_lo, v2, v22, vcc_lo
	v_cmp_gt_i32_e32 vcc_lo, s7, v28
	v_mov_b32_e32 v5, v24
	v_add_co_u32 v3, s0, s2, v3
	s_delay_alu instid0(VALU_DEP_1) | instskip(NEXT) | instid1(VALU_DEP_3)
	v_add_co_ci_u32_e64 v4, s0, s3, v4, s0
	v_mad_u64_u32 v[24:25], null, v28, s45, v[5:6]
	v_mov_b32_e32 v5, v7
	v_cndmask_b32_e32 v7, 0, v23, vcc_lo
	s_mov_b32 s0, exec_lo
	s_delay_alu instid0(VALU_DEP_3) | instskip(NEXT) | instid1(VALU_DEP_3)
	v_cndmask_b32_e32 v8, 0, v24, vcc_lo
	v_mad_u64_u32 v[23:24], null, v14, s45, v[5:6]
	v_add_co_u32 v3, vcc_lo, v3, v21
	v_add_co_ci_u32_e32 v4, vcc_lo, v4, v22, vcc_lo
	v_cmp_gt_i32_e32 vcc_lo, s7, v14
	v_lshlrev_b64 v[7:8], 1, v[7:8]
	s_clause 0x1
	global_load_u16 v24, v[1:2], off
	global_load_u16 v25, v[3:4], off
	v_dual_cndmask_b32 v5, 0, v6 :: v_dual_cndmask_b32 v6, 0, v23
	v_add_co_u32 v14, vcc_lo, s2, v7
	v_add_co_ci_u32_e32 v23, vcc_lo, s3, v8, vcc_lo
	s_delay_alu instid0(VALU_DEP_3) | instskip(NEXT) | instid1(VALU_DEP_3)
	v_lshlrev_b64 v[7:8], 1, v[5:6]
	v_add_co_u32 v5, vcc_lo, v14, v21
	s_delay_alu instid0(VALU_DEP_3) | instskip(NEXT) | instid1(VALU_DEP_3)
	v_add_co_ci_u32_e32 v6, vcc_lo, v23, v22, vcc_lo
	v_add_co_u32 v7, vcc_lo, s2, v7
	s_delay_alu instid0(VALU_DEP_4)
	v_add_co_ci_u32_e32 v8, vcc_lo, s3, v8, vcc_lo
	global_load_u16 v23, v[5:6], off
	v_add_co_u32 v7, vcc_lo, v7, v21
	v_add_co_ci_u32_e32 v8, vcc_lo, v8, v22, vcc_lo
	v_add_nc_u32_e32 v21, 64, v0
	global_load_u16 v14, v[7:8], off
	s_waitcnt vmcnt(3)
	v_fma_mix_f32 v18, v20, v24, v18 op_sel_hi:[0,1,0]
	s_waitcnt vmcnt(2)
	s_delay_alu instid0(VALU_DEP_1) | instskip(SKIP_1) | instid1(VALU_DEP_1)
	v_fma_mix_f32 v18, v19, v25, v18 op_sel_hi:[0,1,0]
	s_waitcnt vmcnt(1)
	v_fma_mix_f32 v18, v10, v23, v18 op_sel_hi:[0,1,0]
	v_cmpx_gt_i32_e64 s6, v21
	s_cbranch_execz .LBB391_39
; %bb.34:
	s_clause 0x3
	global_load_u16 v22, v[1:2], off offset:128
	global_load_u16 v23, v[3:4], off offset:128
	;; [unrolled: 1-line block ×4, first 2 shown]
	s_mov_b32 s2, exec_lo
	s_waitcnt vmcnt(3)
	v_fma_mix_f32 v17, v20, v22, v17 op_sel_hi:[0,1,0]
	v_add_nc_u32_e32 v22, 0x80, v0
	s_waitcnt vmcnt(2)
	s_delay_alu instid0(VALU_DEP_2) | instskip(SKIP_1) | instid1(VALU_DEP_1)
	v_fma_mix_f32 v17, v19, v23, v17 op_sel_hi:[0,1,0]
	s_waitcnt vmcnt(1)
	v_fma_mix_f32 v17, v10, v24, v17 op_sel_hi:[0,1,0]
	v_cmpx_gt_i32_e64 s6, v22
	s_cbranch_execz .LBB391_38
; %bb.35:
	s_clause 0x3
	global_load_u16 v23, v[1:2], off offset:256
	global_load_u16 v24, v[3:4], off offset:256
	;; [unrolled: 1-line block ×4, first 2 shown]
	s_mov_b32 s3, exec_lo
	s_waitcnt vmcnt(3)
	v_fma_mix_f32 v16, v20, v23, v16 op_sel_hi:[0,1,0]
	v_add_nc_u32_e32 v23, 0xc0, v0
	s_waitcnt vmcnt(2)
	s_delay_alu instid0(VALU_DEP_2) | instskip(SKIP_1) | instid1(VALU_DEP_1)
	v_fma_mix_f32 v16, v19, v24, v16 op_sel_hi:[0,1,0]
	s_waitcnt vmcnt(1)
	v_fma_mix_f32 v0, v10, v25, v16 op_sel_hi:[0,1,0]
	v_cmpx_gt_i32_e64 s6, v23
	s_cbranch_execz .LBB391_37
; %bb.36:
	s_clause 0x3
	global_load_u16 v1, v[1:2], off offset:384
	global_load_u16 v2, v[3:4], off offset:384
	;; [unrolled: 1-line block ×4, first 2 shown]
	s_waitcnt vmcnt(3)
	v_fma_mix_f32 v1, v20, v1, v15 op_sel_hi:[0,1,0]
	s_waitcnt vmcnt(2)
	s_delay_alu instid0(VALU_DEP_1) | instskip(SKIP_1) | instid1(VALU_DEP_1)
	v_fma_mix_f32 v1, v19, v2, v1 op_sel_hi:[0,1,0]
	s_waitcnt vmcnt(1)
	v_fma_mix_f32 v1, v10, v3, v1 op_sel_hi:[0,1,0]
	s_waitcnt vmcnt(0)
	s_delay_alu instid0(VALU_DEP_1)
	v_fma_mix_f32 v15, v9, v4, v1 op_sel_hi:[0,1,0]
.LBB391_37:
	s_or_b32 exec_lo, exec_lo, s3
	s_waitcnt vmcnt(0)
	v_fma_mix_f32 v16, v9, v22, v0 op_sel_hi:[0,1,0]
.LBB391_38:
	s_or_b32 exec_lo, exec_lo, s2
	s_waitcnt vmcnt(0)
	v_fma_mix_f32 v17, v9, v21, v17 op_sel_hi:[0,1,0]
.LBB391_39:
	s_or_b32 exec_lo, exec_lo, s0
	s_waitcnt vmcnt(0)
	v_fma_mix_f32 v18, v9, v14, v18 op_sel_hi:[0,1,0]
.LBB391_40:
	s_or_b32 exec_lo, exec_lo, s1
.LBB391_41:
	v_lshlrev_b32_e32 v0, 8, v13
	s_mov_b32 s0, exec_lo
                                        ; implicit-def: $vgpr3
	s_delay_alu instid0(VALU_DEP_1)
	v_add_lshl_u32 v0, v0, v12, 2
	ds_store_2addr_stride64_b32 v0, v18, v17 offset1:1
	ds_store_2addr_stride64_b32 v0, v16, v15 offset0:2 offset1:3
	s_waitcnt lgkmcnt(0)
	s_barrier
	buffer_gl0_inv
                                        ; implicit-def: $vgpr0_vgpr1
	v_cmpx_gt_u32_e32 0x100, v11
	s_cbranch_execz .LBB391_47
; %bb.42:
	v_lshlrev_b32_e32 v6, 2, v11
	s_mov_b32 s2, s23
	s_mov_b32 s1, exec_lo
	ds_load_2addr_stride64_b32 v[0:1], v6 offset1:4
	ds_load_2addr_stride64_b32 v[2:3], v6 offset0:8 offset1:12
	ds_load_2addr_stride64_b32 v[4:5], v6 offset0:16 offset1:20
	s_waitcnt lgkmcnt(2)
	v_add_f32_e32 v7, v0, v1
	ds_load_2addr_stride64_b32 v[0:1], v6 offset0:24 offset1:28
	s_waitcnt lgkmcnt(2)
	v_add_f32_e32 v2, v2, v7
	s_delay_alu instid0(VALU_DEP_1) | instskip(SKIP_3) | instid1(VALU_DEP_1)
	v_add_f32_e32 v7, v3, v2
	ds_load_2addr_stride64_b32 v[2:3], v6 offset0:32 offset1:36
	s_waitcnt lgkmcnt(2)
	v_add_f32_e32 v4, v4, v7
	v_add_f32_e32 v7, v5, v4
	ds_load_2addr_stride64_b32 v[4:5], v6 offset0:40 offset1:44
	s_waitcnt lgkmcnt(2)
	v_add_f32_e32 v0, v0, v7
	s_delay_alu instid0(VALU_DEP_1) | instskip(SKIP_1) | instid1(VALU_DEP_1)
	v_add_f32_e32 v0, v1, v0
	s_waitcnt lgkmcnt(1)
	v_add_f32_e32 v2, v2, v0
	ds_load_2addr_stride64_b32 v[0:1], v6 offset0:48 offset1:52
	v_add_f32_e32 v2, v3, v2
	s_waitcnt lgkmcnt(1)
	s_delay_alu instid0(VALU_DEP_1) | instskip(SKIP_3) | instid1(VALU_DEP_1)
	v_add_f32_e32 v4, v4, v2
	ds_load_2addr_stride64_b32 v[2:3], v6 offset0:56 offset1:60
	v_add_f32_e32 v4, v5, v4
	s_waitcnt lgkmcnt(1)
	v_add_f32_e32 v0, v0, v4
	v_or_b32_e32 v4, s24, v11
	s_delay_alu instid0(VALU_DEP_2) | instskip(SKIP_1) | instid1(VALU_DEP_1)
	v_add_f32_e32 v0, v1, v0
	s_waitcnt lgkmcnt(0)
	v_add_f32_e32 v0, v2, v0
	s_delay_alu instid0(VALU_DEP_1)
	v_add_f32_e32 v2, v3, v0
                                        ; implicit-def: $vgpr3
                                        ; implicit-def: $vgpr0_vgpr1
	ds_store_b32 v6, v2
	v_cmpx_gt_i32_e64 s6, v4
	s_cbranch_execz .LBB391_46
; %bb.43:
	v_ashrrev_i32_e32 v3, 31, v4
	v_mul_lo_u32 v5, v4, s29
	v_mad_u64_u32 v[0:1], null, v4, s28, 0
	v_cmp_eq_f32_e64 s2, s21, 0
	s_delay_alu instid0(VALU_DEP_4) | instskip(SKIP_1) | instid1(VALU_DEP_3)
	v_mul_lo_u32 v3, v3, s28
	v_mul_f32_e32 v2, s22, v2
	s_and_b32 vcc_lo, exec_lo, s2
	s_delay_alu instid0(VALU_DEP_2)
	v_add3_u32 v1, v1, v5, v3
	s_cbranch_vccnz .LBB391_45
; %bb.44:
	s_delay_alu instid0(VALU_DEP_1) | instskip(NEXT) | instid1(VALU_DEP_1)
	v_lshlrev_b64 v[3:4], 1, v[0:1]
	v_add_co_u32 v3, vcc_lo, s5, v3
	s_delay_alu instid0(VALU_DEP_2)
	v_add_co_ci_u32_e32 v4, vcc_lo, s20, v4, vcc_lo
	global_load_u16 v3, v[3:4], off
	s_waitcnt vmcnt(0)
	v_fma_mix_f32 v2, s21, v3, v2 op_sel_hi:[0,1,0]
.LBB391_45:
	s_delay_alu instid0(VALU_DEP_1)
	v_cvt_f16_f32_e32 v3, v2
	s_or_b32 s2, s23, exec_lo
.LBB391_46:
	s_or_b32 exec_lo, exec_lo, s1
	s_delay_alu instid0(SALU_CYCLE_1) | instskip(SKIP_1) | instid1(SALU_CYCLE_1)
	s_and_not1_b32 s1, s23, exec_lo
	s_and_b32 s2, s2, exec_lo
	s_or_b32 s23, s1, s2
.LBB391_47:
	s_or_b32 exec_lo, exec_lo, s0
.LBB391_48:
	s_and_saveexec_b32 s0, s23
	s_cbranch_execz .LBB391_50
; %bb.49:
	v_lshlrev_b64 v[0:1], 1, v[0:1]
	s_delay_alu instid0(VALU_DEP_1) | instskip(NEXT) | instid1(VALU_DEP_2)
	v_add_co_u32 v0, vcc_lo, s5, v0
	v_add_co_ci_u32_e32 v1, vcc_lo, s20, v1, vcc_lo
	global_store_b16 v[0:1], v3, off
.LBB391_50:
	s_nop 0
	s_sendmsg sendmsg(MSG_DEALLOC_VGPRS)
	s_endpgm
	.section	.rodata,"a",@progbits
	.p2align	6, 0x0
	.amdhsa_kernel _ZL20rocblas_gemvn_kernelILi64ELi16ElDF16_PKfDF16_EviiT3_lPKT2_lT1_lS5_lS6_lS2_lPT4_lS6_li
		.amdhsa_group_segment_fixed_size 16384
		.amdhsa_private_segment_fixed_size 0
		.amdhsa_kernarg_size 400
		.amdhsa_user_sgpr_count 14
		.amdhsa_user_sgpr_dispatch_ptr 0
		.amdhsa_user_sgpr_queue_ptr 0
		.amdhsa_user_sgpr_kernarg_segment_ptr 1
		.amdhsa_user_sgpr_dispatch_id 0
		.amdhsa_user_sgpr_private_segment_size 0
		.amdhsa_wavefront_size32 1
		.amdhsa_uses_dynamic_stack 0
		.amdhsa_enable_private_segment 0
		.amdhsa_system_sgpr_workgroup_id_x 1
		.amdhsa_system_sgpr_workgroup_id_y 0
		.amdhsa_system_sgpr_workgroup_id_z 1
		.amdhsa_system_sgpr_workgroup_info 0
		.amdhsa_system_vgpr_workitem_id 1
		.amdhsa_next_free_vgpr 55
		.amdhsa_next_free_sgpr 52
		.amdhsa_reserve_vcc 1
		.amdhsa_float_round_mode_32 0
		.amdhsa_float_round_mode_16_64 0
		.amdhsa_float_denorm_mode_32 3
		.amdhsa_float_denorm_mode_16_64 3
		.amdhsa_dx10_clamp 1
		.amdhsa_ieee_mode 1
		.amdhsa_fp16_overflow 0
		.amdhsa_workgroup_processor_mode 1
		.amdhsa_memory_ordered 1
		.amdhsa_forward_progress 0
		.amdhsa_shared_vgpr_count 0
		.amdhsa_exception_fp_ieee_invalid_op 0
		.amdhsa_exception_fp_denorm_src 0
		.amdhsa_exception_fp_ieee_div_zero 0
		.amdhsa_exception_fp_ieee_overflow 0
		.amdhsa_exception_fp_ieee_underflow 0
		.amdhsa_exception_fp_ieee_inexact 0
		.amdhsa_exception_int_div_zero 0
	.end_amdhsa_kernel
	.section	.text._ZL20rocblas_gemvn_kernelILi64ELi16ElDF16_PKfDF16_EviiT3_lPKT2_lT1_lS5_lS6_lS2_lPT4_lS6_li,"axG",@progbits,_ZL20rocblas_gemvn_kernelILi64ELi16ElDF16_PKfDF16_EviiT3_lPKT2_lT1_lS5_lS6_lS2_lPT4_lS6_li,comdat
.Lfunc_end391:
	.size	_ZL20rocblas_gemvn_kernelILi64ELi16ElDF16_PKfDF16_EviiT3_lPKT2_lT1_lS5_lS6_lS2_lPT4_lS6_li, .Lfunc_end391-_ZL20rocblas_gemvn_kernelILi64ELi16ElDF16_PKfDF16_EviiT3_lPKT2_lT1_lS5_lS6_lS2_lPT4_lS6_li
                                        ; -- End function
	.section	.AMDGPU.csdata,"",@progbits
; Kernel info:
; codeLenInByte = 3700
; NumSgprs: 54
; NumVgprs: 55
; ScratchSize: 0
; MemoryBound: 0
; FloatMode: 240
; IeeeMode: 1
; LDSByteSize: 16384 bytes/workgroup (compile time only)
; SGPRBlocks: 6
; VGPRBlocks: 6
; NumSGPRsForWavesPerEU: 54
; NumVGPRsForWavesPerEU: 55
; Occupancy: 16
; WaveLimiterHint : 0
; COMPUTE_PGM_RSRC2:SCRATCH_EN: 0
; COMPUTE_PGM_RSRC2:USER_SGPR: 14
; COMPUTE_PGM_RSRC2:TRAP_HANDLER: 0
; COMPUTE_PGM_RSRC2:TGID_X_EN: 1
; COMPUTE_PGM_RSRC2:TGID_Y_EN: 0
; COMPUTE_PGM_RSRC2:TGID_Z_EN: 1
; COMPUTE_PGM_RSRC2:TIDIG_COMP_CNT: 1
	.section	.text._ZL20rocblas_gemvn_kernelILi64ELi16EiDF16_fDF16_EviiT3_lPKT2_lT1_lS3_lS4_lS0_lPT4_lS4_li,"axG",@progbits,_ZL20rocblas_gemvn_kernelILi64ELi16EiDF16_fDF16_EviiT3_lPKT2_lT1_lS3_lS4_lS0_lPT4_lS4_li,comdat
	.globl	_ZL20rocblas_gemvn_kernelILi64ELi16EiDF16_fDF16_EviiT3_lPKT2_lT1_lS3_lS4_lS0_lPT4_lS4_li ; -- Begin function _ZL20rocblas_gemvn_kernelILi64ELi16EiDF16_fDF16_EviiT3_lPKT2_lT1_lS3_lS4_lS0_lPT4_lS4_li
	.p2align	8
	.type	_ZL20rocblas_gemvn_kernelILi64ELi16EiDF16_fDF16_EviiT3_lPKT2_lT1_lS3_lS4_lS0_lPT4_lS4_li,@function
_ZL20rocblas_gemvn_kernelILi64ELi16EiDF16_fDF16_EviiT3_lPKT2_lT1_lS3_lS4_lS0_lPT4_lS4_li: ; @_ZL20rocblas_gemvn_kernelILi64ELi16EiDF16_fDF16_EviiT3_lPKT2_lT1_lS3_lS4_lS0_lPT4_lS4_li
; %bb.0:
	s_load_b64 s[2:3], s[0:1], 0x9c
	s_waitcnt lgkmcnt(0)
	s_lshr_b32 s4, s2, 16
	s_and_b32 s2, s2, 0xffff
	s_and_b32 s3, s3, 0xffff
	s_mul_i32 s2, s4, s2
	s_delay_alu instid0(SALU_CYCLE_1) | instskip(NEXT) | instid1(SALU_CYCLE_1)
	s_mul_i32 s2, s2, s3
	s_cmpk_lg_i32 s2, 0x400
	s_cbranch_scc1 .LBB392_50
; %bb.1:
	s_clause 0x1
	s_load_b128 s[4:7], s[0:1], 0x0
	s_load_b32 s13, s[0:1], 0x58
	s_mov_b32 s16, 0
	s_waitcnt lgkmcnt(0)
	v_cmp_eq_f32_e64 s2, s6, 0
	v_cmp_eq_f32_e64 s3, s13, 1.0
	s_delay_alu instid0(VALU_DEP_1) | instskip(NEXT) | instid1(SALU_CYCLE_1)
	s_and_b32 s2, s2, s3
	s_and_b32 vcc_lo, exec_lo, s2
	s_cbranch_vccnz .LBB392_50
; %bb.2:
	s_clause 0x2
	s_load_b64 s[2:3], s[0:1], 0x80
	s_load_b128 s[8:11], s[0:1], 0x68
	s_load_b32 s17, s[0:1], 0x78
	v_and_b32_e32 v1, 0x3ff, v0
	v_bfe_u32 v13, v0, 10, 10
	v_cmp_neq_f32_e64 s18, s6, 0
	s_delay_alu instid0(VALU_DEP_2)
	v_lshl_add_u32 v0, v13, 6, v1
	s_waitcnt lgkmcnt(0)
	s_mul_i32 s3, s15, s3
	s_mul_hi_u32 s7, s15, s2
	s_mul_i32 s2, s15, s2
	s_add_i32 s3, s7, s3
	s_delay_alu instid0(SALU_CYCLE_1) | instskip(NEXT) | instid1(SALU_CYCLE_1)
	s_lshl_b64 s[2:3], s[2:3], 1
	s_add_u32 s7, s8, s2
	s_addc_u32 s8, s9, s3
	s_lshl_b64 s[2:3], s[10:11], 1
	s_delay_alu instid0(SALU_CYCLE_1)
	s_add_u32 s7, s7, s2
	v_cmp_gt_u32_e64 s2, 0x100, v0
	s_addc_u32 s12, s8, s3
	s_and_b32 vcc_lo, exec_lo, s18
	s_cbranch_vccnz .LBB392_7
; %bb.3:
	s_mov_b32 s3, 0
                                        ; implicit-def: $vgpr5
                                        ; implicit-def: $vgpr2_vgpr3
	s_and_saveexec_b32 s8, s2
	s_cbranch_execz .LBB392_8
; %bb.4:
	v_lshl_or_b32 v4, s14, 8, v0
	v_mov_b32_e32 v5, 0
	s_ashr_i32 s11, s4, 31
	s_mov_b32 s10, s4
	s_mov_b32 s9, 0
                                        ; implicit-def: $vgpr2_vgpr3
	s_delay_alu instid0(VALU_DEP_1)
	v_cmp_gt_i64_e32 vcc_lo, s[10:11], v[4:5]
                                        ; implicit-def: $vgpr5
	s_and_saveexec_b32 s2, vcc_lo
	s_cbranch_execz .LBB392_10
; %bb.5:
	v_mad_u64_u32 v[2:3], null, s17, v4, 0
	s_ashr_i32 s9, s17, 31
	s_delay_alu instid0(VALU_DEP_1) | instid1(SALU_CYCLE_1)
	v_mad_u64_u32 v[5:6], null, s9, v4, v[3:4]
	v_cmp_eq_f32_e64 s9, s13, 0
	s_delay_alu instid0(VALU_DEP_1) | instskip(NEXT) | instid1(VALU_DEP_2)
	s_and_b32 vcc_lo, exec_lo, s9
	v_mov_b32_e32 v3, v5
	s_cbranch_vccnz .LBB392_9
; %bb.6:
	s_delay_alu instid0(VALU_DEP_1) | instskip(SKIP_1) | instid1(VALU_DEP_1)
	v_lshlrev_b64 v[4:5], 1, v[2:3]
	s_mov_b32 s9, exec_lo
	v_add_co_u32 v4, vcc_lo, s7, v4
	s_delay_alu instid0(VALU_DEP_2)
	v_add_co_ci_u32_e32 v5, vcc_lo, s12, v5, vcc_lo
	global_load_u16 v4, v[4:5], off
	s_waitcnt vmcnt(0)
	v_fma_mixlo_f16 v5, v4, s13, 0 op_sel_hi:[1,0,0]
	s_branch .LBB392_10
.LBB392_7:
                                        ; implicit-def: $vgpr5
                                        ; implicit-def: $vgpr2_vgpr3
	s_cbranch_execnz .LBB392_11
	s_branch .LBB392_48
.LBB392_8:
	s_or_b32 exec_lo, exec_lo, s8
	s_delay_alu instid0(SALU_CYCLE_1)
	s_and_b32 vcc_lo, exec_lo, s3
	s_cbranch_vccnz .LBB392_11
	s_branch .LBB392_48
.LBB392_9:
	v_mov_b32_e32 v5, 0
	s_mov_b32 s9, exec_lo
.LBB392_10:
	s_or_b32 exec_lo, exec_lo, s2
	s_delay_alu instid0(SALU_CYCLE_1) | instskip(SKIP_1) | instid1(SALU_CYCLE_1)
	s_and_b32 s16, s9, exec_lo
	s_or_b32 exec_lo, exec_lo, s8
	s_and_b32 vcc_lo, exec_lo, s3
	s_cbranch_vccz .LBB392_48
.LBB392_11:
	s_clause 0x4
	s_load_b128 s[8:11], s[0:1], 0x30
	s_load_b64 s[2:3], s[0:1], 0x50
	s_load_b128 s[20:23], s[0:1], 0x18
	s_load_b32 s19, s[0:1], 0x28
	s_load_b64 s[24:25], s[0:1], 0x40
	v_dual_mov_b32 v18, 0 :: v_dual_lshlrev_b32 v19, 2, v13
	v_dual_mov_b32 v15, 0 :: v_dual_mov_b32 v14, 0
	s_waitcnt lgkmcnt(0)
	s_mul_i32 s9, s15, s9
	s_mul_hi_u32 s18, s15, s8
	s_mul_i32 s8, s15, s8
	s_add_i32 s9, s18, s9
	s_mul_i32 s3, s15, s3
	s_lshl_b64 s[8:9], s[8:9], 1
	s_mul_hi_u32 s26, s15, s2
	s_add_u32 s18, s20, s8
	s_addc_u32 s20, s21, s9
	s_lshl_b64 s[8:9], s[22:23], 1
	s_mul_i32 s2, s15, s2
	s_add_u32 s15, s18, s8
	s_load_b32 s8, s[0:1], 0x48
	s_addc_u32 s18, s20, s9
	s_add_i32 s3, s26, s3
	s_mov_b32 s20, exec_lo
	s_lshl_b64 s[0:1], s[2:3], 1
	s_delay_alu instid0(SALU_CYCLE_1) | instskip(SKIP_2) | instid1(SALU_CYCLE_1)
	s_add_u32 s2, s10, s0
	s_addc_u32 s3, s11, s1
	s_lshl_b64 s[0:1], s[24:25], 1
	s_add_u32 s10, s2, s0
	s_addc_u32 s11, s3, s1
	s_ashr_i32 s0, s5, 31
	s_lshl_b32 s9, s14, 8
	s_lshr_b32 s0, s0, 26
	v_dual_mov_b32 v17, 0 :: v_dual_add_nc_u32 v16, s9, v1
	s_add_i32 s0, s5, s0
	s_delay_alu instid0(SALU_CYCLE_1) | instskip(NEXT) | instid1(SALU_CYCLE_1)
	s_and_b32 s14, s0, 0xffffffc0
	v_cmpx_gt_i32_e64 s14, v19
	s_cbranch_execz .LBB392_23
; %bb.12:
	v_mul_lo_u32 v3, s19, v19
	v_dual_mov_b32 v17, 0 :: v_dual_add_nc_u32 v2, 64, v16
	v_add_nc_u32_e32 v6, 2, v19
	v_dual_mov_b32 v18, 0 :: v_dual_add_nc_u32 v5, 0xc0, v16
	s_delay_alu instid0(VALU_DEP_3)
	v_cmp_gt_i32_e64 s0, s4, v2
	v_dual_mov_b32 v15, 0 :: v_dual_add_nc_u32 v4, 0x80, v16
	v_add3_u32 v20, v3, s19, v1
	v_mad_u64_u32 v[2:3], null, s19, v6, v[1:2]
	v_cmp_gt_i32_e64 s2, s4, v5
	v_mul_lo_u32 v5, v13, s19
	v_dual_mov_b32 v14, 0 :: v_dual_add_nc_u32 v7, 3, v19
	s_waitcnt lgkmcnt(0)
	v_mul_lo_u32 v8, v13, s8
	v_cmp_gt_i32_e64 s1, s4, v4
	v_mul_lo_u32 v22, s8, v6
	v_mad_u64_u32 v[3:4], null, s19, v7, v[1:2]
	v_lshl_add_u32 v21, v5, 2, v1
	v_mad_u64_u32 v[4:5], null, s8, v19, s[8:9]
	v_mul_lo_u32 v23, s8, v7
	v_cmp_gt_i32_e32 vcc_lo, s4, v16
	v_lshlrev_b32_e32 v24, 2, v8
	s_lshl_b32 s21, s19, 6
	s_lshl_b32 s23, s8, 6
	s_mov_b32 s22, 0
	s_mov_b32 s24, 0
	s_branch .LBB392_17
.LBB392_13:                             ;   in Loop: Header=BB392_17 Depth=1
	s_or_b32 exec_lo, exec_lo, s27
	s_waitcnt vmcnt(3)
	v_fma_mix_f32 v5, v37, v41, v15 op_sel_hi:[0,1,0]
	s_waitcnt vmcnt(2)
	s_delay_alu instid0(VALU_DEP_1) | instskip(SKIP_1) | instid1(VALU_DEP_1)
	v_fma_mix_f32 v5, v38, v42, v5 op_sel_hi:[0,1,0]
	s_waitcnt vmcnt(1)
	v_fma_mix_f32 v5, v39, v43, v5 op_sel_hi:[0,1,0]
	s_waitcnt vmcnt(0)
	s_delay_alu instid0(VALU_DEP_1)
	v_fma_mix_f32 v15, v40, v44, v5 op_sel_hi:[0,1,0]
.LBB392_14:                             ;   in Loop: Header=BB392_17 Depth=1
	s_or_b32 exec_lo, exec_lo, s26
	s_waitcnt vmcnt(3)
	v_fma_mix_f32 v5, v37, v33, v17 op_sel_hi:[0,1,0]
	s_waitcnt vmcnt(2)
	s_delay_alu instid0(VALU_DEP_1) | instskip(SKIP_1) | instid1(VALU_DEP_1)
	v_fma_mix_f32 v5, v38, v34, v5 op_sel_hi:[0,1,0]
	s_waitcnt vmcnt(1)
	v_fma_mix_f32 v5, v39, v35, v5 op_sel_hi:[0,1,0]
	s_waitcnt vmcnt(0)
	s_delay_alu instid0(VALU_DEP_1)
	v_fma_mix_f32 v17, v40, v36, v5 op_sel_hi:[0,1,0]
.LBB392_15:                             ;   in Loop: Header=BB392_17 Depth=1
	s_or_b32 exec_lo, exec_lo, s3
	s_waitcnt vmcnt(3)
	v_fma_mix_f32 v5, v25, v29, v18 op_sel_hi:[1,1,0]
	s_waitcnt vmcnt(2)
	s_delay_alu instid0(VALU_DEP_1) | instskip(SKIP_1) | instid1(VALU_DEP_1)
	v_fma_mix_f32 v5, v26, v30, v5 op_sel_hi:[1,1,0]
	s_waitcnt vmcnt(1)
	v_fma_mix_f32 v5, v27, v31, v5 op_sel_hi:[1,1,0]
	s_waitcnt vmcnt(0)
	s_delay_alu instid0(VALU_DEP_1)
	v_fma_mix_f32 v18, v28, v32, v5 op_sel_hi:[1,1,0]
.LBB392_16:                             ;   in Loop: Header=BB392_17 Depth=1
	s_or_b32 exec_lo, exec_lo, s25
	v_add_nc_u32_e32 v19, 64, v19
	v_add_nc_u32_e32 v20, s21, v20
	;; [unrolled: 1-line block ×5, first 2 shown]
	v_cmp_le_i32_e64 s3, s14, v19
	s_add_i32 s24, s24, s23
	s_delay_alu instid0(VALU_DEP_1) | instskip(NEXT) | instid1(SALU_CYCLE_1)
	s_or_b32 s22, s3, s22
	s_and_not1_b32 exec_lo, exec_lo, s22
	s_cbranch_execz .LBB392_22
.LBB392_17:                             ; =>This Inner Loop Header: Depth=1
	s_and_saveexec_b32 s25, vcc_lo
	s_cbranch_execz .LBB392_16
; %bb.18:                               ;   in Loop: Header=BB392_17 Depth=1
	v_add_nc_u32_e32 v5, s24, v24
	v_add_nc_u32_e32 v7, s24, v4
	;; [unrolled: 1-line block ×5, first 2 shown]
	v_ashrrev_i32_e32 v6, 31, v5
	v_ashrrev_i32_e32 v8, 31, v7
	;; [unrolled: 1-line block ×5, first 2 shown]
	v_lshlrev_b64 v[5:6], 1, v[5:6]
	v_lshlrev_b64 v[7:8], 1, v[7:8]
	;; [unrolled: 1-line block ×3, first 2 shown]
	s_delay_alu instid0(VALU_DEP_3) | instskip(NEXT) | instid1(VALU_DEP_1)
	v_add_co_u32 v27, s3, s10, v5
	v_add_co_ci_u32_e64 v28, s3, s11, v6, s3
	s_delay_alu instid0(VALU_DEP_4)
	v_add_co_u32 v29, s3, s10, v7
	v_add_nc_u32_e32 v7, s9, v20
	v_add_co_ci_u32_e64 v30, s3, s11, v8, s3
	v_lshlrev_b64 v[5:6], 1, v[11:12]
	v_add_co_u32 v31, s3, s10, v9
	v_add_nc_u32_e32 v11, s9, v2
	v_add_co_ci_u32_e64 v32, s3, s11, v10, s3
	v_lshlrev_b64 v[9:10], 1, v[25:26]
	v_ashrrev_i32_e32 v8, 31, v7
	v_add_nc_u32_e32 v25, s9, v3
	v_add_co_u32 v33, s3, s10, v5
	v_ashrrev_i32_e32 v12, 31, v11
	v_add_co_ci_u32_e64 v34, s3, s11, v6, s3
	v_lshlrev_b64 v[7:8], 1, v[7:8]
	v_add_co_u32 v5, s3, s15, v9
	v_ashrrev_i32_e32 v26, 31, v25
	v_add_co_ci_u32_e64 v6, s3, s18, v10, s3
	v_lshlrev_b64 v[9:10], 1, v[11:12]
	v_add_co_u32 v7, s3, s15, v7
	s_delay_alu instid0(VALU_DEP_4) | instskip(SKIP_1) | instid1(VALU_DEP_4)
	v_lshlrev_b64 v[11:12], 1, v[25:26]
	v_add_co_ci_u32_e64 v8, s3, s18, v8, s3
	v_add_co_u32 v9, s3, s15, v9
	s_delay_alu instid0(VALU_DEP_1) | instskip(NEXT) | instid1(VALU_DEP_4)
	v_add_co_ci_u32_e64 v10, s3, s18, v10, s3
	v_add_co_u32 v11, s3, s15, v11
	s_delay_alu instid0(VALU_DEP_1)
	v_add_co_ci_u32_e64 v12, s3, s18, v12, s3
	s_clause 0x3
	global_load_u16 v25, v[27:28], off
	global_load_u16 v26, v[29:30], off
	global_load_u16 v27, v[31:32], off
	global_load_u16 v28, v[33:34], off
	s_clause 0x3
	global_load_u16 v29, v[5:6], off
	global_load_u16 v30, v[7:8], off
	;; [unrolled: 1-line block ×4, first 2 shown]
	s_and_saveexec_b32 s3, s0
	s_cbranch_execz .LBB392_15
; %bb.19:                               ;   in Loop: Header=BB392_17 Depth=1
	s_clause 0x3
	global_load_u16 v33, v[5:6], off offset:128
	global_load_u16 v34, v[7:8], off offset:128
	;; [unrolled: 1-line block ×4, first 2 shown]
	s_waitcnt vmcnt(11)
	v_cvt_f32_f16_e32 v37, v25
	s_waitcnt vmcnt(10)
	v_cvt_f32_f16_e32 v38, v26
	;; [unrolled: 2-line block ×4, first 2 shown]
	s_and_saveexec_b32 s26, s1
	s_cbranch_execz .LBB392_14
; %bb.20:                               ;   in Loop: Header=BB392_17 Depth=1
	s_clause 0x3
	global_load_u16 v41, v[5:6], off offset:256
	global_load_u16 v42, v[7:8], off offset:256
	;; [unrolled: 1-line block ×4, first 2 shown]
	s_and_saveexec_b32 s27, s2
	s_cbranch_execz .LBB392_13
; %bb.21:                               ;   in Loop: Header=BB392_17 Depth=1
	s_clause 0x3
	global_load_u16 v5, v[5:6], off offset:384
	global_load_u16 v6, v[7:8], off offset:384
	;; [unrolled: 1-line block ×4, first 2 shown]
	s_waitcnt vmcnt(3)
	v_fma_mix_f32 v5, v37, v5, v14 op_sel_hi:[0,1,0]
	s_waitcnt vmcnt(2)
	s_delay_alu instid0(VALU_DEP_1) | instskip(SKIP_1) | instid1(VALU_DEP_1)
	v_fma_mix_f32 v5, v38, v6, v5 op_sel_hi:[0,1,0]
	s_waitcnt vmcnt(1)
	v_fma_mix_f32 v5, v39, v7, v5 op_sel_hi:[0,1,0]
	s_waitcnt vmcnt(0)
	s_delay_alu instid0(VALU_DEP_1)
	v_fma_mix_f32 v14, v40, v8, v5 op_sel_hi:[0,1,0]
	s_branch .LBB392_13
.LBB392_22:
	s_or_b32 exec_lo, exec_lo, s22
.LBB392_23:
	s_delay_alu instid0(SALU_CYCLE_1) | instskip(SKIP_1) | instid1(SALU_CYCLE_1)
	s_or_b32 exec_lo, exec_lo, s20
	s_sub_i32 s0, s5, s14
	s_cmp_lt_i32 s0, 1
	s_cbranch_scc1 .LBB392_41
; %bb.24:
	v_cmp_gt_i32_e32 vcc_lo, s5, v19
	v_dual_mov_b32 v10, 0 :: v_dual_mov_b32 v11, 0
	v_or_b32_e32 v2, 1, v19
	v_mov_b32_e32 v12, 0
	v_mov_b32_e32 v20, 0
	s_and_saveexec_b32 s1, vcc_lo
	s_cbranch_execz .LBB392_32
; %bb.25:
	s_waitcnt lgkmcnt(0)
	v_mul_lo_u32 v3, v19, s8
	v_dual_mov_b32 v12, 0 :: v_dual_mov_b32 v11, 0
	v_mov_b32_e32 v10, 0
	s_mov_b32 s2, exec_lo
	s_delay_alu instid0(VALU_DEP_3) | instskip(NEXT) | instid1(VALU_DEP_1)
	v_ashrrev_i32_e32 v4, 31, v3
	v_lshlrev_b64 v[3:4], 1, v[3:4]
	s_delay_alu instid0(VALU_DEP_1) | instskip(NEXT) | instid1(VALU_DEP_1)
	v_add_co_u32 v3, s0, s10, v3
	v_add_co_ci_u32_e64 v4, s0, s11, v4, s0
	global_load_u16 v3, v[3:4], off
	v_cmpx_gt_i32_e64 s5, v2
	s_cbranch_execz .LBB392_31
; %bb.26:
	v_mul_lo_u32 v4, v2, s8
	v_dual_mov_b32 v11, 0 :: v_dual_mov_b32 v10, 0
	s_mov_b32 s3, exec_lo
	s_delay_alu instid0(VALU_DEP_2) | instskip(NEXT) | instid1(VALU_DEP_1)
	v_ashrrev_i32_e32 v5, 31, v4
	v_lshlrev_b64 v[4:5], 1, v[4:5]
	s_delay_alu instid0(VALU_DEP_1) | instskip(NEXT) | instid1(VALU_DEP_1)
	v_add_co_u32 v4, s0, s10, v4
	v_add_co_ci_u32_e64 v5, s0, s11, v5, s0
	global_load_u16 v4, v[4:5], off
	v_or_b32_e32 v5, 2, v19
	s_delay_alu instid0(VALU_DEP_1)
	v_cmpx_gt_i32_e64 s5, v5
	s_cbranch_execz .LBB392_30
; %bb.27:
	v_mul_lo_u32 v5, v5, s8
	v_mov_b32_e32 v10, 0
	s_mov_b32 s14, exec_lo
	s_delay_alu instid0(VALU_DEP_2) | instskip(NEXT) | instid1(VALU_DEP_1)
	v_ashrrev_i32_e32 v6, 31, v5
	v_lshlrev_b64 v[5:6], 1, v[5:6]
	s_delay_alu instid0(VALU_DEP_1) | instskip(NEXT) | instid1(VALU_DEP_1)
	v_add_co_u32 v5, s0, s10, v5
	v_add_co_ci_u32_e64 v6, s0, s11, v6, s0
	global_load_u16 v5, v[5:6], off
	v_or_b32_e32 v6, 3, v19
	s_delay_alu instid0(VALU_DEP_1)
	v_cmpx_gt_i32_e64 s5, v6
	s_cbranch_execz .LBB392_29
; %bb.28:
	v_mul_lo_u32 v6, v6, s8
	s_delay_alu instid0(VALU_DEP_1) | instskip(NEXT) | instid1(VALU_DEP_1)
	v_ashrrev_i32_e32 v7, 31, v6
	v_lshlrev_b64 v[6:7], 1, v[6:7]
	s_delay_alu instid0(VALU_DEP_1) | instskip(NEXT) | instid1(VALU_DEP_1)
	v_add_co_u32 v6, s0, s10, v6
	v_add_co_ci_u32_e64 v7, s0, s11, v7, s0
	global_load_u16 v6, v[6:7], off
	s_waitcnt vmcnt(0)
	v_cvt_f32_f16_e32 v10, v6
.LBB392_29:
	s_or_b32 exec_lo, exec_lo, s14
	s_waitcnt vmcnt(0)
	v_cvt_f32_f16_e32 v11, v5
.LBB392_30:
	s_or_b32 exec_lo, exec_lo, s3
	s_waitcnt vmcnt(0)
	v_cvt_f32_f16_e32 v12, v4
.LBB392_31:
	s_or_b32 exec_lo, exec_lo, s2
	s_waitcnt vmcnt(0)
	v_cvt_f32_f16_e32 v20, v3
.LBB392_32:
	s_or_b32 exec_lo, exec_lo, s1
	s_delay_alu instid0(SALU_CYCLE_1)
	s_mov_b32 s1, exec_lo
	v_cmpx_gt_i32_e64 s4, v16
	s_cbranch_execz .LBB392_40
; %bb.33:
	v_mul_lo_u32 v3, v19, s19
	v_mul_lo_u32 v5, v2, s19
	v_or_b32_e32 v4, 2, v19
	v_or_b32_e32 v6, 3, v19
	s_mov_b32 s0, exec_lo
	s_delay_alu instid0(VALU_DEP_2)
	v_mul_lo_u32 v7, v4, s19
	v_cndmask_b32_e32 v3, 0, v3, vcc_lo
	v_cmp_gt_i32_e32 vcc_lo, s5, v2
	v_mul_lo_u32 v8, v6, s19
	v_cndmask_b32_e32 v5, 0, v5, vcc_lo
	v_cmp_gt_i32_e32 vcc_lo, s5, v4
	s_delay_alu instid0(VALU_DEP_2) | instskip(SKIP_2) | instid1(VALU_DEP_3)
	v_add_nc_u32_e32 v4, v5, v16
	v_dual_cndmask_b32 v7, 0, v7 :: v_dual_add_nc_u32 v2, v3, v16
	v_cmp_gt_i32_e32 vcc_lo, s5, v6
	v_ashrrev_i32_e32 v5, 31, v4
	s_delay_alu instid0(VALU_DEP_3) | instskip(SKIP_2) | instid1(VALU_DEP_4)
	v_ashrrev_i32_e32 v3, 31, v2
	v_cndmask_b32_e32 v8, 0, v8, vcc_lo
	v_add_nc_u32_e32 v6, v7, v16
	v_lshlrev_b64 v[4:5], 1, v[4:5]
	s_delay_alu instid0(VALU_DEP_4) | instskip(NEXT) | instid1(VALU_DEP_4)
	v_lshlrev_b64 v[2:3], 1, v[2:3]
	v_add_nc_u32_e32 v8, v8, v16
	s_delay_alu instid0(VALU_DEP_4) | instskip(NEXT) | instid1(VALU_DEP_3)
	v_ashrrev_i32_e32 v7, 31, v6
	v_add_co_u32 v2, vcc_lo, s15, v2
	s_delay_alu instid0(VALU_DEP_2)
	v_lshlrev_b64 v[6:7], 1, v[6:7]
	v_add_co_ci_u32_e32 v3, vcc_lo, s18, v3, vcc_lo
	v_ashrrev_i32_e32 v9, 31, v8
	v_add_co_u32 v4, vcc_lo, s15, v4
	v_add_co_ci_u32_e32 v5, vcc_lo, s18, v5, vcc_lo
	global_load_u16 v21, v[2:3], off
	v_add_co_u32 v6, vcc_lo, s15, v6
	v_add_co_ci_u32_e32 v7, vcc_lo, s18, v7, vcc_lo
	v_lshlrev_b64 v[8:9], 1, v[8:9]
	s_clause 0x1
	global_load_u16 v22, v[4:5], off
	global_load_u16 v23, v[6:7], off
	v_add_co_u32 v8, vcc_lo, s15, v8
	v_add_co_ci_u32_e32 v9, vcc_lo, s18, v9, vcc_lo
	global_load_u16 v19, v[8:9], off
	s_waitcnt vmcnt(3)
	v_fma_mix_f32 v18, v20, v21, v18 op_sel_hi:[0,1,0]
	v_add_nc_u32_e32 v21, 64, v16
	s_waitcnt vmcnt(2)
	s_delay_alu instid0(VALU_DEP_2) | instskip(SKIP_1) | instid1(VALU_DEP_1)
	v_fma_mix_f32 v18, v12, v22, v18 op_sel_hi:[0,1,0]
	s_waitcnt vmcnt(1)
	v_fma_mix_f32 v18, v11, v23, v18 op_sel_hi:[0,1,0]
	v_cmpx_gt_i32_e64 s4, v21
	s_cbranch_execz .LBB392_39
; %bb.34:
	s_clause 0x3
	global_load_u16 v22, v[2:3], off offset:128
	global_load_u16 v23, v[4:5], off offset:128
	;; [unrolled: 1-line block ×4, first 2 shown]
	s_mov_b32 s2, exec_lo
	s_waitcnt vmcnt(3)
	v_fma_mix_f32 v17, v20, v22, v17 op_sel_hi:[0,1,0]
	v_add_nc_u32_e32 v22, 0x80, v16
	s_waitcnt vmcnt(2)
	s_delay_alu instid0(VALU_DEP_2) | instskip(SKIP_1) | instid1(VALU_DEP_1)
	v_fma_mix_f32 v17, v12, v23, v17 op_sel_hi:[0,1,0]
	s_waitcnt vmcnt(1)
	v_fma_mix_f32 v17, v11, v24, v17 op_sel_hi:[0,1,0]
	v_cmpx_gt_i32_e64 s4, v22
	s_cbranch_execz .LBB392_38
; %bb.35:
	s_clause 0x3
	global_load_u16 v23, v[2:3], off offset:256
	global_load_u16 v24, v[4:5], off offset:256
	;; [unrolled: 1-line block ×4, first 2 shown]
	v_add_nc_u32_e32 v16, 0xc0, v16
	s_mov_b32 s3, exec_lo
	s_waitcnt vmcnt(3)
	v_fma_mix_f32 v15, v20, v23, v15 op_sel_hi:[0,1,0]
	s_waitcnt vmcnt(2)
	s_delay_alu instid0(VALU_DEP_1) | instskip(SKIP_1) | instid1(VALU_DEP_1)
	v_fma_mix_f32 v15, v12, v24, v15 op_sel_hi:[0,1,0]
	s_waitcnt vmcnt(1)
	v_fma_mix_f32 v15, v11, v25, v15 op_sel_hi:[0,1,0]
	v_cmpx_gt_i32_e64 s4, v16
	s_cbranch_execz .LBB392_37
; %bb.36:
	s_clause 0x3
	global_load_u16 v2, v[2:3], off offset:384
	global_load_u16 v3, v[4:5], off offset:384
	;; [unrolled: 1-line block ×4, first 2 shown]
	s_waitcnt vmcnt(3)
	v_fma_mix_f32 v2, v20, v2, v14 op_sel_hi:[0,1,0]
	s_waitcnt vmcnt(2)
	s_delay_alu instid0(VALU_DEP_1) | instskip(SKIP_1) | instid1(VALU_DEP_1)
	v_fma_mix_f32 v2, v12, v3, v2 op_sel_hi:[0,1,0]
	s_waitcnt vmcnt(1)
	v_fma_mix_f32 v2, v11, v4, v2 op_sel_hi:[0,1,0]
	s_waitcnt vmcnt(0)
	s_delay_alu instid0(VALU_DEP_1)
	v_fma_mix_f32 v14, v10, v5, v2 op_sel_hi:[0,1,0]
.LBB392_37:
	s_or_b32 exec_lo, exec_lo, s3
	s_waitcnt vmcnt(0)
	v_fma_mix_f32 v15, v10, v22, v15 op_sel_hi:[0,1,0]
.LBB392_38:
	s_or_b32 exec_lo, exec_lo, s2
	s_waitcnt vmcnt(0)
	v_fma_mix_f32 v17, v10, v21, v17 op_sel_hi:[0,1,0]
.LBB392_39:
	s_or_b32 exec_lo, exec_lo, s0
	s_waitcnt vmcnt(0)
	v_fma_mix_f32 v18, v10, v19, v18 op_sel_hi:[0,1,0]
.LBB392_40:
	s_or_b32 exec_lo, exec_lo, s1
.LBB392_41:
	v_lshlrev_b32_e32 v2, 8, v13
	s_mov_b32 s0, exec_lo
                                        ; implicit-def: $vgpr5
	s_delay_alu instid0(VALU_DEP_1)
	v_add_lshl_u32 v1, v2, v1, 2
                                        ; implicit-def: $vgpr2_vgpr3
	ds_store_2addr_stride64_b32 v1, v18, v17 offset1:1
	ds_store_2addr_stride64_b32 v1, v15, v14 offset0:2 offset1:3
	s_waitcnt lgkmcnt(0)
	s_barrier
	buffer_gl0_inv
	v_cmpx_gt_u32_e32 0x100, v0
	s_cbranch_execz .LBB392_47
; %bb.42:
	v_lshlrev_b32_e32 v7, 2, v0
	s_mov_b32 s2, s16
	s_mov_b32 s1, exec_lo
	ds_load_2addr_stride64_b32 v[1:2], v7 offset1:4
	ds_load_2addr_stride64_b32 v[3:4], v7 offset0:8 offset1:12
	ds_load_2addr_stride64_b32 v[5:6], v7 offset0:16 offset1:20
	s_waitcnt lgkmcnt(2)
	v_add_f32_e32 v8, v1, v2
	ds_load_2addr_stride64_b32 v[1:2], v7 offset0:24 offset1:28
	s_waitcnt lgkmcnt(2)
	v_add_f32_e32 v3, v3, v8
	s_delay_alu instid0(VALU_DEP_1) | instskip(SKIP_3) | instid1(VALU_DEP_1)
	v_add_f32_e32 v8, v4, v3
	ds_load_2addr_stride64_b32 v[3:4], v7 offset0:32 offset1:36
	s_waitcnt lgkmcnt(2)
	v_add_f32_e32 v5, v5, v8
	v_add_f32_e32 v8, v6, v5
	ds_load_2addr_stride64_b32 v[5:6], v7 offset0:40 offset1:44
	s_waitcnt lgkmcnt(2)
	v_add_f32_e32 v1, v1, v8
	s_delay_alu instid0(VALU_DEP_1) | instskip(SKIP_1) | instid1(VALU_DEP_1)
	v_add_f32_e32 v1, v2, v1
	s_waitcnt lgkmcnt(1)
	v_add_f32_e32 v3, v3, v1
	ds_load_2addr_stride64_b32 v[1:2], v7 offset0:48 offset1:52
	v_add_f32_e32 v3, v4, v3
	s_waitcnt lgkmcnt(1)
	s_delay_alu instid0(VALU_DEP_1) | instskip(SKIP_3) | instid1(VALU_DEP_1)
	v_add_f32_e32 v5, v5, v3
	ds_load_2addr_stride64_b32 v[3:4], v7 offset0:56 offset1:60
	v_add_f32_e32 v5, v6, v5
	s_waitcnt lgkmcnt(1)
	v_add_f32_e32 v1, v1, v5
                                        ; implicit-def: $vgpr5
	s_delay_alu instid0(VALU_DEP_1) | instskip(SKIP_1) | instid1(VALU_DEP_1)
	v_add_f32_e32 v1, v2, v1
	s_waitcnt lgkmcnt(0)
	v_add_f32_e32 v2, v3, v1
	v_or_b32_e32 v1, s9, v0
	s_delay_alu instid0(VALU_DEP_2)
	v_add_f32_e32 v0, v4, v2
                                        ; implicit-def: $vgpr2_vgpr3
	ds_store_b32 v7, v0
	v_cmpx_gt_i32_e64 s4, v1
	s_cbranch_execz .LBB392_46
; %bb.43:
	v_mul_lo_u32 v2, v1, s17
	v_cmp_eq_f32_e64 s2, s13, 0
	v_mul_f32_e32 v0, s6, v0
	s_delay_alu instid0(VALU_DEP_2) | instskip(NEXT) | instid1(VALU_DEP_3)
	s_and_b32 vcc_lo, exec_lo, s2
	v_ashrrev_i32_e32 v3, 31, v2
	s_cbranch_vccnz .LBB392_45
; %bb.44:
	s_delay_alu instid0(VALU_DEP_1) | instskip(NEXT) | instid1(VALU_DEP_1)
	v_lshlrev_b64 v[4:5], 1, v[2:3]
	v_add_co_u32 v4, vcc_lo, s7, v4
	s_delay_alu instid0(VALU_DEP_2)
	v_add_co_ci_u32_e32 v5, vcc_lo, s12, v5, vcc_lo
	global_load_u16 v1, v[4:5], off
	s_waitcnt vmcnt(0)
	v_fma_mix_f32 v0, v1, s13, v0 op_sel_hi:[1,0,0]
.LBB392_45:
	s_delay_alu instid0(VALU_DEP_1)
	v_cvt_f16_f32_e32 v5, v0
	s_or_b32 s2, s16, exec_lo
.LBB392_46:
	s_or_b32 exec_lo, exec_lo, s1
	s_delay_alu instid0(SALU_CYCLE_1) | instskip(SKIP_1) | instid1(SALU_CYCLE_1)
	s_and_not1_b32 s1, s16, exec_lo
	s_and_b32 s2, s2, exec_lo
	s_or_b32 s16, s1, s2
.LBB392_47:
	s_or_b32 exec_lo, exec_lo, s0
.LBB392_48:
	s_and_saveexec_b32 s0, s16
	s_cbranch_execz .LBB392_50
; %bb.49:
	v_lshlrev_b64 v[0:1], 1, v[2:3]
	s_delay_alu instid0(VALU_DEP_1) | instskip(NEXT) | instid1(VALU_DEP_2)
	v_add_co_u32 v0, vcc_lo, s7, v0
	v_add_co_ci_u32_e32 v1, vcc_lo, s12, v1, vcc_lo
	global_store_b16 v[0:1], v5, off
.LBB392_50:
	s_nop 0
	s_sendmsg sendmsg(MSG_DEALLOC_VGPRS)
	s_endpgm
	.section	.rodata,"a",@progbits
	.p2align	6, 0x0
	.amdhsa_kernel _ZL20rocblas_gemvn_kernelILi64ELi16EiDF16_fDF16_EviiT3_lPKT2_lT1_lS3_lS4_lS0_lPT4_lS4_li
		.amdhsa_group_segment_fixed_size 16384
		.amdhsa_private_segment_fixed_size 0
		.amdhsa_kernarg_size 400
		.amdhsa_user_sgpr_count 14
		.amdhsa_user_sgpr_dispatch_ptr 0
		.amdhsa_user_sgpr_queue_ptr 0
		.amdhsa_user_sgpr_kernarg_segment_ptr 1
		.amdhsa_user_sgpr_dispatch_id 0
		.amdhsa_user_sgpr_private_segment_size 0
		.amdhsa_wavefront_size32 1
		.amdhsa_uses_dynamic_stack 0
		.amdhsa_enable_private_segment 0
		.amdhsa_system_sgpr_workgroup_id_x 1
		.amdhsa_system_sgpr_workgroup_id_y 0
		.amdhsa_system_sgpr_workgroup_id_z 1
		.amdhsa_system_sgpr_workgroup_info 0
		.amdhsa_system_vgpr_workitem_id 1
		.amdhsa_next_free_vgpr 45
		.amdhsa_next_free_sgpr 28
		.amdhsa_reserve_vcc 1
		.amdhsa_float_round_mode_32 0
		.amdhsa_float_round_mode_16_64 0
		.amdhsa_float_denorm_mode_32 3
		.amdhsa_float_denorm_mode_16_64 3
		.amdhsa_dx10_clamp 1
		.amdhsa_ieee_mode 1
		.amdhsa_fp16_overflow 0
		.amdhsa_workgroup_processor_mode 1
		.amdhsa_memory_ordered 1
		.amdhsa_forward_progress 0
		.amdhsa_shared_vgpr_count 0
		.amdhsa_exception_fp_ieee_invalid_op 0
		.amdhsa_exception_fp_denorm_src 0
		.amdhsa_exception_fp_ieee_div_zero 0
		.amdhsa_exception_fp_ieee_overflow 0
		.amdhsa_exception_fp_ieee_underflow 0
		.amdhsa_exception_fp_ieee_inexact 0
		.amdhsa_exception_int_div_zero 0
	.end_amdhsa_kernel
	.section	.text._ZL20rocblas_gemvn_kernelILi64ELi16EiDF16_fDF16_EviiT3_lPKT2_lT1_lS3_lS4_lS0_lPT4_lS4_li,"axG",@progbits,_ZL20rocblas_gemvn_kernelILi64ELi16EiDF16_fDF16_EviiT3_lPKT2_lT1_lS3_lS4_lS0_lPT4_lS4_li,comdat
.Lfunc_end392:
	.size	_ZL20rocblas_gemvn_kernelILi64ELi16EiDF16_fDF16_EviiT3_lPKT2_lT1_lS3_lS4_lS0_lPT4_lS4_li, .Lfunc_end392-_ZL20rocblas_gemvn_kernelILi64ELi16EiDF16_fDF16_EviiT3_lPKT2_lT1_lS3_lS4_lS0_lPT4_lS4_li
                                        ; -- End function
	.section	.AMDGPU.csdata,"",@progbits
; Kernel info:
; codeLenInByte = 3184
; NumSgprs: 30
; NumVgprs: 45
; ScratchSize: 0
; MemoryBound: 0
; FloatMode: 240
; IeeeMode: 1
; LDSByteSize: 16384 bytes/workgroup (compile time only)
; SGPRBlocks: 3
; VGPRBlocks: 5
; NumSGPRsForWavesPerEU: 30
; NumVGPRsForWavesPerEU: 45
; Occupancy: 16
; WaveLimiterHint : 1
; COMPUTE_PGM_RSRC2:SCRATCH_EN: 0
; COMPUTE_PGM_RSRC2:USER_SGPR: 14
; COMPUTE_PGM_RSRC2:TRAP_HANDLER: 0
; COMPUTE_PGM_RSRC2:TGID_X_EN: 1
; COMPUTE_PGM_RSRC2:TGID_Y_EN: 0
; COMPUTE_PGM_RSRC2:TGID_Z_EN: 1
; COMPUTE_PGM_RSRC2:TIDIG_COMP_CNT: 1
	.section	.text._ZL20rocblas_gemvn_kernelILi64ELi16ElDF16_fDF16_EviiT3_lPKT2_lT1_lS3_lS4_lS0_lPT4_lS4_li,"axG",@progbits,_ZL20rocblas_gemvn_kernelILi64ELi16ElDF16_fDF16_EviiT3_lPKT2_lT1_lS3_lS4_lS0_lPT4_lS4_li,comdat
	.globl	_ZL20rocblas_gemvn_kernelILi64ELi16ElDF16_fDF16_EviiT3_lPKT2_lT1_lS3_lS4_lS0_lPT4_lS4_li ; -- Begin function _ZL20rocblas_gemvn_kernelILi64ELi16ElDF16_fDF16_EviiT3_lPKT2_lT1_lS3_lS4_lS0_lPT4_lS4_li
	.p2align	8
	.type	_ZL20rocblas_gemvn_kernelILi64ELi16ElDF16_fDF16_EviiT3_lPKT2_lT1_lS3_lS4_lS0_lPT4_lS4_li,@function
_ZL20rocblas_gemvn_kernelILi64ELi16ElDF16_fDF16_EviiT3_lPKT2_lT1_lS3_lS4_lS0_lPT4_lS4_li: ; @_ZL20rocblas_gemvn_kernelILi64ELi16ElDF16_fDF16_EviiT3_lPKT2_lT1_lS3_lS4_lS0_lPT4_lS4_li
; %bb.0:
	s_load_b64 s[2:3], s[0:1], 0x9c
	s_waitcnt lgkmcnt(0)
	s_lshr_b32 s4, s2, 16
	s_and_b32 s2, s2, 0xffff
	s_and_b32 s3, s3, 0xffff
	s_mul_i32 s2, s4, s2
	s_delay_alu instid0(SALU_CYCLE_1) | instskip(NEXT) | instid1(SALU_CYCLE_1)
	s_mul_i32 s2, s2, s3
	s_cmpk_lg_i32 s2, 0x400
	s_cbranch_scc1 .LBB393_50
; %bb.1:
	s_clause 0x1
	s_load_b128 s[36:39], s[0:1], 0x0
	s_load_b32 s34, s[0:1], 0x58
	s_mov_b32 s35, 0
	s_waitcnt lgkmcnt(0)
	v_cmp_eq_f32_e64 s2, s38, 0
	v_cmp_eq_f32_e64 s3, s34, 1.0
	s_delay_alu instid0(VALU_DEP_1) | instskip(NEXT) | instid1(SALU_CYCLE_1)
	s_and_b32 s2, s2, s3
	s_and_b32 vcc_lo, exec_lo, s2
	s_cbranch_vccnz .LBB393_50
; %bb.2:
	s_load_b256 s[4:11], s[0:1], 0x68
	v_and_b32_e32 v12, 0x3ff, v0
	v_bfe_u32 v13, v0, 10, 10
	s_delay_alu instid0(VALU_DEP_1)
	v_lshl_add_u32 v11, v13, 6, v12
	s_waitcnt lgkmcnt(0)
	s_mul_i32 s3, s15, s11
	s_mul_hi_u32 s11, s15, s10
	s_mul_i32 s2, s15, s10
	s_add_i32 s3, s11, s3
	v_cmp_neq_f32_e64 s10, s38, 0
	s_lshl_b64 s[2:3], s[2:3], 1
	s_delay_alu instid0(SALU_CYCLE_1) | instskip(SKIP_2) | instid1(SALU_CYCLE_1)
	s_add_u32 s4, s4, s2
	s_addc_u32 s11, s5, s3
	s_lshl_b64 s[2:3], s[6:7], 1
	s_add_u32 s5, s4, s2
	v_cmp_gt_u32_e64 s2, 0x100, v11
	s_addc_u32 s33, s11, s3
	s_and_b32 vcc_lo, exec_lo, s10
	s_cbranch_vccnz .LBB393_7
; %bb.3:
	s_mov_b32 s3, 0
                                        ; implicit-def: $vgpr3
                                        ; implicit-def: $vgpr0_vgpr1
	s_and_saveexec_b32 s4, s2
	s_cbranch_execz .LBB393_8
; %bb.4:
	v_lshl_or_b32 v2, s14, 8, v11
	v_mov_b32_e32 v3, 0
	s_ashr_i32 s7, s36, 31
	s_mov_b32 s6, s36
                                        ; implicit-def: $vgpr0_vgpr1
	s_delay_alu instid0(VALU_DEP_1) | instid1(SALU_CYCLE_1)
	v_cmp_gt_i64_e32 vcc_lo, s[6:7], v[2:3]
	s_mov_b32 s6, 0
                                        ; implicit-def: $vgpr3
	s_and_saveexec_b32 s2, vcc_lo
	s_cbranch_execz .LBB393_10
; %bb.5:
	v_mad_u64_u32 v[0:1], null, v2, s8, 0
	v_cmp_eq_f32_e64 s6, s34, 0
	s_delay_alu instid0(VALU_DEP_1) | instskip(NEXT) | instid1(VALU_DEP_2)
	s_and_b32 vcc_lo, exec_lo, s6
	v_mad_u64_u32 v[3:4], null, v2, s9, v[1:2]
	s_delay_alu instid0(VALU_DEP_1)
	v_mov_b32_e32 v1, v3
	s_cbranch_vccnz .LBB393_9
; %bb.6:
	s_delay_alu instid0(VALU_DEP_1) | instskip(SKIP_1) | instid1(VALU_DEP_1)
	v_lshlrev_b64 v[2:3], 1, v[0:1]
	s_mov_b32 s6, exec_lo
	v_add_co_u32 v2, vcc_lo, s5, v2
	s_delay_alu instid0(VALU_DEP_2)
	v_add_co_ci_u32_e32 v3, vcc_lo, s33, v3, vcc_lo
	global_load_u16 v2, v[2:3], off
	s_waitcnt vmcnt(0)
	v_fma_mixlo_f16 v3, v2, s34, 0 op_sel_hi:[1,0,0]
	s_branch .LBB393_10
.LBB393_7:
                                        ; implicit-def: $vgpr3
                                        ; implicit-def: $vgpr0_vgpr1
	s_cbranch_execnz .LBB393_11
	s_branch .LBB393_48
.LBB393_8:
	s_or_b32 exec_lo, exec_lo, s4
	s_delay_alu instid0(SALU_CYCLE_1)
	s_and_b32 vcc_lo, exec_lo, s3
	s_cbranch_vccnz .LBB393_11
	s_branch .LBB393_48
.LBB393_9:
	v_mov_b32_e32 v3, 0
	s_mov_b32 s6, exec_lo
.LBB393_10:
	s_or_b32 exec_lo, exec_lo, s2
	s_delay_alu instid0(SALU_CYCLE_1) | instskip(SKIP_1) | instid1(SALU_CYCLE_1)
	s_and_b32 s35, s6, exec_lo
	s_or_b32 exec_lo, exec_lo, s4
	s_and_b32 vcc_lo, exec_lo, s3
	s_cbranch_vccz .LBB393_48
.LBB393_11:
	s_load_b512 s[16:31], s[0:1], 0x18
	s_ashr_i32 s0, s37, 31
	s_lshl_b32 s39, s14, 8
	s_lshr_b32 s0, s0, 26
	v_dual_mov_b32 v17, 0 :: v_dual_lshlrev_b32 v14, 2, v13
	v_dual_mov_b32 v18, 0 :: v_dual_mov_b32 v15, 0
	v_mov_b32_e32 v16, 0
	v_add_nc_u32_e32 v0, s39, v12
	s_add_i32 s40, s37, s0
	s_delay_alu instid0(SALU_CYCLE_1)
	s_and_not1_b32 s40, s40, 63
	s_waitcnt lgkmcnt(0)
	s_mul_i32 s0, s15, s23
	s_mul_hi_u32 s1, s15, s22
	s_mul_i32 s2, s15, s31
	s_mul_hi_u32 s3, s15, s30
	s_mul_i32 s6, s15, s22
	s_add_i32 s7, s1, s0
	s_add_i32 s11, s3, s2
	s_mul_i32 s10, s15, s30
	s_mov_b32 s30, exec_lo
	v_cmpx_gt_i32_e64 s40, v14
	s_cbranch_execz .LBB393_23
; %bb.12:
	v_lshlrev_b32_e32 v29, 2, v13
	v_mad_u64_u32 v[2:3], null, s28, v13, 0
	v_add_nc_u32_e32 v15, 64, v0
	s_lshl_b64 s[0:1], s[10:11], 1
	s_delay_alu instid0(VALU_DEP_3)
	v_or_b32_e32 v17, 3, v29
	s_lshl_b64 s[12:13], s[26:27], 1
	s_add_u32 s4, s24, s0
	s_addc_u32 s31, s25, s1
	v_cmp_gt_i32_e64 s0, s36, v15
	v_mad_u64_u32 v[4:5], null, s20, v17, 0
	s_lshl_b64 s[22:23], s[18:19], 1
	s_lshl_b64 s[14:15], s[28:29], 7
	;; [unrolled: 1-line block ×3, first 2 shown]
	v_ashrrev_i32_e32 v1, 31, v0
	v_cmp_gt_i32_e32 vcc_lo, s36, v0
	s_delay_alu instid0(VALU_DEP_3) | instskip(SKIP_3) | instid1(VALU_DEP_4)
	v_mad_u64_u32 v[6:7], null, s29, v13, v[3:4]
	v_add_nc_u32_e32 v16, 0x80, v0
	v_mad_u64_u32 v[7:8], null, s28, v17, 0
	v_add_nc_u32_e32 v18, 0xc0, v0
	v_mad_u64_u32 v[9:10], null, s21, v17, v[5:6]
	v_mov_b32_e32 v3, v6
	v_cmp_gt_i32_e64 s1, s36, v16
	s_delay_alu instid0(VALU_DEP_2)
	v_lshlrev_b64 v[15:16], 3, v[2:3]
	v_mov_b32_e32 v3, v8
	v_mov_b32_e32 v5, v9
	v_mad_u64_u32 v[9:10], null, s20, v13, 0
	v_cmp_gt_i32_e64 s2, s36, v18
	v_add_co_u32 v19, s3, s4, v15
	s_delay_alu instid0(VALU_DEP_4) | instskip(SKIP_4) | instid1(VALU_DEP_2)
	v_lshlrev_b64 v[4:5], 1, v[4:5]
	v_add_co_ci_u32_e64 v20, s3, s31, v16, s3
	s_add_u32 s3, s16, s22
	s_addc_u32 s22, s17, s23
	s_add_u32 s23, s3, s42
	v_mad_u64_u32 v[15:16], null, s29, v17, v[3:4]
	v_mov_b32_e32 v3, v10
	s_addc_u32 s22, s22, s43
	v_add_co_u32 v21, s3, s23, v4
	s_delay_alu instid0(VALU_DEP_1) | instskip(NEXT) | instid1(VALU_DEP_4)
	v_add_co_ci_u32_e64 v22, s3, s22, v5, s3
	v_mov_b32_e32 v8, v15
	v_or_b32_e32 v23, 2, v29
	v_mad_u64_u32 v[17:18], null, s21, v13, v[3:4]
	v_mad_u64_u32 v[31:32], null, s20, v29, s[20:21]
	s_delay_alu instid0(VALU_DEP_3)
	v_mad_u64_u32 v[15:16], null, s20, v23, 0
	v_lshlrev_b64 v[4:5], 1, v[7:8]
	v_mad_u64_u32 v[27:28], null, s28, v23, 0
	v_mov_b32_e32 v10, v17
	v_mad_u64_u32 v[17:18], null, s28, v29, s[28:29]
	v_mov_b32_e32 v3, v16
	v_lshlrev_b64 v[1:2], 1, v[0:1]
	v_mov_b32_e32 v6, v28
	s_delay_alu instid0(VALU_DEP_3) | instskip(SKIP_1) | instid1(VALU_DEP_2)
	v_mad_u64_u32 v[7:8], null, s21, v23, v[3:4]
	v_mov_b32_e32 v3, v18
	v_mad_u64_u32 v[25:26], null, s29, v23, v[6:7]
	v_add_co_u32 v23, s3, s4, v4
	s_delay_alu instid0(VALU_DEP_1) | instskip(SKIP_3) | instid1(VALU_DEP_3)
	v_add_co_ci_u32_e64 v24, s3, s31, v5, s3
	v_lshlrev_b64 v[4:5], 3, v[9:10]
	v_mov_b32_e32 v16, v7
	v_mov_b32_e32 v28, v25
	v_mad_u64_u32 v[6:7], null, s29, v29, v[3:4]
	v_add_co_u32 v25, s3, s23, v4
	s_delay_alu instid0(VALU_DEP_1) | instskip(SKIP_1) | instid1(VALU_DEP_4)
	v_add_co_ci_u32_e64 v26, s3, s22, v5, s3
	v_lshlrev_b64 v[4:5], 1, v[15:16]
	v_dual_mov_b32 v3, v32 :: v_dual_mov_b32 v18, v6
	v_dual_mov_b32 v16, 0 :: v_dual_mov_b32 v15, 0
	s_delay_alu instid0(VALU_DEP_2)
	v_mad_u64_u32 v[7:8], null, s21, v29, v[3:4]
	v_lshlrev_b64 v[8:9], 1, v[27:28]
	v_add_co_u32 v27, s3, s23, v4
	v_lshlrev_b64 v[3:4], 1, v[17:18]
	v_add_co_ci_u32_e64 v28, s3, s22, v5, s3
	v_mov_b32_e32 v32, v7
	v_add_co_u32 v29, s3, s4, v8
	s_delay_alu instid0(VALU_DEP_1) | instskip(NEXT) | instid1(VALU_DEP_3)
	v_add_co_ci_u32_e64 v30, s3, s31, v9, s3
	v_lshlrev_b64 v[5:6], 1, v[31:32]
	v_add_co_u32 v31, s3, s4, v3
	s_delay_alu instid0(VALU_DEP_1) | instskip(SKIP_1) | instid1(VALU_DEP_4)
	v_add_co_ci_u32_e64 v32, s3, s31, v4, s3
	v_dual_mov_b32 v18, 0 :: v_dual_mov_b32 v17, 0
	v_add_co_u32 v33, s3, s23, v5
	s_delay_alu instid0(VALU_DEP_1)
	v_add_co_ci_u32_e64 v34, s3, s22, v6, s3
	s_lshl_b64 s[22:23], s[20:21], 7
	s_mov_b32 s31, 0
	s_branch .LBB393_17
.LBB393_13:                             ;   in Loop: Header=BB393_17 Depth=1
	s_or_b32 exec_lo, exec_lo, s42
	s_waitcnt vmcnt(3)
	v_fma_mix_f32 v3, v47, v51, v16 op_sel_hi:[0,1,0]
	s_waitcnt vmcnt(2)
	s_delay_alu instid0(VALU_DEP_1) | instskip(SKIP_1) | instid1(VALU_DEP_1)
	v_fma_mix_f32 v3, v48, v52, v3 op_sel_hi:[0,1,0]
	s_waitcnt vmcnt(1)
	v_fma_mix_f32 v3, v49, v53, v3 op_sel_hi:[0,1,0]
	s_waitcnt vmcnt(0)
	s_delay_alu instid0(VALU_DEP_1)
	v_fma_mix_f32 v16, v50, v54, v3 op_sel_hi:[0,1,0]
.LBB393_14:                             ;   in Loop: Header=BB393_17 Depth=1
	s_or_b32 exec_lo, exec_lo, s41
	s_waitcnt vmcnt(3)
	v_fma_mix_f32 v3, v47, v43, v17 op_sel_hi:[0,1,0]
	s_waitcnt vmcnt(2)
	s_delay_alu instid0(VALU_DEP_1) | instskip(SKIP_1) | instid1(VALU_DEP_1)
	v_fma_mix_f32 v3, v48, v44, v3 op_sel_hi:[0,1,0]
	s_waitcnt vmcnt(1)
	v_fma_mix_f32 v3, v49, v45, v3 op_sel_hi:[0,1,0]
	s_waitcnt vmcnt(0)
	s_delay_alu instid0(VALU_DEP_1)
	v_fma_mix_f32 v17, v50, v46, v3 op_sel_hi:[0,1,0]
.LBB393_15:                             ;   in Loop: Header=BB393_17 Depth=1
	s_or_b32 exec_lo, exec_lo, s3
	s_waitcnt vmcnt(3)
	v_fma_mix_f32 v3, v35, v39, v18 op_sel_hi:[1,1,0]
	s_waitcnt vmcnt(2)
	s_delay_alu instid0(VALU_DEP_1) | instskip(SKIP_1) | instid1(VALU_DEP_1)
	v_fma_mix_f32 v3, v36, v40, v3 op_sel_hi:[1,1,0]
	s_waitcnt vmcnt(1)
	v_fma_mix_f32 v3, v37, v41, v3 op_sel_hi:[1,1,0]
	s_waitcnt vmcnt(0)
	s_delay_alu instid0(VALU_DEP_1)
	v_fma_mix_f32 v18, v38, v42, v3 op_sel_hi:[1,1,0]
.LBB393_16:                             ;   in Loop: Header=BB393_17 Depth=1
	s_or_b32 exec_lo, exec_lo, s4
	v_add_co_u32 v19, s3, v19, s14
	s_delay_alu instid0(VALU_DEP_1) | instskip(SKIP_1) | instid1(VALU_DEP_1)
	v_add_co_ci_u32_e64 v20, s3, s15, v20, s3
	v_add_co_u32 v21, s3, v21, s22
	v_add_co_ci_u32_e64 v22, s3, s23, v22, s3
	v_add_co_u32 v23, s3, v23, s14
	s_delay_alu instid0(VALU_DEP_1) | instskip(SKIP_1) | instid1(VALU_DEP_1)
	v_add_co_ci_u32_e64 v24, s3, s15, v24, s3
	v_add_co_u32 v25, s3, v25, s22
	v_add_co_ci_u32_e64 v26, s3, s23, v26, s3
	v_add_co_u32 v27, s3, v27, s22
	s_delay_alu instid0(VALU_DEP_1) | instskip(SKIP_4) | instid1(VALU_DEP_1)
	v_add_co_ci_u32_e64 v28, s3, s23, v28, s3
	v_add_co_u32 v29, s3, v29, s14
	v_add_nc_u32_e32 v14, 64, v14
	v_add_co_ci_u32_e64 v30, s3, s15, v30, s3
	v_add_co_u32 v31, s3, v31, s14
	v_add_co_ci_u32_e64 v32, s3, s15, v32, s3
	s_delay_alu instid0(VALU_DEP_4) | instskip(SKIP_1) | instid1(VALU_DEP_1)
	v_cmp_le_i32_e64 s3, s40, v14
	v_add_co_u32 v33, s4, v33, s22
	v_add_co_ci_u32_e64 v34, s4, s23, v34, s4
	s_delay_alu instid0(VALU_DEP_3) | instskip(NEXT) | instid1(SALU_CYCLE_1)
	s_or_b32 s31, s3, s31
	s_and_not1_b32 exec_lo, exec_lo, s31
	s_cbranch_execz .LBB393_22
.LBB393_17:                             ; =>This Inner Loop Header: Depth=1
	s_and_saveexec_b32 s4, vcc_lo
	s_cbranch_execz .LBB393_16
; %bb.18:                               ;   in Loop: Header=BB393_17 Depth=1
	v_add_co_u32 v3, s3, v19, s12
	s_delay_alu instid0(VALU_DEP_1) | instskip(SKIP_1) | instid1(VALU_DEP_1)
	v_add_co_ci_u32_e64 v4, s3, s13, v20, s3
	v_add_co_u32 v5, s3, v31, s12
	v_add_co_ci_u32_e64 v6, s3, s13, v32, s3
	v_add_co_u32 v7, s3, v29, s12
	s_delay_alu instid0(VALU_DEP_1) | instskip(SKIP_1) | instid1(VALU_DEP_1)
	v_add_co_ci_u32_e64 v8, s3, s13, v30, s3
	v_add_co_u32 v38, s3, v23, s12
	v_add_co_ci_u32_e64 v39, s3, s13, v24, s3
	global_load_u16 v35, v[3:4], off
	global_load_u16 v36, v[5:6], off
	;; [unrolled: 1-line block ×3, first 2 shown]
	v_add_co_u32 v3, s3, v25, v1
	s_delay_alu instid0(VALU_DEP_1) | instskip(SKIP_1) | instid1(VALU_DEP_1)
	v_add_co_ci_u32_e64 v4, s3, v26, v2, s3
	v_add_co_u32 v5, s3, v33, v1
	v_add_co_ci_u32_e64 v6, s3, v34, v2, s3
	v_add_co_u32 v7, s3, v27, v1
	s_delay_alu instid0(VALU_DEP_1) | instskip(SKIP_1) | instid1(VALU_DEP_1)
	v_add_co_ci_u32_e64 v8, s3, v28, v2, s3
	v_add_co_u32 v9, s3, v21, v1
	v_add_co_ci_u32_e64 v10, s3, v22, v2, s3
	global_load_u16 v38, v[38:39], off
	global_load_u16 v39, v[3:4], off
	global_load_u16 v40, v[5:6], off
	global_load_u16 v41, v[7:8], off
	global_load_u16 v42, v[9:10], off
	s_and_saveexec_b32 s3, s0
	s_cbranch_execz .LBB393_15
; %bb.19:                               ;   in Loop: Header=BB393_17 Depth=1
	global_load_u16 v43, v[3:4], off offset:128
	global_load_u16 v44, v[5:6], off offset:128
	;; [unrolled: 1-line block ×4, first 2 shown]
	s_waitcnt vmcnt(11)
	v_cvt_f32_f16_e32 v47, v35
	s_waitcnt vmcnt(10)
	v_cvt_f32_f16_e32 v48, v36
	;; [unrolled: 2-line block ×4, first 2 shown]
	s_and_saveexec_b32 s41, s1
	s_cbranch_execz .LBB393_14
; %bb.20:                               ;   in Loop: Header=BB393_17 Depth=1
	global_load_u16 v51, v[3:4], off offset:256
	global_load_u16 v52, v[5:6], off offset:256
	;; [unrolled: 1-line block ×4, first 2 shown]
	s_and_saveexec_b32 s42, s2
	s_cbranch_execz .LBB393_13
; %bb.21:                               ;   in Loop: Header=BB393_17 Depth=1
	global_load_u16 v3, v[3:4], off offset:384
	global_load_u16 v4, v[5:6], off offset:384
	;; [unrolled: 1-line block ×4, first 2 shown]
	s_waitcnt vmcnt(3)
	v_fma_mix_f32 v3, v47, v3, v15 op_sel_hi:[0,1,0]
	s_waitcnt vmcnt(2)
	s_delay_alu instid0(VALU_DEP_1) | instskip(SKIP_1) | instid1(VALU_DEP_1)
	v_fma_mix_f32 v3, v48, v4, v3 op_sel_hi:[0,1,0]
	s_waitcnt vmcnt(1)
	v_fma_mix_f32 v3, v49, v5, v3 op_sel_hi:[0,1,0]
	s_waitcnt vmcnt(0)
	s_delay_alu instid0(VALU_DEP_1)
	v_fma_mix_f32 v15, v50, v6, v3 op_sel_hi:[0,1,0]
	s_branch .LBB393_13
.LBB393_22:
	s_or_b32 exec_lo, exec_lo, s31
.LBB393_23:
	s_delay_alu instid0(SALU_CYCLE_1) | instskip(SKIP_1) | instid1(SALU_CYCLE_1)
	s_or_b32 exec_lo, exec_lo, s30
	s_sub_i32 s0, s37, s40
	s_cmp_lt_i32 s0, 1
	s_cbranch_scc1 .LBB393_41
; %bb.24:
	v_cmp_gt_i32_e32 vcc_lo, s37, v14
	v_dual_mov_b32 v9, 0 :: v_dual_mov_b32 v10, 0
	v_or_b32_e32 v2, 1, v14
	v_dual_mov_b32 v19, 0 :: v_dual_mov_b32 v20, 0
	s_and_saveexec_b32 s1, vcc_lo
	s_cbranch_execz .LBB393_32
; %bb.25:
	v_mad_u64_u32 v[3:4], null, v14, s28, 0
	s_lshl_b64 s[2:3], s[10:11], 1
	v_mov_b32_e32 v19, 0
	s_add_u32 s0, s24, s2
	s_addc_u32 s2, s25, s3
	s_lshl_b64 s[10:11], s[26:27], 1
	v_mov_b32_e32 v9, 0
	s_delay_alu instid0(VALU_DEP_3) | instskip(SKIP_3) | instid1(VALU_DEP_1)
	v_dual_mov_b32 v1, v4 :: v_dual_mov_b32 v10, 0
	s_add_u32 s3, s0, s10
	s_addc_u32 s4, s2, s11
	s_mov_b32 s2, exec_lo
	v_mad_u64_u32 v[4:5], null, v14, s29, v[1:2]
	s_delay_alu instid0(VALU_DEP_1) | instskip(NEXT) | instid1(VALU_DEP_1)
	v_lshlrev_b64 v[3:4], 1, v[3:4]
	v_add_co_u32 v3, s0, s3, v3
	s_delay_alu instid0(VALU_DEP_1)
	v_add_co_ci_u32_e64 v4, s0, s4, v4, s0
	global_load_u16 v1, v[3:4], off
	v_cmpx_gt_i32_e64 s37, v2
	s_cbranch_execz .LBB393_31
; %bb.26:
	v_mad_u64_u32 v[3:4], null, v2, s28, 0
	v_mov_b32_e32 v10, 0
	s_mov_b32 s10, exec_lo
	v_mov_b32_e32 v9, 0
	s_delay_alu instid0(VALU_DEP_3) | instskip(NEXT) | instid1(VALU_DEP_1)
	v_mad_u64_u32 v[5:6], null, v2, s29, v[4:5]
	v_mov_b32_e32 v4, v5
	s_delay_alu instid0(VALU_DEP_1) | instskip(NEXT) | instid1(VALU_DEP_1)
	v_lshlrev_b64 v[3:4], 1, v[3:4]
	v_add_co_u32 v3, s0, s3, v3
	s_delay_alu instid0(VALU_DEP_1) | instskip(SKIP_2) | instid1(VALU_DEP_1)
	v_add_co_ci_u32_e64 v4, s0, s4, v4, s0
	global_load_u16 v3, v[3:4], off
	v_or_b32_e32 v4, 2, v14
	v_cmpx_gt_i32_e64 s37, v4
	s_cbranch_execz .LBB393_30
; %bb.27:
	v_mad_u64_u32 v[5:6], null, v4, s28, 0
	s_mov_b32 s11, exec_lo
	v_mov_b32_e32 v9, 0
	s_delay_alu instid0(VALU_DEP_2) | instskip(NEXT) | instid1(VALU_DEP_1)
	v_mad_u64_u32 v[7:8], null, v4, s29, v[6:7]
	v_mov_b32_e32 v6, v7
	s_delay_alu instid0(VALU_DEP_1) | instskip(NEXT) | instid1(VALU_DEP_1)
	v_lshlrev_b64 v[4:5], 1, v[5:6]
	v_add_co_u32 v4, s0, s3, v4
	s_delay_alu instid0(VALU_DEP_1) | instskip(SKIP_2) | instid1(VALU_DEP_1)
	v_add_co_ci_u32_e64 v5, s0, s4, v5, s0
	global_load_u16 v4, v[4:5], off
	v_or_b32_e32 v5, 3, v14
	v_cmpx_gt_i32_e64 s37, v5
	s_cbranch_execz .LBB393_29
; %bb.28:
	v_mad_u64_u32 v[6:7], null, v5, s28, 0
	s_delay_alu instid0(VALU_DEP_1) | instskip(NEXT) | instid1(VALU_DEP_1)
	v_mad_u64_u32 v[8:9], null, v5, s29, v[7:8]
	v_mov_b32_e32 v7, v8
	s_delay_alu instid0(VALU_DEP_1) | instskip(NEXT) | instid1(VALU_DEP_1)
	v_lshlrev_b64 v[5:6], 1, v[6:7]
	v_add_co_u32 v5, s0, s3, v5
	s_delay_alu instid0(VALU_DEP_1)
	v_add_co_ci_u32_e64 v6, s0, s4, v6, s0
	global_load_u16 v5, v[5:6], off
	s_waitcnt vmcnt(0)
	v_cvt_f32_f16_e32 v9, v5
.LBB393_29:
	s_or_b32 exec_lo, exec_lo, s11
	s_waitcnt vmcnt(0)
	v_cvt_f32_f16_e32 v10, v4
.LBB393_30:
	s_or_b32 exec_lo, exec_lo, s10
	s_waitcnt vmcnt(0)
	v_cvt_f32_f16_e32 v19, v3
.LBB393_31:
	s_or_b32 exec_lo, exec_lo, s2
	s_waitcnt vmcnt(0)
	v_cvt_f32_f16_e32 v20, v1
.LBB393_32:
	s_or_b32 exec_lo, exec_lo, s1
	s_delay_alu instid0(SALU_CYCLE_1)
	s_mov_b32 s1, exec_lo
	v_cmpx_gt_i32_e64 s36, v0
	s_cbranch_execz .LBB393_40
; %bb.33:
	v_mad_u64_u32 v[3:4], null, v14, s20, 0
	v_mad_u64_u32 v[5:6], null, v2, s20, 0
	v_ashrrev_i32_e32 v1, 31, v0
	s_lshl_b64 s[2:3], s[6:7], 1
	v_or_b32_e32 v28, 2, v14
	s_add_u32 s0, s16, s2
	s_delay_alu instid0(VALU_DEP_4)
	v_cndmask_b32_e32 v3, 0, v3, vcc_lo
	v_lshlrev_b64 v[21:22], 1, v[0:1]
	v_mad_u64_u32 v[7:8], null, v14, s21, v[4:5]
	s_addc_u32 s4, s17, s3
	s_lshl_b64 s[2:3], s[18:19], 1
	v_or_b32_e32 v14, 3, v14
	s_add_u32 s2, s0, s2
	v_mov_b32_e32 v1, v6
	v_mad_u64_u32 v[23:24], null, v28, s20, 0
	s_delay_alu instid0(VALU_DEP_4) | instskip(SKIP_1) | instid1(VALU_DEP_4)
	v_cndmask_b32_e32 v4, 0, v7, vcc_lo
	v_cmp_gt_i32_e32 vcc_lo, s37, v2
	v_mad_u64_u32 v[25:26], null, v2, s21, v[1:2]
	s_addc_u32 s3, s4, s3
	v_mad_u64_u32 v[6:7], null, v14, s20, 0
	v_cndmask_b32_e32 v26, 0, v5, vcc_lo
	v_lshlrev_b64 v[3:4], 1, v[3:4]
	s_delay_alu instid0(VALU_DEP_4) | instskip(NEXT) | instid1(VALU_DEP_2)
	v_cndmask_b32_e32 v27, 0, v25, vcc_lo
	v_add_co_u32 v1, s0, s2, v3
	s_delay_alu instid0(VALU_DEP_1) | instskip(NEXT) | instid1(VALU_DEP_3)
	v_add_co_ci_u32_e64 v2, s0, s3, v4, s0
	v_lshlrev_b64 v[3:4], 1, v[26:27]
	s_delay_alu instid0(VALU_DEP_3) | instskip(NEXT) | instid1(VALU_DEP_3)
	v_add_co_u32 v1, vcc_lo, v1, v21
	v_add_co_ci_u32_e32 v2, vcc_lo, v2, v22, vcc_lo
	v_cmp_gt_i32_e32 vcc_lo, s37, v28
	v_mov_b32_e32 v5, v24
	v_add_co_u32 v3, s0, s2, v3
	s_delay_alu instid0(VALU_DEP_1) | instskip(NEXT) | instid1(VALU_DEP_3)
	v_add_co_ci_u32_e64 v4, s0, s3, v4, s0
	v_mad_u64_u32 v[24:25], null, v28, s21, v[5:6]
	v_mov_b32_e32 v5, v7
	v_cndmask_b32_e32 v7, 0, v23, vcc_lo
	s_mov_b32 s0, exec_lo
	s_delay_alu instid0(VALU_DEP_3) | instskip(NEXT) | instid1(VALU_DEP_3)
	v_cndmask_b32_e32 v8, 0, v24, vcc_lo
	v_mad_u64_u32 v[23:24], null, v14, s21, v[5:6]
	v_add_co_u32 v3, vcc_lo, v3, v21
	v_add_co_ci_u32_e32 v4, vcc_lo, v4, v22, vcc_lo
	v_cmp_gt_i32_e32 vcc_lo, s37, v14
	v_lshlrev_b64 v[7:8], 1, v[7:8]
	s_clause 0x1
	global_load_u16 v24, v[1:2], off
	global_load_u16 v25, v[3:4], off
	v_dual_cndmask_b32 v5, 0, v6 :: v_dual_cndmask_b32 v6, 0, v23
	v_add_co_u32 v14, vcc_lo, s2, v7
	v_add_co_ci_u32_e32 v23, vcc_lo, s3, v8, vcc_lo
	s_delay_alu instid0(VALU_DEP_3) | instskip(NEXT) | instid1(VALU_DEP_3)
	v_lshlrev_b64 v[7:8], 1, v[5:6]
	v_add_co_u32 v5, vcc_lo, v14, v21
	s_delay_alu instid0(VALU_DEP_3) | instskip(NEXT) | instid1(VALU_DEP_3)
	v_add_co_ci_u32_e32 v6, vcc_lo, v23, v22, vcc_lo
	v_add_co_u32 v7, vcc_lo, s2, v7
	s_delay_alu instid0(VALU_DEP_4)
	v_add_co_ci_u32_e32 v8, vcc_lo, s3, v8, vcc_lo
	global_load_u16 v23, v[5:6], off
	v_add_co_u32 v7, vcc_lo, v7, v21
	v_add_co_ci_u32_e32 v8, vcc_lo, v8, v22, vcc_lo
	v_add_nc_u32_e32 v21, 64, v0
	global_load_u16 v14, v[7:8], off
	s_waitcnt vmcnt(3)
	v_fma_mix_f32 v18, v20, v24, v18 op_sel_hi:[0,1,0]
	s_waitcnt vmcnt(2)
	s_delay_alu instid0(VALU_DEP_1) | instskip(SKIP_1) | instid1(VALU_DEP_1)
	v_fma_mix_f32 v18, v19, v25, v18 op_sel_hi:[0,1,0]
	s_waitcnt vmcnt(1)
	v_fma_mix_f32 v18, v10, v23, v18 op_sel_hi:[0,1,0]
	v_cmpx_gt_i32_e64 s36, v21
	s_cbranch_execz .LBB393_39
; %bb.34:
	s_clause 0x3
	global_load_u16 v22, v[1:2], off offset:128
	global_load_u16 v23, v[3:4], off offset:128
	;; [unrolled: 1-line block ×4, first 2 shown]
	s_mov_b32 s2, exec_lo
	s_waitcnt vmcnt(3)
	v_fma_mix_f32 v17, v20, v22, v17 op_sel_hi:[0,1,0]
	v_add_nc_u32_e32 v22, 0x80, v0
	s_waitcnt vmcnt(2)
	s_delay_alu instid0(VALU_DEP_2) | instskip(SKIP_1) | instid1(VALU_DEP_1)
	v_fma_mix_f32 v17, v19, v23, v17 op_sel_hi:[0,1,0]
	s_waitcnt vmcnt(1)
	v_fma_mix_f32 v17, v10, v24, v17 op_sel_hi:[0,1,0]
	v_cmpx_gt_i32_e64 s36, v22
	s_cbranch_execz .LBB393_38
; %bb.35:
	s_clause 0x3
	global_load_u16 v23, v[1:2], off offset:256
	global_load_u16 v24, v[3:4], off offset:256
	;; [unrolled: 1-line block ×4, first 2 shown]
	s_mov_b32 s3, exec_lo
	s_waitcnt vmcnt(3)
	v_fma_mix_f32 v16, v20, v23, v16 op_sel_hi:[0,1,0]
	v_add_nc_u32_e32 v23, 0xc0, v0
	s_waitcnt vmcnt(2)
	s_delay_alu instid0(VALU_DEP_2) | instskip(SKIP_1) | instid1(VALU_DEP_1)
	v_fma_mix_f32 v16, v19, v24, v16 op_sel_hi:[0,1,0]
	s_waitcnt vmcnt(1)
	v_fma_mix_f32 v0, v10, v25, v16 op_sel_hi:[0,1,0]
	v_cmpx_gt_i32_e64 s36, v23
	s_cbranch_execz .LBB393_37
; %bb.36:
	s_clause 0x3
	global_load_u16 v1, v[1:2], off offset:384
	global_load_u16 v2, v[3:4], off offset:384
	;; [unrolled: 1-line block ×4, first 2 shown]
	s_waitcnt vmcnt(3)
	v_fma_mix_f32 v1, v20, v1, v15 op_sel_hi:[0,1,0]
	s_waitcnt vmcnt(2)
	s_delay_alu instid0(VALU_DEP_1) | instskip(SKIP_1) | instid1(VALU_DEP_1)
	v_fma_mix_f32 v1, v19, v2, v1 op_sel_hi:[0,1,0]
	s_waitcnt vmcnt(1)
	v_fma_mix_f32 v1, v10, v3, v1 op_sel_hi:[0,1,0]
	s_waitcnt vmcnt(0)
	s_delay_alu instid0(VALU_DEP_1)
	v_fma_mix_f32 v15, v9, v4, v1 op_sel_hi:[0,1,0]
.LBB393_37:
	s_or_b32 exec_lo, exec_lo, s3
	s_waitcnt vmcnt(0)
	v_fma_mix_f32 v16, v9, v22, v0 op_sel_hi:[0,1,0]
.LBB393_38:
	s_or_b32 exec_lo, exec_lo, s2
	s_waitcnt vmcnt(0)
	v_fma_mix_f32 v17, v9, v21, v17 op_sel_hi:[0,1,0]
.LBB393_39:
	s_or_b32 exec_lo, exec_lo, s0
	s_waitcnt vmcnt(0)
	v_fma_mix_f32 v18, v9, v14, v18 op_sel_hi:[0,1,0]
.LBB393_40:
	s_or_b32 exec_lo, exec_lo, s1
.LBB393_41:
	v_lshlrev_b32_e32 v0, 8, v13
	s_mov_b32 s0, exec_lo
                                        ; implicit-def: $vgpr3
	s_delay_alu instid0(VALU_DEP_1)
	v_add_lshl_u32 v0, v0, v12, 2
	ds_store_2addr_stride64_b32 v0, v18, v17 offset1:1
	ds_store_2addr_stride64_b32 v0, v16, v15 offset0:2 offset1:3
	s_waitcnt lgkmcnt(0)
	s_barrier
	buffer_gl0_inv
                                        ; implicit-def: $vgpr0_vgpr1
	v_cmpx_gt_u32_e32 0x100, v11
	s_cbranch_execz .LBB393_47
; %bb.42:
	v_lshlrev_b32_e32 v6, 2, v11
	s_mov_b32 s2, s35
	s_mov_b32 s1, exec_lo
	ds_load_2addr_stride64_b32 v[0:1], v6 offset1:4
	ds_load_2addr_stride64_b32 v[2:3], v6 offset0:8 offset1:12
	ds_load_2addr_stride64_b32 v[4:5], v6 offset0:16 offset1:20
	s_waitcnt lgkmcnt(2)
	v_add_f32_e32 v7, v0, v1
	ds_load_2addr_stride64_b32 v[0:1], v6 offset0:24 offset1:28
	s_waitcnt lgkmcnt(2)
	v_add_f32_e32 v2, v2, v7
	s_delay_alu instid0(VALU_DEP_1) | instskip(SKIP_3) | instid1(VALU_DEP_1)
	v_add_f32_e32 v7, v3, v2
	ds_load_2addr_stride64_b32 v[2:3], v6 offset0:32 offset1:36
	s_waitcnt lgkmcnt(2)
	v_add_f32_e32 v4, v4, v7
	v_add_f32_e32 v7, v5, v4
	ds_load_2addr_stride64_b32 v[4:5], v6 offset0:40 offset1:44
	s_waitcnt lgkmcnt(2)
	v_add_f32_e32 v0, v0, v7
	s_delay_alu instid0(VALU_DEP_1) | instskip(SKIP_1) | instid1(VALU_DEP_1)
	v_add_f32_e32 v0, v1, v0
	s_waitcnt lgkmcnt(1)
	v_add_f32_e32 v2, v2, v0
	ds_load_2addr_stride64_b32 v[0:1], v6 offset0:48 offset1:52
	v_add_f32_e32 v2, v3, v2
	s_waitcnt lgkmcnt(1)
	s_delay_alu instid0(VALU_DEP_1) | instskip(SKIP_3) | instid1(VALU_DEP_1)
	v_add_f32_e32 v4, v4, v2
	ds_load_2addr_stride64_b32 v[2:3], v6 offset0:56 offset1:60
	v_add_f32_e32 v4, v5, v4
	s_waitcnt lgkmcnt(1)
	v_add_f32_e32 v0, v0, v4
	v_or_b32_e32 v4, s39, v11
	s_delay_alu instid0(VALU_DEP_2) | instskip(SKIP_1) | instid1(VALU_DEP_1)
	v_add_f32_e32 v0, v1, v0
	s_waitcnt lgkmcnt(0)
	v_add_f32_e32 v0, v2, v0
	s_delay_alu instid0(VALU_DEP_1)
	v_add_f32_e32 v2, v3, v0
                                        ; implicit-def: $vgpr3
                                        ; implicit-def: $vgpr0_vgpr1
	ds_store_b32 v6, v2
	v_cmpx_gt_i32_e64 s36, v4
	s_cbranch_execz .LBB393_46
; %bb.43:
	v_ashrrev_i32_e32 v3, 31, v4
	v_mul_lo_u32 v5, v4, s9
	v_mad_u64_u32 v[0:1], null, v4, s8, 0
	v_cmp_eq_f32_e64 s2, s34, 0
	s_delay_alu instid0(VALU_DEP_4) | instskip(SKIP_1) | instid1(VALU_DEP_3)
	v_mul_lo_u32 v3, v3, s8
	v_mul_f32_e32 v2, s38, v2
	s_and_b32 vcc_lo, exec_lo, s2
	s_delay_alu instid0(VALU_DEP_2)
	v_add3_u32 v1, v1, v5, v3
	s_cbranch_vccnz .LBB393_45
; %bb.44:
	s_delay_alu instid0(VALU_DEP_1) | instskip(NEXT) | instid1(VALU_DEP_1)
	v_lshlrev_b64 v[3:4], 1, v[0:1]
	v_add_co_u32 v3, vcc_lo, s5, v3
	s_delay_alu instid0(VALU_DEP_2)
	v_add_co_ci_u32_e32 v4, vcc_lo, s33, v4, vcc_lo
	global_load_u16 v3, v[3:4], off
	s_waitcnt vmcnt(0)
	v_fma_mix_f32 v2, v3, s34, v2 op_sel_hi:[1,0,0]
.LBB393_45:
	s_delay_alu instid0(VALU_DEP_1)
	v_cvt_f16_f32_e32 v3, v2
	s_or_b32 s2, s35, exec_lo
.LBB393_46:
	s_or_b32 exec_lo, exec_lo, s1
	s_delay_alu instid0(SALU_CYCLE_1) | instskip(SKIP_1) | instid1(SALU_CYCLE_1)
	s_and_not1_b32 s1, s35, exec_lo
	s_and_b32 s2, s2, exec_lo
	s_or_b32 s35, s1, s2
.LBB393_47:
	s_or_b32 exec_lo, exec_lo, s0
.LBB393_48:
	s_and_saveexec_b32 s0, s35
	s_cbranch_execz .LBB393_50
; %bb.49:
	v_lshlrev_b64 v[0:1], 1, v[0:1]
	s_delay_alu instid0(VALU_DEP_1) | instskip(NEXT) | instid1(VALU_DEP_2)
	v_add_co_u32 v0, vcc_lo, s5, v0
	v_add_co_ci_u32_e32 v1, vcc_lo, s33, v1, vcc_lo
	global_store_b16 v[0:1], v3, off
.LBB393_50:
	s_nop 0
	s_sendmsg sendmsg(MSG_DEALLOC_VGPRS)
	s_endpgm
	.section	.rodata,"a",@progbits
	.p2align	6, 0x0
	.amdhsa_kernel _ZL20rocblas_gemvn_kernelILi64ELi16ElDF16_fDF16_EviiT3_lPKT2_lT1_lS3_lS4_lS0_lPT4_lS4_li
		.amdhsa_group_segment_fixed_size 16384
		.amdhsa_private_segment_fixed_size 0
		.amdhsa_kernarg_size 400
		.amdhsa_user_sgpr_count 14
		.amdhsa_user_sgpr_dispatch_ptr 0
		.amdhsa_user_sgpr_queue_ptr 0
		.amdhsa_user_sgpr_kernarg_segment_ptr 1
		.amdhsa_user_sgpr_dispatch_id 0
		.amdhsa_user_sgpr_private_segment_size 0
		.amdhsa_wavefront_size32 1
		.amdhsa_uses_dynamic_stack 0
		.amdhsa_enable_private_segment 0
		.amdhsa_system_sgpr_workgroup_id_x 1
		.amdhsa_system_sgpr_workgroup_id_y 0
		.amdhsa_system_sgpr_workgroup_id_z 1
		.amdhsa_system_sgpr_workgroup_info 0
		.amdhsa_system_vgpr_workitem_id 1
		.amdhsa_next_free_vgpr 55
		.amdhsa_next_free_sgpr 44
		.amdhsa_reserve_vcc 1
		.amdhsa_float_round_mode_32 0
		.amdhsa_float_round_mode_16_64 0
		.amdhsa_float_denorm_mode_32 3
		.amdhsa_float_denorm_mode_16_64 3
		.amdhsa_dx10_clamp 1
		.amdhsa_ieee_mode 1
		.amdhsa_fp16_overflow 0
		.amdhsa_workgroup_processor_mode 1
		.amdhsa_memory_ordered 1
		.amdhsa_forward_progress 0
		.amdhsa_shared_vgpr_count 0
		.amdhsa_exception_fp_ieee_invalid_op 0
		.amdhsa_exception_fp_denorm_src 0
		.amdhsa_exception_fp_ieee_div_zero 0
		.amdhsa_exception_fp_ieee_overflow 0
		.amdhsa_exception_fp_ieee_underflow 0
		.amdhsa_exception_fp_ieee_inexact 0
		.amdhsa_exception_int_div_zero 0
	.end_amdhsa_kernel
	.section	.text._ZL20rocblas_gemvn_kernelILi64ELi16ElDF16_fDF16_EviiT3_lPKT2_lT1_lS3_lS4_lS0_lPT4_lS4_li,"axG",@progbits,_ZL20rocblas_gemvn_kernelILi64ELi16ElDF16_fDF16_EviiT3_lPKT2_lT1_lS3_lS4_lS0_lPT4_lS4_li,comdat
.Lfunc_end393:
	.size	_ZL20rocblas_gemvn_kernelILi64ELi16ElDF16_fDF16_EviiT3_lPKT2_lT1_lS3_lS4_lS0_lPT4_lS4_li, .Lfunc_end393-_ZL20rocblas_gemvn_kernelILi64ELi16ElDF16_fDF16_EviiT3_lPKT2_lT1_lS3_lS4_lS0_lPT4_lS4_li
                                        ; -- End function
	.section	.AMDGPU.csdata,"",@progbits
; Kernel info:
; codeLenInByte = 3640
; NumSgprs: 46
; NumVgprs: 55
; ScratchSize: 0
; MemoryBound: 0
; FloatMode: 240
; IeeeMode: 1
; LDSByteSize: 16384 bytes/workgroup (compile time only)
; SGPRBlocks: 5
; VGPRBlocks: 6
; NumSGPRsForWavesPerEU: 46
; NumVGPRsForWavesPerEU: 55
; Occupancy: 16
; WaveLimiterHint : 1
; COMPUTE_PGM_RSRC2:SCRATCH_EN: 0
; COMPUTE_PGM_RSRC2:USER_SGPR: 14
; COMPUTE_PGM_RSRC2:TRAP_HANDLER: 0
; COMPUTE_PGM_RSRC2:TGID_X_EN: 1
; COMPUTE_PGM_RSRC2:TGID_Y_EN: 0
; COMPUTE_PGM_RSRC2:TGID_Z_EN: 1
; COMPUTE_PGM_RSRC2:TIDIG_COMP_CNT: 1
	.section	.text._ZL22rocblas_gemvtsm_kernelILb0ELi256EDF16_PKfDF16_EviiT2_lPKT1_lilS5_lilS2_lPT3_lil,"axG",@progbits,_ZL22rocblas_gemvtsm_kernelILb0ELi256EDF16_PKfDF16_EviiT2_lPKT1_lilS5_lilS2_lPT3_lil,comdat
	.globl	_ZL22rocblas_gemvtsm_kernelILb0ELi256EDF16_PKfDF16_EviiT2_lPKT1_lilS5_lilS2_lPT3_lil ; -- Begin function _ZL22rocblas_gemvtsm_kernelILb0ELi256EDF16_PKfDF16_EviiT2_lPKT1_lilS5_lilS2_lPT3_lil
	.p2align	8
	.type	_ZL22rocblas_gemvtsm_kernelILb0ELi256EDF16_PKfDF16_EviiT2_lPKT1_lilS5_lilS2_lPT3_lil,@function
_ZL22rocblas_gemvtsm_kernelILb0ELi256EDF16_PKfDF16_EviiT2_lPKT1_lilS5_lilS2_lPT3_lil: ; @_ZL22rocblas_gemvtsm_kernelILb0ELi256EDF16_PKfDF16_EviiT2_lPKT1_lilS5_lilS2_lPT3_lil
; %bb.0:
	s_clause 0x1
	s_load_b256 s[4:11], s[0:1], 0x8
	s_load_b256 s[16:23], s[0:1], 0x50
	s_waitcnt lgkmcnt(0)
	s_mul_i32 s3, s15, s7
	s_mul_hi_u32 s7, s15, s6
	s_mul_i32 s2, s15, s6
	s_add_i32 s3, s7, s3
	s_mul_i32 s6, s15, s21
	s_lshl_b64 s[2:3], s[2:3], 2
	s_mul_hi_u32 s7, s15, s20
	s_add_u32 s2, s4, s2
	s_addc_u32 s3, s5, s3
	s_add_i32 s5, s7, s6
	s_mul_i32 s4, s15, s20
	s_delay_alu instid0(SALU_CYCLE_1) | instskip(NEXT) | instid1(SALU_CYCLE_1)
	s_lshl_b64 s[4:5], s[4:5], 2
	s_add_u32 s4, s18, s4
	s_addc_u32 s5, s19, s5
	s_load_b32 s26, s[2:3], 0x0
	s_load_b32 s14, s[4:5], 0x0
	s_waitcnt lgkmcnt(0)
	v_cmp_eq_f32_e64 s2, s26, 0
	v_cmp_eq_f32_e64 s3, s14, 1.0
	s_delay_alu instid0(VALU_DEP_1) | instskip(NEXT) | instid1(SALU_CYCLE_1)
	s_and_b32 s2, s2, s3
	s_and_b32 vcc_lo, exec_lo, s2
	s_cbranch_vccnz .LBB394_34
; %bb.1:
	s_clause 0x3
	s_load_b64 s[2:3], s[0:1], 0x80
	s_load_b32 s12, s[0:1], 0x78
	s_load_b64 s[20:21], s[0:1], 0x70
	s_load_b64 s[18:19], s[0:1], 0x0
	v_cmp_neq_f32_e64 s4, s26, 0
	s_delay_alu instid0(VALU_DEP_1)
	s_and_b32 vcc_lo, exec_lo, s4
	s_waitcnt lgkmcnt(0)
	s_mul_i32 s3, s15, s3
	s_mul_hi_u32 s4, s15, s2
	s_mul_i32 s24, s15, s2
	s_add_i32 s25, s4, s3
	s_cbranch_vccnz .LBB394_9
; %bb.2:
	s_cmp_gt_i32 s19, 0
	v_cmp_neq_f32_e64 s2, s14, 0
	s_cselect_b32 s4, -1, 0
	s_delay_alu instid0(SALU_CYCLE_1) | instskip(NEXT) | instid1(VALU_DEP_2)
	v_cndmask_b32_e64 v1, 0, 1, s4
	s_and_b32 vcc_lo, exec_lo, s2
	s_delay_alu instid0(VALU_DEP_1)
	v_cmp_ne_u32_e64 s2, 1, v1
	s_cbranch_vccnz .LBB394_10
; %bb.3:
	s_delay_alu instid0(VALU_DEP_1)
	s_and_b32 vcc_lo, exec_lo, s2
	s_cbranch_vccnz .LBB394_8
; %bb.4:
	v_mad_i64_i32 v[1:2], null, s12, v0, 0
	s_lshl_b64 s[6:7], s[20:21], 1
	s_ashr_i32 s13, s12, 31
	s_lshl_b64 s[2:3], s[24:25], 1
	s_add_u32 s5, s22, s6
	s_addc_u32 s6, s23, s7
	s_add_u32 s2, s5, s2
	s_delay_alu instid0(VALU_DEP_1) | instskip(SKIP_3) | instid1(VALU_DEP_2)
	v_lshlrev_b64 v[1:2], 1, v[1:2]
	s_addc_u32 s3, s6, s3
	v_mov_b32_e32 v3, 0
	s_mov_b32 s5, 0
	v_add_co_u32 v1, vcc_lo, s2, v1
	s_delay_alu instid0(VALU_DEP_3)
	v_add_co_ci_u32_e32 v2, vcc_lo, s3, v2, vcc_lo
	s_lshl_b64 s[2:3], s[12:13], 9
	s_branch .LBB394_6
.LBB394_5:                              ;   in Loop: Header=BB394_6 Depth=1
	s_or_b32 exec_lo, exec_lo, s6
	v_add_co_u32 v1, vcc_lo, v1, s2
	v_add_co_ci_u32_e32 v2, vcc_lo, s3, v2, vcc_lo
	s_addk_i32 s5, 0x100
	s_delay_alu instid0(SALU_CYCLE_1)
	s_cmp_ge_i32 s5, s19
	s_cbranch_scc1 .LBB394_8
.LBB394_6:                              ; =>This Inner Loop Header: Depth=1
	v_add_nc_u32_e32 v4, s5, v0
	s_mov_b32 s6, exec_lo
	s_delay_alu instid0(VALU_DEP_1)
	v_cmpx_gt_i32_e64 s19, v4
	s_cbranch_execz .LBB394_5
; %bb.7:                                ;   in Loop: Header=BB394_6 Depth=1
	global_store_b16 v[1:2], v3, off
	s_branch .LBB394_5
.LBB394_8:
	s_cbranch_execz .LBB394_11
	s_branch .LBB394_16
.LBB394_9:
	s_branch .LBB394_17
.LBB394_10:
.LBB394_11:
	s_and_not1_b32 vcc_lo, exec_lo, s4
	s_cbranch_vccnz .LBB394_16
; %bb.12:
	v_mad_i64_i32 v[1:2], null, s12, v0, 0
	s_lshl_b64 s[4:5], s[20:21], 1
	s_ashr_i32 s13, s12, 31
	s_lshl_b64 s[2:3], s[24:25], 1
	s_add_u32 s4, s22, s4
	s_addc_u32 s5, s23, s5
	s_add_u32 s2, s4, s2
	s_delay_alu instid0(VALU_DEP_1) | instskip(SKIP_2) | instid1(VALU_DEP_1)
	v_lshlrev_b64 v[1:2], 1, v[1:2]
	s_addc_u32 s3, s5, s3
	s_mov_b32 s4, 0
	v_add_co_u32 v1, vcc_lo, s2, v1
	s_delay_alu instid0(VALU_DEP_2)
	v_add_co_ci_u32_e32 v2, vcc_lo, s3, v2, vcc_lo
	s_lshl_b64 s[2:3], s[12:13], 9
	s_branch .LBB394_14
	.p2align	6
.LBB394_13:                             ;   in Loop: Header=BB394_14 Depth=1
	s_or_b32 exec_lo, exec_lo, s5
	v_add_co_u32 v1, vcc_lo, v1, s2
	v_add_co_ci_u32_e32 v2, vcc_lo, s3, v2, vcc_lo
	s_addk_i32 s4, 0x100
	s_delay_alu instid0(SALU_CYCLE_1)
	s_cmp_ge_i32 s4, s19
	s_cbranch_scc1 .LBB394_16
.LBB394_14:                             ; =>This Inner Loop Header: Depth=1
	v_add_nc_u32_e32 v3, s4, v0
	s_mov_b32 s5, exec_lo
	s_delay_alu instid0(VALU_DEP_1)
	v_cmpx_gt_i32_e64 s19, v3
	s_cbranch_execz .LBB394_13
; %bb.15:                               ;   in Loop: Header=BB394_14 Depth=1
	global_load_u16 v3, v[1:2], off
	s_waitcnt vmcnt(0)
	v_fma_mixlo_f16 v3, s14, v3, 0 op_sel_hi:[0,1,0]
	global_store_b16 v[1:2], v3, off
	s_branch .LBB394_13
.LBB394_16:
	s_cbranch_execnz .LBB394_34
.LBB394_17:
	s_clause 0x1
	s_load_b128 s[4:7], s[0:1], 0x30
	s_load_b64 s[2:3], s[0:1], 0x40
	s_mov_b32 s13, exec_lo
	v_cmpx_gt_i32_e64 s18, v0
	s_cbranch_execz .LBB394_19
; %bb.18:
	s_load_b32 s27, s[0:1], 0x48
	s_mul_i32 s17, s15, s17
	s_mul_hi_u32 s28, s15, s16
	s_mul_i32 s16, s15, s16
	s_add_i32 s17, s28, s17
	s_delay_alu instid0(SALU_CYCLE_1) | instskip(SKIP_4) | instid1(SALU_CYCLE_1)
	s_lshl_b64 s[16:17], s[16:17], 1
	s_waitcnt lgkmcnt(0)
	s_add_u32 s6, s6, s16
	s_addc_u32 s7, s7, s17
	s_lshl_b64 s[2:3], s[2:3], 1
	s_add_u32 s2, s6, s2
	s_addc_u32 s3, s7, s3
	v_mad_i64_i32 v[1:2], null, s27, v0, 0
	s_delay_alu instid0(VALU_DEP_1) | instskip(NEXT) | instid1(VALU_DEP_1)
	v_lshlrev_b64 v[1:2], 1, v[1:2]
	v_add_co_u32 v1, vcc_lo, s2, v1
	s_delay_alu instid0(VALU_DEP_2) | instskip(SKIP_4) | instid1(VALU_DEP_1)
	v_add_co_ci_u32_e32 v2, vcc_lo, s3, v2, vcc_lo
	global_load_u16 v1, v[1:2], off
	v_lshlrev_b32_e32 v2, 2, v0
	s_waitcnt vmcnt(0)
	v_cvt_f32_f16_e32 v1, v1
	v_mul_f32_e32 v1, s26, v1
	ds_store_b32 v2, v1
.LBB394_19:
	s_or_b32 exec_lo, exec_lo, s13
	s_cmp_lt_i32 s19, 1
	s_waitcnt lgkmcnt(0)
	s_waitcnt_vscnt null, 0x0
	s_barrier
	buffer_gl0_inv
	s_cbranch_scc1 .LBB394_34
; %bb.20:
	s_load_b32 s0, s[0:1], 0x28
	s_lshl_b64 s[2:3], s[24:25], 1
	s_mul_i32 s17, s5, s15
	s_add_u32 s1, s22, s2
	s_mul_hi_u32 s25, s4, s15
	s_mul_i32 s24, s4, s15
	s_addc_u32 s6, s23, s3
	s_lshl_b64 s[4:5], s[20:21], 1
	v_cmp_neq_f32_e64 s2, s14, 0
	s_add_u32 s3, s1, s4
	s_addc_u32 s4, s6, s5
	s_ashr_i32 s5, s12, 31
	s_waitcnt lgkmcnt(0)
	s_ashr_i32 s1, s0, 31
	s_cmp_gt_i32 s18, 0
	v_mad_i64_i32 v[1:2], null, s0, v0, 0
	s_cselect_b32 s6, -1, 0
	s_and_b32 s7, s18, 7
	s_cmp_gt_u32 s18, 7
	s_cselect_b32 s13, -1, 0
	s_and_b32 s15, s18, 0x7ffffff8
	s_cmp_lg_u32 s7, 0
	s_delay_alu instid0(VALU_DEP_1)
	v_lshlrev_b64 v[1:2], 1, v[1:2]
	s_cselect_b32 s16, -1, 0
	s_add_i32 s25, s25, s17
	s_lshl_b64 s[10:11], s[10:11], 1
	s_lshl_b64 s[20:21], s[24:25], 1
	s_add_u32 s8, s8, s10
	s_addc_u32 s9, s9, s11
	s_add_u32 s8, s8, s20
	s_addc_u32 s9, s9, s21
	v_add_co_u32 v7, vcc_lo, s8, v1
	v_add_co_ci_u32_e32 v8, vcc_lo, s9, v2, vcc_lo
	s_mov_b32 s8, 0
	s_delay_alu instid0(VALU_DEP_2) | instskip(NEXT) | instid1(VALU_DEP_2)
	v_add_co_u32 v1, vcc_lo, v7, 14
	v_add_co_ci_u32_e32 v2, vcc_lo, 0, v8, vcc_lo
	s_lshl_b64 s[0:1], s[0:1], 9
	s_branch .LBB394_23
.LBB394_21:                             ;   in Loop: Header=BB394_23 Depth=1
	s_delay_alu instid0(VALU_DEP_2) | instskip(NEXT) | instid1(VALU_DEP_2)
	v_add_co_u32 v3, vcc_lo, s3, v3
	v_cvt_f16_f32_e32 v5, v9
	v_add_co_ci_u32_e32 v4, vcc_lo, s4, v4, vcc_lo
	global_store_b16 v[3:4], v5, off
.LBB394_22:                             ;   in Loop: Header=BB394_23 Depth=1
	s_or_b32 exec_lo, exec_lo, s9
	v_add_co_u32 v1, vcc_lo, v1, s0
	v_add_co_ci_u32_e32 v2, vcc_lo, s1, v2, vcc_lo
	v_add_co_u32 v7, vcc_lo, v7, s0
	v_add_co_ci_u32_e32 v8, vcc_lo, s1, v8, vcc_lo
	s_addk_i32 s8, 0x100
	s_delay_alu instid0(SALU_CYCLE_1)
	s_cmp_ge_i32 s8, s19
	s_cbranch_scc1 .LBB394_34
.LBB394_23:                             ; =>This Loop Header: Depth=1
                                        ;     Child Loop BB394_29 Depth 2
                                        ;     Child Loop BB394_33 Depth 2
	v_add_nc_u32_e32 v3, s8, v0
	s_mov_b32 s9, exec_lo
	s_delay_alu instid0(VALU_DEP_1)
	v_cmpx_gt_i32_e64 s19, v3
	s_cbranch_execz .LBB394_22
; %bb.24:                               ;   in Loop: Header=BB394_23 Depth=1
	v_mad_u64_u32 v[4:5], null, v3, s12, 0
	s_and_not1_b32 vcc_lo, exec_lo, s2
	s_delay_alu instid0(VALU_DEP_1) | instskip(NEXT) | instid1(VALU_DEP_1)
	v_mad_u64_u32 v[9:10], null, v3, s5, v[5:6]
	v_mov_b32_e32 v5, v9
	s_delay_alu instid0(VALU_DEP_1)
	v_lshlrev_b64 v[3:4], 1, v[4:5]
	s_cbranch_vccnz .LBB394_26
; %bb.25:                               ;   in Loop: Header=BB394_23 Depth=1
	s_delay_alu instid0(VALU_DEP_1) | instskip(NEXT) | instid1(VALU_DEP_2)
	v_add_co_u32 v5, vcc_lo, s3, v3
	v_add_co_ci_u32_e32 v6, vcc_lo, s4, v4, vcc_lo
	global_load_u16 v5, v[5:6], off
	s_waitcnt vmcnt(0)
	v_cvt_f32_f16_e32 v5, v5
	s_delay_alu instid0(VALU_DEP_1)
	v_mul_f32_e32 v9, s14, v5
	s_and_not1_b32 vcc_lo, exec_lo, s6
	s_cbranch_vccz .LBB394_27
	s_branch .LBB394_21
.LBB394_26:                             ;   in Loop: Header=BB394_23 Depth=1
	v_mov_b32_e32 v9, 0
	s_and_not1_b32 vcc_lo, exec_lo, s6
	s_cbranch_vccnz .LBB394_21
.LBB394_27:                             ;   in Loop: Header=BB394_23 Depth=1
	s_and_not1_b32 vcc_lo, exec_lo, s13
	s_cbranch_vccnz .LBB394_31
; %bb.28:                               ;   in Loop: Header=BB394_23 Depth=1
	v_dual_mov_b32 v6, v2 :: v_dual_mov_b32 v5, v1
	s_mov_b32 s10, 0
	s_mov_b32 s11, 0
	.p2align	6
.LBB394_29:                             ;   Parent Loop BB394_23 Depth=1
                                        ; =>  This Inner Loop Header: Depth=2
	global_load_b128 v[10:13], v[5:6], off offset:-14
	v_mov_b32_e32 v18, s10
	v_add_co_u32 v5, vcc_lo, v5, 16
	v_add_co_ci_u32_e32 v6, vcc_lo, 0, v6, vcc_lo
	ds_load_b128 v[14:17], v18
	ds_load_b128 v[18:21], v18 offset:16
	s_add_i32 s11, s11, 8
	s_add_i32 s10, s10, 32
	s_cmp_eq_u32 s15, s11
	s_waitcnt vmcnt(0) lgkmcnt(1)
	v_fma_mix_f32 v9, v14, v10, v9 op_sel_hi:[0,1,0]
	s_delay_alu instid0(VALU_DEP_1) | instskip(NEXT) | instid1(VALU_DEP_1)
	v_fma_mix_f32 v9, v15, v10, v9 op_sel:[0,1,0] op_sel_hi:[0,1,0]
	v_fma_mix_f32 v9, v16, v11, v9 op_sel_hi:[0,1,0]
	s_delay_alu instid0(VALU_DEP_1) | instskip(SKIP_1) | instid1(VALU_DEP_1)
	v_fma_mix_f32 v9, v17, v11, v9 op_sel:[0,1,0] op_sel_hi:[0,1,0]
	s_waitcnt lgkmcnt(0)
	v_fma_mix_f32 v9, v18, v12, v9 op_sel_hi:[0,1,0]
	s_delay_alu instid0(VALU_DEP_1) | instskip(NEXT) | instid1(VALU_DEP_1)
	v_fma_mix_f32 v9, v19, v12, v9 op_sel:[0,1,0] op_sel_hi:[0,1,0]
	v_fma_mix_f32 v9, v20, v13, v9 op_sel_hi:[0,1,0]
	s_delay_alu instid0(VALU_DEP_1)
	v_fma_mix_f32 v9, v21, v13, v9 op_sel:[0,1,0] op_sel_hi:[0,1,0]
	s_cbranch_scc0 .LBB394_29
; %bb.30:                               ;   in Loop: Header=BB394_23 Depth=1
	s_mov_b32 s10, s15
	s_and_not1_b32 vcc_lo, exec_lo, s16
	s_cbranch_vccz .LBB394_32
	s_branch .LBB394_21
.LBB394_31:                             ;   in Loop: Header=BB394_23 Depth=1
	s_mov_b32 s10, 0
	s_and_not1_b32 vcc_lo, exec_lo, s16
	s_cbranch_vccnz .LBB394_21
.LBB394_32:                             ;   in Loop: Header=BB394_23 Depth=1
	s_lshl_b32 s11, s10, 1
	s_lshl_b32 s10, s10, 2
	v_add_co_u32 v5, vcc_lo, v7, s11
	v_add_co_ci_u32_e32 v6, vcc_lo, 0, v8, vcc_lo
	s_mov_b32 s11, s7
.LBB394_33:                             ;   Parent Loop BB394_23 Depth=1
                                        ; =>  This Inner Loop Header: Depth=2
	global_load_u16 v10, v[5:6], off
	v_mov_b32_e32 v11, s10
	v_add_co_u32 v5, vcc_lo, v5, 2
	v_add_co_ci_u32_e32 v6, vcc_lo, 0, v6, vcc_lo
	ds_load_b32 v11, v11
	s_add_i32 s11, s11, -1
	s_add_i32 s10, s10, 4
	s_cmp_lg_u32 s11, 0
	s_waitcnt vmcnt(0) lgkmcnt(0)
	v_fma_mix_f32 v9, v11, v10, v9 op_sel_hi:[0,1,0]
	s_cbranch_scc1 .LBB394_33
	s_branch .LBB394_21
.LBB394_34:
	s_nop 0
	s_sendmsg sendmsg(MSG_DEALLOC_VGPRS)
	s_endpgm
	.section	.rodata,"a",@progbits
	.p2align	6, 0x0
	.amdhsa_kernel _ZL22rocblas_gemvtsm_kernelILb0ELi256EDF16_PKfDF16_EviiT2_lPKT1_lilS5_lilS2_lPT3_lil
		.amdhsa_group_segment_fixed_size 256
		.amdhsa_private_segment_fixed_size 0
		.amdhsa_kernarg_size 136
		.amdhsa_user_sgpr_count 15
		.amdhsa_user_sgpr_dispatch_ptr 0
		.amdhsa_user_sgpr_queue_ptr 0
		.amdhsa_user_sgpr_kernarg_segment_ptr 1
		.amdhsa_user_sgpr_dispatch_id 0
		.amdhsa_user_sgpr_private_segment_size 0
		.amdhsa_wavefront_size32 1
		.amdhsa_uses_dynamic_stack 0
		.amdhsa_enable_private_segment 0
		.amdhsa_system_sgpr_workgroup_id_x 1
		.amdhsa_system_sgpr_workgroup_id_y 0
		.amdhsa_system_sgpr_workgroup_id_z 0
		.amdhsa_system_sgpr_workgroup_info 0
		.amdhsa_system_vgpr_workitem_id 0
		.amdhsa_next_free_vgpr 22
		.amdhsa_next_free_sgpr 29
		.amdhsa_reserve_vcc 1
		.amdhsa_float_round_mode_32 0
		.amdhsa_float_round_mode_16_64 0
		.amdhsa_float_denorm_mode_32 3
		.amdhsa_float_denorm_mode_16_64 3
		.amdhsa_dx10_clamp 1
		.amdhsa_ieee_mode 1
		.amdhsa_fp16_overflow 0
		.amdhsa_workgroup_processor_mode 1
		.amdhsa_memory_ordered 1
		.amdhsa_forward_progress 0
		.amdhsa_shared_vgpr_count 0
		.amdhsa_exception_fp_ieee_invalid_op 0
		.amdhsa_exception_fp_denorm_src 0
		.amdhsa_exception_fp_ieee_div_zero 0
		.amdhsa_exception_fp_ieee_overflow 0
		.amdhsa_exception_fp_ieee_underflow 0
		.amdhsa_exception_fp_ieee_inexact 0
		.amdhsa_exception_int_div_zero 0
	.end_amdhsa_kernel
	.section	.text._ZL22rocblas_gemvtsm_kernelILb0ELi256EDF16_PKfDF16_EviiT2_lPKT1_lilS5_lilS2_lPT3_lil,"axG",@progbits,_ZL22rocblas_gemvtsm_kernelILb0ELi256EDF16_PKfDF16_EviiT2_lPKT1_lilS5_lilS2_lPT3_lil,comdat
.Lfunc_end394:
	.size	_ZL22rocblas_gemvtsm_kernelILb0ELi256EDF16_PKfDF16_EviiT2_lPKT1_lilS5_lilS2_lPT3_lil, .Lfunc_end394-_ZL22rocblas_gemvtsm_kernelILb0ELi256EDF16_PKfDF16_EviiT2_lPKT1_lilS5_lilS2_lPT3_lil
                                        ; -- End function
	.section	.AMDGPU.csdata,"",@progbits
; Kernel info:
; codeLenInByte = 1488
; NumSgprs: 31
; NumVgprs: 22
; ScratchSize: 0
; MemoryBound: 0
; FloatMode: 240
; IeeeMode: 1
; LDSByteSize: 256 bytes/workgroup (compile time only)
; SGPRBlocks: 3
; VGPRBlocks: 2
; NumSGPRsForWavesPerEU: 31
; NumVGPRsForWavesPerEU: 22
; Occupancy: 16
; WaveLimiterHint : 1
; COMPUTE_PGM_RSRC2:SCRATCH_EN: 0
; COMPUTE_PGM_RSRC2:USER_SGPR: 15
; COMPUTE_PGM_RSRC2:TRAP_HANDLER: 0
; COMPUTE_PGM_RSRC2:TGID_X_EN: 1
; COMPUTE_PGM_RSRC2:TGID_Y_EN: 0
; COMPUTE_PGM_RSRC2:TGID_Z_EN: 0
; COMPUTE_PGM_RSRC2:TIDIG_COMP_CNT: 0
	.section	.text._ZL22rocblas_gemvtsm_kernelILb0ELi256EDF16_fDF16_EviiT2_lPKT1_lilS3_lilS0_lPT3_lil,"axG",@progbits,_ZL22rocblas_gemvtsm_kernelILb0ELi256EDF16_fDF16_EviiT2_lPKT1_lilS3_lilS0_lPT3_lil,comdat
	.globl	_ZL22rocblas_gemvtsm_kernelILb0ELi256EDF16_fDF16_EviiT2_lPKT1_lilS3_lilS0_lPT3_lil ; -- Begin function _ZL22rocblas_gemvtsm_kernelILb0ELi256EDF16_fDF16_EviiT2_lPKT1_lilS3_lilS0_lPT3_lil
	.p2align	8
	.type	_ZL22rocblas_gemvtsm_kernelILb0ELi256EDF16_fDF16_EviiT2_lPKT1_lilS3_lilS0_lPT3_lil,@function
_ZL22rocblas_gemvtsm_kernelILb0ELi256EDF16_fDF16_EviiT2_lPKT1_lilS3_lilS0_lPT3_lil: ; @_ZL22rocblas_gemvtsm_kernelILb0ELi256EDF16_fDF16_EviiT2_lPKT1_lilS3_lilS0_lPT3_lil
; %bb.0:
	s_load_b128 s[4:7], s[0:1], 0x0
	s_waitcnt lgkmcnt(0)
	s_load_b32 s7, s[0:1], 0x58
	v_cmp_eq_f32_e64 s2, s6, 0
	s_waitcnt lgkmcnt(0)
	v_cmp_eq_f32_e64 s3, s7, 1.0
	s_delay_alu instid0(VALU_DEP_1) | instskip(NEXT) | instid1(SALU_CYCLE_1)
	s_and_b32 s2, s2, s3
	s_and_b32 vcc_lo, exec_lo, s2
	s_cbranch_vccnz .LBB395_34
; %bb.1:
	s_clause 0x2
	s_load_b64 s[2:3], s[0:1], 0x80
	s_load_b128 s[8:11], s[0:1], 0x68
	s_load_b32 s12, s[0:1], 0x78
	v_cmp_neq_f32_e64 s13, s6, 0
	s_delay_alu instid0(VALU_DEP_1)
	s_and_b32 vcc_lo, exec_lo, s13
	s_waitcnt lgkmcnt(0)
	s_mul_i32 s3, s15, s3
	s_mul_hi_u32 s13, s15, s2
	s_mul_i32 s20, s15, s2
	s_add_i32 s21, s13, s3
	s_cbranch_vccnz .LBB395_9
; %bb.2:
	s_cmp_gt_i32 s5, 0
	v_cmp_neq_f32_e64 s2, s7, 0
	s_cselect_b32 s14, -1, 0
	s_delay_alu instid0(SALU_CYCLE_1) | instskip(NEXT) | instid1(VALU_DEP_2)
	v_cndmask_b32_e64 v1, 0, 1, s14
	s_and_b32 vcc_lo, exec_lo, s2
	s_delay_alu instid0(VALU_DEP_1)
	v_cmp_ne_u32_e64 s2, 1, v1
	s_cbranch_vccnz .LBB395_10
; %bb.3:
	s_delay_alu instid0(VALU_DEP_1)
	s_and_b32 vcc_lo, exec_lo, s2
	s_cbranch_vccnz .LBB395_8
; %bb.4:
	v_mad_i64_i32 v[1:2], null, s12, v0, 0
	s_lshl_b64 s[16:17], s[10:11], 1
	s_ashr_i32 s13, s12, 31
	s_lshl_b64 s[2:3], s[20:21], 1
	s_add_u32 s16, s8, s16
	s_addc_u32 s17, s9, s17
	s_add_u32 s2, s16, s2
	s_delay_alu instid0(VALU_DEP_1) | instskip(SKIP_2) | instid1(VALU_DEP_2)
	v_lshlrev_b64 v[1:2], 1, v[1:2]
	s_addc_u32 s3, s17, s3
	v_mov_b32_e32 v3, 0
	v_add_co_u32 v1, vcc_lo, s2, v1
	s_delay_alu instid0(VALU_DEP_3)
	v_add_co_ci_u32_e32 v2, vcc_lo, s3, v2, vcc_lo
	s_lshl_b64 s[2:3], s[12:13], 9
	s_mov_b32 s13, 0
	s_branch .LBB395_6
.LBB395_5:                              ;   in Loop: Header=BB395_6 Depth=1
	s_or_b32 exec_lo, exec_lo, s16
	v_add_co_u32 v1, vcc_lo, v1, s2
	v_add_co_ci_u32_e32 v2, vcc_lo, s3, v2, vcc_lo
	s_addk_i32 s13, 0x100
	s_delay_alu instid0(SALU_CYCLE_1)
	s_cmp_ge_i32 s13, s5
	s_cbranch_scc1 .LBB395_8
.LBB395_6:                              ; =>This Inner Loop Header: Depth=1
	v_add_nc_u32_e32 v4, s13, v0
	s_mov_b32 s16, exec_lo
	s_delay_alu instid0(VALU_DEP_1)
	v_cmpx_gt_i32_e64 s5, v4
	s_cbranch_execz .LBB395_5
; %bb.7:                                ;   in Loop: Header=BB395_6 Depth=1
	global_store_b16 v[1:2], v3, off
	s_branch .LBB395_5
.LBB395_8:
	s_cbranch_execz .LBB395_11
	s_branch .LBB395_16
.LBB395_9:
	s_branch .LBB395_17
.LBB395_10:
.LBB395_11:
	s_and_not1_b32 vcc_lo, exec_lo, s14
	s_cbranch_vccnz .LBB395_16
; %bb.12:
	v_mad_i64_i32 v[1:2], null, s12, v0, 0
	s_lshl_b64 s[16:17], s[10:11], 1
	s_ashr_i32 s13, s12, 31
	s_lshl_b64 s[2:3], s[20:21], 1
	s_add_u32 s14, s8, s16
	s_addc_u32 s16, s9, s17
	s_add_u32 s2, s14, s2
	s_delay_alu instid0(VALU_DEP_1) | instskip(SKIP_1) | instid1(VALU_DEP_1)
	v_lshlrev_b64 v[1:2], 1, v[1:2]
	s_addc_u32 s3, s16, s3
	v_add_co_u32 v1, vcc_lo, s2, v1
	s_delay_alu instid0(VALU_DEP_2)
	v_add_co_ci_u32_e32 v2, vcc_lo, s3, v2, vcc_lo
	s_lshl_b64 s[2:3], s[12:13], 9
	s_mov_b32 s13, 0
	s_branch .LBB395_14
	.p2align	6
.LBB395_13:                             ;   in Loop: Header=BB395_14 Depth=1
	s_or_b32 exec_lo, exec_lo, s14
	v_add_co_u32 v1, vcc_lo, v1, s2
	v_add_co_ci_u32_e32 v2, vcc_lo, s3, v2, vcc_lo
	s_addk_i32 s13, 0x100
	s_delay_alu instid0(SALU_CYCLE_1)
	s_cmp_ge_i32 s13, s5
	s_cbranch_scc1 .LBB395_16
.LBB395_14:                             ; =>This Inner Loop Header: Depth=1
	v_add_nc_u32_e32 v3, s13, v0
	s_mov_b32 s14, exec_lo
	s_delay_alu instid0(VALU_DEP_1)
	v_cmpx_gt_i32_e64 s5, v3
	s_cbranch_execz .LBB395_13
; %bb.15:                               ;   in Loop: Header=BB395_14 Depth=1
	global_load_u16 v3, v[1:2], off
	s_waitcnt vmcnt(0)
	v_fma_mixlo_f16 v3, v3, s7, 0 op_sel_hi:[1,0,0]
	global_store_b16 v[1:2], v3, off
	s_branch .LBB395_13
.LBB395_16:
	s_cbranch_execnz .LBB395_34
.LBB395_17:
	s_clause 0x1
	s_load_b128 s[16:19], s[0:1], 0x30
	s_load_b64 s[2:3], s[0:1], 0x40
	s_mov_b32 s13, exec_lo
	v_cmpx_gt_i32_e64 s4, v0
	s_cbranch_execz .LBB395_19
; %bb.18:
	s_clause 0x1
	s_load_b64 s[22:23], s[0:1], 0x50
	s_load_b32 s14, s[0:1], 0x48
	s_waitcnt lgkmcnt(0)
	s_mul_i32 s23, s15, s23
	v_mad_i64_i32 v[1:2], null, s14, v0, 0
	s_mul_hi_u32 s24, s15, s22
	s_mul_i32 s22, s15, s22
	s_add_i32 s23, s24, s23
	s_delay_alu instid0(SALU_CYCLE_1) | instskip(NEXT) | instid1(SALU_CYCLE_1)
	s_lshl_b64 s[22:23], s[22:23], 1
	s_add_u32 s14, s18, s22
	s_delay_alu instid0(VALU_DEP_1) | instskip(SKIP_2) | instid1(SALU_CYCLE_1)
	v_lshlrev_b64 v[1:2], 1, v[1:2]
	s_addc_u32 s18, s19, s23
	s_lshl_b64 s[2:3], s[2:3], 1
	s_add_u32 s2, s14, s2
	s_addc_u32 s3, s18, s3
	s_delay_alu instid0(VALU_DEP_1)
	v_add_co_u32 v1, vcc_lo, s2, v1
	v_add_co_ci_u32_e32 v2, vcc_lo, s3, v2, vcc_lo
	global_load_u16 v1, v[1:2], off
	v_lshlrev_b32_e32 v2, 2, v0
	s_waitcnt vmcnt(0)
	v_cvt_f32_f16_e32 v1, v1
	s_delay_alu instid0(VALU_DEP_1)
	v_mul_f32_e32 v1, s6, v1
	ds_store_b32 v2, v1
.LBB395_19:
	s_or_b32 exec_lo, exec_lo, s13
	s_cmp_lt_i32 s5, 1
	s_waitcnt lgkmcnt(0)
	s_waitcnt_vscnt null, 0x0
	s_barrier
	buffer_gl0_inv
	s_cbranch_scc1 .LBB395_34
; %bb.20:
	s_clause 0x1
	s_load_b32 s18, s[0:1], 0x28
	s_load_b128 s[0:3], s[0:1], 0x18
	s_lshl_b64 s[20:21], s[20:21], 1
	s_mul_i32 s17, s17, s15
	s_add_u32 s13, s8, s20
	s_addc_u32 s14, s9, s21
	s_lshl_b64 s[8:9], s[10:11], 1
	s_mul_hi_u32 s22, s16, s15
	s_add_u32 s8, s13, s8
	s_addc_u32 s9, s14, s9
	s_ashr_i32 s10, s12, 31
	s_mul_i32 s16, s16, s15
	v_cmp_neq_f32_e64 s6, s7, 0
	s_waitcnt lgkmcnt(0)
	s_ashr_i32 s19, s18, 31
	s_cmp_gt_i32 s4, 0
	v_mad_i64_i32 v[1:2], null, s18, v0, 0
	s_cselect_b32 s11, -1, 0
	s_and_b32 s13, s4, 7
	s_cmp_gt_u32 s4, 7
	s_cselect_b32 s14, -1, 0
	s_and_b32 s4, s4, 0x7ffffff8
	s_cmp_lg_u32 s13, 0
	s_delay_alu instid0(VALU_DEP_1)
	v_lshlrev_b64 v[1:2], 1, v[1:2]
	s_cselect_b32 s15, -1, 0
	s_add_i32 s17, s22, s17
	s_lshl_b64 s[2:3], s[2:3], 1
	s_lshl_b64 s[16:17], s[16:17], 1
	s_add_u32 s0, s0, s2
	s_addc_u32 s1, s1, s3
	s_add_u32 s0, s0, s16
	s_addc_u32 s1, s1, s17
	v_add_co_u32 v7, vcc_lo, s0, v1
	v_add_co_ci_u32_e32 v8, vcc_lo, s1, v2, vcc_lo
	s_mov_b32 s2, 0
	s_delay_alu instid0(VALU_DEP_2) | instskip(NEXT) | instid1(VALU_DEP_2)
	v_add_co_u32 v1, vcc_lo, v7, 14
	v_add_co_ci_u32_e32 v2, vcc_lo, 0, v8, vcc_lo
	s_lshl_b64 s[0:1], s[18:19], 9
	s_branch .LBB395_23
.LBB395_21:                             ;   in Loop: Header=BB395_23 Depth=1
	s_delay_alu instid0(VALU_DEP_2) | instskip(NEXT) | instid1(VALU_DEP_2)
	v_add_co_u32 v3, vcc_lo, s8, v3
	v_cvt_f16_f32_e32 v5, v9
	v_add_co_ci_u32_e32 v4, vcc_lo, s9, v4, vcc_lo
	global_store_b16 v[3:4], v5, off
.LBB395_22:                             ;   in Loop: Header=BB395_23 Depth=1
	s_or_b32 exec_lo, exec_lo, s3
	v_add_co_u32 v1, vcc_lo, v1, s0
	v_add_co_ci_u32_e32 v2, vcc_lo, s1, v2, vcc_lo
	v_add_co_u32 v7, vcc_lo, v7, s0
	v_add_co_ci_u32_e32 v8, vcc_lo, s1, v8, vcc_lo
	s_addk_i32 s2, 0x100
	s_delay_alu instid0(SALU_CYCLE_1)
	s_cmp_ge_i32 s2, s5
	s_cbranch_scc1 .LBB395_34
.LBB395_23:                             ; =>This Loop Header: Depth=1
                                        ;     Child Loop BB395_29 Depth 2
                                        ;     Child Loop BB395_33 Depth 2
	v_add_nc_u32_e32 v3, s2, v0
	s_mov_b32 s3, exec_lo
	s_delay_alu instid0(VALU_DEP_1)
	v_cmpx_gt_i32_e64 s5, v3
	s_cbranch_execz .LBB395_22
; %bb.24:                               ;   in Loop: Header=BB395_23 Depth=1
	v_mad_u64_u32 v[4:5], null, v3, s12, 0
	s_and_not1_b32 vcc_lo, exec_lo, s6
	s_delay_alu instid0(VALU_DEP_1) | instskip(NEXT) | instid1(VALU_DEP_1)
	v_mad_u64_u32 v[9:10], null, v3, s10, v[5:6]
	v_mov_b32_e32 v5, v9
	s_delay_alu instid0(VALU_DEP_1)
	v_lshlrev_b64 v[3:4], 1, v[4:5]
	s_cbranch_vccnz .LBB395_26
; %bb.25:                               ;   in Loop: Header=BB395_23 Depth=1
	s_delay_alu instid0(VALU_DEP_1) | instskip(NEXT) | instid1(VALU_DEP_2)
	v_add_co_u32 v5, vcc_lo, s8, v3
	v_add_co_ci_u32_e32 v6, vcc_lo, s9, v4, vcc_lo
	global_load_u16 v5, v[5:6], off
	s_waitcnt vmcnt(0)
	v_cvt_f32_f16_e32 v5, v5
	s_delay_alu instid0(VALU_DEP_1)
	v_mul_f32_e32 v9, s7, v5
	s_and_not1_b32 vcc_lo, exec_lo, s11
	s_cbranch_vccz .LBB395_27
	s_branch .LBB395_21
.LBB395_26:                             ;   in Loop: Header=BB395_23 Depth=1
	v_mov_b32_e32 v9, 0
	s_and_not1_b32 vcc_lo, exec_lo, s11
	s_cbranch_vccnz .LBB395_21
.LBB395_27:                             ;   in Loop: Header=BB395_23 Depth=1
	s_and_not1_b32 vcc_lo, exec_lo, s14
	s_cbranch_vccnz .LBB395_31
; %bb.28:                               ;   in Loop: Header=BB395_23 Depth=1
	v_dual_mov_b32 v6, v2 :: v_dual_mov_b32 v5, v1
	s_mov_b32 s16, 0
	s_mov_b32 s17, 0
	.p2align	6
.LBB395_29:                             ;   Parent Loop BB395_23 Depth=1
                                        ; =>  This Inner Loop Header: Depth=2
	global_load_b128 v[10:13], v[5:6], off offset:-14
	v_mov_b32_e32 v18, s16
	v_add_co_u32 v5, vcc_lo, v5, 16
	v_add_co_ci_u32_e32 v6, vcc_lo, 0, v6, vcc_lo
	ds_load_b128 v[14:17], v18
	ds_load_b128 v[18:21], v18 offset:16
	s_add_i32 s17, s17, 8
	s_add_i32 s16, s16, 32
	s_cmp_eq_u32 s4, s17
	s_waitcnt vmcnt(0) lgkmcnt(1)
	v_fma_mix_f32 v9, v14, v10, v9 op_sel_hi:[0,1,0]
	s_delay_alu instid0(VALU_DEP_1) | instskip(NEXT) | instid1(VALU_DEP_1)
	v_fma_mix_f32 v9, v15, v10, v9 op_sel:[0,1,0] op_sel_hi:[0,1,0]
	v_fma_mix_f32 v9, v16, v11, v9 op_sel_hi:[0,1,0]
	s_delay_alu instid0(VALU_DEP_1) | instskip(SKIP_1) | instid1(VALU_DEP_1)
	v_fma_mix_f32 v9, v17, v11, v9 op_sel:[0,1,0] op_sel_hi:[0,1,0]
	s_waitcnt lgkmcnt(0)
	v_fma_mix_f32 v9, v18, v12, v9 op_sel_hi:[0,1,0]
	s_delay_alu instid0(VALU_DEP_1) | instskip(NEXT) | instid1(VALU_DEP_1)
	v_fma_mix_f32 v9, v19, v12, v9 op_sel:[0,1,0] op_sel_hi:[0,1,0]
	v_fma_mix_f32 v9, v20, v13, v9 op_sel_hi:[0,1,0]
	s_delay_alu instid0(VALU_DEP_1)
	v_fma_mix_f32 v9, v21, v13, v9 op_sel:[0,1,0] op_sel_hi:[0,1,0]
	s_cbranch_scc0 .LBB395_29
; %bb.30:                               ;   in Loop: Header=BB395_23 Depth=1
	s_mov_b32 s16, s4
	s_and_not1_b32 vcc_lo, exec_lo, s15
	s_cbranch_vccz .LBB395_32
	s_branch .LBB395_21
.LBB395_31:                             ;   in Loop: Header=BB395_23 Depth=1
	s_mov_b32 s16, 0
	s_and_not1_b32 vcc_lo, exec_lo, s15
	s_cbranch_vccnz .LBB395_21
.LBB395_32:                             ;   in Loop: Header=BB395_23 Depth=1
	s_lshl_b32 s17, s16, 1
	s_lshl_b32 s16, s16, 2
	v_add_co_u32 v5, vcc_lo, v7, s17
	v_add_co_ci_u32_e32 v6, vcc_lo, 0, v8, vcc_lo
	s_mov_b32 s17, s13
.LBB395_33:                             ;   Parent Loop BB395_23 Depth=1
                                        ; =>  This Inner Loop Header: Depth=2
	global_load_u16 v10, v[5:6], off
	v_mov_b32_e32 v11, s16
	v_add_co_u32 v5, vcc_lo, v5, 2
	v_add_co_ci_u32_e32 v6, vcc_lo, 0, v6, vcc_lo
	ds_load_b32 v11, v11
	s_add_i32 s17, s17, -1
	s_add_i32 s16, s16, 4
	s_cmp_lg_u32 s17, 0
	s_waitcnt vmcnt(0) lgkmcnt(0)
	v_fma_mix_f32 v9, v11, v10, v9 op_sel_hi:[0,1,0]
	s_cbranch_scc1 .LBB395_33
	s_branch .LBB395_21
.LBB395_34:
	s_nop 0
	s_sendmsg sendmsg(MSG_DEALLOC_VGPRS)
	s_endpgm
	.section	.rodata,"a",@progbits
	.p2align	6, 0x0
	.amdhsa_kernel _ZL22rocblas_gemvtsm_kernelILb0ELi256EDF16_fDF16_EviiT2_lPKT1_lilS3_lilS0_lPT3_lil
		.amdhsa_group_segment_fixed_size 256
		.amdhsa_private_segment_fixed_size 0
		.amdhsa_kernarg_size 136
		.amdhsa_user_sgpr_count 15
		.amdhsa_user_sgpr_dispatch_ptr 0
		.amdhsa_user_sgpr_queue_ptr 0
		.amdhsa_user_sgpr_kernarg_segment_ptr 1
		.amdhsa_user_sgpr_dispatch_id 0
		.amdhsa_user_sgpr_private_segment_size 0
		.amdhsa_wavefront_size32 1
		.amdhsa_uses_dynamic_stack 0
		.amdhsa_enable_private_segment 0
		.amdhsa_system_sgpr_workgroup_id_x 1
		.amdhsa_system_sgpr_workgroup_id_y 0
		.amdhsa_system_sgpr_workgroup_id_z 0
		.amdhsa_system_sgpr_workgroup_info 0
		.amdhsa_system_vgpr_workitem_id 0
		.amdhsa_next_free_vgpr 22
		.amdhsa_next_free_sgpr 25
		.amdhsa_reserve_vcc 1
		.amdhsa_float_round_mode_32 0
		.amdhsa_float_round_mode_16_64 0
		.amdhsa_float_denorm_mode_32 3
		.amdhsa_float_denorm_mode_16_64 3
		.amdhsa_dx10_clamp 1
		.amdhsa_ieee_mode 1
		.amdhsa_fp16_overflow 0
		.amdhsa_workgroup_processor_mode 1
		.amdhsa_memory_ordered 1
		.amdhsa_forward_progress 0
		.amdhsa_shared_vgpr_count 0
		.amdhsa_exception_fp_ieee_invalid_op 0
		.amdhsa_exception_fp_denorm_src 0
		.amdhsa_exception_fp_ieee_div_zero 0
		.amdhsa_exception_fp_ieee_overflow 0
		.amdhsa_exception_fp_ieee_underflow 0
		.amdhsa_exception_fp_ieee_inexact 0
		.amdhsa_exception_int_div_zero 0
	.end_amdhsa_kernel
	.section	.text._ZL22rocblas_gemvtsm_kernelILb0ELi256EDF16_fDF16_EviiT2_lPKT1_lilS3_lilS0_lPT3_lil,"axG",@progbits,_ZL22rocblas_gemvtsm_kernelILb0ELi256EDF16_fDF16_EviiT2_lPKT1_lilS3_lilS0_lPT3_lil,comdat
.Lfunc_end395:
	.size	_ZL22rocblas_gemvtsm_kernelILb0ELi256EDF16_fDF16_EviiT2_lPKT1_lilS3_lilS0_lPT3_lil, .Lfunc_end395-_ZL22rocblas_gemvtsm_kernelILb0ELi256EDF16_fDF16_EviiT2_lPKT1_lilS3_lilS0_lPT3_lil
                                        ; -- End function
	.section	.AMDGPU.csdata,"",@progbits
; Kernel info:
; codeLenInByte = 1428
; NumSgprs: 27
; NumVgprs: 22
; ScratchSize: 0
; MemoryBound: 0
; FloatMode: 240
; IeeeMode: 1
; LDSByteSize: 256 bytes/workgroup (compile time only)
; SGPRBlocks: 3
; VGPRBlocks: 2
; NumSGPRsForWavesPerEU: 27
; NumVGPRsForWavesPerEU: 22
; Occupancy: 16
; WaveLimiterHint : 1
; COMPUTE_PGM_RSRC2:SCRATCH_EN: 0
; COMPUTE_PGM_RSRC2:USER_SGPR: 15
; COMPUTE_PGM_RSRC2:TRAP_HANDLER: 0
; COMPUTE_PGM_RSRC2:TGID_X_EN: 1
; COMPUTE_PGM_RSRC2:TGID_Y_EN: 0
; COMPUTE_PGM_RSRC2:TGID_Z_EN: 0
; COMPUTE_PGM_RSRC2:TIDIG_COMP_CNT: 0
	.section	.text._ZL23rocblas_gemvt_sn_kernelILb0ELi256ELi4EiDF16_PKffEviiT4_lPKT3_lilS5_lilPT5_i,"axG",@progbits,_ZL23rocblas_gemvt_sn_kernelILb0ELi256ELi4EiDF16_PKffEviiT4_lPKT3_lilS5_lilPT5_i,comdat
	.globl	_ZL23rocblas_gemvt_sn_kernelILb0ELi256ELi4EiDF16_PKffEviiT4_lPKT3_lilS5_lilPT5_i ; -- Begin function _ZL23rocblas_gemvt_sn_kernelILb0ELi256ELi4EiDF16_PKffEviiT4_lPKT3_lilS5_lilPT5_i
	.p2align	8
	.type	_ZL23rocblas_gemvt_sn_kernelILb0ELi256ELi4EiDF16_PKffEviiT4_lPKT3_lilS5_lilPT5_i,@function
_ZL23rocblas_gemvt_sn_kernelILb0ELi256ELi4EiDF16_PKffEviiT4_lPKT3_lilS5_lilPT5_i: ; @_ZL23rocblas_gemvt_sn_kernelILb0ELi256ELi4EiDF16_PKffEviiT4_lPKT3_lilS5_lilPT5_i
; %bb.0:
	s_clause 0x2
	s_load_b256 s[4:11], s[0:1], 0x8
	s_load_b64 s[12:13], s[0:1], 0x0
	s_load_b32 s16, s[0:1], 0x68
	s_waitcnt lgkmcnt(0)
	s_mul_i32 s3, s15, s7
	s_mul_hi_u32 s7, s15, s6
	s_mul_i32 s2, s15, s6
	s_add_i32 s3, s7, s3
	s_mul_i32 s17, s13, s15
	s_lshl_b64 s[2:3], s[2:3], 2
	s_delay_alu instid0(SALU_CYCLE_1)
	s_add_u32 s2, s4, s2
	s_addc_u32 s3, s5, s3
	s_load_b32 s33, s[2:3], 0x0
	s_load_b128 s[4:7], s[0:1], 0x50
	s_ashr_i32 s19, s13, 31
	s_mul_hi_u32 s2, s13, s15
	s_mul_i32 s3, s19, s15
	s_delay_alu instid0(SALU_CYCLE_1) | instskip(SKIP_4) | instid1(SALU_CYCLE_1)
	s_add_i32 s2, s2, s3
	s_mul_hi_u32 s3, s17, s16
	s_mul_i32 s18, s2, s16
	s_mul_i32 s2, s17, s16
	s_add_i32 s3, s3, s18
	s_lshl_b64 s[2:3], s[2:3], 2
	s_waitcnt lgkmcnt(0)
	v_cmp_neq_f32_e64 s17, s33, 0
	s_add_u32 s38, s6, s2
	v_cmp_eq_u32_e64 s2, 0, v0
	s_addc_u32 s37, s7, s3
	s_delay_alu instid0(VALU_DEP_2)
	s_and_b32 vcc_lo, exec_lo, s17
	s_mov_b32 s17, 0
	s_cbranch_vccnz .LBB396_5
; %bb.1:
	s_cmp_gt_i32 s13, 0
	s_cselect_b32 s3, -1, 0
	s_delay_alu instid0(SALU_CYCLE_1) | instskip(NEXT) | instid1(SALU_CYCLE_1)
	s_and_b32 s2, s2, s3
	s_and_saveexec_b32 s18, s2
	s_cbranch_execz .LBB396_4
; %bb.2:
	s_mov_b32 s2, s15
	s_mov_b32 s15, 0
	v_mov_b32_e32 v1, 0
	s_lshl_b64 s[6:7], s[14:15], 2
	s_mov_b32 s15, s2
	s_add_u32 s2, s38, s6
	s_addc_u32 s3, s37, s7
	s_lshl_b64 s[6:7], s[16:17], 2
	s_mov_b32 s17, s13
.LBB396_3:                              ; =>This Inner Loop Header: Depth=1
	s_delay_alu instid0(SALU_CYCLE_1)
	s_add_i32 s17, s17, -1
	global_store_b32 v1, v1, s[2:3]
	s_add_u32 s2, s2, s6
	s_addc_u32 s3, s3, s7
	s_cmp_eq_u32 s17, 0
	s_cbranch_scc0 .LBB396_3
.LBB396_4:
	s_or_b32 exec_lo, exec_lo, s18
	s_cbranch_execz .LBB396_6
	s_branch .LBB396_79
.LBB396_5:
.LBB396_6:
	s_clause 0x1
	s_load_b128 s[20:23], s[0:1], 0x30
	s_load_b64 s[2:3], s[0:1], 0x40
	s_mul_i32 s5, s15, s5
	s_mul_hi_u32 s6, s15, s4
	s_mul_i32 s4, s15, s4
	s_add_i32 s5, s6, s5
	s_load_b32 s17, s[0:1], 0x48
	s_lshl_b64 s[4:5], s[4:5], 1
	v_and_b32_e32 v6, 31, v0
	v_mbcnt_lo_u32_b32 v22, -1, 0
	v_lshrrev_b32_e32 v23, 3, v0
	s_waitcnt lgkmcnt(0)
	s_add_u32 s6, s22, s4
	s_addc_u32 s5, s23, s5
	s_lshl_b64 s[2:3], s[2:3], 1
	s_mul_i32 s7, s15, s21
	s_mul_hi_u32 s18, s15, s20
	s_add_u32 s34, s6, s2
	s_mul_i32 s4, s15, s20
	s_addc_u32 s35, s5, s3
	s_add_i32 s5, s18, s7
	s_load_b32 s18, s[0:1], 0x28
	s_lshl_b64 s[20:21], s[4:5], 1
	v_cmp_gt_u32_e64 s0, 32, v0
	s_add_u32 s1, s8, s20
	s_addc_u32 s2, s9, s21
	s_lshl_b64 s[10:11], s[10:11], 1
	s_delay_alu instid0(SALU_CYCLE_1)
	s_add_u32 s3, s1, s10
	s_addc_u32 s2, s2, s11
	s_lshl_b32 s1, s14, 10
	s_ashr_i32 s4, s12, 31
	v_lshl_or_b32 v1, v0, 2, s1
	s_lshr_b32 s4, s4, 30
	s_lshr_b32 s5, s19, 30
	s_add_i32 s4, s12, s4
	s_add_i32 s5, s13, s5
	v_ashrrev_i32_e32 v2, 31, v1
	s_and_b32 s4, s4, -4
	v_mul_lo_u32 v5, v1, s17
	s_sub_i32 s36, s12, s4
	v_cmp_gt_u32_e64 s1, 8, v0
	v_lshlrev_b64 v[7:8], 1, v[1:2]
	v_add_nc_u32_e32 v24, 4, v1
	v_add_nc_u32_e32 v25, s36, v1
	s_and_b32 s15, s5, -4
	s_delay_alu instid0(SALU_CYCLE_1) | instskip(NEXT) | instid1(VALU_DEP_3)
	s_cmp_lt_i32 s15, 1
	v_add_co_u32 v20, vcc_lo, s3, v7
	v_add_co_ci_u32_e32 v21, vcc_lo, s2, v8, vcc_lo
	s_cbranch_scc1 .LBB396_54
; %bb.7:
	v_cmp_gt_u32_e32 vcc_lo, 16, v22
	v_mul_lo_u32 v9, v1, s17
	s_cmp_gt_i32 s36, 0
	s_mov_b32 s23, 0
	s_cselect_b32 s39, -1, 0
	v_cndmask_b32_e64 v2, 0, 1, vcc_lo
	v_cmp_gt_u32_e32 vcc_lo, 24, v22
	s_waitcnt lgkmcnt(0)
	s_lshl_b32 s40, s18, 2
	s_lshl_b32 s22, s18, 1
	s_add_u32 s6, s20, s10
	v_dual_mov_b32 v35, 0 :: v_dual_lshlrev_b32 v2, 4, v2
	v_cndmask_b32_e64 v3, 0, 1, vcc_lo
	v_cmp_gt_u32_e32 vcc_lo, 28, v22
	s_addc_u32 s7, s21, s11
	s_delay_alu instid0(VALU_DEP_3)
	v_add_lshl_u32 v26, v2, v22, 2
	s_add_u32 s6, s8, s6
	v_lshlrev_b32_e32 v2, 3, v3
	v_cndmask_b32_e64 v4, 0, 1, vcc_lo
	v_cmp_gt_u32_e32 vcc_lo, 30, v22
	s_addc_u32 s7, s9, s7
	v_cmp_ge_i32_e64 s2, s12, v24
	v_add_lshl_u32 v27, v2, v22, 2
	v_lshlrev_b32_e32 v3, 2, v4
	v_cndmask_b32_e64 v10, 0, 1, vcc_lo
	v_cmp_ne_u32_e32 vcc_lo, 31, v22
	v_cmp_ge_i32_e64 s3, s12, v25
	v_cmp_eq_u32_e64 s4, 0, v6
	v_add_lshl_u32 v28, v3, v22, 2
	v_lshlrev_b32_e32 v1, 1, v10
	v_ashrrev_i32_e32 v10, 31, v9
	v_add_co_ci_u32_e32 v4, vcc_lo, 0, v22, vcc_lo
	v_lshlrev_b32_e32 v31, 2, v6
	s_delay_alu instid0(VALU_DEP_4)
	v_add_lshl_u32 v29, v1, v22, 2
	v_add_nc_u32_e32 v1, s17, v9
	v_lshlrev_b64 v[10:11], 1, v[9:10]
	v_lshlrev_b32_e32 v30, 2, v4
	v_and_b32_e32 v32, 28, v23
	v_cmp_eq_u32_e64 s5, 0, v0
	v_add_nc_u32_e32 v3, s17, v1
	v_ashrrev_i32_e32 v2, 31, v1
	v_add_co_u32 v10, vcc_lo, s34, v10
	v_add_co_ci_u32_e32 v11, vcc_lo, s35, v11, vcc_lo
	s_delay_alu instid0(VALU_DEP_4) | instskip(NEXT) | instid1(VALU_DEP_4)
	v_add_nc_u32_e32 v14, s17, v3
	v_lshlrev_b64 v[1:2], 1, v[1:2]
	v_ashrrev_i32_e32 v4, 31, v3
	s_mov_b32 s19, s23
	s_mul_i32 s41, s18, 3
	v_ashrrev_i32_e32 v15, 31, v14
	s_mov_b32 s42, s23
	v_lshlrev_b64 v[3:4], 1, v[3:4]
	v_add_co_u32 v12, vcc_lo, s34, v1
	v_add_co_ci_u32_e32 v13, vcc_lo, s35, v2, vcc_lo
	v_lshlrev_b64 v[1:2], 1, v[14:15]
	s_delay_alu instid0(VALU_DEP_4) | instskip(SKIP_2) | instid1(VALU_DEP_3)
	v_add_co_u32 v14, vcc_lo, s34, v3
	v_add_co_ci_u32_e32 v15, vcc_lo, s35, v4, vcc_lo
	s_mov_b32 s24, s23
	v_add_co_u32 v16, vcc_lo, s34, v1
	s_delay_alu instid0(VALU_DEP_4)
	v_add_co_ci_u32_e32 v17, vcc_lo, s35, v2, vcc_lo
	v_add_co_u32 v33, vcc_lo, s6, v7
	v_add_co_ci_u32_e32 v34, vcc_lo, s7, v8, vcc_lo
	s_mov_b64 s[26:27], s[22:23]
	s_mov_b64 s[28:29], s[18:19]
	s_mov_b32 s19, 0
                                        ; implicit-def: $vgpr1_vgpr2_vgpr3_vgpr4
	s_branch .LBB396_9
.LBB396_8:                              ;   in Loop: Header=BB396_9 Depth=1
	s_or_b32 exec_lo, exec_lo, s6
	s_add_i32 s19, s19, 4
	s_add_u32 s28, s28, s40
	s_addc_u32 s29, s29, 0
	s_add_u32 s26, s26, s40
	s_addc_u32 s27, s27, 0
	;; [unrolled: 2-line block ×3, first 2 shown]
	s_add_i32 s24, s24, s40
	s_cmp_ge_i32 s19, s15
	s_cbranch_scc1 .LBB396_55
.LBB396_9:                              ; =>This Loop Header: Depth=1
                                        ;     Child Loop BB396_40 Depth 2
                                        ;     Child Loop BB396_43 Depth 2
                                        ; implicit-def: $vgpr36
                                        ; implicit-def: $vgpr37
                                        ; implicit-def: $vgpr38
                                        ; implicit-def: $vgpr39
	s_and_saveexec_b32 s6, s2
	s_delay_alu instid0(SALU_CYCLE_1)
	s_xor_b32 s6, exec_lo, s6
	s_cbranch_execnz .LBB396_36
; %bb.10:                               ;   in Loop: Header=BB396_9 Depth=1
	s_and_not1_saveexec_b32 s22, s6
	s_cbranch_execnz .LBB396_37
.LBB396_11:                             ;   in Loop: Header=BB396_9 Depth=1
	s_or_b32 exec_lo, exec_lo, s22
	s_and_saveexec_b32 s6, s0
	s_cbranch_execz .LBB396_13
.LBB396_12:                             ;   in Loop: Header=BB396_9 Depth=1
	ds_store_b32 v31, v35
.LBB396_13:                             ;   in Loop: Header=BB396_9 Depth=1
	s_or_b32 exec_lo, exec_lo, s6
	ds_bpermute_b32 v18, v26, v39
	s_waitcnt lgkmcnt(0)
	s_waitcnt_vscnt null, 0x0
	s_barrier
	buffer_gl0_inv
	v_add_f32_e32 v18, v39, v18
	ds_bpermute_b32 v19, v27, v18
	s_waitcnt lgkmcnt(0)
	v_add_f32_e32 v18, v18, v19
	ds_bpermute_b32 v19, v28, v18
	s_waitcnt lgkmcnt(0)
	;; [unrolled: 3-line block ×3, first 2 shown]
	v_add_f32_e32 v18, v18, v19
	ds_bpermute_b32 v19, v30, v18
	s_and_saveexec_b32 s6, s4
	s_cbranch_execz .LBB396_15
; %bb.14:                               ;   in Loop: Header=BB396_9 Depth=1
	s_waitcnt lgkmcnt(0)
	v_add_f32_e32 v18, v18, v19
	ds_store_b32 v32, v18
.LBB396_15:                             ;   in Loop: Header=BB396_9 Depth=1
	s_or_b32 exec_lo, exec_lo, s6
	v_mov_b32_e32 v18, 0
	s_waitcnt lgkmcnt(0)
	s_barrier
	buffer_gl0_inv
	s_and_saveexec_b32 s6, s1
	s_cbranch_execnz .LBB396_45
; %bb.16:                               ;   in Loop: Header=BB396_9 Depth=1
	s_or_b32 exec_lo, exec_lo, s6
	s_and_saveexec_b32 s6, s0
	s_cbranch_execnz .LBB396_46
.LBB396_17:                             ;   in Loop: Header=BB396_9 Depth=1
	s_or_b32 exec_lo, exec_lo, s6
	s_and_saveexec_b32 s6, s0
	s_cbranch_execz .LBB396_19
.LBB396_18:                             ;   in Loop: Header=BB396_9 Depth=1
	ds_store_b32 v31, v35
.LBB396_19:                             ;   in Loop: Header=BB396_9 Depth=1
	s_or_b32 exec_lo, exec_lo, s6
	ds_bpermute_b32 v19, v26, v38
	s_waitcnt lgkmcnt(0)
	s_barrier
	buffer_gl0_inv
	v_add_f32_e32 v19, v38, v19
	ds_bpermute_b32 v38, v27, v19
	s_waitcnt lgkmcnt(0)
	v_add_f32_e32 v19, v19, v38
	ds_bpermute_b32 v38, v28, v19
	s_waitcnt lgkmcnt(0)
	;; [unrolled: 3-line block ×3, first 2 shown]
	v_add_f32_e32 v19, v19, v38
	ds_bpermute_b32 v38, v30, v19
	s_and_saveexec_b32 s6, s4
	s_cbranch_execz .LBB396_21
; %bb.20:                               ;   in Loop: Header=BB396_9 Depth=1
	s_waitcnt lgkmcnt(0)
	v_add_f32_e32 v19, v19, v38
	ds_store_b32 v32, v19
.LBB396_21:                             ;   in Loop: Header=BB396_9 Depth=1
	s_or_b32 exec_lo, exec_lo, s6
	v_mov_b32_e32 v19, 0
	s_waitcnt lgkmcnt(0)
	s_barrier
	buffer_gl0_inv
	s_and_saveexec_b32 s6, s1
	s_cbranch_execnz .LBB396_47
; %bb.22:                               ;   in Loop: Header=BB396_9 Depth=1
	s_or_b32 exec_lo, exec_lo, s6
	s_and_saveexec_b32 s6, s0
	s_cbranch_execnz .LBB396_48
.LBB396_23:                             ;   in Loop: Header=BB396_9 Depth=1
	s_or_b32 exec_lo, exec_lo, s6
	s_and_saveexec_b32 s6, s0
	s_cbranch_execz .LBB396_25
.LBB396_24:                             ;   in Loop: Header=BB396_9 Depth=1
	ds_store_b32 v31, v35
.LBB396_25:                             ;   in Loop: Header=BB396_9 Depth=1
	s_or_b32 exec_lo, exec_lo, s6
	ds_bpermute_b32 v38, v26, v37
	s_waitcnt lgkmcnt(0)
	s_barrier
	buffer_gl0_inv
	v_add_f32_e32 v37, v37, v38
	ds_bpermute_b32 v38, v27, v37
	s_waitcnt lgkmcnt(0)
	v_add_f32_e32 v37, v37, v38
	ds_bpermute_b32 v38, v28, v37
	s_waitcnt lgkmcnt(0)
	v_add_f32_e32 v37, v37, v38
	ds_bpermute_b32 v38, v29, v37
	s_waitcnt lgkmcnt(0)
	v_add_f32_e32 v37, v37, v38
	ds_bpermute_b32 v38, v30, v37
	s_and_saveexec_b32 s6, s4
	s_cbranch_execz .LBB396_27
; %bb.26:                               ;   in Loop: Header=BB396_9 Depth=1
	s_waitcnt lgkmcnt(0)
	v_add_f32_e32 v37, v37, v38
	ds_store_b32 v32, v37
.LBB396_27:                             ;   in Loop: Header=BB396_9 Depth=1
	s_or_b32 exec_lo, exec_lo, s6
	v_mov_b32_e32 v37, 0
	s_waitcnt lgkmcnt(0)
	s_barrier
	buffer_gl0_inv
	s_and_saveexec_b32 s6, s1
	s_cbranch_execnz .LBB396_49
; %bb.28:                               ;   in Loop: Header=BB396_9 Depth=1
	s_or_b32 exec_lo, exec_lo, s6
	s_and_saveexec_b32 s6, s0
	s_cbranch_execnz .LBB396_50
.LBB396_29:                             ;   in Loop: Header=BB396_9 Depth=1
	s_or_b32 exec_lo, exec_lo, s6
	s_and_saveexec_b32 s6, s0
	s_cbranch_execz .LBB396_31
.LBB396_30:                             ;   in Loop: Header=BB396_9 Depth=1
	ds_store_b32 v31, v35
.LBB396_31:                             ;   in Loop: Header=BB396_9 Depth=1
	s_or_b32 exec_lo, exec_lo, s6
	ds_bpermute_b32 v38, v26, v36
	s_waitcnt lgkmcnt(0)
	s_barrier
	buffer_gl0_inv
	v_add_f32_e32 v36, v36, v38
	ds_bpermute_b32 v38, v27, v36
	s_waitcnt lgkmcnt(0)
	v_add_f32_e32 v36, v36, v38
	ds_bpermute_b32 v38, v28, v36
	s_waitcnt lgkmcnt(0)
	;; [unrolled: 3-line block ×3, first 2 shown]
	v_add_f32_e32 v36, v36, v38
	ds_bpermute_b32 v38, v30, v36
	s_and_saveexec_b32 s6, s4
	s_cbranch_execz .LBB396_33
; %bb.32:                               ;   in Loop: Header=BB396_9 Depth=1
	s_waitcnt lgkmcnt(0)
	v_add_f32_e32 v36, v36, v38
	ds_store_b32 v32, v36
.LBB396_33:                             ;   in Loop: Header=BB396_9 Depth=1
	s_or_b32 exec_lo, exec_lo, s6
	v_mov_b32_e32 v36, 0
	s_waitcnt lgkmcnt(0)
	s_barrier
	buffer_gl0_inv
	s_and_saveexec_b32 s6, s1
	s_cbranch_execnz .LBB396_51
; %bb.34:                               ;   in Loop: Header=BB396_9 Depth=1
	s_or_b32 exec_lo, exec_lo, s6
	s_and_saveexec_b32 s6, s0
	s_cbranch_execnz .LBB396_52
.LBB396_35:                             ;   in Loop: Header=BB396_9 Depth=1
	s_or_b32 exec_lo, exec_lo, s6
	s_and_saveexec_b32 s6, s5
	s_cbranch_execz .LBB396_8
	s_branch .LBB396_53
.LBB396_36:                             ;   in Loop: Header=BB396_9 Depth=1
	s_mul_i32 s30, s19, s18
	s_delay_alu instid0(SALU_CYCLE_1)
	s_ashr_i32 s31, s30, 31
	s_add_i32 s44, s30, s18
	s_lshl_b64 s[30:31], s[30:31], 1
	s_ashr_i32 s45, s44, 31
	v_add_co_u32 v1, vcc_lo, v20, s30
	v_add_co_ci_u32_e32 v2, vcc_lo, s31, v21, vcc_lo
	s_lshl_b64 s[30:31], s[44:45], 1
	s_add_i32 s44, s44, s18
	v_add_co_u32 v3, vcc_lo, v20, s30
	s_ashr_i32 s45, s44, 31
	s_add_i32 s30, s44, s18
	s_lshl_b64 s[44:45], s[44:45], 1
	v_add_co_ci_u32_e32 v4, vcc_lo, s31, v21, vcc_lo
	s_ashr_i32 s31, s30, 31
	v_add_co_u32 v18, vcc_lo, v20, s44
	s_lshl_b64 s[30:31], s[30:31], 1
	v_add_co_ci_u32_e32 v19, vcc_lo, s45, v21, vcc_lo
	s_waitcnt lgkmcnt(0)
	v_add_co_u32 v36, vcc_lo, v20, s30
	v_add_co_ci_u32_e32 v37, vcc_lo, s31, v21, vcc_lo
	global_load_u16 v44, v[10:11], off
	s_clause 0x3
	global_load_b64 v[38:39], v[1:2], off
	global_load_b64 v[40:41], v[3:4], off
	global_load_b64 v[18:19], v[18:19], off
	global_load_b64 v[42:43], v[36:37], off
	s_clause 0x2
	global_load_u16 v3, v[12:13], off
	global_load_u16 v4, v[14:15], off
	;; [unrolled: 1-line block ×3, first 2 shown]
	s_waitcnt vmcnt(7)
	v_cvt_f32_f16_e32 v1, v44
	s_waitcnt vmcnt(6)
	v_fma_mix_f32 v37, v44, v38, 0 op_sel_hi:[1,1,0]
	s_waitcnt vmcnt(5)
	v_fma_mix_f32 v45, v44, v40, 0 op_sel_hi:[1,1,0]
	;; [unrolled: 2-line block ×4, first 2 shown]
	s_waitcnt vmcnt(2)
	v_cvt_f32_f16_e32 v2, v3
	v_fma_mix_f32 v37, v3, v38, v37 op_sel:[0,1,0] op_sel_hi:[1,1,0]
	v_fma_mix_f32 v38, v3, v40, v45 op_sel:[0,1,0] op_sel_hi:[1,1,0]
	;; [unrolled: 1-line block ×4, first 2 shown]
	s_waitcnt vmcnt(1)
	v_cvt_f32_f16_e32 v3, v4
	v_fma_mix_f32 v37, v4, v39, v37 op_sel_hi:[1,1,0]
	v_fma_mix_f32 v38, v4, v41, v38 op_sel_hi:[1,1,0]
	;; [unrolled: 1-line block ×4, first 2 shown]
	s_waitcnt vmcnt(0)
	v_cvt_f32_f16_e32 v4, v36
	v_fma_mix_f32 v39, v36, v39, v37 op_sel:[0,1,0] op_sel_hi:[1,1,0]
	v_fma_mix_f32 v38, v36, v41, v38 op_sel:[0,1,0] op_sel_hi:[1,1,0]
	;; [unrolled: 1-line block ×4, first 2 shown]
	s_and_not1_saveexec_b32 s22, s6
	s_cbranch_execz .LBB396_11
.LBB396_37:                             ;   in Loop: Header=BB396_9 Depth=1
	s_waitcnt lgkmcnt(0)
	v_dual_mov_b32 v36, 0 :: v_dual_mov_b32 v37, 0
	v_dual_mov_b32 v38, 0 :: v_dual_mov_b32 v39, 0
	s_and_saveexec_b32 s43, s3
	s_cbranch_execz .LBB396_44
; %bb.38:                               ;   in Loop: Header=BB396_9 Depth=1
	s_and_not1_b32 vcc_lo, exec_lo, s39
	s_cbranch_vccnz .LBB396_41
; %bb.39:                               ;   in Loop: Header=BB396_9 Depth=1
	v_mov_b32_e32 v18, v9
	s_mov_b64 s[30:31], 0
	.p2align	6
.LBB396_40:                             ;   Parent Loop BB396_9 Depth=1
                                        ; =>  This Inner Loop Header: Depth=2
	s_delay_alu instid0(VALU_DEP_1) | instskip(SKIP_1) | instid1(VALU_DEP_1)
	v_ashrrev_i32_e32 v19, 31, v18
	s_cmp_eq_u32 s30, 3
	v_lshlrev_b64 v[36:37], 1, v[18:19]
	s_delay_alu instid0(VALU_DEP_1) | instskip(NEXT) | instid1(VALU_DEP_2)
	v_add_co_u32 v36, vcc_lo, s34, v36
	v_add_co_ci_u32_e32 v37, vcc_lo, s35, v37, vcc_lo
	s_cselect_b32 vcc_lo, -1, 0
	s_cmp_eq_u32 s30, 2
	s_cselect_b32 s6, -1, 0
	global_load_u16 v19, v[36:37], off
	s_cmp_eq_u32 s30, 1
	s_cselect_b32 s7, -1, 0
	s_cmp_eq_u32 s30, 0
	s_waitcnt vmcnt(0)
	v_cvt_f32_f16_e32 v19, v19
	s_delay_alu instid0(VALU_DEP_1)
	v_cndmask_b32_e32 v4, v4, v19, vcc_lo
	s_cselect_b32 vcc_lo, -1, 0
	v_dual_cndmask_b32 v1, v1, v19 :: v_dual_add_nc_u32 v18, s17, v18
	v_cndmask_b32_e64 v3, v3, v19, s6
	v_cndmask_b32_e64 v2, v2, v19, s7
	s_add_u32 s30, s30, 1
	s_addc_u32 s31, s31, 0
	s_cmp_eq_u32 s36, s30
	s_cbranch_scc0 .LBB396_40
.LBB396_41:                             ;   in Loop: Header=BB396_9 Depth=1
	v_dual_mov_b32 v36, 0 :: v_dual_mov_b32 v37, 0
	v_dual_mov_b32 v38, 0 :: v_dual_mov_b32 v39, 0
	s_and_not1_b32 vcc_lo, exec_lo, s39
	s_cbranch_vccnz .LBB396_44
; %bb.42:                               ;   in Loop: Header=BB396_9 Depth=1
	s_ashr_i32 s25, s24, 31
	v_dual_mov_b32 v39, 0 :: v_dual_mov_b32 v38, 0
	s_lshl_b64 s[6:7], s[24:25], 1
	v_dual_mov_b32 v37, 0 :: v_dual_mov_b32 v36, 0
	v_add_co_u32 v18, vcc_lo, v33, s6
	v_add_co_ci_u32_e32 v19, vcc_lo, s7, v34, vcc_lo
	s_mov_b64 s[30:31], 0
.LBB396_43:                             ;   Parent Loop BB396_9 Depth=1
                                        ; =>  This Inner Loop Header: Depth=2
	s_delay_alu instid0(SALU_CYCLE_1)
	s_cmp_eq_u32 s30, 1
	s_cselect_b32 vcc_lo, -1, 0
	s_cmp_eq_u32 s30, 2
	v_cndmask_b32_e32 v40, v1, v2, vcc_lo
	s_cselect_b32 vcc_lo, -1, 0
	s_cmp_eq_u32 s30, 3
	s_delay_alu instid0(VALU_DEP_1)
	v_cndmask_b32_e32 v46, v40, v3, vcc_lo
	s_cselect_b32 vcc_lo, -1, 0
	s_add_i32 s6, s28, s30
	s_add_i32 s44, s26, s30
	s_ashr_i32 s7, s6, 31
	s_ashr_i32 s45, s44, 31
	s_lshl_b64 s[6:7], s[6:7], 1
	s_add_i32 s46, s41, s30
	v_add_co_u32 v40, s6, v20, s6
	s_lshl_b64 s[44:45], s[44:45], 1
	s_ashr_i32 s47, s46, 31
	v_add_co_ci_u32_e64 v41, s6, s7, v21, s6
	v_add_co_u32 v42, s6, v20, s44
	s_lshl_b64 s[46:47], s[46:47], 1
	v_add_co_ci_u32_e64 v43, s6, s45, v21, s6
	v_add_co_u32 v44, s6, v20, s46
	s_delay_alu instid0(VALU_DEP_1)
	v_add_co_ci_u32_e64 v45, s6, s47, v21, s6
	global_load_u16 v47, v[18:19], off
	s_clause 0x2
	global_load_u16 v40, v[40:41], off
	global_load_u16 v41, v[42:43], off
	;; [unrolled: 1-line block ×3, first 2 shown]
	v_cndmask_b32_e32 v43, v46, v4, vcc_lo
	v_add_co_u32 v18, s6, v18, 2
	s_delay_alu instid0(VALU_DEP_1)
	v_add_co_ci_u32_e64 v19, s6, 0, v19, s6
	s_add_u32 s30, s30, 1
	s_addc_u32 s31, s31, 0
	s_cmp_lg_u32 s36, s30
	s_waitcnt vmcnt(3)
	v_fma_mix_f32 v39, v43, v47, v39 op_sel_hi:[0,1,0]
	s_waitcnt vmcnt(2)
	v_fma_mix_f32 v38, v43, v40, v38 op_sel_hi:[0,1,0]
	;; [unrolled: 2-line block ×4, first 2 shown]
	s_cbranch_scc1 .LBB396_43
.LBB396_44:                             ;   in Loop: Header=BB396_9 Depth=1
	s_or_b32 exec_lo, exec_lo, s43
	s_delay_alu instid0(SALU_CYCLE_1)
	s_or_b32 exec_lo, exec_lo, s22
	s_and_saveexec_b32 s6, s0
	s_cbranch_execnz .LBB396_12
	s_branch .LBB396_13
.LBB396_45:                             ;   in Loop: Header=BB396_9 Depth=1
	ds_load_b32 v18, v31
	s_or_b32 exec_lo, exec_lo, s6
	s_and_saveexec_b32 s6, s0
	s_cbranch_execz .LBB396_17
.LBB396_46:                             ;   in Loop: Header=BB396_9 Depth=1
	s_waitcnt lgkmcnt(0)
	ds_bpermute_b32 v19, v28, v18
	s_waitcnt lgkmcnt(0)
	v_add_f32_e32 v18, v18, v19
	ds_bpermute_b32 v19, v29, v18
	s_waitcnt lgkmcnt(0)
	v_add_f32_e32 v18, v18, v19
	;; [unrolled: 3-line block ×3, first 2 shown]
	s_or_b32 exec_lo, exec_lo, s6
	s_and_saveexec_b32 s6, s0
	s_cbranch_execnz .LBB396_18
	s_branch .LBB396_19
.LBB396_47:                             ;   in Loop: Header=BB396_9 Depth=1
	ds_load_b32 v19, v31
	s_or_b32 exec_lo, exec_lo, s6
	s_and_saveexec_b32 s6, s0
	s_cbranch_execz .LBB396_23
.LBB396_48:                             ;   in Loop: Header=BB396_9 Depth=1
	s_waitcnt lgkmcnt(0)
	ds_bpermute_b32 v38, v28, v19
	s_waitcnt lgkmcnt(0)
	v_add_f32_e32 v19, v19, v38
	ds_bpermute_b32 v38, v29, v19
	s_waitcnt lgkmcnt(0)
	v_add_f32_e32 v19, v19, v38
	;; [unrolled: 3-line block ×3, first 2 shown]
	s_or_b32 exec_lo, exec_lo, s6
	s_and_saveexec_b32 s6, s0
	s_cbranch_execnz .LBB396_24
	s_branch .LBB396_25
.LBB396_49:                             ;   in Loop: Header=BB396_9 Depth=1
	ds_load_b32 v37, v31
	s_or_b32 exec_lo, exec_lo, s6
	s_and_saveexec_b32 s6, s0
	s_cbranch_execz .LBB396_29
.LBB396_50:                             ;   in Loop: Header=BB396_9 Depth=1
	s_waitcnt lgkmcnt(0)
	ds_bpermute_b32 v38, v28, v37
	s_waitcnt lgkmcnt(0)
	v_add_f32_e32 v37, v37, v38
	ds_bpermute_b32 v38, v29, v37
	s_waitcnt lgkmcnt(0)
	v_add_f32_e32 v37, v37, v38
	;; [unrolled: 3-line block ×3, first 2 shown]
	s_or_b32 exec_lo, exec_lo, s6
	s_and_saveexec_b32 s6, s0
	s_cbranch_execnz .LBB396_30
	s_branch .LBB396_31
.LBB396_51:                             ;   in Loop: Header=BB396_9 Depth=1
	ds_load_b32 v36, v31
	s_or_b32 exec_lo, exec_lo, s6
	s_and_saveexec_b32 s6, s0
	s_cbranch_execz .LBB396_35
.LBB396_52:                             ;   in Loop: Header=BB396_9 Depth=1
	s_waitcnt lgkmcnt(0)
	ds_bpermute_b32 v38, v28, v36
	s_waitcnt lgkmcnt(0)
	v_add_f32_e32 v36, v36, v38
	ds_bpermute_b32 v38, v29, v36
	s_waitcnt lgkmcnt(0)
	v_add_f32_e32 v36, v36, v38
	ds_bpermute_b32 v38, v30, v36
	s_waitcnt lgkmcnt(0)
	v_add_f32_e32 v36, v36, v38
	s_or_b32 exec_lo, exec_lo, s6
	s_and_saveexec_b32 s6, s5
	s_cbranch_execz .LBB396_8
.LBB396_53:                             ;   in Loop: Header=BB396_9 Depth=1
	s_mul_i32 s7, s19, s16
	v_dual_mul_f32 v18, s33, v18 :: v_dual_mul_f32 v19, s33, v19
	s_add_i32 s22, s7, s14
	v_mul_f32_e32 v37, s33, v37
	s_lshl_b64 s[30:31], s[22:23], 2
	s_delay_alu instid0(SALU_CYCLE_1)
	s_add_u32 s30, s38, s30
	s_addc_u32 s31, s37, s31
	s_add_i32 s22, s22, s16
	global_store_b32 v35, v18, s[30:31]
	s_waitcnt lgkmcnt(0)
	v_mul_f32_e32 v18, s33, v36
	s_lshl_b64 s[44:45], s[22:23], 2
	s_delay_alu instid0(SALU_CYCLE_1) | instskip(SKIP_4) | instid1(SALU_CYCLE_1)
	s_add_u32 s44, s38, s44
	s_addc_u32 s45, s37, s45
	s_add_i32 s22, s22, s16
	global_store_b32 v35, v19, s[44:45]
	s_lshl_b64 s[46:47], s[22:23], 2
	s_add_u32 s30, s38, s46
	s_addc_u32 s31, s37, s47
	s_add_i32 s22, s22, s16
	s_delay_alu instid0(SALU_CYCLE_1) | instskip(NEXT) | instid1(SALU_CYCLE_1)
	s_lshl_b64 s[46:47], s[22:23], 2
	s_add_u32 s44, s38, s46
	s_addc_u32 s45, s37, s47
	s_clause 0x1
	global_store_b32 v35, v37, s[30:31]
	global_store_b32 v35, v18, s[44:45]
	s_branch .LBB396_8
.LBB396_54:
	s_mov_b32 s19, 0
                                        ; implicit-def: $vgpr1_vgpr2_vgpr3_vgpr4
.LBB396_55:
	s_delay_alu instid0(SALU_CYCLE_1)
	s_cmp_ge_i32 s19, s13
	s_cbranch_scc1 .LBB396_79
; %bb.56:
	v_cmp_gt_u32_e32 vcc_lo, 16, v22
	v_lshlrev_b32_e32 v17, 2, v6
	v_cmp_eq_u32_e64 s3, 0, v6
	v_ashrrev_i32_e32 v6, 31, v5
	v_cmp_ge_i32_e64 s0, s12, v24
	v_cndmask_b32_e64 v9, 0, 1, vcc_lo
	v_cmp_gt_u32_e32 vcc_lo, 24, v22
	v_cmp_ge_i32_e64 s1, s12, v25
	s_cmp_gt_i32 s36, 0
	s_mov_b32 s15, 0
	v_lshlrev_b32_e32 v9, 4, v9
	v_cndmask_b32_e64 v10, 0, 1, vcc_lo
	v_cmp_gt_u32_e32 vcc_lo, 28, v22
	s_cselect_b32 s12, -1, 0
	s_lshl_b64 s[6:7], s[14:15], 2
	v_add_lshl_u32 v18, v9, v22, 2
	v_add_nc_u32_e32 v9, s17, v5
	v_cndmask_b32_e64 v11, 0, 1, vcc_lo
	v_cmp_gt_u32_e32 vcc_lo, 30, v22
	v_lshlrev_b32_e32 v10, 3, v10
	s_add_u32 s14, s38, s6
	s_addc_u32 s22, s37, s7
	v_lshlrev_b32_e32 v11, 2, v11
	v_cndmask_b32_e64 v12, 0, 1, vcc_lo
	v_cmp_ne_u32_e32 vcc_lo, 31, v22
	v_add_lshl_u32 v19, v10, v22, 2
	v_ashrrev_i32_e32 v10, 31, v9
	v_add_lshl_u32 v24, v11, v22, 2
	v_add_nc_u32_e32 v11, s17, v9
	v_add_co_ci_u32_e32 v13, vcc_lo, 0, v22, vcc_lo
	v_lshlrev_b32_e32 v12, 1, v12
	v_lshlrev_b64 v[15:16], 1, v[9:10]
	s_delay_alu instid0(VALU_DEP_4) | instskip(NEXT) | instid1(VALU_DEP_4)
	v_add_nc_u32_e32 v26, s17, v11
	v_lshlrev_b32_e32 v25, 2, v13
	v_lshlrev_b64 v[13:14], 1, v[5:6]
	v_add_lshl_u32 v22, v12, v22, 2
	v_ashrrev_i32_e32 v12, 31, v11
	v_ashrrev_i32_e32 v27, 31, v26
	s_add_u32 s6, s20, s10
	s_addc_u32 s7, s21, s11
	v_add_co_u32 v9, vcc_lo, s34, v13
	v_add_co_ci_u32_e32 v10, vcc_lo, s35, v14, vcc_lo
	v_lshlrev_b64 v[13:14], 1, v[11:12]
	v_add_co_u32 v11, vcc_lo, s34, v15
	v_add_co_ci_u32_e32 v12, vcc_lo, s35, v16, vcc_lo
	v_lshlrev_b64 v[15:16], 1, v[26:27]
	v_mov_b32_e32 v26, 0
	v_add_co_u32 v13, vcc_lo, s34, v13
	v_add_co_ci_u32_e32 v14, vcc_lo, s35, v14, vcc_lo
	s_delay_alu instid0(VALU_DEP_4)
	v_add_co_u32 v15, vcc_lo, s34, v15
	s_add_u32 s6, s8, s6
	v_add_co_ci_u32_e32 v16, vcc_lo, s35, v16, vcc_lo
	v_cmp_gt_u32_e64 s2, 32, v0
	v_cmp_gt_u32_e64 s4, 8, v0
	v_cmp_eq_u32_e64 s5, 0, v0
	s_addc_u32 s7, s9, s7
	v_add_co_u32 v0, vcc_lo, s6, v7
	v_and_b32_e32 v23, 28, v23
	v_add_co_ci_u32_e32 v8, vcc_lo, s7, v8, vcc_lo
	s_waitcnt lgkmcnt(0)
	s_mul_i32 s8, s19, s18
	s_branch .LBB396_58
.LBB396_57:                             ;   in Loop: Header=BB396_58 Depth=1
	s_or_b32 exec_lo, exec_lo, s6
	s_add_i32 s19, s19, 1
	s_add_i32 s8, s8, s18
	s_cmp_ge_i32 s19, s13
	s_cbranch_scc1 .LBB396_79
.LBB396_58:                             ; =>This Loop Header: Depth=1
                                        ;     Child Loop BB396_71 Depth 2
                                        ;     Child Loop BB396_74 Depth 2
	v_mov_b32_e32 v27, s15
	s_and_saveexec_b32 s6, s0
	s_delay_alu instid0(SALU_CYCLE_1)
	s_xor_b32 s6, exec_lo, s6
	s_cbranch_execnz .LBB396_67
; %bb.59:                               ;   in Loop: Header=BB396_58 Depth=1
	s_and_not1_saveexec_b32 s20, s6
	s_cbranch_execnz .LBB396_68
.LBB396_60:                             ;   in Loop: Header=BB396_58 Depth=1
	s_or_b32 exec_lo, exec_lo, s20
	s_and_saveexec_b32 s6, s2
	s_cbranch_execz .LBB396_62
.LBB396_61:                             ;   in Loop: Header=BB396_58 Depth=1
	ds_store_b32 v17, v26
.LBB396_62:                             ;   in Loop: Header=BB396_58 Depth=1
	s_or_b32 exec_lo, exec_lo, s6
	s_waitcnt lgkmcnt(0)
	ds_bpermute_b32 v6, v18, v27
	s_waitcnt lgkmcnt(0)
	s_waitcnt_vscnt null, 0x0
	s_barrier
	buffer_gl0_inv
	v_add_f32_e32 v6, v27, v6
	ds_bpermute_b32 v7, v19, v6
	s_waitcnt lgkmcnt(0)
	v_add_f32_e32 v6, v6, v7
	ds_bpermute_b32 v7, v24, v6
	s_waitcnt lgkmcnt(0)
	;; [unrolled: 3-line block ×3, first 2 shown]
	v_add_f32_e32 v6, v6, v7
	ds_bpermute_b32 v7, v25, v6
	s_and_saveexec_b32 s6, s3
	s_cbranch_execz .LBB396_64
; %bb.63:                               ;   in Loop: Header=BB396_58 Depth=1
	s_waitcnt lgkmcnt(0)
	v_add_f32_e32 v6, v6, v7
	ds_store_b32 v23, v6
.LBB396_64:                             ;   in Loop: Header=BB396_58 Depth=1
	s_or_b32 exec_lo, exec_lo, s6
	v_mov_b32_e32 v6, 0
	s_waitcnt lgkmcnt(0)
	s_barrier
	buffer_gl0_inv
	s_and_saveexec_b32 s6, s4
	s_cbranch_execnz .LBB396_76
; %bb.65:                               ;   in Loop: Header=BB396_58 Depth=1
	s_or_b32 exec_lo, exec_lo, s6
	s_and_saveexec_b32 s6, s2
	s_cbranch_execnz .LBB396_77
.LBB396_66:                             ;   in Loop: Header=BB396_58 Depth=1
	s_or_b32 exec_lo, exec_lo, s6
	s_and_saveexec_b32 s6, s5
	s_cbranch_execz .LBB396_57
	s_branch .LBB396_78
.LBB396_67:                             ;   in Loop: Header=BB396_58 Depth=1
	s_mul_i32 s10, s19, s18
	s_delay_alu instid0(SALU_CYCLE_1) | instskip(NEXT) | instid1(SALU_CYCLE_1)
	s_ashr_i32 s11, s10, 31
	s_lshl_b64 s[10:11], s[10:11], 1
	s_delay_alu instid0(SALU_CYCLE_1)
	v_add_co_u32 v1, vcc_lo, v20, s10
	v_add_co_ci_u32_e32 v2, vcc_lo, s11, v21, vcc_lo
	s_waitcnt lgkmcnt(0)
	global_load_b64 v[6:7], v[1:2], off
	s_clause 0x3
	global_load_u16 v1, v[9:10], off
	global_load_u16 v2, v[11:12], off
	;; [unrolled: 1-line block ×4, first 2 shown]
	s_waitcnt vmcnt(3)
	v_fma_mix_f32 v4, v1, v6, 0 op_sel_hi:[1,1,0]
	v_cvt_f32_f16_e32 v1, v1
	s_waitcnt vmcnt(2)
	s_delay_alu instid0(VALU_DEP_2) | instskip(SKIP_2) | instid1(VALU_DEP_2)
	v_fma_mix_f32 v4, v2, v6, v4 op_sel:[0,1,0] op_sel_hi:[1,1,0]
	v_cvt_f32_f16_e32 v2, v2
	s_waitcnt vmcnt(1)
	v_fma_mix_f32 v6, v3, v7, v4 op_sel_hi:[1,1,0]
	v_cvt_f32_f16_e32 v3, v3
	s_waitcnt vmcnt(0)
	v_cvt_f32_f16_e32 v4, v27
	s_delay_alu instid0(VALU_DEP_3)
	v_fma_mix_f32 v27, v27, v7, v6 op_sel:[0,1,0] op_sel_hi:[1,1,0]
	s_and_not1_saveexec_b32 s20, s6
	s_cbranch_execz .LBB396_60
.LBB396_68:                             ;   in Loop: Header=BB396_58 Depth=1
	s_and_saveexec_b32 s21, s1
	s_cbranch_execz .LBB396_75
; %bb.69:                               ;   in Loop: Header=BB396_58 Depth=1
	s_and_not1_b32 vcc_lo, exec_lo, s12
	s_cbranch_vccnz .LBB396_72
; %bb.70:                               ;   in Loop: Header=BB396_58 Depth=1
	s_waitcnt lgkmcnt(0)
	v_mov_b32_e32 v6, v5
	s_mov_b64 s[10:11], 0
	.p2align	6
.LBB396_71:                             ;   Parent Loop BB396_58 Depth=1
                                        ; =>  This Inner Loop Header: Depth=2
	s_delay_alu instid0(VALU_DEP_1) | instskip(SKIP_1) | instid1(VALU_DEP_1)
	v_ashrrev_i32_e32 v7, 31, v6
	s_cmp_eq_u32 s10, 3
	v_lshlrev_b64 v[28:29], 1, v[6:7]
	s_delay_alu instid0(VALU_DEP_1) | instskip(NEXT) | instid1(VALU_DEP_2)
	v_add_co_u32 v28, vcc_lo, s34, v28
	v_add_co_ci_u32_e32 v29, vcc_lo, s35, v29, vcc_lo
	s_cselect_b32 vcc_lo, -1, 0
	s_cmp_eq_u32 s10, 2
	s_cselect_b32 s6, -1, 0
	global_load_u16 v7, v[28:29], off
	s_cmp_eq_u32 s10, 1
	s_cselect_b32 s7, -1, 0
	s_cmp_eq_u32 s10, 0
	s_waitcnt vmcnt(0)
	v_cvt_f32_f16_e32 v7, v7
	s_delay_alu instid0(VALU_DEP_1)
	v_cndmask_b32_e32 v4, v4, v7, vcc_lo
	s_cselect_b32 vcc_lo, -1, 0
	v_dual_cndmask_b32 v1, v1, v7 :: v_dual_add_nc_u32 v6, s17, v6
	v_cndmask_b32_e64 v3, v3, v7, s6
	v_cndmask_b32_e64 v2, v2, v7, s7
	s_add_u32 s10, s10, 1
	s_addc_u32 s11, s11, 0
	s_cmp_eq_u32 s36, s10
	s_cbranch_scc0 .LBB396_71
.LBB396_72:                             ;   in Loop: Header=BB396_58 Depth=1
	s_and_not1_b32 vcc_lo, exec_lo, s12
	s_cbranch_vccnz .LBB396_75
; %bb.73:                               ;   in Loop: Header=BB396_58 Depth=1
	s_ashr_i32 s9, s8, 31
	s_delay_alu instid0(SALU_CYCLE_1)
	s_lshl_b64 s[6:7], s[8:9], 1
	s_waitcnt lgkmcnt(0)
	v_add_co_u32 v6, vcc_lo, v0, s6
	v_add_co_ci_u32_e32 v7, vcc_lo, s7, v8, vcc_lo
	s_mov_b64 s[6:7], 0
	.p2align	6
.LBB396_74:                             ;   Parent Loop BB396_58 Depth=1
                                        ; =>  This Inner Loop Header: Depth=2
	global_load_u16 v28, v[6:7], off
	s_cmp_eq_u32 s6, 1
	s_cselect_b32 vcc_lo, -1, 0
	s_cmp_eq_u32 s6, 2
	v_cndmask_b32_e32 v29, v1, v2, vcc_lo
	s_cselect_b32 vcc_lo, -1, 0
	s_cmp_eq_u32 s6, 3
	s_delay_alu instid0(VALU_DEP_1)
	v_cndmask_b32_e32 v29, v29, v3, vcc_lo
	s_cselect_b32 vcc_lo, -1, 0
	s_add_u32 s6, s6, 1
	s_addc_u32 s7, s7, 0
	s_cmp_lg_u32 s36, s6
	v_cndmask_b32_e32 v29, v29, v4, vcc_lo
	v_add_co_u32 v6, vcc_lo, v6, 2
	v_add_co_ci_u32_e32 v7, vcc_lo, 0, v7, vcc_lo
	s_waitcnt vmcnt(0)
	s_delay_alu instid0(VALU_DEP_3)
	v_fma_mix_f32 v27, v29, v28, v27 op_sel_hi:[0,1,0]
	s_cbranch_scc1 .LBB396_74
.LBB396_75:                             ;   in Loop: Header=BB396_58 Depth=1
	s_or_b32 exec_lo, exec_lo, s21
	s_delay_alu instid0(SALU_CYCLE_1)
	s_or_b32 exec_lo, exec_lo, s20
	s_and_saveexec_b32 s6, s2
	s_cbranch_execnz .LBB396_61
	s_branch .LBB396_62
.LBB396_76:                             ;   in Loop: Header=BB396_58 Depth=1
	ds_load_b32 v6, v17
	s_or_b32 exec_lo, exec_lo, s6
	s_and_saveexec_b32 s6, s2
	s_cbranch_execz .LBB396_66
.LBB396_77:                             ;   in Loop: Header=BB396_58 Depth=1
	s_waitcnt lgkmcnt(0)
	ds_bpermute_b32 v7, v24, v6
	s_waitcnt lgkmcnt(0)
	v_add_f32_e32 v6, v6, v7
	ds_bpermute_b32 v7, v22, v6
	s_waitcnt lgkmcnt(0)
	v_add_f32_e32 v6, v6, v7
	;; [unrolled: 3-line block ×3, first 2 shown]
	s_or_b32 exec_lo, exec_lo, s6
	s_and_saveexec_b32 s6, s5
	s_cbranch_execz .LBB396_57
.LBB396_78:                             ;   in Loop: Header=BB396_58 Depth=1
	s_mul_hi_u32 s11, s19, s16
	s_mul_i32 s10, s19, s16
	s_waitcnt lgkmcnt(0)
	v_mul_f32_e32 v6, s33, v6
	s_lshl_b64 s[10:11], s[10:11], 2
	s_delay_alu instid0(SALU_CYCLE_1)
	s_add_u32 s10, s14, s10
	s_addc_u32 s11, s22, s11
	global_store_b32 v26, v6, s[10:11]
	s_branch .LBB396_57
.LBB396_79:
	s_nop 0
	s_sendmsg sendmsg(MSG_DEALLOC_VGPRS)
	s_endpgm
	.section	.rodata,"a",@progbits
	.p2align	6, 0x0
	.amdhsa_kernel _ZL23rocblas_gemvt_sn_kernelILb0ELi256ELi4EiDF16_PKffEviiT4_lPKT3_lilS5_lilPT5_i
		.amdhsa_group_segment_fixed_size 128
		.amdhsa_private_segment_fixed_size 0
		.amdhsa_kernarg_size 360
		.amdhsa_user_sgpr_count 14
		.amdhsa_user_sgpr_dispatch_ptr 0
		.amdhsa_user_sgpr_queue_ptr 0
		.amdhsa_user_sgpr_kernarg_segment_ptr 1
		.amdhsa_user_sgpr_dispatch_id 0
		.amdhsa_user_sgpr_private_segment_size 0
		.amdhsa_wavefront_size32 1
		.amdhsa_uses_dynamic_stack 0
		.amdhsa_enable_private_segment 0
		.amdhsa_system_sgpr_workgroup_id_x 1
		.amdhsa_system_sgpr_workgroup_id_y 0
		.amdhsa_system_sgpr_workgroup_id_z 1
		.amdhsa_system_sgpr_workgroup_info 0
		.amdhsa_system_vgpr_workitem_id 0
		.amdhsa_next_free_vgpr 48
		.amdhsa_next_free_sgpr 48
		.amdhsa_reserve_vcc 1
		.amdhsa_float_round_mode_32 0
		.amdhsa_float_round_mode_16_64 0
		.amdhsa_float_denorm_mode_32 3
		.amdhsa_float_denorm_mode_16_64 3
		.amdhsa_dx10_clamp 1
		.amdhsa_ieee_mode 1
		.amdhsa_fp16_overflow 0
		.amdhsa_workgroup_processor_mode 1
		.amdhsa_memory_ordered 1
		.amdhsa_forward_progress 0
		.amdhsa_shared_vgpr_count 0
		.amdhsa_exception_fp_ieee_invalid_op 0
		.amdhsa_exception_fp_denorm_src 0
		.amdhsa_exception_fp_ieee_div_zero 0
		.amdhsa_exception_fp_ieee_overflow 0
		.amdhsa_exception_fp_ieee_underflow 0
		.amdhsa_exception_fp_ieee_inexact 0
		.amdhsa_exception_int_div_zero 0
	.end_amdhsa_kernel
	.section	.text._ZL23rocblas_gemvt_sn_kernelILb0ELi256ELi4EiDF16_PKffEviiT4_lPKT3_lilS5_lilPT5_i,"axG",@progbits,_ZL23rocblas_gemvt_sn_kernelILb0ELi256ELi4EiDF16_PKffEviiT4_lPKT3_lilS5_lilPT5_i,comdat
.Lfunc_end396:
	.size	_ZL23rocblas_gemvt_sn_kernelILb0ELi256ELi4EiDF16_PKffEviiT4_lPKT3_lilS5_lilPT5_i, .Lfunc_end396-_ZL23rocblas_gemvt_sn_kernelILb0ELi256ELi4EiDF16_PKffEviiT4_lPKT3_lilS5_lilPT5_i
                                        ; -- End function
	.section	.AMDGPU.csdata,"",@progbits
; Kernel info:
; codeLenInByte = 4272
; NumSgprs: 50
; NumVgprs: 48
; ScratchSize: 0
; MemoryBound: 0
; FloatMode: 240
; IeeeMode: 1
; LDSByteSize: 128 bytes/workgroup (compile time only)
; SGPRBlocks: 6
; VGPRBlocks: 5
; NumSGPRsForWavesPerEU: 50
; NumVGPRsForWavesPerEU: 48
; Occupancy: 16
; WaveLimiterHint : 1
; COMPUTE_PGM_RSRC2:SCRATCH_EN: 0
; COMPUTE_PGM_RSRC2:USER_SGPR: 14
; COMPUTE_PGM_RSRC2:TRAP_HANDLER: 0
; COMPUTE_PGM_RSRC2:TGID_X_EN: 1
; COMPUTE_PGM_RSRC2:TGID_Y_EN: 0
; COMPUTE_PGM_RSRC2:TGID_Z_EN: 1
; COMPUTE_PGM_RSRC2:TIDIG_COMP_CNT: 0
	.section	.text._ZL23rocblas_gemvt_sn_kernelILb0ELi256ELi4ElDF16_PKffEviiT4_lPKT3_lilS5_lilPT5_i,"axG",@progbits,_ZL23rocblas_gemvt_sn_kernelILb0ELi256ELi4ElDF16_PKffEviiT4_lPKT3_lilS5_lilPT5_i,comdat
	.globl	_ZL23rocblas_gemvt_sn_kernelILb0ELi256ELi4ElDF16_PKffEviiT4_lPKT3_lilS5_lilPT5_i ; -- Begin function _ZL23rocblas_gemvt_sn_kernelILb0ELi256ELi4ElDF16_PKffEviiT4_lPKT3_lilS5_lilPT5_i
	.p2align	8
	.type	_ZL23rocblas_gemvt_sn_kernelILb0ELi256ELi4ElDF16_PKffEviiT4_lPKT3_lilS5_lilPT5_i,@function
_ZL23rocblas_gemvt_sn_kernelILb0ELi256ELi4ElDF16_PKffEviiT4_lPKT3_lilS5_lilPT5_i: ; @_ZL23rocblas_gemvt_sn_kernelILb0ELi256ELi4ElDF16_PKffEviiT4_lPKT3_lilS5_lilPT5_i
; %bb.0:
	s_clause 0x2
	s_load_b256 s[4:11], s[0:1], 0x8
	s_load_b64 s[12:13], s[0:1], 0x0
	s_load_b32 s20, s[0:1], 0x68
	s_mov_b32 s21, 0
	s_waitcnt lgkmcnt(0)
	s_mul_i32 s3, s15, s7
	s_mul_hi_u32 s7, s15, s6
	s_mul_i32 s2, s15, s6
	s_add_i32 s3, s7, s3
	s_mul_i32 s16, s13, s15
	s_lshl_b64 s[2:3], s[2:3], 2
	s_delay_alu instid0(SALU_CYCLE_1)
	s_add_u32 s2, s4, s2
	s_addc_u32 s3, s5, s3
	s_load_b32 s33, s[2:3], 0x0
	s_load_b128 s[4:7], s[0:1], 0x50
	s_ashr_i32 s30, s13, 31
	s_mul_hi_u32 s2, s13, s15
	s_mul_i32 s3, s30, s15
	s_delay_alu instid0(SALU_CYCLE_1) | instskip(SKIP_4) | instid1(SALU_CYCLE_1)
	s_add_i32 s2, s2, s3
	s_mul_hi_u32 s3, s16, s20
	s_mul_i32 s17, s2, s20
	s_mul_i32 s2, s16, s20
	s_add_i32 s3, s3, s17
	s_lshl_b64 s[2:3], s[2:3], 2
	s_waitcnt lgkmcnt(0)
	v_cmp_neq_f32_e64 s16, s33, 0
	s_add_u32 s42, s6, s2
	v_cmp_eq_u32_e64 s2, 0, v0
	s_addc_u32 s43, s7, s3
	s_delay_alu instid0(VALU_DEP_2)
	s_and_b32 vcc_lo, exec_lo, s16
	s_cbranch_vccnz .LBB397_5
; %bb.1:
	s_cmp_gt_i32 s13, 0
	s_cselect_b32 s3, -1, 0
	s_delay_alu instid0(SALU_CYCLE_1) | instskip(NEXT) | instid1(SALU_CYCLE_1)
	s_and_b32 s2, s2, s3
	s_and_saveexec_b32 s16, s2
	s_cbranch_execz .LBB397_4
; %bb.2:
	s_mov_b32 s2, s15
	s_mov_b32 s15, 0
	v_mov_b32_e32 v1, 0
	s_lshl_b64 s[6:7], s[14:15], 2
	s_mov_b32 s15, s2
	s_add_u32 s2, s42, s6
	s_addc_u32 s3, s43, s7
	s_lshl_b64 s[6:7], s[20:21], 2
	s_mov_b32 s17, s13
.LBB397_3:                              ; =>This Inner Loop Header: Depth=1
	s_delay_alu instid0(SALU_CYCLE_1)
	s_add_i32 s17, s17, -1
	global_store_b32 v1, v1, s[2:3]
	s_add_u32 s2, s2, s6
	s_addc_u32 s3, s3, s7
	s_cmp_eq_u32 s17, 0
	s_cbranch_scc0 .LBB397_3
.LBB397_4:
	s_or_b32 exec_lo, exec_lo, s16
	s_cbranch_execz .LBB397_6
	s_branch .LBB397_79
.LBB397_5:
.LBB397_6:
	s_clause 0x3
	s_load_b32 s22, s[0:1], 0x28
	s_load_b32 s24, s[0:1], 0x48
	s_load_b128 s[16:19], s[0:1], 0x30
	s_load_b64 s[0:1], s[0:1], 0x40
	s_mul_i32 s3, s15, s5
	s_mul_hi_u32 s5, s15, s4
	s_mul_i32 s2, s15, s4
	s_add_i32 s3, s5, s3
	v_and_b32_e32 v24, 31, v0
	s_lshl_b64 s[26:27], s[2:3], 1
	v_mbcnt_lo_u32_b32 v27, -1, 0
	v_lshrrev_b32_e32 v29, 3, v0
	s_waitcnt lgkmcnt(0)
	s_ashr_i32 s23, s22, 31
	s_ashr_i32 s25, s24, 31
	s_add_u32 s5, s18, s26
	s_addc_u32 s6, s19, s27
	s_lshl_b64 s[28:29], s[0:1], 1
	s_mul_i32 s3, s15, s17
	s_mul_hi_u32 s4, s15, s16
	s_add_u32 s44, s5, s28
	s_mul_i32 s2, s15, s16
	s_addc_u32 s45, s6, s29
	s_add_i32 s3, s4, s3
	v_cmp_gt_u32_e64 s0, 32, v0
	s_lshl_b64 s[16:17], s[2:3], 1
	v_cmp_gt_u32_e64 s1, 8, v0
	s_add_u32 s2, s8, s16
	s_addc_u32 s3, s9, s17
	s_lshl_b64 s[10:11], s[10:11], 1
	s_delay_alu instid0(SALU_CYCLE_1)
	s_add_u32 s2, s2, s10
	s_addc_u32 s3, s3, s11
	s_lshl_b32 s4, s14, 10
	s_ashr_i32 s5, s12, 31
	v_lshl_or_b32 v9, v0, 2, s4
	s_lshr_b32 s4, s30, 30
	s_lshr_b32 s5, s5, 30
	s_add_i32 s4, s13, s4
	s_add_i32 s5, s12, s5
	v_ashrrev_i32_e32 v10, 31, v9
	s_and_b32 s46, s4, -4
	s_and_b32 s4, s5, -4
	v_add_nc_u32_e32 v30, 4, v9
	s_sub_i32 s21, s12, s4
	v_lshlrev_b64 v[7:8], 1, v[9:10]
	v_or_b32_e32 v28, 1, v9
	v_or_b32_e32 v26, 2, v9
	v_add_nc_u32_e32 v31, s21, v9
	v_or_b32_e32 v25, 3, v9
	s_cmp_lt_i32 s46, 1
	v_add_co_u32 v5, vcc_lo, s2, v7
	v_add_co_ci_u32_e32 v6, vcc_lo, s3, v8, vcc_lo
	s_cbranch_scc1 .LBB397_54
; %bb.7:
	v_cmp_gt_u32_e32 vcc_lo, 16, v27
	v_mad_i64_i32 v[12:13], null, s24, v26, 0
	v_mad_i64_i32 v[14:15], null, s24, v25, 0
	v_cndmask_b32_e64 v1, 0, 1, vcc_lo
	v_cmp_gt_u32_e32 vcc_lo, 24, v27
	s_mov_b32 s15, 0
	s_cmp_gt_i32 s21, 0
	s_delay_alu instid0(VALU_DEP_4)
	v_lshlrev_b64 v[16:17], 1, v[12:13]
	v_lshlrev_b32_e32 v1, 4, v1
	v_cndmask_b32_e64 v2, 0, 1, vcc_lo
	v_cmp_gt_u32_e32 vcc_lo, 28, v27
	s_cselect_b32 s47, -1, 0
	s_lshl_b64 s[6:7], s[14:15], 2
	s_delay_alu instid0(VALU_DEP_2)
	v_dual_mov_b32 v39, 0 :: v_dual_lshlrev_b32 v2, 3, v2
	v_cndmask_b32_e64 v3, 0, 1, vcc_lo
	v_cmp_gt_u32_e32 vcc_lo, 30, v27
	s_add_u32 s48, s42, s6
	s_addc_u32 s49, s43, s7
	v_add_lshl_u32 v33, v2, v27, 2
	v_lshlrev_b32_e32 v3, 2, v3
	v_cndmask_b32_e64 v4, 0, 1, vcc_lo
	v_cmp_ne_u32_e32 vcc_lo, 31, v27
	v_dual_mov_b32 v21, v6 :: v_dual_mov_b32 v20, v5
	v_add_lshl_u32 v32, v1, v27, 2
	s_delay_alu instid0(VALU_DEP_4) | instskip(SKIP_3) | instid1(VALU_DEP_4)
	v_lshlrev_b32_e32 v4, 1, v4
	v_mad_i64_i32 v[1:2], null, s24, v9, 0
	v_add_lshl_u32 v34, v3, v27, 2
	v_add_co_ci_u32_e32 v10, vcc_lo, 0, v27, vcc_lo
	v_add_lshl_u32 v35, v4, v27, 2
	v_mad_i64_i32 v[3:4], null, s24, v28, 0
	v_lshlrev_b64 v[1:2], 1, v[1:2]
	s_delay_alu instid0(VALU_DEP_4) | instskip(SKIP_4) | instid1(VALU_DEP_3)
	v_lshlrev_b32_e32 v36, 2, v10
	s_add_u32 s6, s18, s28
	s_addc_u32 s7, s19, s29
	s_add_u32 s6, s6, s26
	s_addc_u32 s7, s7, s27
	v_lshlrev_b64 v[3:4], 1, v[3:4]
	v_add_co_u32 v10, vcc_lo, s44, v1
	v_add_co_ci_u32_e32 v11, vcc_lo, s45, v2, vcc_lo
	v_cmp_ge_i32_e64 s2, s12, v30
	s_delay_alu instid0(VALU_DEP_4)
	v_add_co_u32 v12, vcc_lo, s44, v3
	v_add_co_ci_u32_e32 v13, vcc_lo, s45, v4, vcc_lo
	v_lshlrev_b64 v[3:4], 1, v[14:15]
	v_add_co_u32 v14, vcc_lo, s44, v16
	v_add_co_ci_u32_e32 v15, vcc_lo, s45, v17, vcc_lo
	v_cmp_ge_i32_e64 s3, s12, v31
	s_delay_alu instid0(VALU_DEP_4)
	v_add_co_u32 v16, vcc_lo, s44, v3
	v_add_co_ci_u32_e32 v17, vcc_lo, s45, v4, vcc_lo
	v_add_co_u32 v18, vcc_lo, s6, v1
	v_cmp_eq_u32_e64 s4, 0, v24
	v_lshlrev_b32_e32 v37, 2, v24
	v_and_b32_e32 v38, 28, v29
	v_cmp_eq_u32_e64 s5, 0, v0
	v_add_co_ci_u32_e32 v19, vcc_lo, s7, v2, vcc_lo
	s_lshl_b64 s[30:31], s[24:25], 1
	s_lshl_b64 s[34:35], s[22:23], 3
	;; [unrolled: 1-line block ×4, first 2 shown]
	s_mul_hi_i32 s50, s22, 6
	s_mul_i32 s51, s22, 6
                                        ; implicit-def: $vgpr1_vgpr2_vgpr3_vgpr4
	s_branch .LBB397_9
.LBB397_8:                              ;   in Loop: Header=BB397_9 Depth=1
	s_or_b32 exec_lo, exec_lo, s6
	v_add_co_u32 v20, vcc_lo, v20, s34
	v_add_co_ci_u32_e32 v21, vcc_lo, s35, v21, vcc_lo
	s_add_i32 s15, s15, 4
	s_delay_alu instid0(SALU_CYCLE_1)
	s_cmp_ge_i32 s15, s46
	s_cbranch_scc1 .LBB397_55
.LBB397_9:                              ; =>This Loop Header: Depth=1
                                        ;     Child Loop BB397_40 Depth 2
                                        ;     Child Loop BB397_43 Depth 2
                                        ; implicit-def: $vgpr40
                                        ; implicit-def: $vgpr41
                                        ; implicit-def: $vgpr42
                                        ; implicit-def: $vgpr43
	s_and_saveexec_b32 s6, s2
	s_delay_alu instid0(SALU_CYCLE_1)
	s_xor_b32 s6, exec_lo, s6
	s_cbranch_execnz .LBB397_36
; %bb.10:                               ;   in Loop: Header=BB397_9 Depth=1
	s_and_not1_saveexec_b32 s52, s6
	s_cbranch_execnz .LBB397_37
.LBB397_11:                             ;   in Loop: Header=BB397_9 Depth=1
	s_or_b32 exec_lo, exec_lo, s52
	s_and_saveexec_b32 s6, s0
	s_cbranch_execz .LBB397_13
.LBB397_12:                             ;   in Loop: Header=BB397_9 Depth=1
	ds_store_b32 v37, v39
.LBB397_13:                             ;   in Loop: Header=BB397_9 Depth=1
	s_or_b32 exec_lo, exec_lo, s6
	ds_bpermute_b32 v22, v32, v43
	s_waitcnt lgkmcnt(0)
	s_waitcnt_vscnt null, 0x0
	s_barrier
	buffer_gl0_inv
	v_add_f32_e32 v22, v43, v22
	ds_bpermute_b32 v23, v33, v22
	s_waitcnt lgkmcnt(0)
	v_add_f32_e32 v22, v22, v23
	ds_bpermute_b32 v23, v34, v22
	s_waitcnt lgkmcnt(0)
	;; [unrolled: 3-line block ×3, first 2 shown]
	v_add_f32_e32 v22, v22, v23
	ds_bpermute_b32 v23, v36, v22
	s_and_saveexec_b32 s6, s4
	s_cbranch_execz .LBB397_15
; %bb.14:                               ;   in Loop: Header=BB397_9 Depth=1
	s_waitcnt lgkmcnt(0)
	v_add_f32_e32 v22, v22, v23
	ds_store_b32 v38, v22
.LBB397_15:                             ;   in Loop: Header=BB397_9 Depth=1
	s_or_b32 exec_lo, exec_lo, s6
	v_mov_b32_e32 v22, 0
	s_waitcnt lgkmcnt(0)
	s_barrier
	buffer_gl0_inv
	s_and_saveexec_b32 s6, s1
	s_cbranch_execnz .LBB397_45
; %bb.16:                               ;   in Loop: Header=BB397_9 Depth=1
	s_or_b32 exec_lo, exec_lo, s6
	s_and_saveexec_b32 s6, s0
	s_cbranch_execnz .LBB397_46
.LBB397_17:                             ;   in Loop: Header=BB397_9 Depth=1
	s_or_b32 exec_lo, exec_lo, s6
	s_and_saveexec_b32 s6, s0
	s_cbranch_execz .LBB397_19
.LBB397_18:                             ;   in Loop: Header=BB397_9 Depth=1
	ds_store_b32 v37, v39
.LBB397_19:                             ;   in Loop: Header=BB397_9 Depth=1
	s_or_b32 exec_lo, exec_lo, s6
	ds_bpermute_b32 v23, v32, v42
	s_waitcnt lgkmcnt(0)
	s_barrier
	buffer_gl0_inv
	v_add_f32_e32 v23, v42, v23
	ds_bpermute_b32 v42, v33, v23
	s_waitcnt lgkmcnt(0)
	v_add_f32_e32 v23, v23, v42
	ds_bpermute_b32 v42, v34, v23
	s_waitcnt lgkmcnt(0)
	;; [unrolled: 3-line block ×3, first 2 shown]
	v_add_f32_e32 v23, v23, v42
	ds_bpermute_b32 v42, v36, v23
	s_and_saveexec_b32 s6, s4
	s_cbranch_execz .LBB397_21
; %bb.20:                               ;   in Loop: Header=BB397_9 Depth=1
	s_waitcnt lgkmcnt(0)
	v_add_f32_e32 v23, v23, v42
	ds_store_b32 v38, v23
.LBB397_21:                             ;   in Loop: Header=BB397_9 Depth=1
	s_or_b32 exec_lo, exec_lo, s6
	v_mov_b32_e32 v23, 0
	s_waitcnt lgkmcnt(0)
	s_barrier
	buffer_gl0_inv
	s_and_saveexec_b32 s6, s1
	s_cbranch_execnz .LBB397_47
; %bb.22:                               ;   in Loop: Header=BB397_9 Depth=1
	s_or_b32 exec_lo, exec_lo, s6
	s_and_saveexec_b32 s6, s0
	s_cbranch_execnz .LBB397_48
.LBB397_23:                             ;   in Loop: Header=BB397_9 Depth=1
	s_or_b32 exec_lo, exec_lo, s6
	s_and_saveexec_b32 s6, s0
	s_cbranch_execz .LBB397_25
.LBB397_24:                             ;   in Loop: Header=BB397_9 Depth=1
	ds_store_b32 v37, v39
.LBB397_25:                             ;   in Loop: Header=BB397_9 Depth=1
	s_or_b32 exec_lo, exec_lo, s6
	ds_bpermute_b32 v42, v32, v41
	s_waitcnt lgkmcnt(0)
	s_barrier
	buffer_gl0_inv
	v_add_f32_e32 v41, v41, v42
	ds_bpermute_b32 v42, v33, v41
	s_waitcnt lgkmcnt(0)
	v_add_f32_e32 v41, v41, v42
	ds_bpermute_b32 v42, v34, v41
	s_waitcnt lgkmcnt(0)
	;; [unrolled: 3-line block ×3, first 2 shown]
	v_add_f32_e32 v41, v41, v42
	ds_bpermute_b32 v42, v36, v41
	s_and_saveexec_b32 s6, s4
	s_cbranch_execz .LBB397_27
; %bb.26:                               ;   in Loop: Header=BB397_9 Depth=1
	s_waitcnt lgkmcnt(0)
	v_add_f32_e32 v41, v41, v42
	ds_store_b32 v38, v41
.LBB397_27:                             ;   in Loop: Header=BB397_9 Depth=1
	s_or_b32 exec_lo, exec_lo, s6
	v_mov_b32_e32 v41, 0
	s_waitcnt lgkmcnt(0)
	s_barrier
	buffer_gl0_inv
	s_and_saveexec_b32 s6, s1
	s_cbranch_execnz .LBB397_49
; %bb.28:                               ;   in Loop: Header=BB397_9 Depth=1
	s_or_b32 exec_lo, exec_lo, s6
	s_and_saveexec_b32 s6, s0
	s_cbranch_execnz .LBB397_50
.LBB397_29:                             ;   in Loop: Header=BB397_9 Depth=1
	s_or_b32 exec_lo, exec_lo, s6
	s_and_saveexec_b32 s6, s0
	s_cbranch_execz .LBB397_31
.LBB397_30:                             ;   in Loop: Header=BB397_9 Depth=1
	ds_store_b32 v37, v39
.LBB397_31:                             ;   in Loop: Header=BB397_9 Depth=1
	s_or_b32 exec_lo, exec_lo, s6
	ds_bpermute_b32 v42, v32, v40
	s_waitcnt lgkmcnt(0)
	s_barrier
	buffer_gl0_inv
	v_add_f32_e32 v40, v40, v42
	ds_bpermute_b32 v42, v33, v40
	s_waitcnt lgkmcnt(0)
	v_add_f32_e32 v40, v40, v42
	ds_bpermute_b32 v42, v34, v40
	s_waitcnt lgkmcnt(0)
	;; [unrolled: 3-line block ×3, first 2 shown]
	v_add_f32_e32 v40, v40, v42
	ds_bpermute_b32 v42, v36, v40
	s_and_saveexec_b32 s6, s4
	s_cbranch_execz .LBB397_33
; %bb.32:                               ;   in Loop: Header=BB397_9 Depth=1
	s_waitcnt lgkmcnt(0)
	v_add_f32_e32 v40, v40, v42
	ds_store_b32 v38, v40
.LBB397_33:                             ;   in Loop: Header=BB397_9 Depth=1
	s_or_b32 exec_lo, exec_lo, s6
	v_mov_b32_e32 v40, 0
	s_waitcnt lgkmcnt(0)
	s_barrier
	buffer_gl0_inv
	s_and_saveexec_b32 s6, s1
	s_cbranch_execnz .LBB397_51
; %bb.34:                               ;   in Loop: Header=BB397_9 Depth=1
	s_or_b32 exec_lo, exec_lo, s6
	s_and_saveexec_b32 s6, s0
	s_cbranch_execnz .LBB397_52
.LBB397_35:                             ;   in Loop: Header=BB397_9 Depth=1
	s_or_b32 exec_lo, exec_lo, s6
	s_and_saveexec_b32 s6, s5
	s_cbranch_execz .LBB397_8
	s_branch .LBB397_53
.LBB397_36:                             ;   in Loop: Header=BB397_9 Depth=1
	s_mul_i32 s7, s15, s23
	s_mul_hi_u32 s40, s15, s22
	s_delay_alu instid0(SALU_CYCLE_1)
	s_add_i32 s41, s40, s7
	s_mul_i32 s40, s15, s22
	s_or_b32 s7, s15, 1
	s_lshl_b64 s[40:41], s[40:41], 1
	s_mul_i32 s52, s7, s23
	s_mul_hi_u32 s53, s7, s22
	v_add_co_u32 v1, vcc_lo, v5, s40
	v_add_co_ci_u32_e32 v2, vcc_lo, s41, v6, vcc_lo
	s_add_i32 s41, s53, s52
	s_mul_i32 s40, s7, s22
	s_or_b32 s7, s15, 2
	s_lshl_b64 s[40:41], s[40:41], 1
	s_mul_i32 s52, s7, s23
	s_mul_hi_u32 s53, s7, s22
	v_add_co_u32 v3, vcc_lo, v5, s40
	v_add_co_ci_u32_e32 v4, vcc_lo, s41, v6, vcc_lo
	s_add_i32 s41, s53, s52
	s_or_b32 s52, s15, 3
	s_mul_i32 s40, s7, s22
	s_mul_i32 s7, s52, s23
	s_mul_hi_u32 s53, s52, s22
	s_lshl_b64 s[40:41], s[40:41], 1
	s_add_i32 s53, s53, s7
	s_mul_i32 s52, s52, s22
	v_add_co_u32 v22, vcc_lo, v5, s40
	v_add_co_ci_u32_e32 v23, vcc_lo, s41, v6, vcc_lo
	s_lshl_b64 s[40:41], s[52:53], 1
	s_waitcnt lgkmcnt(0)
	v_add_co_u32 v40, vcc_lo, v5, s40
	v_add_co_ci_u32_e32 v41, vcc_lo, s41, v6, vcc_lo
	global_load_u16 v48, v[10:11], off
	s_clause 0x3
	global_load_b64 v[42:43], v[1:2], off
	global_load_b64 v[44:45], v[3:4], off
	;; [unrolled: 1-line block ×4, first 2 shown]
	s_clause 0x2
	global_load_u16 v3, v[12:13], off
	global_load_u16 v4, v[14:15], off
	;; [unrolled: 1-line block ×3, first 2 shown]
	s_waitcnt vmcnt(7)
	v_cvt_f32_f16_e32 v1, v48
	s_waitcnt vmcnt(6)
	v_fma_mix_f32 v41, v48, v42, 0 op_sel_hi:[1,1,0]
	s_waitcnt vmcnt(5)
	v_fma_mix_f32 v49, v48, v44, 0 op_sel_hi:[1,1,0]
	;; [unrolled: 2-line block ×4, first 2 shown]
	s_waitcnt vmcnt(2)
	v_cvt_f32_f16_e32 v2, v3
	v_fma_mix_f32 v41, v3, v42, v41 op_sel:[0,1,0] op_sel_hi:[1,1,0]
	v_fma_mix_f32 v42, v3, v44, v49 op_sel:[0,1,0] op_sel_hi:[1,1,0]
	;; [unrolled: 1-line block ×4, first 2 shown]
	s_waitcnt vmcnt(1)
	v_cvt_f32_f16_e32 v3, v4
	v_fma_mix_f32 v41, v4, v43, v41 op_sel_hi:[1,1,0]
	v_fma_mix_f32 v42, v4, v45, v42 op_sel_hi:[1,1,0]
	;; [unrolled: 1-line block ×4, first 2 shown]
	s_waitcnt vmcnt(0)
	v_cvt_f32_f16_e32 v4, v40
	v_fma_mix_f32 v43, v40, v43, v41 op_sel:[0,1,0] op_sel_hi:[1,1,0]
	v_fma_mix_f32 v42, v40, v45, v42 op_sel:[0,1,0] op_sel_hi:[1,1,0]
	;; [unrolled: 1-line block ×4, first 2 shown]
	s_and_not1_saveexec_b32 s52, s6
	s_cbranch_execz .LBB397_11
.LBB397_37:                             ;   in Loop: Header=BB397_9 Depth=1
	s_waitcnt lgkmcnt(0)
	v_dual_mov_b32 v40, 0 :: v_dual_mov_b32 v41, 0
	v_dual_mov_b32 v42, 0 :: v_dual_mov_b32 v43, 0
	s_and_saveexec_b32 s53, s3
	s_cbranch_execz .LBB397_44
; %bb.38:                               ;   in Loop: Header=BB397_9 Depth=1
	s_and_not1_b32 vcc_lo, exec_lo, s47
	s_cbranch_vccnz .LBB397_41
; %bb.39:                               ;   in Loop: Header=BB397_9 Depth=1
	v_dual_mov_b32 v23, v19 :: v_dual_mov_b32 v22, v18
	s_mov_b64 s[40:41], 0
	.p2align	6
.LBB397_40:                             ;   Parent Loop BB397_9 Depth=1
                                        ; =>  This Inner Loop Header: Depth=2
	global_load_u16 v40, v[22:23], off
	v_add_co_u32 v22, vcc_lo, v22, s30
	s_cmp_eq_u32 s40, 3
	v_add_co_ci_u32_e32 v23, vcc_lo, s31, v23, vcc_lo
	s_cselect_b32 vcc_lo, -1, 0
	s_cmp_eq_u32 s40, 2
	s_cselect_b32 s6, -1, 0
	s_cmp_eq_u32 s40, 1
	s_cselect_b32 s7, -1, 0
	s_cmp_eq_u32 s40, 0
	s_waitcnt vmcnt(0)
	v_cvt_f32_f16_e32 v40, v40
	s_delay_alu instid0(VALU_DEP_1)
	v_cndmask_b32_e32 v4, v4, v40, vcc_lo
	s_cselect_b32 vcc_lo, -1, 0
	v_cndmask_b32_e64 v3, v3, v40, s6
	v_cndmask_b32_e64 v2, v2, v40, s7
	v_cndmask_b32_e32 v1, v1, v40, vcc_lo
	s_add_u32 s40, s40, 1
	s_addc_u32 s41, s41, 0
	s_cmp_eq_u32 s21, s40
	s_cbranch_scc0 .LBB397_40
.LBB397_41:                             ;   in Loop: Header=BB397_9 Depth=1
	v_dual_mov_b32 v40, 0 :: v_dual_mov_b32 v41, 0
	v_dual_mov_b32 v42, 0 :: v_dual_mov_b32 v43, 0
	s_and_not1_b32 vcc_lo, exec_lo, s47
	s_cbranch_vccnz .LBB397_44
; %bb.42:                               ;   in Loop: Header=BB397_9 Depth=1
	v_dual_mov_b32 v23, v21 :: v_dual_mov_b32 v42, 0
	v_dual_mov_b32 v43, 0 :: v_dual_mov_b32 v22, v20
	;; [unrolled: 1-line block ×3, first 2 shown]
	s_mov_b64 s[40:41], 0
	s_set_inst_prefetch_distance 0x1
	.p2align	6
.LBB397_43:                             ;   Parent Loop BB397_9 Depth=1
                                        ; =>  This Inner Loop Header: Depth=2
	s_delay_alu instid0(VALU_DEP_2)
	v_add_co_u32 v44, vcc_lo, v22, s36
	v_add_co_ci_u32_e32 v45, vcc_lo, s37, v23, vcc_lo
	v_add_co_u32 v46, vcc_lo, v22, s38
	v_add_co_ci_u32_e32 v47, vcc_lo, s39, v23, vcc_lo
	;; [unrolled: 2-line block ×3, first 2 shown]
	s_clause 0x3
	global_load_u16 v50, v[22:23], off
	global_load_u16 v44, v[44:45], off
	;; [unrolled: 1-line block ×4, first 2 shown]
	s_cmp_eq_u32 s40, 1
	v_add_co_u32 v22, s6, v22, 2
	s_cselect_b32 vcc_lo, -1, 0
	s_cmp_eq_u32 s40, 2
	v_cndmask_b32_e32 v47, v1, v2, vcc_lo
	s_cselect_b32 vcc_lo, -1, 0
	s_cmp_eq_u32 s40, 3
	v_add_co_ci_u32_e64 v23, s6, 0, v23, s6
	s_delay_alu instid0(VALU_DEP_2)
	v_cndmask_b32_e32 v47, v47, v3, vcc_lo
	s_cselect_b32 vcc_lo, -1, 0
	s_add_u32 s40, s40, 1
	s_addc_u32 s41, s41, 0
	s_cmp_lg_u32 s21, s40
	v_cndmask_b32_e32 v47, v47, v4, vcc_lo
	s_waitcnt vmcnt(3)
	s_delay_alu instid0(VALU_DEP_1)
	v_fma_mix_f32 v43, v47, v50, v43 op_sel_hi:[0,1,0]
	s_waitcnt vmcnt(2)
	v_fma_mix_f32 v42, v47, v44, v42 op_sel_hi:[0,1,0]
	s_waitcnt vmcnt(1)
	;; [unrolled: 2-line block ×3, first 2 shown]
	v_fma_mix_f32 v40, v47, v46, v40 op_sel_hi:[0,1,0]
	s_cbranch_scc1 .LBB397_43
.LBB397_44:                             ;   in Loop: Header=BB397_9 Depth=1
	s_set_inst_prefetch_distance 0x2
	s_or_b32 exec_lo, exec_lo, s53
	s_delay_alu instid0(SALU_CYCLE_1)
	s_or_b32 exec_lo, exec_lo, s52
	s_and_saveexec_b32 s6, s0
	s_cbranch_execnz .LBB397_12
	s_branch .LBB397_13
.LBB397_45:                             ;   in Loop: Header=BB397_9 Depth=1
	ds_load_b32 v22, v37
	s_or_b32 exec_lo, exec_lo, s6
	s_and_saveexec_b32 s6, s0
	s_cbranch_execz .LBB397_17
.LBB397_46:                             ;   in Loop: Header=BB397_9 Depth=1
	s_waitcnt lgkmcnt(0)
	ds_bpermute_b32 v23, v34, v22
	s_waitcnt lgkmcnt(0)
	v_add_f32_e32 v22, v22, v23
	ds_bpermute_b32 v23, v35, v22
	s_waitcnt lgkmcnt(0)
	v_add_f32_e32 v22, v22, v23
	;; [unrolled: 3-line block ×3, first 2 shown]
	s_or_b32 exec_lo, exec_lo, s6
	s_and_saveexec_b32 s6, s0
	s_cbranch_execnz .LBB397_18
	s_branch .LBB397_19
.LBB397_47:                             ;   in Loop: Header=BB397_9 Depth=1
	ds_load_b32 v23, v37
	s_or_b32 exec_lo, exec_lo, s6
	s_and_saveexec_b32 s6, s0
	s_cbranch_execz .LBB397_23
.LBB397_48:                             ;   in Loop: Header=BB397_9 Depth=1
	s_waitcnt lgkmcnt(0)
	ds_bpermute_b32 v42, v34, v23
	s_waitcnt lgkmcnt(0)
	v_add_f32_e32 v23, v23, v42
	ds_bpermute_b32 v42, v35, v23
	s_waitcnt lgkmcnt(0)
	v_add_f32_e32 v23, v23, v42
	;; [unrolled: 3-line block ×3, first 2 shown]
	s_or_b32 exec_lo, exec_lo, s6
	s_and_saveexec_b32 s6, s0
	s_cbranch_execnz .LBB397_24
	s_branch .LBB397_25
.LBB397_49:                             ;   in Loop: Header=BB397_9 Depth=1
	ds_load_b32 v41, v37
	s_or_b32 exec_lo, exec_lo, s6
	s_and_saveexec_b32 s6, s0
	s_cbranch_execz .LBB397_29
.LBB397_50:                             ;   in Loop: Header=BB397_9 Depth=1
	s_waitcnt lgkmcnt(0)
	ds_bpermute_b32 v42, v34, v41
	s_waitcnt lgkmcnt(0)
	v_add_f32_e32 v41, v41, v42
	ds_bpermute_b32 v42, v35, v41
	s_waitcnt lgkmcnt(0)
	v_add_f32_e32 v41, v41, v42
	;; [unrolled: 3-line block ×3, first 2 shown]
	s_or_b32 exec_lo, exec_lo, s6
	s_and_saveexec_b32 s6, s0
	s_cbranch_execnz .LBB397_30
	s_branch .LBB397_31
.LBB397_51:                             ;   in Loop: Header=BB397_9 Depth=1
	ds_load_b32 v40, v37
	s_or_b32 exec_lo, exec_lo, s6
	s_and_saveexec_b32 s6, s0
	s_cbranch_execz .LBB397_35
.LBB397_52:                             ;   in Loop: Header=BB397_9 Depth=1
	s_waitcnt lgkmcnt(0)
	ds_bpermute_b32 v42, v34, v40
	s_waitcnt lgkmcnt(0)
	v_add_f32_e32 v40, v40, v42
	ds_bpermute_b32 v42, v35, v40
	s_waitcnt lgkmcnt(0)
	v_add_f32_e32 v40, v40, v42
	;; [unrolled: 3-line block ×3, first 2 shown]
	s_or_b32 exec_lo, exec_lo, s6
	s_and_saveexec_b32 s6, s5
	s_cbranch_execz .LBB397_8
.LBB397_53:                             ;   in Loop: Header=BB397_9 Depth=1
	s_mul_hi_u32 s41, s15, s20
	s_mul_i32 s40, s15, s20
	v_dual_mul_f32 v22, s33, v22 :: v_dual_mul_f32 v23, s33, v23
	s_lshl_b64 s[40:41], s[40:41], 2
	s_waitcnt lgkmcnt(0)
	v_mul_f32_e32 v40, s33, v40
	s_add_u32 s40, s48, s40
	s_addc_u32 s41, s49, s41
	s_or_b32 s7, s15, 1
	global_store_b32 v39, v22, s[40:41]
	s_mul_hi_u32 s53, s7, s20
	s_mul_i32 s52, s7, s20
	v_mul_f32_e32 v22, s33, v41
	s_lshl_b64 s[52:53], s[52:53], 2
	s_delay_alu instid0(SALU_CYCLE_1)
	s_add_u32 s52, s48, s52
	s_addc_u32 s53, s49, s53
	s_or_b32 s7, s15, 2
	global_store_b32 v39, v23, s[52:53]
	s_mul_hi_u32 s55, s7, s20
	s_mul_i32 s54, s7, s20
	s_delay_alu instid0(SALU_CYCLE_1) | instskip(NEXT) | instid1(SALU_CYCLE_1)
	s_lshl_b64 s[54:55], s[54:55], 2
	s_add_u32 s40, s48, s54
	s_addc_u32 s41, s49, s55
	s_or_b32 s7, s15, 3
	s_delay_alu instid0(SALU_CYCLE_1) | instskip(SKIP_1) | instid1(SALU_CYCLE_1)
	s_mul_hi_u32 s55, s7, s20
	s_mul_i32 s54, s7, s20
	s_lshl_b64 s[54:55], s[54:55], 2
	s_delay_alu instid0(SALU_CYCLE_1)
	s_add_u32 s52, s48, s54
	s_addc_u32 s53, s49, s55
	s_clause 0x1
	global_store_b32 v39, v22, s[40:41]
	global_store_b32 v39, v40, s[52:53]
	s_branch .LBB397_8
.LBB397_54:
	s_mov_b32 s15, 0
                                        ; implicit-def: $vgpr1_vgpr2_vgpr3_vgpr4
.LBB397_55:
	s_delay_alu instid0(SALU_CYCLE_1)
	s_cmp_ge_i32 s15, s13
	s_cbranch_scc1 .LBB397_79
; %bb.56:
	v_cmp_gt_u32_e32 vcc_lo, 16, v27
	v_cmp_ge_i32_e64 s0, s12, v30
	v_cmp_ge_i32_e64 s1, s12, v31
	v_mad_i64_i32 v[19:20], null, s24, v25, 0
	v_cndmask_b32_e64 v10, 0, 1, vcc_lo
	v_cmp_gt_u32_e32 vcc_lo, 24, v27
	s_cmp_gt_i32 s21, 0
	s_mov_b32 s31, 0
	s_mov_b32 s30, s14
	v_lshlrev_b32_e32 v10, 4, v10
	v_cndmask_b32_e64 v11, 0, 1, vcc_lo
	v_cmp_gt_u32_e32 vcc_lo, 28, v27
	s_cselect_b32 s12, -1, 0
	s_lshl_b64 s[6:7], s[30:31], 2
	v_add_lshl_u32 v22, v10, v27, 2
	v_lshlrev_b32_e32 v11, 3, v11
	v_cndmask_b32_e64 v12, 0, 1, vcc_lo
	v_cmp_gt_u32_e32 vcc_lo, 30, v27
	s_add_u32 s14, s42, s6
	s_addc_u32 s30, s43, s7
	v_add_lshl_u32 v23, v11, v27, 2
	v_lshlrev_b32_e32 v12, 2, v12
	v_cndmask_b32_e64 v13, 0, 1, vcc_lo
	v_cmp_ne_u32_e32 vcc_lo, 31, v27
	v_mad_i64_i32 v[10:11], null, s24, v9, 0
	s_delay_alu instid0(VALU_DEP_4) | instskip(NEXT) | instid1(VALU_DEP_4)
	v_add_lshl_u32 v30, v12, v27, 2
	v_lshlrev_b32_e32 v13, 1, v13
	v_add_co_ci_u32_e32 v14, vcc_lo, 0, v27, vcc_lo
	s_add_u32 s6, s18, s28
	s_addc_u32 s7, s19, s29
	s_delay_alu instid0(VALU_DEP_2)
	v_add_lshl_u32 v27, v13, v27, 2
	v_mad_i64_i32 v[12:13], null, s24, v28, 0
	v_lshlrev_b32_e32 v31, 2, v14
	v_mad_i64_i32 v[14:15], null, s24, v26, 0
	v_lshlrev_b64 v[17:18], 1, v[10:11]
	s_add_u32 s18, s6, s26
	s_mul_i32 s6, s23, s15
	s_delay_alu instid0(VALU_DEP_4)
	v_lshlrev_b64 v[11:12], 1, v[12:13]
	s_mul_hi_u32 s19, s22, s15
	s_addc_u32 s26, s7, s27
	v_add_co_u32 v9, vcc_lo, s44, v17
	v_lshlrev_b64 v[13:14], 1, v[14:15]
	v_add_co_ci_u32_e32 v10, vcc_lo, s45, v18, vcc_lo
	v_add_co_u32 v11, vcc_lo, s44, v11
	v_lshlrev_b64 v[15:16], 1, v[19:20]
	v_add_co_ci_u32_e32 v12, vcc_lo, s45, v12, vcc_lo
	v_add_co_u32 v13, vcc_lo, s44, v13
	v_add_co_ci_u32_e32 v14, vcc_lo, s45, v14, vcc_lo
	s_delay_alu instid0(VALU_DEP_4)
	v_add_co_u32 v15, vcc_lo, s44, v15
	s_add_i32 s7, s19, s6
	s_mul_i32 s6, s22, s15
	v_add_co_ci_u32_e32 v16, vcc_lo, s45, v16, vcc_lo
	s_lshl_b64 s[6:7], s[6:7], 1
	v_add_co_u32 v17, vcc_lo, s18, v17
	s_lshl_b64 s[18:19], s[24:25], 1
	s_add_u32 s6, s16, s6
	s_addc_u32 s7, s17, s7
	s_add_u32 s6, s6, s10
	s_addc_u32 s7, s7, s11
	s_add_u32 s6, s8, s6
	v_add_co_ci_u32_e32 v18, vcc_lo, s26, v18, vcc_lo
	s_addc_u32 s7, s9, s7
	v_add_co_u32 v7, vcc_lo, s6, v7
	v_cmp_gt_u32_e64 s2, 32, v0
	v_lshlrev_b32_e32 v21, 2, v24
	v_cmp_eq_u32_e64 s3, 0, v24
	v_and_b32_e32 v24, 28, v29
	v_cmp_gt_u32_e64 s4, 8, v0
	v_cmp_eq_u32_e64 s5, 0, v0
	v_mov_b32_e32 v0, 0
	v_add_co_ci_u32_e32 v8, vcc_lo, s7, v8, vcc_lo
	s_lshl_b64 s[8:9], s[22:23], 1
	s_branch .LBB397_58
.LBB397_57:                             ;   in Loop: Header=BB397_58 Depth=1
	s_or_b32 exec_lo, exec_lo, s6
	v_add_co_u32 v7, vcc_lo, v7, s8
	v_add_co_ci_u32_e32 v8, vcc_lo, s9, v8, vcc_lo
	s_add_i32 s15, s15, 1
	s_delay_alu instid0(SALU_CYCLE_1)
	s_cmp_ge_i32 s15, s13
	s_cbranch_scc1 .LBB397_79
.LBB397_58:                             ; =>This Loop Header: Depth=1
                                        ;     Child Loop BB397_71 Depth 2
                                        ;     Child Loop BB397_74 Depth 2
	v_mov_b32_e32 v25, s31
	s_and_saveexec_b32 s6, s0
	s_delay_alu instid0(SALU_CYCLE_1)
	s_xor_b32 s6, exec_lo, s6
	s_cbranch_execnz .LBB397_67
; %bb.59:                               ;   in Loop: Header=BB397_58 Depth=1
	s_and_not1_saveexec_b32 s16, s6
	s_cbranch_execnz .LBB397_68
.LBB397_60:                             ;   in Loop: Header=BB397_58 Depth=1
	s_or_b32 exec_lo, exec_lo, s16
	s_and_saveexec_b32 s6, s2
	s_cbranch_execz .LBB397_62
.LBB397_61:                             ;   in Loop: Header=BB397_58 Depth=1
	ds_store_b32 v21, v0
.LBB397_62:                             ;   in Loop: Header=BB397_58 Depth=1
	s_or_b32 exec_lo, exec_lo, s6
	s_waitcnt lgkmcnt(0)
	ds_bpermute_b32 v19, v22, v25
	s_waitcnt lgkmcnt(0)
	s_waitcnt_vscnt null, 0x0
	s_barrier
	buffer_gl0_inv
	v_add_f32_e32 v19, v25, v19
	ds_bpermute_b32 v20, v23, v19
	s_waitcnt lgkmcnt(0)
	v_add_f32_e32 v19, v19, v20
	ds_bpermute_b32 v20, v30, v19
	s_waitcnt lgkmcnt(0)
	;; [unrolled: 3-line block ×3, first 2 shown]
	v_add_f32_e32 v19, v19, v20
	ds_bpermute_b32 v20, v31, v19
	s_and_saveexec_b32 s6, s3
	s_cbranch_execz .LBB397_64
; %bb.63:                               ;   in Loop: Header=BB397_58 Depth=1
	s_waitcnt lgkmcnt(0)
	v_add_f32_e32 v19, v19, v20
	ds_store_b32 v24, v19
.LBB397_64:                             ;   in Loop: Header=BB397_58 Depth=1
	s_or_b32 exec_lo, exec_lo, s6
	v_mov_b32_e32 v19, 0
	s_waitcnt lgkmcnt(0)
	s_barrier
	buffer_gl0_inv
	s_and_saveexec_b32 s6, s4
	s_cbranch_execnz .LBB397_76
; %bb.65:                               ;   in Loop: Header=BB397_58 Depth=1
	s_or_b32 exec_lo, exec_lo, s6
	s_and_saveexec_b32 s6, s2
	s_cbranch_execnz .LBB397_77
.LBB397_66:                             ;   in Loop: Header=BB397_58 Depth=1
	s_or_b32 exec_lo, exec_lo, s6
	s_and_saveexec_b32 s6, s5
	s_cbranch_execz .LBB397_57
	s_branch .LBB397_78
.LBB397_67:                             ;   in Loop: Header=BB397_58 Depth=1
	s_mul_i32 s7, s15, s23
	s_mul_hi_u32 s11, s15, s22
	s_mul_i32 s10, s15, s22
	s_add_i32 s11, s11, s7
	s_delay_alu instid0(SALU_CYCLE_1) | instskip(NEXT) | instid1(SALU_CYCLE_1)
	s_lshl_b64 s[10:11], s[10:11], 1
	v_add_co_u32 v1, vcc_lo, v5, s10
	v_add_co_ci_u32_e32 v2, vcc_lo, s11, v6, vcc_lo
	s_waitcnt lgkmcnt(0)
	global_load_b64 v[19:20], v[1:2], off
	s_clause 0x3
	global_load_u16 v1, v[9:10], off
	global_load_u16 v2, v[11:12], off
	;; [unrolled: 1-line block ×4, first 2 shown]
	s_waitcnt vmcnt(3)
	v_fma_mix_f32 v4, v1, v19, 0 op_sel_hi:[1,1,0]
	v_cvt_f32_f16_e32 v1, v1
	s_waitcnt vmcnt(2)
	s_delay_alu instid0(VALU_DEP_2) | instskip(SKIP_2) | instid1(VALU_DEP_2)
	v_fma_mix_f32 v4, v2, v19, v4 op_sel:[0,1,0] op_sel_hi:[1,1,0]
	v_cvt_f32_f16_e32 v2, v2
	s_waitcnt vmcnt(1)
	v_fma_mix_f32 v19, v3, v20, v4 op_sel_hi:[1,1,0]
	v_cvt_f32_f16_e32 v3, v3
	s_waitcnt vmcnt(0)
	v_cvt_f32_f16_e32 v4, v25
	s_delay_alu instid0(VALU_DEP_3)
	v_fma_mix_f32 v25, v25, v20, v19 op_sel:[0,1,0] op_sel_hi:[1,1,0]
	s_and_not1_saveexec_b32 s16, s6
	s_cbranch_execz .LBB397_60
.LBB397_68:                             ;   in Loop: Header=BB397_58 Depth=1
	s_and_saveexec_b32 s17, s1
	s_cbranch_execz .LBB397_75
; %bb.69:                               ;   in Loop: Header=BB397_58 Depth=1
	s_and_not1_b32 vcc_lo, exec_lo, s12
	s_cbranch_vccnz .LBB397_72
; %bb.70:                               ;   in Loop: Header=BB397_58 Depth=1
	s_waitcnt lgkmcnt(0)
	v_dual_mov_b32 v20, v18 :: v_dual_mov_b32 v19, v17
	s_mov_b64 s[10:11], 0
	.p2align	6
.LBB397_71:                             ;   Parent Loop BB397_58 Depth=1
                                        ; =>  This Inner Loop Header: Depth=2
	global_load_u16 v26, v[19:20], off
	v_add_co_u32 v19, vcc_lo, v19, s18
	s_cmp_eq_u32 s10, 3
	v_add_co_ci_u32_e32 v20, vcc_lo, s19, v20, vcc_lo
	s_cselect_b32 vcc_lo, -1, 0
	s_cmp_eq_u32 s10, 2
	s_cselect_b32 s6, -1, 0
	s_cmp_eq_u32 s10, 1
	s_cselect_b32 s7, -1, 0
	s_cmp_eq_u32 s10, 0
	s_waitcnt vmcnt(0)
	v_cvt_f32_f16_e32 v26, v26
	s_delay_alu instid0(VALU_DEP_1)
	v_cndmask_b32_e32 v4, v4, v26, vcc_lo
	s_cselect_b32 vcc_lo, -1, 0
	v_cndmask_b32_e64 v3, v3, v26, s6
	v_cndmask_b32_e64 v2, v2, v26, s7
	v_cndmask_b32_e32 v1, v1, v26, vcc_lo
	s_add_u32 s10, s10, 1
	s_addc_u32 s11, s11, 0
	s_cmp_eq_u32 s21, s10
	s_cbranch_scc0 .LBB397_71
.LBB397_72:                             ;   in Loop: Header=BB397_58 Depth=1
	s_and_not1_b32 vcc_lo, exec_lo, s12
	s_cbranch_vccnz .LBB397_75
; %bb.73:                               ;   in Loop: Header=BB397_58 Depth=1
	s_waitcnt lgkmcnt(0)
	v_dual_mov_b32 v20, v8 :: v_dual_mov_b32 v19, v7
	s_mov_b64 s[6:7], 0
	.p2align	6
.LBB397_74:                             ;   Parent Loop BB397_58 Depth=1
                                        ; =>  This Inner Loop Header: Depth=2
	global_load_u16 v26, v[19:20], off
	s_cmp_eq_u32 s6, 1
	s_cselect_b32 vcc_lo, -1, 0
	s_cmp_eq_u32 s6, 2
	v_cndmask_b32_e32 v28, v1, v2, vcc_lo
	s_cselect_b32 vcc_lo, -1, 0
	s_cmp_eq_u32 s6, 3
	s_delay_alu instid0(VALU_DEP_1)
	v_cndmask_b32_e32 v28, v28, v3, vcc_lo
	s_cselect_b32 vcc_lo, -1, 0
	s_add_u32 s6, s6, 1
	s_addc_u32 s7, s7, 0
	s_cmp_lg_u32 s21, s6
	v_cndmask_b32_e32 v28, v28, v4, vcc_lo
	v_add_co_u32 v19, vcc_lo, v19, 2
	v_add_co_ci_u32_e32 v20, vcc_lo, 0, v20, vcc_lo
	s_waitcnt vmcnt(0)
	s_delay_alu instid0(VALU_DEP_3)
	v_fma_mix_f32 v25, v28, v26, v25 op_sel_hi:[0,1,0]
	s_cbranch_scc1 .LBB397_74
.LBB397_75:                             ;   in Loop: Header=BB397_58 Depth=1
	s_or_b32 exec_lo, exec_lo, s17
	s_delay_alu instid0(SALU_CYCLE_1)
	s_or_b32 exec_lo, exec_lo, s16
	s_and_saveexec_b32 s6, s2
	s_cbranch_execnz .LBB397_61
	s_branch .LBB397_62
.LBB397_76:                             ;   in Loop: Header=BB397_58 Depth=1
	ds_load_b32 v19, v21
	s_or_b32 exec_lo, exec_lo, s6
	s_and_saveexec_b32 s6, s2
	s_cbranch_execz .LBB397_66
.LBB397_77:                             ;   in Loop: Header=BB397_58 Depth=1
	s_waitcnt lgkmcnt(0)
	ds_bpermute_b32 v20, v30, v19
	s_waitcnt lgkmcnt(0)
	v_add_f32_e32 v19, v19, v20
	ds_bpermute_b32 v20, v27, v19
	s_waitcnt lgkmcnt(0)
	v_add_f32_e32 v19, v19, v20
	;; [unrolled: 3-line block ×3, first 2 shown]
	s_or_b32 exec_lo, exec_lo, s6
	s_and_saveexec_b32 s6, s5
	s_cbranch_execz .LBB397_57
.LBB397_78:                             ;   in Loop: Header=BB397_58 Depth=1
	s_mul_hi_u32 s11, s15, s20
	s_mul_i32 s10, s15, s20
	s_waitcnt lgkmcnt(0)
	v_mul_f32_e32 v19, s33, v19
	s_lshl_b64 s[10:11], s[10:11], 2
	s_delay_alu instid0(SALU_CYCLE_1)
	s_add_u32 s10, s14, s10
	s_addc_u32 s11, s30, s11
	global_store_b32 v0, v19, s[10:11]
	s_branch .LBB397_57
.LBB397_79:
	s_nop 0
	s_sendmsg sendmsg(MSG_DEALLOC_VGPRS)
	s_endpgm
	.section	.rodata,"a",@progbits
	.p2align	6, 0x0
	.amdhsa_kernel _ZL23rocblas_gemvt_sn_kernelILb0ELi256ELi4ElDF16_PKffEviiT4_lPKT3_lilS5_lilPT5_i
		.amdhsa_group_segment_fixed_size 128
		.amdhsa_private_segment_fixed_size 0
		.amdhsa_kernarg_size 360
		.amdhsa_user_sgpr_count 14
		.amdhsa_user_sgpr_dispatch_ptr 0
		.amdhsa_user_sgpr_queue_ptr 0
		.amdhsa_user_sgpr_kernarg_segment_ptr 1
		.amdhsa_user_sgpr_dispatch_id 0
		.amdhsa_user_sgpr_private_segment_size 0
		.amdhsa_wavefront_size32 1
		.amdhsa_uses_dynamic_stack 0
		.amdhsa_enable_private_segment 0
		.amdhsa_system_sgpr_workgroup_id_x 1
		.amdhsa_system_sgpr_workgroup_id_y 0
		.amdhsa_system_sgpr_workgroup_id_z 1
		.amdhsa_system_sgpr_workgroup_info 0
		.amdhsa_system_vgpr_workitem_id 0
		.amdhsa_next_free_vgpr 51
		.amdhsa_next_free_sgpr 56
		.amdhsa_reserve_vcc 1
		.amdhsa_float_round_mode_32 0
		.amdhsa_float_round_mode_16_64 0
		.amdhsa_float_denorm_mode_32 3
		.amdhsa_float_denorm_mode_16_64 3
		.amdhsa_dx10_clamp 1
		.amdhsa_ieee_mode 1
		.amdhsa_fp16_overflow 0
		.amdhsa_workgroup_processor_mode 1
		.amdhsa_memory_ordered 1
		.amdhsa_forward_progress 0
		.amdhsa_shared_vgpr_count 0
		.amdhsa_exception_fp_ieee_invalid_op 0
		.amdhsa_exception_fp_denorm_src 0
		.amdhsa_exception_fp_ieee_div_zero 0
		.amdhsa_exception_fp_ieee_overflow 0
		.amdhsa_exception_fp_ieee_underflow 0
		.amdhsa_exception_fp_ieee_inexact 0
		.amdhsa_exception_int_div_zero 0
	.end_amdhsa_kernel
	.section	.text._ZL23rocblas_gemvt_sn_kernelILb0ELi256ELi4ElDF16_PKffEviiT4_lPKT3_lilS5_lilPT5_i,"axG",@progbits,_ZL23rocblas_gemvt_sn_kernelILb0ELi256ELi4ElDF16_PKffEviiT4_lPKT3_lilS5_lilPT5_i,comdat
.Lfunc_end397:
	.size	_ZL23rocblas_gemvt_sn_kernelILb0ELi256ELi4ElDF16_PKffEviiT4_lPKT3_lilS5_lilPT5_i, .Lfunc_end397-_ZL23rocblas_gemvt_sn_kernelILb0ELi256ELi4ElDF16_PKffEviiT4_lPKT3_lilS5_lilPT5_i
                                        ; -- End function
	.section	.AMDGPU.csdata,"",@progbits
; Kernel info:
; codeLenInByte = 4320
; NumSgprs: 58
; NumVgprs: 51
; ScratchSize: 0
; MemoryBound: 0
; FloatMode: 240
; IeeeMode: 1
; LDSByteSize: 128 bytes/workgroup (compile time only)
; SGPRBlocks: 7
; VGPRBlocks: 6
; NumSGPRsForWavesPerEU: 58
; NumVGPRsForWavesPerEU: 51
; Occupancy: 16
; WaveLimiterHint : 1
; COMPUTE_PGM_RSRC2:SCRATCH_EN: 0
; COMPUTE_PGM_RSRC2:USER_SGPR: 14
; COMPUTE_PGM_RSRC2:TRAP_HANDLER: 0
; COMPUTE_PGM_RSRC2:TGID_X_EN: 1
; COMPUTE_PGM_RSRC2:TGID_Y_EN: 0
; COMPUTE_PGM_RSRC2:TGID_Z_EN: 1
; COMPUTE_PGM_RSRC2:TIDIG_COMP_CNT: 0
	.section	.text._ZL23rocblas_gemvt_sn_reduceILi256ELi8EfPKfDF16_EviT2_lPT3_lilPT1_i,"axG",@progbits,_ZL23rocblas_gemvt_sn_reduceILi256ELi8EfPKfDF16_EviT2_lPT3_lilPT1_i,comdat
	.globl	_ZL23rocblas_gemvt_sn_reduceILi256ELi8EfPKfDF16_EviT2_lPT3_lilPT1_i ; -- Begin function _ZL23rocblas_gemvt_sn_reduceILi256ELi8EfPKfDF16_EviT2_lPT3_lilPT1_i
	.p2align	8
	.type	_ZL23rocblas_gemvt_sn_reduceILi256ELi8EfPKfDF16_EviT2_lPT3_lilPT1_i,@function
_ZL23rocblas_gemvt_sn_reduceILi256ELi8EfPKfDF16_EviT2_lPT3_lilPT1_i: ; @_ZL23rocblas_gemvt_sn_reduceILi256ELi8EfPKfDF16_EviT2_lPT3_lilPT1_i
; %bb.0:
	s_clause 0x2
	s_load_b256 s[4:11], s[0:1], 0x8
	s_load_b32 s13, s[0:1], 0x0
	s_load_b32 s16, s[0:1], 0x4c
	v_dual_mov_b32 v3, 0 :: v_dual_lshlrev_b32 v4, 3, v0
	s_mov_b32 s18, 0
	s_waitcnt lgkmcnt(0)
	s_mul_i32 s2, s15, s7
	s_mul_hi_u32 s3, s15, s6
	s_mul_i32 s7, s16, s15
	s_add_i32 s3, s3, s2
	s_mul_i32 s2, s15, s6
	s_ashr_i32 s6, s13, 31
	s_lshl_b64 s[2:3], s[2:3], 2
	s_delay_alu instid0(SALU_CYCLE_1)
	s_add_u32 s2, s4, s2
	s_addc_u32 s3, s5, s3
	s_load_b64 s[4:5], s[0:1], 0x38
	s_load_b32 s12, s[2:3], 0x0
	s_add_u32 s2, s0, 0x48
	s_addc_u32 s3, s1, 0
	s_add_i32 s17, s7, s14
	s_lshr_b32 s7, s6, 29
	s_mul_i32 s6, s17, s6
	s_add_i32 s7, s13, s7
	s_delay_alu instid0(SALU_CYCLE_1) | instskip(SKIP_1) | instid1(SALU_CYCLE_1)
	s_and_b32 s16, s7, -8
	s_mul_hi_u32 s7, s17, s13
	s_add_i32 s7, s7, s6
	s_mul_i32 s6, s17, s13
	s_mov_b32 s17, exec_lo
	v_cmpx_gt_i32_e64 s16, v4
	s_cbranch_execz .LBB398_4
; %bb.1:
	s_load_b32 s2, s[2:3], 0xc
	v_lshlrev_b32_e32 v1, 5, v0
	s_lshl_b64 s[20:21], s[6:7], 2
	v_mov_b32_e32 v3, 0
	s_waitcnt lgkmcnt(0)
	s_and_b32 s2, s2, 0xffff
	s_delay_alu instid0(SALU_CYCLE_1) | instskip(SKIP_3) | instid1(VALU_DEP_1)
	s_lshl_b32 s3, s2, 3
	s_add_u32 s19, s4, s20
	s_addc_u32 s20, s5, s21
	v_add_co_u32 v1, s19, s19, v1
	v_add_co_ci_u32_e64 v2, null, s20, 0, s19
	s_lshl_b32 s19, s2, 5
	s_delay_alu instid0(VALU_DEP_2) | instskip(NEXT) | instid1(VALU_DEP_2)
	v_add_co_u32 v1, vcc_lo, v1, 28
	v_add_co_ci_u32_e32 v2, vcc_lo, 0, v2, vcc_lo
	.p2align	6
.LBB398_2:                              ; =>This Inner Loop Header: Depth=1
	s_clause 0x1
	global_load_b128 v[5:8], v[1:2], off offset:-28
	global_load_b128 v[9:12], v[1:2], off offset:-12
	v_add_co_u32 v1, vcc_lo, v1, s19
	v_add_co_ci_u32_e32 v2, vcc_lo, 0, v2, vcc_lo
	v_add_nc_u32_e32 v4, s3, v4
	s_delay_alu instid0(VALU_DEP_1) | instskip(NEXT) | instid1(VALU_DEP_1)
	v_cmp_le_i32_e64 s2, s16, v4
	s_or_b32 s18, s2, s18
	s_waitcnt vmcnt(1)
	v_add_f32_e32 v3, v3, v5
	s_delay_alu instid0(VALU_DEP_1) | instskip(NEXT) | instid1(VALU_DEP_1)
	v_add_f32_e32 v3, v3, v6
	v_add_f32_e32 v3, v3, v7
	s_delay_alu instid0(VALU_DEP_1) | instskip(SKIP_1) | instid1(VALU_DEP_1)
	v_add_f32_e32 v3, v3, v8
	s_waitcnt vmcnt(0)
	v_add_f32_e32 v3, v3, v9
	s_delay_alu instid0(VALU_DEP_1) | instskip(NEXT) | instid1(VALU_DEP_1)
	v_add_f32_e32 v3, v3, v10
	v_add_f32_e32 v3, v3, v11
	s_delay_alu instid0(VALU_DEP_1)
	v_add_f32_e32 v3, v3, v12
	s_and_not1_b32 exec_lo, exec_lo, s18
	s_cbranch_execnz .LBB398_2
; %bb.3:
	s_or_b32 exec_lo, exec_lo, s18
.LBB398_4:
	s_delay_alu instid0(SALU_CYCLE_1) | instskip(SKIP_1) | instid1(SALU_CYCLE_1)
	s_or_b32 exec_lo, exec_lo, s17
	s_sub_i32 s2, s13, s16
	v_cmp_gt_u32_e32 vcc_lo, s2, v0
	s_and_saveexec_b32 s2, vcc_lo
	s_cbranch_execz .LBB398_6
; %bb.5:
	v_xad_u32 v1, v0, -1, s13
	v_mov_b32_e32 v2, 0
	s_lshl_b64 s[6:7], s[6:7], 2
	s_waitcnt lgkmcnt(0)
	s_add_u32 s3, s4, s6
	s_addc_u32 s4, s5, s7
	v_lshlrev_b64 v[1:2], 2, v[1:2]
	s_delay_alu instid0(VALU_DEP_1) | instskip(NEXT) | instid1(VALU_DEP_2)
	v_add_co_u32 v1, vcc_lo, s3, v1
	v_add_co_ci_u32_e32 v2, vcc_lo, s4, v2, vcc_lo
	global_load_b32 v1, v[1:2], off
	s_waitcnt vmcnt(0)
	v_add_f32_e32 v3, v3, v1
.LBB398_6:
	s_or_b32 exec_lo, exec_lo, s2
	v_and_b32_e32 v1, 31, v0
	v_cmp_gt_u32_e32 vcc_lo, 32, v0
	s_delay_alu instid0(VALU_DEP_2)
	v_lshlrev_b32_e32 v2, 2, v1
	s_and_saveexec_b32 s2, vcc_lo
	s_cbranch_execz .LBB398_8
; %bb.7:
	v_mov_b32_e32 v4, 0
	ds_store_b32 v2, v4
.LBB398_8:
	s_or_b32 exec_lo, exec_lo, s2
	v_mbcnt_lo_u32_b32 v5, -1, 0
	s_mov_b32 s3, exec_lo
	s_waitcnt lgkmcnt(0)
	s_barrier
	buffer_gl0_inv
	v_cmp_gt_u32_e64 s2, 16, v5
	s_delay_alu instid0(VALU_DEP_1) | instskip(SKIP_1) | instid1(VALU_DEP_2)
	v_cndmask_b32_e64 v4, 0, 1, s2
	v_cmp_gt_u32_e64 s2, 24, v5
	v_lshlrev_b32_e32 v4, 4, v4
	s_delay_alu instid0(VALU_DEP_2) | instskip(SKIP_1) | instid1(VALU_DEP_3)
	v_cndmask_b32_e64 v6, 0, 1, s2
	v_cmp_gt_u32_e64 s2, 28, v5
	v_add_lshl_u32 v4, v4, v5, 2
	s_delay_alu instid0(VALU_DEP_3)
	v_lshlrev_b32_e32 v6, 3, v6
	ds_bpermute_b32 v4, v4, v3
	v_add_lshl_u32 v6, v6, v5, 2
	s_waitcnt lgkmcnt(0)
	v_add_f32_e32 v4, v3, v4
	v_cndmask_b32_e64 v3, 0, 1, s2
	v_cmp_gt_u32_e64 s2, 30, v5
	s_delay_alu instid0(VALU_DEP_2)
	v_lshlrev_b32_e32 v3, 2, v3
	ds_bpermute_b32 v6, v6, v4
	v_add_lshl_u32 v3, v3, v5, 2
	s_waitcnt lgkmcnt(0)
	v_add_f32_e32 v6, v4, v6
	v_cndmask_b32_e64 v4, 0, 1, s2
	v_cmp_ne_u32_e64 s2, 31, v5
	s_delay_alu instid0(VALU_DEP_2) | instskip(NEXT) | instid1(VALU_DEP_1)
	v_lshlrev_b32_e32 v4, 1, v4
	v_add_lshl_u32 v4, v4, v5, 2
	s_delay_alu instid0(VALU_DEP_3) | instskip(NEXT) | instid1(VALU_DEP_1)
	v_add_co_ci_u32_e64 v5, s2, 0, v5, s2
	v_lshlrev_b32_e32 v5, 2, v5
	ds_bpermute_b32 v7, v3, v6
	s_waitcnt lgkmcnt(0)
	v_add_f32_e32 v6, v6, v7
	ds_bpermute_b32 v7, v4, v6
	s_waitcnt lgkmcnt(0)
	v_add_f32_e32 v6, v6, v7
	ds_bpermute_b32 v7, v5, v6
	v_cmpx_eq_u32_e32 0, v1
	s_cbranch_execz .LBB398_10
; %bb.9:
	v_lshrrev_b32_e32 v1, 3, v0
	s_waitcnt lgkmcnt(0)
	s_delay_alu instid0(VALU_DEP_1)
	v_dual_add_f32 v6, v6, v7 :: v_dual_and_b32 v1, 28, v1
	ds_store_b32 v1, v6
.LBB398_10:
	s_or_b32 exec_lo, exec_lo, s3
	v_mov_b32_e32 v1, 0
	s_mov_b32 s3, exec_lo
	s_waitcnt lgkmcnt(0)
	s_barrier
	buffer_gl0_inv
	v_cmpx_gt_u32_e32 8, v0
	s_cbranch_execz .LBB398_12
; %bb.11:
	ds_load_b32 v1, v2
.LBB398_12:
	s_or_b32 exec_lo, exec_lo, s3
	s_and_saveexec_b32 s2, vcc_lo
	s_cbranch_execz .LBB398_14
; %bb.13:
	s_waitcnt lgkmcnt(0)
	ds_bpermute_b32 v2, v3, v1
	s_waitcnt lgkmcnt(0)
	v_add_f32_e32 v1, v1, v2
	ds_bpermute_b32 v2, v4, v1
	s_waitcnt lgkmcnt(0)
	v_add_f32_e32 v1, v1, v2
	;; [unrolled: 3-line block ×3, first 2 shown]
.LBB398_14:
	s_or_b32 exec_lo, exec_lo, s2
	s_delay_alu instid0(SALU_CYCLE_1)
	s_mov_b32 s2, exec_lo
	v_cmpx_eq_u32_e32 0, v0
	s_cbranch_execz .LBB398_18
; %bb.15:
	s_clause 0x1
	s_load_b64 s[2:3], s[0:1], 0x30
	s_load_b32 s4, s[0:1], 0x28
	v_cmp_eq_f32_e64 s5, s12, 0
	s_waitcnt lgkmcnt(0)
	s_mul_i32 s1, s15, s3
	s_mul_hi_u32 s3, s15, s2
	s_mul_i32 s0, s15, s2
	s_add_i32 s1, s3, s1
	s_ashr_i32 s2, s4, 31
	s_lshl_b64 s[0:1], s[0:1], 1
	s_mul_hi_u32 s6, s4, s14
	s_add_u32 s3, s8, s0
	s_addc_u32 s7, s9, s1
	s_lshl_b64 s[0:1], s[10:11], 1
	s_mul_i32 s8, s2, s14
	s_add_u32 s2, s3, s0
	s_addc_u32 s3, s7, s1
	s_add_i32 s1, s6, s8
	s_and_b32 vcc_lo, exec_lo, s5
	s_mul_i32 s0, s4, s14
	s_cbranch_vccnz .LBB398_17
; %bb.16:
	s_lshl_b64 s[4:5], s[0:1], 1
	v_mov_b32_e32 v0, 0
	s_add_u32 s4, s2, s4
	s_addc_u32 s5, s3, s5
	global_load_u16 v0, v0, s[4:5]
	s_waitcnt vmcnt(0)
	v_fma_mix_f32 v1, s12, v0, v1 op_sel_hi:[0,1,0]
.LBB398_17:
	s_delay_alu instid0(VALU_DEP_1)
	v_cvt_f16_f32_e32 v0, v1
	s_lshl_b64 s[0:1], s[0:1], 1
	v_mov_b32_e32 v1, 0
	s_add_u32 s0, s2, s0
	s_addc_u32 s1, s3, s1
	global_store_b16 v1, v0, s[0:1]
.LBB398_18:
	s_nop 0
	s_sendmsg sendmsg(MSG_DEALLOC_VGPRS)
	s_endpgm
	.section	.rodata,"a",@progbits
	.p2align	6, 0x0
	.amdhsa_kernel _ZL23rocblas_gemvt_sn_reduceILi256ELi8EfPKfDF16_EviT2_lPT3_lilPT1_i
		.amdhsa_group_segment_fixed_size 128
		.amdhsa_private_segment_fixed_size 0
		.amdhsa_kernarg_size 328
		.amdhsa_user_sgpr_count 13
		.amdhsa_user_sgpr_dispatch_ptr 0
		.amdhsa_user_sgpr_queue_ptr 0
		.amdhsa_user_sgpr_kernarg_segment_ptr 1
		.amdhsa_user_sgpr_dispatch_id 0
		.amdhsa_user_sgpr_private_segment_size 0
		.amdhsa_wavefront_size32 1
		.amdhsa_uses_dynamic_stack 0
		.amdhsa_enable_private_segment 0
		.amdhsa_system_sgpr_workgroup_id_x 1
		.amdhsa_system_sgpr_workgroup_id_y 1
		.amdhsa_system_sgpr_workgroup_id_z 1
		.amdhsa_system_sgpr_workgroup_info 0
		.amdhsa_system_vgpr_workitem_id 0
		.amdhsa_next_free_vgpr 13
		.amdhsa_next_free_sgpr 22
		.amdhsa_reserve_vcc 1
		.amdhsa_float_round_mode_32 0
		.amdhsa_float_round_mode_16_64 0
		.amdhsa_float_denorm_mode_32 3
		.amdhsa_float_denorm_mode_16_64 3
		.amdhsa_dx10_clamp 1
		.amdhsa_ieee_mode 1
		.amdhsa_fp16_overflow 0
		.amdhsa_workgroup_processor_mode 1
		.amdhsa_memory_ordered 1
		.amdhsa_forward_progress 0
		.amdhsa_shared_vgpr_count 0
		.amdhsa_exception_fp_ieee_invalid_op 0
		.amdhsa_exception_fp_denorm_src 0
		.amdhsa_exception_fp_ieee_div_zero 0
		.amdhsa_exception_fp_ieee_overflow 0
		.amdhsa_exception_fp_ieee_underflow 0
		.amdhsa_exception_fp_ieee_inexact 0
		.amdhsa_exception_int_div_zero 0
	.end_amdhsa_kernel
	.section	.text._ZL23rocblas_gemvt_sn_reduceILi256ELi8EfPKfDF16_EviT2_lPT3_lilPT1_i,"axG",@progbits,_ZL23rocblas_gemvt_sn_reduceILi256ELi8EfPKfDF16_EviT2_lPT3_lilPT1_i,comdat
.Lfunc_end398:
	.size	_ZL23rocblas_gemvt_sn_reduceILi256ELi8EfPKfDF16_EviT2_lPT3_lilPT1_i, .Lfunc_end398-_ZL23rocblas_gemvt_sn_reduceILi256ELi8EfPKfDF16_EviT2_lPT3_lilPT1_i
                                        ; -- End function
	.section	.AMDGPU.csdata,"",@progbits
; Kernel info:
; codeLenInByte = 1104
; NumSgprs: 24
; NumVgprs: 13
; ScratchSize: 0
; MemoryBound: 0
; FloatMode: 240
; IeeeMode: 1
; LDSByteSize: 128 bytes/workgroup (compile time only)
; SGPRBlocks: 2
; VGPRBlocks: 1
; NumSGPRsForWavesPerEU: 24
; NumVGPRsForWavesPerEU: 13
; Occupancy: 16
; WaveLimiterHint : 0
; COMPUTE_PGM_RSRC2:SCRATCH_EN: 0
; COMPUTE_PGM_RSRC2:USER_SGPR: 13
; COMPUTE_PGM_RSRC2:TRAP_HANDLER: 0
; COMPUTE_PGM_RSRC2:TGID_X_EN: 1
; COMPUTE_PGM_RSRC2:TGID_Y_EN: 1
; COMPUTE_PGM_RSRC2:TGID_Z_EN: 1
; COMPUTE_PGM_RSRC2:TIDIG_COMP_CNT: 0
	.section	.text._ZL23rocblas_gemvt_sn_kernelILb0ELi256ELi4EiDF16_ffEviiT4_lPKT3_lilS3_lilPT5_i,"axG",@progbits,_ZL23rocblas_gemvt_sn_kernelILb0ELi256ELi4EiDF16_ffEviiT4_lPKT3_lilS3_lilPT5_i,comdat
	.globl	_ZL23rocblas_gemvt_sn_kernelILb0ELi256ELi4EiDF16_ffEviiT4_lPKT3_lilS3_lilPT5_i ; -- Begin function _ZL23rocblas_gemvt_sn_kernelILb0ELi256ELi4EiDF16_ffEviiT4_lPKT3_lilS3_lilPT5_i
	.p2align	8
	.type	_ZL23rocblas_gemvt_sn_kernelILb0ELi256ELi4EiDF16_ffEviiT4_lPKT3_lilS3_lilPT5_i,@function
_ZL23rocblas_gemvt_sn_kernelILb0ELi256ELi4EiDF16_ffEviiT4_lPKT3_lilS3_lilPT5_i: ; @_ZL23rocblas_gemvt_sn_kernelILb0ELi256ELi4EiDF16_ffEviiT4_lPKT3_lilS3_lilPT5_i
; %bb.0:
	s_clause 0x2
	s_load_b128 s[8:11], s[0:1], 0x0
	s_load_b32 s12, s[0:1], 0x68
	s_load_b128 s[4:7], s[0:1], 0x50
	s_waitcnt lgkmcnt(0)
	s_ashr_i32 s21, s9, 31
	s_mul_hi_u32 s2, s9, s15
	s_mul_i32 s3, s21, s15
	s_mul_i32 s11, s9, s15
	s_add_i32 s2, s2, s3
	s_mul_hi_u32 s3, s11, s12
	s_mul_i32 s13, s2, s12
	s_mul_i32 s2, s11, s12
	s_add_i32 s3, s3, s13
	v_cmp_neq_f32_e64 s11, s10, 0
	s_lshl_b64 s[2:3], s[2:3], 2
	s_mov_b32 s13, 0
	s_add_u32 s38, s6, s2
	v_cmp_eq_u32_e64 s2, 0, v0
	s_addc_u32 s37, s7, s3
	s_and_b32 vcc_lo, exec_lo, s11
	s_cbranch_vccnz .LBB399_5
; %bb.1:
	s_cmp_gt_i32 s9, 0
	s_cselect_b32 s3, -1, 0
	s_delay_alu instid0(SALU_CYCLE_1) | instskip(NEXT) | instid1(SALU_CYCLE_1)
	s_and_b32 s2, s2, s3
	s_and_saveexec_b32 s11, s2
	s_cbranch_execz .LBB399_4
; %bb.2:
	s_mov_b32 s2, s15
	s_mov_b32 s15, 0
	v_mov_b32_e32 v1, 0
	s_lshl_b64 s[6:7], s[14:15], 2
	s_mov_b32 s15, s2
	s_add_u32 s2, s38, s6
	s_addc_u32 s3, s37, s7
	s_lshl_b64 s[6:7], s[12:13], 2
	s_mov_b32 s13, s9
.LBB399_3:                              ; =>This Inner Loop Header: Depth=1
	s_delay_alu instid0(SALU_CYCLE_1)
	s_add_i32 s13, s13, -1
	global_store_b32 v1, v1, s[2:3]
	s_add_u32 s2, s2, s6
	s_addc_u32 s3, s3, s7
	s_cmp_eq_u32 s13, 0
	s_cbranch_scc0 .LBB399_3
.LBB399_4:
	s_or_b32 exec_lo, exec_lo, s11
	s_cbranch_execz .LBB399_6
	s_branch .LBB399_79
.LBB399_5:
.LBB399_6:
	s_clause 0x2
	s_load_b128 s[24:27], s[0:1], 0x30
	s_load_b64 s[2:3], s[0:1], 0x40
	s_load_b128 s[16:19], s[0:1], 0x18
	s_mul_i32 s5, s15, s5
	s_mul_hi_u32 s6, s15, s4
	s_mul_i32 s4, s15, s4
	s_add_i32 s5, s6, s5
	s_clause 0x1
	s_load_b32 s20, s[0:1], 0x28
	s_load_b32 s33, s[0:1], 0x48
	s_lshl_b64 s[4:5], s[4:5], 1
	v_and_b32_e32 v6, 31, v0
	v_cmp_gt_u32_e64 s0, 32, v0
	v_mbcnt_lo_u32_b32 v22, -1, 0
	v_lshrrev_b32_e32 v23, 3, v0
	s_waitcnt lgkmcnt(0)
	s_add_u32 s6, s26, s4
	s_addc_u32 s5, s27, s5
	s_lshl_b64 s[2:3], s[2:3], 1
	s_mul_i32 s7, s15, s25
	s_mul_hi_u32 s22, s15, s24
	s_add_u32 s11, s6, s2
	s_mul_i32 s4, s15, s24
	s_addc_u32 s13, s5, s3
	s_add_i32 s5, s22, s7
	s_delay_alu instid0(SALU_CYCLE_1) | instskip(NEXT) | instid1(SALU_CYCLE_1)
	s_lshl_b64 s[22:23], s[4:5], 1
	s_add_u32 s1, s16, s22
	s_addc_u32 s2, s17, s23
	s_lshl_b64 s[18:19], s[18:19], 1
	s_delay_alu instid0(SALU_CYCLE_1)
	s_add_u32 s3, s1, s18
	s_addc_u32 s2, s2, s19
	s_lshl_b32 s1, s14, 10
	s_ashr_i32 s4, s8, 31
	v_lshl_or_b32 v1, v0, 2, s1
	s_lshr_b32 s4, s4, 30
	s_lshr_b32 s5, s21, 30
	s_add_i32 s4, s8, s4
	s_add_i32 s5, s9, s5
	v_ashrrev_i32_e32 v2, 31, v1
	s_and_b32 s4, s4, -4
	v_mul_lo_u32 v5, v1, s33
	s_sub_i32 s36, s8, s4
	v_cmp_gt_u32_e64 s1, 8, v0
	v_lshlrev_b64 v[7:8], 1, v[1:2]
	v_add_nc_u32_e32 v24, 4, v1
	v_add_nc_u32_e32 v25, s36, v1
	s_and_b32 s15, s5, -4
	s_delay_alu instid0(SALU_CYCLE_1) | instskip(NEXT) | instid1(VALU_DEP_3)
	s_cmp_lt_i32 s15, 1
	v_add_co_u32 v20, vcc_lo, s3, v7
	v_add_co_ci_u32_e32 v21, vcc_lo, s2, v8, vcc_lo
	s_cbranch_scc1 .LBB399_54
; %bb.7:
	v_cmp_gt_u32_e32 vcc_lo, 16, v22
	v_mul_lo_u32 v9, v1, s33
	s_cmp_gt_i32 s36, 0
	s_mov_b32 s25, 0
	s_cselect_b32 s39, -1, 0
	v_cndmask_b32_e64 v2, 0, 1, vcc_lo
	v_cmp_gt_u32_e32 vcc_lo, 24, v22
	s_lshl_b32 s40, s20, 2
	s_lshl_b32 s24, s20, 1
	s_add_u32 s6, s22, s18
	v_dual_mov_b32 v35, 0 :: v_dual_lshlrev_b32 v2, 4, v2
	v_cndmask_b32_e64 v3, 0, 1, vcc_lo
	v_cmp_gt_u32_e32 vcc_lo, 28, v22
	s_addc_u32 s7, s23, s19
	s_delay_alu instid0(VALU_DEP_3)
	v_add_lshl_u32 v26, v2, v22, 2
	s_add_u32 s6, s16, s6
	v_lshlrev_b32_e32 v2, 3, v3
	v_cndmask_b32_e64 v4, 0, 1, vcc_lo
	v_cmp_gt_u32_e32 vcc_lo, 30, v22
	s_addc_u32 s7, s17, s7
	v_cmp_ge_i32_e64 s2, s8, v24
	v_add_lshl_u32 v27, v2, v22, 2
	v_lshlrev_b32_e32 v3, 2, v4
	v_cndmask_b32_e64 v10, 0, 1, vcc_lo
	v_cmp_ne_u32_e32 vcc_lo, 31, v22
	v_cmp_ge_i32_e64 s3, s8, v25
	v_cmp_eq_u32_e64 s4, 0, v6
	v_add_lshl_u32 v28, v3, v22, 2
	v_lshlrev_b32_e32 v1, 1, v10
	v_ashrrev_i32_e32 v10, 31, v9
	v_add_co_ci_u32_e32 v4, vcc_lo, 0, v22, vcc_lo
	v_lshlrev_b32_e32 v31, 2, v6
	s_delay_alu instid0(VALU_DEP_4)
	v_add_lshl_u32 v29, v1, v22, 2
	v_add_nc_u32_e32 v1, s33, v9
	v_lshlrev_b64 v[10:11], 1, v[9:10]
	v_lshlrev_b32_e32 v30, 2, v4
	v_and_b32_e32 v32, 28, v23
	v_cmp_eq_u32_e64 s5, 0, v0
	v_add_nc_u32_e32 v3, s33, v1
	v_ashrrev_i32_e32 v2, 31, v1
	v_add_co_u32 v10, vcc_lo, s11, v10
	v_add_co_ci_u32_e32 v11, vcc_lo, s13, v11, vcc_lo
	s_delay_alu instid0(VALU_DEP_4) | instskip(NEXT) | instid1(VALU_DEP_4)
	v_add_nc_u32_e32 v14, s33, v3
	v_lshlrev_b64 v[1:2], 1, v[1:2]
	v_ashrrev_i32_e32 v4, 31, v3
	s_mov_b32 s21, s25
	s_mul_i32 s41, s20, 3
	v_ashrrev_i32_e32 v15, 31, v14
	s_mov_b32 s42, s25
	v_lshlrev_b64 v[3:4], 1, v[3:4]
	v_add_co_u32 v12, vcc_lo, s11, v1
	v_add_co_ci_u32_e32 v13, vcc_lo, s13, v2, vcc_lo
	v_lshlrev_b64 v[1:2], 1, v[14:15]
	s_delay_alu instid0(VALU_DEP_4) | instskip(SKIP_2) | instid1(VALU_DEP_3)
	v_add_co_u32 v14, vcc_lo, s11, v3
	v_add_co_ci_u32_e32 v15, vcc_lo, s13, v4, vcc_lo
	s_mov_b32 s26, s25
	v_add_co_u32 v16, vcc_lo, s11, v1
	s_delay_alu instid0(VALU_DEP_4)
	v_add_co_ci_u32_e32 v17, vcc_lo, s13, v2, vcc_lo
	v_add_co_u32 v33, vcc_lo, s6, v7
	v_add_co_ci_u32_e32 v34, vcc_lo, s7, v8, vcc_lo
	s_mov_b64 s[28:29], s[24:25]
	s_mov_b64 s[30:31], s[20:21]
	s_mov_b32 s21, 0
                                        ; implicit-def: $vgpr1_vgpr2_vgpr3_vgpr4
	s_branch .LBB399_9
.LBB399_8:                              ;   in Loop: Header=BB399_9 Depth=1
	s_or_b32 exec_lo, exec_lo, s6
	s_add_i32 s21, s21, 4
	s_add_u32 s30, s30, s40
	s_addc_u32 s31, s31, 0
	s_add_u32 s28, s28, s40
	s_addc_u32 s29, s29, 0
	s_add_u32 s41, s41, s40
	s_addc_u32 s42, s42, 0
	s_add_i32 s26, s26, s40
	s_cmp_ge_i32 s21, s15
	s_cbranch_scc1 .LBB399_55
.LBB399_9:                              ; =>This Loop Header: Depth=1
                                        ;     Child Loop BB399_40 Depth 2
                                        ;     Child Loop BB399_43 Depth 2
                                        ; implicit-def: $vgpr36
                                        ; implicit-def: $vgpr37
                                        ; implicit-def: $vgpr38
                                        ; implicit-def: $vgpr39
	s_and_saveexec_b32 s6, s2
	s_delay_alu instid0(SALU_CYCLE_1)
	s_xor_b32 s6, exec_lo, s6
	s_cbranch_execnz .LBB399_36
; %bb.10:                               ;   in Loop: Header=BB399_9 Depth=1
	s_and_not1_saveexec_b32 s24, s6
	s_cbranch_execnz .LBB399_37
.LBB399_11:                             ;   in Loop: Header=BB399_9 Depth=1
	s_or_b32 exec_lo, exec_lo, s24
	s_and_saveexec_b32 s6, s0
	s_cbranch_execz .LBB399_13
.LBB399_12:                             ;   in Loop: Header=BB399_9 Depth=1
	ds_store_b32 v31, v35
.LBB399_13:                             ;   in Loop: Header=BB399_9 Depth=1
	s_or_b32 exec_lo, exec_lo, s6
	ds_bpermute_b32 v18, v26, v39
	s_waitcnt lgkmcnt(0)
	s_waitcnt_vscnt null, 0x0
	s_barrier
	buffer_gl0_inv
	v_add_f32_e32 v18, v39, v18
	ds_bpermute_b32 v19, v27, v18
	s_waitcnt lgkmcnt(0)
	v_add_f32_e32 v18, v18, v19
	ds_bpermute_b32 v19, v28, v18
	s_waitcnt lgkmcnt(0)
	;; [unrolled: 3-line block ×3, first 2 shown]
	v_add_f32_e32 v18, v18, v19
	ds_bpermute_b32 v19, v30, v18
	s_and_saveexec_b32 s6, s4
	s_cbranch_execz .LBB399_15
; %bb.14:                               ;   in Loop: Header=BB399_9 Depth=1
	s_waitcnt lgkmcnt(0)
	v_add_f32_e32 v18, v18, v19
	ds_store_b32 v32, v18
.LBB399_15:                             ;   in Loop: Header=BB399_9 Depth=1
	s_or_b32 exec_lo, exec_lo, s6
	v_mov_b32_e32 v18, 0
	s_waitcnt lgkmcnt(0)
	s_barrier
	buffer_gl0_inv
	s_and_saveexec_b32 s6, s1
	s_cbranch_execnz .LBB399_45
; %bb.16:                               ;   in Loop: Header=BB399_9 Depth=1
	s_or_b32 exec_lo, exec_lo, s6
	s_and_saveexec_b32 s6, s0
	s_cbranch_execnz .LBB399_46
.LBB399_17:                             ;   in Loop: Header=BB399_9 Depth=1
	s_or_b32 exec_lo, exec_lo, s6
	s_and_saveexec_b32 s6, s0
	s_cbranch_execz .LBB399_19
.LBB399_18:                             ;   in Loop: Header=BB399_9 Depth=1
	ds_store_b32 v31, v35
.LBB399_19:                             ;   in Loop: Header=BB399_9 Depth=1
	s_or_b32 exec_lo, exec_lo, s6
	ds_bpermute_b32 v19, v26, v38
	s_waitcnt lgkmcnt(0)
	s_barrier
	buffer_gl0_inv
	v_add_f32_e32 v19, v38, v19
	ds_bpermute_b32 v38, v27, v19
	s_waitcnt lgkmcnt(0)
	v_add_f32_e32 v19, v19, v38
	ds_bpermute_b32 v38, v28, v19
	s_waitcnt lgkmcnt(0)
	;; [unrolled: 3-line block ×3, first 2 shown]
	v_add_f32_e32 v19, v19, v38
	ds_bpermute_b32 v38, v30, v19
	s_and_saveexec_b32 s6, s4
	s_cbranch_execz .LBB399_21
; %bb.20:                               ;   in Loop: Header=BB399_9 Depth=1
	s_waitcnt lgkmcnt(0)
	v_add_f32_e32 v19, v19, v38
	ds_store_b32 v32, v19
.LBB399_21:                             ;   in Loop: Header=BB399_9 Depth=1
	s_or_b32 exec_lo, exec_lo, s6
	v_mov_b32_e32 v19, 0
	s_waitcnt lgkmcnt(0)
	s_barrier
	buffer_gl0_inv
	s_and_saveexec_b32 s6, s1
	s_cbranch_execnz .LBB399_47
; %bb.22:                               ;   in Loop: Header=BB399_9 Depth=1
	s_or_b32 exec_lo, exec_lo, s6
	s_and_saveexec_b32 s6, s0
	s_cbranch_execnz .LBB399_48
.LBB399_23:                             ;   in Loop: Header=BB399_9 Depth=1
	s_or_b32 exec_lo, exec_lo, s6
	s_and_saveexec_b32 s6, s0
	s_cbranch_execz .LBB399_25
.LBB399_24:                             ;   in Loop: Header=BB399_9 Depth=1
	ds_store_b32 v31, v35
.LBB399_25:                             ;   in Loop: Header=BB399_9 Depth=1
	s_or_b32 exec_lo, exec_lo, s6
	ds_bpermute_b32 v38, v26, v37
	s_waitcnt lgkmcnt(0)
	s_barrier
	buffer_gl0_inv
	v_add_f32_e32 v37, v37, v38
	ds_bpermute_b32 v38, v27, v37
	s_waitcnt lgkmcnt(0)
	v_add_f32_e32 v37, v37, v38
	ds_bpermute_b32 v38, v28, v37
	s_waitcnt lgkmcnt(0)
	;; [unrolled: 3-line block ×3, first 2 shown]
	v_add_f32_e32 v37, v37, v38
	ds_bpermute_b32 v38, v30, v37
	s_and_saveexec_b32 s6, s4
	s_cbranch_execz .LBB399_27
; %bb.26:                               ;   in Loop: Header=BB399_9 Depth=1
	s_waitcnt lgkmcnt(0)
	v_add_f32_e32 v37, v37, v38
	ds_store_b32 v32, v37
.LBB399_27:                             ;   in Loop: Header=BB399_9 Depth=1
	s_or_b32 exec_lo, exec_lo, s6
	v_mov_b32_e32 v37, 0
	s_waitcnt lgkmcnt(0)
	s_barrier
	buffer_gl0_inv
	s_and_saveexec_b32 s6, s1
	s_cbranch_execnz .LBB399_49
; %bb.28:                               ;   in Loop: Header=BB399_9 Depth=1
	s_or_b32 exec_lo, exec_lo, s6
	s_and_saveexec_b32 s6, s0
	s_cbranch_execnz .LBB399_50
.LBB399_29:                             ;   in Loop: Header=BB399_9 Depth=1
	s_or_b32 exec_lo, exec_lo, s6
	s_and_saveexec_b32 s6, s0
	s_cbranch_execz .LBB399_31
.LBB399_30:                             ;   in Loop: Header=BB399_9 Depth=1
	ds_store_b32 v31, v35
.LBB399_31:                             ;   in Loop: Header=BB399_9 Depth=1
	s_or_b32 exec_lo, exec_lo, s6
	ds_bpermute_b32 v38, v26, v36
	s_waitcnt lgkmcnt(0)
	s_barrier
	buffer_gl0_inv
	v_add_f32_e32 v36, v36, v38
	ds_bpermute_b32 v38, v27, v36
	s_waitcnt lgkmcnt(0)
	v_add_f32_e32 v36, v36, v38
	ds_bpermute_b32 v38, v28, v36
	s_waitcnt lgkmcnt(0)
	;; [unrolled: 3-line block ×3, first 2 shown]
	v_add_f32_e32 v36, v36, v38
	ds_bpermute_b32 v38, v30, v36
	s_and_saveexec_b32 s6, s4
	s_cbranch_execz .LBB399_33
; %bb.32:                               ;   in Loop: Header=BB399_9 Depth=1
	s_waitcnt lgkmcnt(0)
	v_add_f32_e32 v36, v36, v38
	ds_store_b32 v32, v36
.LBB399_33:                             ;   in Loop: Header=BB399_9 Depth=1
	s_or_b32 exec_lo, exec_lo, s6
	v_mov_b32_e32 v36, 0
	s_waitcnt lgkmcnt(0)
	s_barrier
	buffer_gl0_inv
	s_and_saveexec_b32 s6, s1
	s_cbranch_execnz .LBB399_51
; %bb.34:                               ;   in Loop: Header=BB399_9 Depth=1
	s_or_b32 exec_lo, exec_lo, s6
	s_and_saveexec_b32 s6, s0
	s_cbranch_execnz .LBB399_52
.LBB399_35:                             ;   in Loop: Header=BB399_9 Depth=1
	s_or_b32 exec_lo, exec_lo, s6
	s_and_saveexec_b32 s6, s5
	s_cbranch_execz .LBB399_8
	s_branch .LBB399_53
.LBB399_36:                             ;   in Loop: Header=BB399_9 Depth=1
	s_mul_i32 s34, s21, s20
	s_delay_alu instid0(SALU_CYCLE_1)
	s_ashr_i32 s35, s34, 31
	s_add_i32 s44, s34, s20
	s_lshl_b64 s[34:35], s[34:35], 1
	s_ashr_i32 s45, s44, 31
	v_add_co_u32 v1, vcc_lo, v20, s34
	v_add_co_ci_u32_e32 v2, vcc_lo, s35, v21, vcc_lo
	s_lshl_b64 s[34:35], s[44:45], 1
	s_add_i32 s44, s44, s20
	v_add_co_u32 v3, vcc_lo, v20, s34
	s_ashr_i32 s45, s44, 31
	s_add_i32 s34, s44, s20
	s_lshl_b64 s[44:45], s[44:45], 1
	v_add_co_ci_u32_e32 v4, vcc_lo, s35, v21, vcc_lo
	s_ashr_i32 s35, s34, 31
	v_add_co_u32 v18, vcc_lo, v20, s44
	s_lshl_b64 s[34:35], s[34:35], 1
	v_add_co_ci_u32_e32 v19, vcc_lo, s45, v21, vcc_lo
	s_waitcnt lgkmcnt(0)
	v_add_co_u32 v36, vcc_lo, v20, s34
	v_add_co_ci_u32_e32 v37, vcc_lo, s35, v21, vcc_lo
	global_load_u16 v44, v[10:11], off
	s_clause 0x3
	global_load_b64 v[38:39], v[1:2], off
	global_load_b64 v[40:41], v[3:4], off
	;; [unrolled: 1-line block ×4, first 2 shown]
	s_clause 0x2
	global_load_u16 v3, v[12:13], off
	global_load_u16 v4, v[14:15], off
	;; [unrolled: 1-line block ×3, first 2 shown]
	s_waitcnt vmcnt(7)
	v_cvt_f32_f16_e32 v1, v44
	s_waitcnt vmcnt(6)
	v_fma_mix_f32 v37, v44, v38, 0 op_sel_hi:[1,1,0]
	s_waitcnt vmcnt(5)
	v_fma_mix_f32 v45, v44, v40, 0 op_sel_hi:[1,1,0]
	;; [unrolled: 2-line block ×4, first 2 shown]
	s_waitcnt vmcnt(2)
	v_cvt_f32_f16_e32 v2, v3
	v_fma_mix_f32 v37, v3, v38, v37 op_sel:[0,1,0] op_sel_hi:[1,1,0]
	v_fma_mix_f32 v38, v3, v40, v45 op_sel:[0,1,0] op_sel_hi:[1,1,0]
	;; [unrolled: 1-line block ×4, first 2 shown]
	s_waitcnt vmcnt(1)
	v_cvt_f32_f16_e32 v3, v4
	v_fma_mix_f32 v37, v4, v39, v37 op_sel_hi:[1,1,0]
	v_fma_mix_f32 v38, v4, v41, v38 op_sel_hi:[1,1,0]
	;; [unrolled: 1-line block ×4, first 2 shown]
	s_waitcnt vmcnt(0)
	v_cvt_f32_f16_e32 v4, v36
	v_fma_mix_f32 v39, v36, v39, v37 op_sel:[0,1,0] op_sel_hi:[1,1,0]
	v_fma_mix_f32 v38, v36, v41, v38 op_sel:[0,1,0] op_sel_hi:[1,1,0]
	;; [unrolled: 1-line block ×4, first 2 shown]
	s_and_not1_saveexec_b32 s24, s6
	s_cbranch_execz .LBB399_11
.LBB399_37:                             ;   in Loop: Header=BB399_9 Depth=1
	s_waitcnt lgkmcnt(0)
	v_dual_mov_b32 v36, 0 :: v_dual_mov_b32 v37, 0
	v_dual_mov_b32 v38, 0 :: v_dual_mov_b32 v39, 0
	s_and_saveexec_b32 s43, s3
	s_cbranch_execz .LBB399_44
; %bb.38:                               ;   in Loop: Header=BB399_9 Depth=1
	s_and_not1_b32 vcc_lo, exec_lo, s39
	s_cbranch_vccnz .LBB399_41
; %bb.39:                               ;   in Loop: Header=BB399_9 Depth=1
	v_mov_b32_e32 v18, v9
	s_mov_b64 s[34:35], 0
	.p2align	6
.LBB399_40:                             ;   Parent Loop BB399_9 Depth=1
                                        ; =>  This Inner Loop Header: Depth=2
	s_delay_alu instid0(VALU_DEP_1) | instskip(SKIP_1) | instid1(VALU_DEP_1)
	v_ashrrev_i32_e32 v19, 31, v18
	s_cmp_eq_u32 s34, 3
	v_lshlrev_b64 v[36:37], 1, v[18:19]
	s_delay_alu instid0(VALU_DEP_1) | instskip(NEXT) | instid1(VALU_DEP_2)
	v_add_co_u32 v36, vcc_lo, s11, v36
	v_add_co_ci_u32_e32 v37, vcc_lo, s13, v37, vcc_lo
	s_cselect_b32 vcc_lo, -1, 0
	s_cmp_eq_u32 s34, 2
	s_cselect_b32 s6, -1, 0
	global_load_u16 v19, v[36:37], off
	s_cmp_eq_u32 s34, 1
	s_cselect_b32 s7, -1, 0
	s_cmp_eq_u32 s34, 0
	s_waitcnt vmcnt(0)
	v_cvt_f32_f16_e32 v19, v19
	s_delay_alu instid0(VALU_DEP_1)
	v_cndmask_b32_e32 v4, v4, v19, vcc_lo
	s_cselect_b32 vcc_lo, -1, 0
	v_dual_cndmask_b32 v1, v1, v19 :: v_dual_add_nc_u32 v18, s33, v18
	v_cndmask_b32_e64 v3, v3, v19, s6
	v_cndmask_b32_e64 v2, v2, v19, s7
	s_add_u32 s34, s34, 1
	s_addc_u32 s35, s35, 0
	s_cmp_eq_u32 s36, s34
	s_cbranch_scc0 .LBB399_40
.LBB399_41:                             ;   in Loop: Header=BB399_9 Depth=1
	v_dual_mov_b32 v36, 0 :: v_dual_mov_b32 v37, 0
	v_dual_mov_b32 v38, 0 :: v_dual_mov_b32 v39, 0
	s_and_not1_b32 vcc_lo, exec_lo, s39
	s_cbranch_vccnz .LBB399_44
; %bb.42:                               ;   in Loop: Header=BB399_9 Depth=1
	s_ashr_i32 s27, s26, 31
	v_dual_mov_b32 v39, 0 :: v_dual_mov_b32 v38, 0
	s_lshl_b64 s[6:7], s[26:27], 1
	v_dual_mov_b32 v37, 0 :: v_dual_mov_b32 v36, 0
	v_add_co_u32 v18, vcc_lo, v33, s6
	v_add_co_ci_u32_e32 v19, vcc_lo, s7, v34, vcc_lo
	s_mov_b64 s[34:35], 0
.LBB399_43:                             ;   Parent Loop BB399_9 Depth=1
                                        ; =>  This Inner Loop Header: Depth=2
	s_delay_alu instid0(SALU_CYCLE_1)
	s_cmp_eq_u32 s34, 1
	s_cselect_b32 vcc_lo, -1, 0
	s_cmp_eq_u32 s34, 2
	v_cndmask_b32_e32 v40, v1, v2, vcc_lo
	s_cselect_b32 vcc_lo, -1, 0
	s_cmp_eq_u32 s34, 3
	s_delay_alu instid0(VALU_DEP_1)
	v_cndmask_b32_e32 v46, v40, v3, vcc_lo
	s_cselect_b32 vcc_lo, -1, 0
	s_add_i32 s6, s30, s34
	s_add_i32 s44, s28, s34
	s_ashr_i32 s7, s6, 31
	s_ashr_i32 s45, s44, 31
	s_lshl_b64 s[6:7], s[6:7], 1
	s_add_i32 s46, s41, s34
	v_add_co_u32 v40, s6, v20, s6
	s_lshl_b64 s[44:45], s[44:45], 1
	s_ashr_i32 s47, s46, 31
	v_add_co_ci_u32_e64 v41, s6, s7, v21, s6
	v_add_co_u32 v42, s6, v20, s44
	s_lshl_b64 s[46:47], s[46:47], 1
	v_add_co_ci_u32_e64 v43, s6, s45, v21, s6
	v_add_co_u32 v44, s6, v20, s46
	s_delay_alu instid0(VALU_DEP_1)
	v_add_co_ci_u32_e64 v45, s6, s47, v21, s6
	global_load_u16 v47, v[18:19], off
	s_clause 0x2
	global_load_u16 v40, v[40:41], off
	global_load_u16 v41, v[42:43], off
	;; [unrolled: 1-line block ×3, first 2 shown]
	v_cndmask_b32_e32 v43, v46, v4, vcc_lo
	v_add_co_u32 v18, s6, v18, 2
	s_delay_alu instid0(VALU_DEP_1)
	v_add_co_ci_u32_e64 v19, s6, 0, v19, s6
	s_add_u32 s34, s34, 1
	s_addc_u32 s35, s35, 0
	s_cmp_lg_u32 s36, s34
	s_waitcnt vmcnt(3)
	v_fma_mix_f32 v39, v43, v47, v39 op_sel_hi:[0,1,0]
	s_waitcnt vmcnt(2)
	v_fma_mix_f32 v38, v43, v40, v38 op_sel_hi:[0,1,0]
	;; [unrolled: 2-line block ×4, first 2 shown]
	s_cbranch_scc1 .LBB399_43
.LBB399_44:                             ;   in Loop: Header=BB399_9 Depth=1
	s_or_b32 exec_lo, exec_lo, s43
	s_delay_alu instid0(SALU_CYCLE_1)
	s_or_b32 exec_lo, exec_lo, s24
	s_and_saveexec_b32 s6, s0
	s_cbranch_execnz .LBB399_12
	s_branch .LBB399_13
.LBB399_45:                             ;   in Loop: Header=BB399_9 Depth=1
	ds_load_b32 v18, v31
	s_or_b32 exec_lo, exec_lo, s6
	s_and_saveexec_b32 s6, s0
	s_cbranch_execz .LBB399_17
.LBB399_46:                             ;   in Loop: Header=BB399_9 Depth=1
	s_waitcnt lgkmcnt(0)
	ds_bpermute_b32 v19, v28, v18
	s_waitcnt lgkmcnt(0)
	v_add_f32_e32 v18, v18, v19
	ds_bpermute_b32 v19, v29, v18
	s_waitcnt lgkmcnt(0)
	v_add_f32_e32 v18, v18, v19
	;; [unrolled: 3-line block ×3, first 2 shown]
	s_or_b32 exec_lo, exec_lo, s6
	s_and_saveexec_b32 s6, s0
	s_cbranch_execnz .LBB399_18
	s_branch .LBB399_19
.LBB399_47:                             ;   in Loop: Header=BB399_9 Depth=1
	ds_load_b32 v19, v31
	s_or_b32 exec_lo, exec_lo, s6
	s_and_saveexec_b32 s6, s0
	s_cbranch_execz .LBB399_23
.LBB399_48:                             ;   in Loop: Header=BB399_9 Depth=1
	s_waitcnt lgkmcnt(0)
	ds_bpermute_b32 v38, v28, v19
	s_waitcnt lgkmcnt(0)
	v_add_f32_e32 v19, v19, v38
	ds_bpermute_b32 v38, v29, v19
	s_waitcnt lgkmcnt(0)
	v_add_f32_e32 v19, v19, v38
	ds_bpermute_b32 v38, v30, v19
	s_waitcnt lgkmcnt(0)
	v_add_f32_e32 v19, v19, v38
	s_or_b32 exec_lo, exec_lo, s6
	s_and_saveexec_b32 s6, s0
	s_cbranch_execnz .LBB399_24
	s_branch .LBB399_25
.LBB399_49:                             ;   in Loop: Header=BB399_9 Depth=1
	ds_load_b32 v37, v31
	s_or_b32 exec_lo, exec_lo, s6
	s_and_saveexec_b32 s6, s0
	s_cbranch_execz .LBB399_29
.LBB399_50:                             ;   in Loop: Header=BB399_9 Depth=1
	s_waitcnt lgkmcnt(0)
	ds_bpermute_b32 v38, v28, v37
	s_waitcnt lgkmcnt(0)
	v_add_f32_e32 v37, v37, v38
	ds_bpermute_b32 v38, v29, v37
	s_waitcnt lgkmcnt(0)
	v_add_f32_e32 v37, v37, v38
	;; [unrolled: 3-line block ×3, first 2 shown]
	s_or_b32 exec_lo, exec_lo, s6
	s_and_saveexec_b32 s6, s0
	s_cbranch_execnz .LBB399_30
	s_branch .LBB399_31
.LBB399_51:                             ;   in Loop: Header=BB399_9 Depth=1
	ds_load_b32 v36, v31
	s_or_b32 exec_lo, exec_lo, s6
	s_and_saveexec_b32 s6, s0
	s_cbranch_execz .LBB399_35
.LBB399_52:                             ;   in Loop: Header=BB399_9 Depth=1
	s_waitcnt lgkmcnt(0)
	ds_bpermute_b32 v38, v28, v36
	s_waitcnt lgkmcnt(0)
	v_add_f32_e32 v36, v36, v38
	ds_bpermute_b32 v38, v29, v36
	s_waitcnt lgkmcnt(0)
	v_add_f32_e32 v36, v36, v38
	;; [unrolled: 3-line block ×3, first 2 shown]
	s_or_b32 exec_lo, exec_lo, s6
	s_and_saveexec_b32 s6, s5
	s_cbranch_execz .LBB399_8
.LBB399_53:                             ;   in Loop: Header=BB399_9 Depth=1
	s_mul_i32 s7, s21, s12
	v_dual_mul_f32 v18, s10, v18 :: v_dual_mul_f32 v19, s10, v19
	s_add_i32 s24, s7, s14
	v_mul_f32_e32 v37, s10, v37
	s_lshl_b64 s[34:35], s[24:25], 2
	s_delay_alu instid0(SALU_CYCLE_1)
	s_add_u32 s34, s38, s34
	s_addc_u32 s35, s37, s35
	s_add_i32 s24, s24, s12
	global_store_b32 v35, v18, s[34:35]
	s_waitcnt lgkmcnt(0)
	v_mul_f32_e32 v18, s10, v36
	s_lshl_b64 s[44:45], s[24:25], 2
	s_delay_alu instid0(SALU_CYCLE_1) | instskip(SKIP_4) | instid1(SALU_CYCLE_1)
	s_add_u32 s44, s38, s44
	s_addc_u32 s45, s37, s45
	s_add_i32 s24, s24, s12
	global_store_b32 v35, v19, s[44:45]
	s_lshl_b64 s[46:47], s[24:25], 2
	s_add_u32 s34, s38, s46
	s_addc_u32 s35, s37, s47
	s_add_i32 s24, s24, s12
	s_delay_alu instid0(SALU_CYCLE_1) | instskip(NEXT) | instid1(SALU_CYCLE_1)
	s_lshl_b64 s[46:47], s[24:25], 2
	s_add_u32 s44, s38, s46
	s_addc_u32 s45, s37, s47
	s_clause 0x1
	global_store_b32 v35, v37, s[34:35]
	global_store_b32 v35, v18, s[44:45]
	s_branch .LBB399_8
.LBB399_54:
	s_mov_b32 s21, 0
                                        ; implicit-def: $vgpr1_vgpr2_vgpr3_vgpr4
.LBB399_55:
	s_delay_alu instid0(SALU_CYCLE_1)
	s_cmp_ge_i32 s21, s9
	s_cbranch_scc1 .LBB399_79
; %bb.56:
	v_cmp_gt_u32_e32 vcc_lo, 16, v22
	v_lshlrev_b32_e32 v17, 2, v6
	v_cmp_eq_u32_e64 s3, 0, v6
	v_ashrrev_i32_e32 v6, 31, v5
	v_cmp_ge_i32_e64 s0, s8, v24
	v_cndmask_b32_e64 v9, 0, 1, vcc_lo
	v_cmp_gt_u32_e32 vcc_lo, 24, v22
	v_cmp_ge_i32_e64 s1, s8, v25
	s_cmp_gt_i32 s36, 0
	s_mov_b32 s15, 0
	v_lshlrev_b32_e32 v9, 4, v9
	v_cndmask_b32_e64 v10, 0, 1, vcc_lo
	v_cmp_gt_u32_e32 vcc_lo, 28, v22
	s_cselect_b32 s8, -1, 0
	s_lshl_b64 s[6:7], s[14:15], 2
	v_add_lshl_u32 v18, v9, v22, 2
	v_add_nc_u32_e32 v9, s33, v5
	v_cndmask_b32_e64 v11, 0, 1, vcc_lo
	v_cmp_gt_u32_e32 vcc_lo, 30, v22
	v_lshlrev_b32_e32 v10, 3, v10
	s_add_u32 s14, s38, s6
	s_addc_u32 s24, s37, s7
	v_lshlrev_b32_e32 v11, 2, v11
	v_cndmask_b32_e64 v12, 0, 1, vcc_lo
	v_cmp_ne_u32_e32 vcc_lo, 31, v22
	v_add_lshl_u32 v19, v10, v22, 2
	v_ashrrev_i32_e32 v10, 31, v9
	v_add_lshl_u32 v24, v11, v22, 2
	v_add_nc_u32_e32 v11, s33, v9
	v_add_co_ci_u32_e32 v13, vcc_lo, 0, v22, vcc_lo
	v_lshlrev_b32_e32 v12, 1, v12
	v_lshlrev_b64 v[15:16], 1, v[9:10]
	s_delay_alu instid0(VALU_DEP_4) | instskip(NEXT) | instid1(VALU_DEP_4)
	v_add_nc_u32_e32 v26, s33, v11
	v_lshlrev_b32_e32 v25, 2, v13
	v_lshlrev_b64 v[13:14], 1, v[5:6]
	v_add_lshl_u32 v22, v12, v22, 2
	v_ashrrev_i32_e32 v12, 31, v11
	v_ashrrev_i32_e32 v27, 31, v26
	s_add_u32 s6, s22, s18
	s_addc_u32 s7, s23, s19
	v_add_co_u32 v9, vcc_lo, s11, v13
	v_add_co_ci_u32_e32 v10, vcc_lo, s13, v14, vcc_lo
	v_lshlrev_b64 v[13:14], 1, v[11:12]
	v_add_co_u32 v11, vcc_lo, s11, v15
	v_add_co_ci_u32_e32 v12, vcc_lo, s13, v16, vcc_lo
	v_lshlrev_b64 v[15:16], 1, v[26:27]
	v_mov_b32_e32 v26, 0
	v_add_co_u32 v13, vcc_lo, s11, v13
	v_add_co_ci_u32_e32 v14, vcc_lo, s13, v14, vcc_lo
	s_delay_alu instid0(VALU_DEP_4)
	v_add_co_u32 v15, vcc_lo, s11, v15
	s_add_u32 s6, s16, s6
	v_add_co_ci_u32_e32 v16, vcc_lo, s13, v16, vcc_lo
	v_cmp_gt_u32_e64 s2, 32, v0
	v_cmp_gt_u32_e64 s4, 8, v0
	v_cmp_eq_u32_e64 s5, 0, v0
	s_addc_u32 s7, s17, s7
	v_add_co_u32 v0, vcc_lo, s6, v7
	v_and_b32_e32 v23, 28, v23
	v_add_co_ci_u32_e32 v8, vcc_lo, s7, v8, vcc_lo
	s_mul_i32 s16, s21, s20
	s_branch .LBB399_58
.LBB399_57:                             ;   in Loop: Header=BB399_58 Depth=1
	s_or_b32 exec_lo, exec_lo, s6
	s_add_i32 s21, s21, 1
	s_add_i32 s16, s16, s20
	s_cmp_ge_i32 s21, s9
	s_cbranch_scc1 .LBB399_79
.LBB399_58:                             ; =>This Loop Header: Depth=1
                                        ;     Child Loop BB399_71 Depth 2
                                        ;     Child Loop BB399_74 Depth 2
	v_mov_b32_e32 v27, s15
	s_and_saveexec_b32 s6, s0
	s_delay_alu instid0(SALU_CYCLE_1)
	s_xor_b32 s6, exec_lo, s6
	s_cbranch_execnz .LBB399_67
; %bb.59:                               ;   in Loop: Header=BB399_58 Depth=1
	s_and_not1_saveexec_b32 s22, s6
	s_cbranch_execnz .LBB399_68
.LBB399_60:                             ;   in Loop: Header=BB399_58 Depth=1
	s_or_b32 exec_lo, exec_lo, s22
	s_and_saveexec_b32 s6, s2
	s_cbranch_execz .LBB399_62
.LBB399_61:                             ;   in Loop: Header=BB399_58 Depth=1
	ds_store_b32 v17, v26
.LBB399_62:                             ;   in Loop: Header=BB399_58 Depth=1
	s_or_b32 exec_lo, exec_lo, s6
	s_waitcnt lgkmcnt(0)
	ds_bpermute_b32 v6, v18, v27
	s_waitcnt lgkmcnt(0)
	s_waitcnt_vscnt null, 0x0
	s_barrier
	buffer_gl0_inv
	v_add_f32_e32 v6, v27, v6
	ds_bpermute_b32 v7, v19, v6
	s_waitcnt lgkmcnt(0)
	v_add_f32_e32 v6, v6, v7
	ds_bpermute_b32 v7, v24, v6
	s_waitcnt lgkmcnt(0)
	;; [unrolled: 3-line block ×3, first 2 shown]
	v_add_f32_e32 v6, v6, v7
	ds_bpermute_b32 v7, v25, v6
	s_and_saveexec_b32 s6, s3
	s_cbranch_execz .LBB399_64
; %bb.63:                               ;   in Loop: Header=BB399_58 Depth=1
	s_waitcnt lgkmcnt(0)
	v_add_f32_e32 v6, v6, v7
	ds_store_b32 v23, v6
.LBB399_64:                             ;   in Loop: Header=BB399_58 Depth=1
	s_or_b32 exec_lo, exec_lo, s6
	v_mov_b32_e32 v6, 0
	s_waitcnt lgkmcnt(0)
	s_barrier
	buffer_gl0_inv
	s_and_saveexec_b32 s6, s4
	s_cbranch_execnz .LBB399_76
; %bb.65:                               ;   in Loop: Header=BB399_58 Depth=1
	s_or_b32 exec_lo, exec_lo, s6
	s_and_saveexec_b32 s6, s2
	s_cbranch_execnz .LBB399_77
.LBB399_66:                             ;   in Loop: Header=BB399_58 Depth=1
	s_or_b32 exec_lo, exec_lo, s6
	s_and_saveexec_b32 s6, s5
	s_cbranch_execz .LBB399_57
	s_branch .LBB399_78
.LBB399_67:                             ;   in Loop: Header=BB399_58 Depth=1
	s_mul_i32 s18, s21, s20
	s_delay_alu instid0(SALU_CYCLE_1) | instskip(NEXT) | instid1(SALU_CYCLE_1)
	s_ashr_i32 s19, s18, 31
	s_lshl_b64 s[18:19], s[18:19], 1
	s_delay_alu instid0(SALU_CYCLE_1)
	v_add_co_u32 v1, vcc_lo, v20, s18
	v_add_co_ci_u32_e32 v2, vcc_lo, s19, v21, vcc_lo
	s_waitcnt lgkmcnt(0)
	global_load_b64 v[6:7], v[1:2], off
	s_clause 0x3
	global_load_u16 v1, v[9:10], off
	global_load_u16 v2, v[11:12], off
	;; [unrolled: 1-line block ×4, first 2 shown]
	s_waitcnt vmcnt(3)
	v_fma_mix_f32 v4, v1, v6, 0 op_sel_hi:[1,1,0]
	v_cvt_f32_f16_e32 v1, v1
	s_waitcnt vmcnt(2)
	s_delay_alu instid0(VALU_DEP_2) | instskip(SKIP_2) | instid1(VALU_DEP_2)
	v_fma_mix_f32 v4, v2, v6, v4 op_sel:[0,1,0] op_sel_hi:[1,1,0]
	v_cvt_f32_f16_e32 v2, v2
	s_waitcnt vmcnt(1)
	v_fma_mix_f32 v6, v3, v7, v4 op_sel_hi:[1,1,0]
	v_cvt_f32_f16_e32 v3, v3
	s_waitcnt vmcnt(0)
	v_cvt_f32_f16_e32 v4, v27
	s_delay_alu instid0(VALU_DEP_3)
	v_fma_mix_f32 v27, v27, v7, v6 op_sel:[0,1,0] op_sel_hi:[1,1,0]
	s_and_not1_saveexec_b32 s22, s6
	s_cbranch_execz .LBB399_60
.LBB399_68:                             ;   in Loop: Header=BB399_58 Depth=1
	s_and_saveexec_b32 s23, s1
	s_cbranch_execz .LBB399_75
; %bb.69:                               ;   in Loop: Header=BB399_58 Depth=1
	s_and_not1_b32 vcc_lo, exec_lo, s8
	s_cbranch_vccnz .LBB399_72
; %bb.70:                               ;   in Loop: Header=BB399_58 Depth=1
	s_waitcnt lgkmcnt(0)
	v_mov_b32_e32 v6, v5
	s_mov_b64 s[18:19], 0
	.p2align	6
.LBB399_71:                             ;   Parent Loop BB399_58 Depth=1
                                        ; =>  This Inner Loop Header: Depth=2
	s_delay_alu instid0(VALU_DEP_1) | instskip(SKIP_1) | instid1(VALU_DEP_1)
	v_ashrrev_i32_e32 v7, 31, v6
	s_cmp_eq_u32 s18, 3
	v_lshlrev_b64 v[28:29], 1, v[6:7]
	s_delay_alu instid0(VALU_DEP_1) | instskip(NEXT) | instid1(VALU_DEP_2)
	v_add_co_u32 v28, vcc_lo, s11, v28
	v_add_co_ci_u32_e32 v29, vcc_lo, s13, v29, vcc_lo
	s_cselect_b32 vcc_lo, -1, 0
	s_cmp_eq_u32 s18, 2
	s_cselect_b32 s6, -1, 0
	global_load_u16 v7, v[28:29], off
	s_cmp_eq_u32 s18, 1
	s_cselect_b32 s7, -1, 0
	s_cmp_eq_u32 s18, 0
	s_waitcnt vmcnt(0)
	v_cvt_f32_f16_e32 v7, v7
	s_delay_alu instid0(VALU_DEP_1)
	v_cndmask_b32_e32 v4, v4, v7, vcc_lo
	s_cselect_b32 vcc_lo, -1, 0
	v_dual_cndmask_b32 v1, v1, v7 :: v_dual_add_nc_u32 v6, s33, v6
	v_cndmask_b32_e64 v3, v3, v7, s6
	v_cndmask_b32_e64 v2, v2, v7, s7
	s_add_u32 s18, s18, 1
	s_addc_u32 s19, s19, 0
	s_cmp_eq_u32 s36, s18
	s_cbranch_scc0 .LBB399_71
.LBB399_72:                             ;   in Loop: Header=BB399_58 Depth=1
	s_and_not1_b32 vcc_lo, exec_lo, s8
	s_cbranch_vccnz .LBB399_75
; %bb.73:                               ;   in Loop: Header=BB399_58 Depth=1
	s_ashr_i32 s17, s16, 31
	s_delay_alu instid0(SALU_CYCLE_1)
	s_lshl_b64 s[6:7], s[16:17], 1
	s_waitcnt lgkmcnt(0)
	v_add_co_u32 v6, vcc_lo, v0, s6
	v_add_co_ci_u32_e32 v7, vcc_lo, s7, v8, vcc_lo
	s_mov_b64 s[6:7], 0
	.p2align	6
.LBB399_74:                             ;   Parent Loop BB399_58 Depth=1
                                        ; =>  This Inner Loop Header: Depth=2
	global_load_u16 v28, v[6:7], off
	s_cmp_eq_u32 s6, 1
	s_cselect_b32 vcc_lo, -1, 0
	s_cmp_eq_u32 s6, 2
	v_cndmask_b32_e32 v29, v1, v2, vcc_lo
	s_cselect_b32 vcc_lo, -1, 0
	s_cmp_eq_u32 s6, 3
	s_delay_alu instid0(VALU_DEP_1)
	v_cndmask_b32_e32 v29, v29, v3, vcc_lo
	s_cselect_b32 vcc_lo, -1, 0
	s_add_u32 s6, s6, 1
	s_addc_u32 s7, s7, 0
	s_cmp_lg_u32 s36, s6
	v_cndmask_b32_e32 v29, v29, v4, vcc_lo
	v_add_co_u32 v6, vcc_lo, v6, 2
	v_add_co_ci_u32_e32 v7, vcc_lo, 0, v7, vcc_lo
	s_waitcnt vmcnt(0)
	s_delay_alu instid0(VALU_DEP_3)
	v_fma_mix_f32 v27, v29, v28, v27 op_sel_hi:[0,1,0]
	s_cbranch_scc1 .LBB399_74
.LBB399_75:                             ;   in Loop: Header=BB399_58 Depth=1
	s_or_b32 exec_lo, exec_lo, s23
	s_delay_alu instid0(SALU_CYCLE_1)
	s_or_b32 exec_lo, exec_lo, s22
	s_and_saveexec_b32 s6, s2
	s_cbranch_execnz .LBB399_61
	s_branch .LBB399_62
.LBB399_76:                             ;   in Loop: Header=BB399_58 Depth=1
	ds_load_b32 v6, v17
	s_or_b32 exec_lo, exec_lo, s6
	s_and_saveexec_b32 s6, s2
	s_cbranch_execz .LBB399_66
.LBB399_77:                             ;   in Loop: Header=BB399_58 Depth=1
	s_waitcnt lgkmcnt(0)
	ds_bpermute_b32 v7, v24, v6
	s_waitcnt lgkmcnt(0)
	v_add_f32_e32 v6, v6, v7
	ds_bpermute_b32 v7, v22, v6
	s_waitcnt lgkmcnt(0)
	v_add_f32_e32 v6, v6, v7
	;; [unrolled: 3-line block ×3, first 2 shown]
	s_or_b32 exec_lo, exec_lo, s6
	s_and_saveexec_b32 s6, s5
	s_cbranch_execz .LBB399_57
.LBB399_78:                             ;   in Loop: Header=BB399_58 Depth=1
	s_mul_hi_u32 s19, s21, s12
	s_mul_i32 s18, s21, s12
	s_waitcnt lgkmcnt(0)
	v_mul_f32_e32 v6, s10, v6
	s_lshl_b64 s[18:19], s[18:19], 2
	s_delay_alu instid0(SALU_CYCLE_1)
	s_add_u32 s18, s14, s18
	s_addc_u32 s19, s24, s19
	global_store_b32 v26, v6, s[18:19]
	s_branch .LBB399_57
.LBB399_79:
	s_nop 0
	s_sendmsg sendmsg(MSG_DEALLOC_VGPRS)
	s_endpgm
	.section	.rodata,"a",@progbits
	.p2align	6, 0x0
	.amdhsa_kernel _ZL23rocblas_gemvt_sn_kernelILb0ELi256ELi4EiDF16_ffEviiT4_lPKT3_lilS3_lilPT5_i
		.amdhsa_group_segment_fixed_size 128
		.amdhsa_private_segment_fixed_size 0
		.amdhsa_kernarg_size 360
		.amdhsa_user_sgpr_count 14
		.amdhsa_user_sgpr_dispatch_ptr 0
		.amdhsa_user_sgpr_queue_ptr 0
		.amdhsa_user_sgpr_kernarg_segment_ptr 1
		.amdhsa_user_sgpr_dispatch_id 0
		.amdhsa_user_sgpr_private_segment_size 0
		.amdhsa_wavefront_size32 1
		.amdhsa_uses_dynamic_stack 0
		.amdhsa_enable_private_segment 0
		.amdhsa_system_sgpr_workgroup_id_x 1
		.amdhsa_system_sgpr_workgroup_id_y 0
		.amdhsa_system_sgpr_workgroup_id_z 1
		.amdhsa_system_sgpr_workgroup_info 0
		.amdhsa_system_vgpr_workitem_id 0
		.amdhsa_next_free_vgpr 48
		.amdhsa_next_free_sgpr 48
		.amdhsa_reserve_vcc 1
		.amdhsa_float_round_mode_32 0
		.amdhsa_float_round_mode_16_64 0
		.amdhsa_float_denorm_mode_32 3
		.amdhsa_float_denorm_mode_16_64 3
		.amdhsa_dx10_clamp 1
		.amdhsa_ieee_mode 1
		.amdhsa_fp16_overflow 0
		.amdhsa_workgroup_processor_mode 1
		.amdhsa_memory_ordered 1
		.amdhsa_forward_progress 0
		.amdhsa_shared_vgpr_count 0
		.amdhsa_exception_fp_ieee_invalid_op 0
		.amdhsa_exception_fp_denorm_src 0
		.amdhsa_exception_fp_ieee_div_zero 0
		.amdhsa_exception_fp_ieee_overflow 0
		.amdhsa_exception_fp_ieee_underflow 0
		.amdhsa_exception_fp_ieee_inexact 0
		.amdhsa_exception_int_div_zero 0
	.end_amdhsa_kernel
	.section	.text._ZL23rocblas_gemvt_sn_kernelILb0ELi256ELi4EiDF16_ffEviiT4_lPKT3_lilS3_lilPT5_i,"axG",@progbits,_ZL23rocblas_gemvt_sn_kernelILb0ELi256ELi4EiDF16_ffEviiT4_lPKT3_lilS3_lilPT5_i,comdat
.Lfunc_end399:
	.size	_ZL23rocblas_gemvt_sn_kernelILb0ELi256ELi4EiDF16_ffEviiT4_lPKT3_lilS3_lilPT5_i, .Lfunc_end399-_ZL23rocblas_gemvt_sn_kernelILb0ELi256ELi4EiDF16_ffEviiT4_lPKT3_lilS3_lilPT5_i
                                        ; -- End function
	.section	.AMDGPU.csdata,"",@progbits
; Kernel info:
; codeLenInByte = 4220
; NumSgprs: 50
; NumVgprs: 48
; ScratchSize: 0
; MemoryBound: 0
; FloatMode: 240
; IeeeMode: 1
; LDSByteSize: 128 bytes/workgroup (compile time only)
; SGPRBlocks: 6
; VGPRBlocks: 5
; NumSGPRsForWavesPerEU: 50
; NumVGPRsForWavesPerEU: 48
; Occupancy: 16
; WaveLimiterHint : 1
; COMPUTE_PGM_RSRC2:SCRATCH_EN: 0
; COMPUTE_PGM_RSRC2:USER_SGPR: 14
; COMPUTE_PGM_RSRC2:TRAP_HANDLER: 0
; COMPUTE_PGM_RSRC2:TGID_X_EN: 1
; COMPUTE_PGM_RSRC2:TGID_Y_EN: 0
; COMPUTE_PGM_RSRC2:TGID_Z_EN: 1
; COMPUTE_PGM_RSRC2:TIDIG_COMP_CNT: 0
	.section	.text._ZL23rocblas_gemvt_sn_kernelILb0ELi256ELi4ElDF16_ffEviiT4_lPKT3_lilS3_lilPT5_i,"axG",@progbits,_ZL23rocblas_gemvt_sn_kernelILb0ELi256ELi4ElDF16_ffEviiT4_lPKT3_lilS3_lilPT5_i,comdat
	.globl	_ZL23rocblas_gemvt_sn_kernelILb0ELi256ELi4ElDF16_ffEviiT4_lPKT3_lilS3_lilPT5_i ; -- Begin function _ZL23rocblas_gemvt_sn_kernelILb0ELi256ELi4ElDF16_ffEviiT4_lPKT3_lilS3_lilPT5_i
	.p2align	8
	.type	_ZL23rocblas_gemvt_sn_kernelILb0ELi256ELi4ElDF16_ffEviiT4_lPKT3_lilS3_lilPT5_i,@function
_ZL23rocblas_gemvt_sn_kernelILb0ELi256ELi4ElDF16_ffEviiT4_lPKT3_lilS3_lilPT5_i: ; @_ZL23rocblas_gemvt_sn_kernelILb0ELi256ELi4ElDF16_ffEviiT4_lPKT3_lilS3_lilPT5_i
; %bb.0:
	s_clause 0x2
	s_load_b128 s[8:11], s[0:1], 0x0
	s_load_b32 s12, s[0:1], 0x68
	s_load_b128 s[4:7], s[0:1], 0x50
	s_waitcnt lgkmcnt(0)
	s_ashr_i32 s11, s9, 31
	s_mul_hi_u32 s2, s9, s15
	s_mul_i32 s3, s11, s15
	s_mul_i32 s13, s9, s15
	s_add_i32 s2, s2, s3
	s_mul_hi_u32 s3, s13, s12
	s_mul_i32 s16, s2, s12
	s_mul_i32 s2, s13, s12
	s_add_i32 s3, s3, s16
	v_cmp_neq_f32_e64 s13, s10, 0
	s_lshl_b64 s[2:3], s[2:3], 2
	s_delay_alu instid0(SALU_CYCLE_1)
	s_add_u32 s33, s6, s2
	v_cmp_eq_u32_e64 s2, 0, v0
	s_addc_u32 s44, s7, s3
	s_and_b32 vcc_lo, exec_lo, s13
	s_mov_b32 s13, 0
	s_cbranch_vccnz .LBB400_5
; %bb.1:
	s_cmp_gt_i32 s9, 0
	s_cselect_b32 s3, -1, 0
	s_delay_alu instid0(SALU_CYCLE_1) | instskip(NEXT) | instid1(SALU_CYCLE_1)
	s_and_b32 s2, s2, s3
	s_and_saveexec_b32 s16, s2
	s_cbranch_execz .LBB400_4
; %bb.2:
	s_mov_b32 s2, s15
	s_mov_b32 s15, 0
	v_mov_b32_e32 v1, 0
	s_lshl_b64 s[6:7], s[14:15], 2
	s_mov_b32 s15, s2
	s_add_u32 s2, s33, s6
	s_addc_u32 s3, s44, s7
	s_lshl_b64 s[6:7], s[12:13], 2
	s_mov_b32 s13, s9
.LBB400_3:                              ; =>This Inner Loop Header: Depth=1
	s_delay_alu instid0(SALU_CYCLE_1)
	s_add_i32 s13, s13, -1
	global_store_b32 v1, v1, s[2:3]
	s_add_u32 s2, s2, s6
	s_addc_u32 s3, s3, s7
	s_cmp_eq_u32 s13, 0
	s_cbranch_scc0 .LBB400_3
.LBB400_4:
	s_or_b32 exec_lo, exec_lo, s16
	s_cbranch_execz .LBB400_6
	s_branch .LBB400_79
.LBB400_5:
.LBB400_6:
	s_clause 0x4
	s_load_b32 s24, s[0:1], 0x28
	s_load_b32 s26, s[0:1], 0x48
	s_load_b128 s[20:23], s[0:1], 0x30
	s_load_b64 s[2:3], s[0:1], 0x40
	s_load_b128 s[16:19], s[0:1], 0x18
	s_mul_i32 s1, s15, s5
	s_mul_hi_u32 s5, s15, s4
	s_mul_i32 s0, s15, s4
	s_add_i32 s1, s5, s1
	v_and_b32_e32 v24, 31, v0
	s_lshl_b64 s[28:29], s[0:1], 1
	v_mbcnt_lo_u32_b32 v27, -1, 0
	v_lshrrev_b32_e32 v29, 3, v0
	s_waitcnt lgkmcnt(0)
	s_ashr_i32 s25, s24, 31
	s_ashr_i32 s27, s26, 31
	s_add_u32 s4, s22, s28
	s_addc_u32 s5, s23, s29
	s_lshl_b64 s[30:31], s[2:3], 1
	s_mul_i32 s0, s15, s21
	s_mul_hi_u32 s1, s15, s20
	s_add_u32 s13, s4, s30
	s_mul_i32 s2, s15, s20
	s_addc_u32 s45, s5, s31
	s_add_i32 s3, s1, s0
	v_cmp_gt_u32_e64 s0, 32, v0
	s_lshl_b64 s[20:21], s[2:3], 1
	v_cmp_gt_u32_e64 s1, 8, v0
	s_add_u32 s2, s16, s20
	s_addc_u32 s3, s17, s21
	s_lshl_b64 s[18:19], s[18:19], 1
	s_delay_alu instid0(SALU_CYCLE_1)
	s_add_u32 s2, s2, s18
	s_addc_u32 s3, s3, s19
	s_lshl_b32 s4, s14, 10
	s_ashr_i32 s5, s8, 31
	v_lshl_or_b32 v9, v0, 2, s4
	s_lshr_b32 s4, s11, 30
	s_lshr_b32 s5, s5, 30
	s_add_i32 s4, s9, s4
	s_add_i32 s5, s8, s5
	v_ashrrev_i32_e32 v10, 31, v9
	s_and_b32 s46, s4, -4
	s_and_b32 s4, s5, -4
	v_add_nc_u32_e32 v30, 4, v9
	s_sub_i32 s11, s8, s4
	v_lshlrev_b64 v[7:8], 1, v[9:10]
	v_or_b32_e32 v28, 1, v9
	v_or_b32_e32 v26, 2, v9
	v_add_nc_u32_e32 v31, s11, v9
	v_or_b32_e32 v25, 3, v9
	s_cmp_lt_i32 s46, 1
	v_add_co_u32 v5, vcc_lo, s2, v7
	v_add_co_ci_u32_e32 v6, vcc_lo, s3, v8, vcc_lo
	s_cbranch_scc1 .LBB400_54
; %bb.7:
	v_cmp_gt_u32_e32 vcc_lo, 16, v27
	v_mad_i64_i32 v[12:13], null, s26, v26, 0
	v_mad_i64_i32 v[14:15], null, s26, v25, 0
	v_cndmask_b32_e64 v1, 0, 1, vcc_lo
	v_cmp_gt_u32_e32 vcc_lo, 24, v27
	s_mov_b32 s15, 0
	s_cmp_gt_i32 s11, 0
	s_delay_alu instid0(VALU_DEP_4)
	v_lshlrev_b64 v[16:17], 1, v[12:13]
	v_lshlrev_b32_e32 v1, 4, v1
	v_cndmask_b32_e64 v2, 0, 1, vcc_lo
	v_cmp_gt_u32_e32 vcc_lo, 28, v27
	s_cselect_b32 s47, -1, 0
	s_lshl_b64 s[6:7], s[14:15], 2
	s_delay_alu instid0(VALU_DEP_2)
	v_dual_mov_b32 v39, 0 :: v_dual_lshlrev_b32 v2, 3, v2
	v_cndmask_b32_e64 v3, 0, 1, vcc_lo
	v_cmp_gt_u32_e32 vcc_lo, 30, v27
	s_add_u32 s48, s33, s6
	s_addc_u32 s49, s44, s7
	v_add_lshl_u32 v33, v2, v27, 2
	v_lshlrev_b32_e32 v3, 2, v3
	v_cndmask_b32_e64 v4, 0, 1, vcc_lo
	v_cmp_ne_u32_e32 vcc_lo, 31, v27
	v_dual_mov_b32 v21, v6 :: v_dual_mov_b32 v20, v5
	v_add_lshl_u32 v32, v1, v27, 2
	s_delay_alu instid0(VALU_DEP_4) | instskip(SKIP_3) | instid1(VALU_DEP_4)
	v_lshlrev_b32_e32 v4, 1, v4
	v_mad_i64_i32 v[1:2], null, s26, v9, 0
	v_add_lshl_u32 v34, v3, v27, 2
	v_add_co_ci_u32_e32 v10, vcc_lo, 0, v27, vcc_lo
	v_add_lshl_u32 v35, v4, v27, 2
	v_mad_i64_i32 v[3:4], null, s26, v28, 0
	v_lshlrev_b64 v[1:2], 1, v[1:2]
	s_delay_alu instid0(VALU_DEP_4) | instskip(SKIP_4) | instid1(VALU_DEP_3)
	v_lshlrev_b32_e32 v36, 2, v10
	s_add_u32 s6, s22, s30
	s_addc_u32 s7, s23, s31
	s_add_u32 s6, s6, s28
	s_addc_u32 s7, s7, s29
	v_lshlrev_b64 v[3:4], 1, v[3:4]
	v_add_co_u32 v10, vcc_lo, s13, v1
	v_add_co_ci_u32_e32 v11, vcc_lo, s45, v2, vcc_lo
	v_cmp_ge_i32_e64 s2, s8, v30
	s_delay_alu instid0(VALU_DEP_4)
	v_add_co_u32 v12, vcc_lo, s13, v3
	v_add_co_ci_u32_e32 v13, vcc_lo, s45, v4, vcc_lo
	v_lshlrev_b64 v[3:4], 1, v[14:15]
	v_add_co_u32 v14, vcc_lo, s13, v16
	v_add_co_ci_u32_e32 v15, vcc_lo, s45, v17, vcc_lo
	v_cmp_ge_i32_e64 s3, s8, v31
	s_delay_alu instid0(VALU_DEP_4)
	v_add_co_u32 v16, vcc_lo, s13, v3
	v_add_co_ci_u32_e32 v17, vcc_lo, s45, v4, vcc_lo
	v_add_co_u32 v18, vcc_lo, s6, v1
	v_cmp_eq_u32_e64 s4, 0, v24
	v_lshlrev_b32_e32 v37, 2, v24
	v_and_b32_e32 v38, 28, v29
	v_cmp_eq_u32_e64 s5, 0, v0
	v_add_co_ci_u32_e32 v19, vcc_lo, s7, v2, vcc_lo
	s_lshl_b64 s[34:35], s[26:27], 1
	s_lshl_b64 s[36:37], s[24:25], 3
	s_lshl_b64 s[38:39], s[24:25], 1
	s_lshl_b64 s[40:41], s[24:25], 2
	s_mul_hi_i32 s50, s24, 6
	s_mul_i32 s51, s24, 6
                                        ; implicit-def: $vgpr1_vgpr2_vgpr3_vgpr4
	s_branch .LBB400_9
.LBB400_8:                              ;   in Loop: Header=BB400_9 Depth=1
	s_or_b32 exec_lo, exec_lo, s6
	v_add_co_u32 v20, vcc_lo, v20, s36
	v_add_co_ci_u32_e32 v21, vcc_lo, s37, v21, vcc_lo
	s_add_i32 s15, s15, 4
	s_delay_alu instid0(SALU_CYCLE_1)
	s_cmp_ge_i32 s15, s46
	s_cbranch_scc1 .LBB400_55
.LBB400_9:                              ; =>This Loop Header: Depth=1
                                        ;     Child Loop BB400_40 Depth 2
                                        ;     Child Loop BB400_43 Depth 2
                                        ; implicit-def: $vgpr40
                                        ; implicit-def: $vgpr41
                                        ; implicit-def: $vgpr42
                                        ; implicit-def: $vgpr43
	s_and_saveexec_b32 s6, s2
	s_delay_alu instid0(SALU_CYCLE_1)
	s_xor_b32 s6, exec_lo, s6
	s_cbranch_execnz .LBB400_36
; %bb.10:                               ;   in Loop: Header=BB400_9 Depth=1
	s_and_not1_saveexec_b32 s52, s6
	s_cbranch_execnz .LBB400_37
.LBB400_11:                             ;   in Loop: Header=BB400_9 Depth=1
	s_or_b32 exec_lo, exec_lo, s52
	s_and_saveexec_b32 s6, s0
	s_cbranch_execz .LBB400_13
.LBB400_12:                             ;   in Loop: Header=BB400_9 Depth=1
	ds_store_b32 v37, v39
.LBB400_13:                             ;   in Loop: Header=BB400_9 Depth=1
	s_or_b32 exec_lo, exec_lo, s6
	ds_bpermute_b32 v22, v32, v43
	s_waitcnt lgkmcnt(0)
	s_waitcnt_vscnt null, 0x0
	s_barrier
	buffer_gl0_inv
	v_add_f32_e32 v22, v43, v22
	ds_bpermute_b32 v23, v33, v22
	s_waitcnt lgkmcnt(0)
	v_add_f32_e32 v22, v22, v23
	ds_bpermute_b32 v23, v34, v22
	s_waitcnt lgkmcnt(0)
	;; [unrolled: 3-line block ×3, first 2 shown]
	v_add_f32_e32 v22, v22, v23
	ds_bpermute_b32 v23, v36, v22
	s_and_saveexec_b32 s6, s4
	s_cbranch_execz .LBB400_15
; %bb.14:                               ;   in Loop: Header=BB400_9 Depth=1
	s_waitcnt lgkmcnt(0)
	v_add_f32_e32 v22, v22, v23
	ds_store_b32 v38, v22
.LBB400_15:                             ;   in Loop: Header=BB400_9 Depth=1
	s_or_b32 exec_lo, exec_lo, s6
	v_mov_b32_e32 v22, 0
	s_waitcnt lgkmcnt(0)
	s_barrier
	buffer_gl0_inv
	s_and_saveexec_b32 s6, s1
	s_cbranch_execnz .LBB400_45
; %bb.16:                               ;   in Loop: Header=BB400_9 Depth=1
	s_or_b32 exec_lo, exec_lo, s6
	s_and_saveexec_b32 s6, s0
	s_cbranch_execnz .LBB400_46
.LBB400_17:                             ;   in Loop: Header=BB400_9 Depth=1
	s_or_b32 exec_lo, exec_lo, s6
	s_and_saveexec_b32 s6, s0
	s_cbranch_execz .LBB400_19
.LBB400_18:                             ;   in Loop: Header=BB400_9 Depth=1
	ds_store_b32 v37, v39
.LBB400_19:                             ;   in Loop: Header=BB400_9 Depth=1
	s_or_b32 exec_lo, exec_lo, s6
	ds_bpermute_b32 v23, v32, v42
	s_waitcnt lgkmcnt(0)
	s_barrier
	buffer_gl0_inv
	v_add_f32_e32 v23, v42, v23
	ds_bpermute_b32 v42, v33, v23
	s_waitcnt lgkmcnt(0)
	v_add_f32_e32 v23, v23, v42
	ds_bpermute_b32 v42, v34, v23
	s_waitcnt lgkmcnt(0)
	;; [unrolled: 3-line block ×3, first 2 shown]
	v_add_f32_e32 v23, v23, v42
	ds_bpermute_b32 v42, v36, v23
	s_and_saveexec_b32 s6, s4
	s_cbranch_execz .LBB400_21
; %bb.20:                               ;   in Loop: Header=BB400_9 Depth=1
	s_waitcnt lgkmcnt(0)
	v_add_f32_e32 v23, v23, v42
	ds_store_b32 v38, v23
.LBB400_21:                             ;   in Loop: Header=BB400_9 Depth=1
	s_or_b32 exec_lo, exec_lo, s6
	v_mov_b32_e32 v23, 0
	s_waitcnt lgkmcnt(0)
	s_barrier
	buffer_gl0_inv
	s_and_saveexec_b32 s6, s1
	s_cbranch_execnz .LBB400_47
; %bb.22:                               ;   in Loop: Header=BB400_9 Depth=1
	s_or_b32 exec_lo, exec_lo, s6
	s_and_saveexec_b32 s6, s0
	s_cbranch_execnz .LBB400_48
.LBB400_23:                             ;   in Loop: Header=BB400_9 Depth=1
	s_or_b32 exec_lo, exec_lo, s6
	s_and_saveexec_b32 s6, s0
	s_cbranch_execz .LBB400_25
.LBB400_24:                             ;   in Loop: Header=BB400_9 Depth=1
	ds_store_b32 v37, v39
.LBB400_25:                             ;   in Loop: Header=BB400_9 Depth=1
	s_or_b32 exec_lo, exec_lo, s6
	ds_bpermute_b32 v42, v32, v41
	s_waitcnt lgkmcnt(0)
	s_barrier
	buffer_gl0_inv
	v_add_f32_e32 v41, v41, v42
	ds_bpermute_b32 v42, v33, v41
	s_waitcnt lgkmcnt(0)
	v_add_f32_e32 v41, v41, v42
	ds_bpermute_b32 v42, v34, v41
	s_waitcnt lgkmcnt(0)
	;; [unrolled: 3-line block ×3, first 2 shown]
	v_add_f32_e32 v41, v41, v42
	ds_bpermute_b32 v42, v36, v41
	s_and_saveexec_b32 s6, s4
	s_cbranch_execz .LBB400_27
; %bb.26:                               ;   in Loop: Header=BB400_9 Depth=1
	s_waitcnt lgkmcnt(0)
	v_add_f32_e32 v41, v41, v42
	ds_store_b32 v38, v41
.LBB400_27:                             ;   in Loop: Header=BB400_9 Depth=1
	s_or_b32 exec_lo, exec_lo, s6
	v_mov_b32_e32 v41, 0
	s_waitcnt lgkmcnt(0)
	s_barrier
	buffer_gl0_inv
	s_and_saveexec_b32 s6, s1
	s_cbranch_execnz .LBB400_49
; %bb.28:                               ;   in Loop: Header=BB400_9 Depth=1
	s_or_b32 exec_lo, exec_lo, s6
	s_and_saveexec_b32 s6, s0
	s_cbranch_execnz .LBB400_50
.LBB400_29:                             ;   in Loop: Header=BB400_9 Depth=1
	s_or_b32 exec_lo, exec_lo, s6
	s_and_saveexec_b32 s6, s0
	s_cbranch_execz .LBB400_31
.LBB400_30:                             ;   in Loop: Header=BB400_9 Depth=1
	ds_store_b32 v37, v39
.LBB400_31:                             ;   in Loop: Header=BB400_9 Depth=1
	s_or_b32 exec_lo, exec_lo, s6
	ds_bpermute_b32 v42, v32, v40
	s_waitcnt lgkmcnt(0)
	s_barrier
	buffer_gl0_inv
	v_add_f32_e32 v40, v40, v42
	ds_bpermute_b32 v42, v33, v40
	s_waitcnt lgkmcnt(0)
	v_add_f32_e32 v40, v40, v42
	ds_bpermute_b32 v42, v34, v40
	s_waitcnt lgkmcnt(0)
	;; [unrolled: 3-line block ×3, first 2 shown]
	v_add_f32_e32 v40, v40, v42
	ds_bpermute_b32 v42, v36, v40
	s_and_saveexec_b32 s6, s4
	s_cbranch_execz .LBB400_33
; %bb.32:                               ;   in Loop: Header=BB400_9 Depth=1
	s_waitcnt lgkmcnt(0)
	v_add_f32_e32 v40, v40, v42
	ds_store_b32 v38, v40
.LBB400_33:                             ;   in Loop: Header=BB400_9 Depth=1
	s_or_b32 exec_lo, exec_lo, s6
	v_mov_b32_e32 v40, 0
	s_waitcnt lgkmcnt(0)
	s_barrier
	buffer_gl0_inv
	s_and_saveexec_b32 s6, s1
	s_cbranch_execnz .LBB400_51
; %bb.34:                               ;   in Loop: Header=BB400_9 Depth=1
	s_or_b32 exec_lo, exec_lo, s6
	s_and_saveexec_b32 s6, s0
	s_cbranch_execnz .LBB400_52
.LBB400_35:                             ;   in Loop: Header=BB400_9 Depth=1
	s_or_b32 exec_lo, exec_lo, s6
	s_and_saveexec_b32 s6, s5
	s_cbranch_execz .LBB400_8
	s_branch .LBB400_53
.LBB400_36:                             ;   in Loop: Header=BB400_9 Depth=1
	s_mul_i32 s7, s15, s25
	s_mul_hi_u32 s42, s15, s24
	s_delay_alu instid0(SALU_CYCLE_1)
	s_add_i32 s43, s42, s7
	s_mul_i32 s42, s15, s24
	s_or_b32 s7, s15, 1
	s_lshl_b64 s[42:43], s[42:43], 1
	s_mul_i32 s52, s7, s25
	s_mul_hi_u32 s53, s7, s24
	v_add_co_u32 v1, vcc_lo, v5, s42
	v_add_co_ci_u32_e32 v2, vcc_lo, s43, v6, vcc_lo
	s_add_i32 s43, s53, s52
	s_mul_i32 s42, s7, s24
	s_or_b32 s7, s15, 2
	s_lshl_b64 s[42:43], s[42:43], 1
	s_mul_i32 s52, s7, s25
	s_mul_hi_u32 s53, s7, s24
	v_add_co_u32 v3, vcc_lo, v5, s42
	v_add_co_ci_u32_e32 v4, vcc_lo, s43, v6, vcc_lo
	s_add_i32 s43, s53, s52
	s_or_b32 s52, s15, 3
	s_mul_i32 s42, s7, s24
	s_mul_i32 s7, s52, s25
	s_mul_hi_u32 s53, s52, s24
	s_lshl_b64 s[42:43], s[42:43], 1
	s_add_i32 s53, s53, s7
	s_mul_i32 s52, s52, s24
	v_add_co_u32 v22, vcc_lo, v5, s42
	v_add_co_ci_u32_e32 v23, vcc_lo, s43, v6, vcc_lo
	s_lshl_b64 s[42:43], s[52:53], 1
	s_waitcnt lgkmcnt(0)
	v_add_co_u32 v40, vcc_lo, v5, s42
	v_add_co_ci_u32_e32 v41, vcc_lo, s43, v6, vcc_lo
	global_load_u16 v48, v[10:11], off
	s_clause 0x3
	global_load_b64 v[42:43], v[1:2], off
	global_load_b64 v[44:45], v[3:4], off
	;; [unrolled: 1-line block ×4, first 2 shown]
	s_clause 0x2
	global_load_u16 v3, v[12:13], off
	global_load_u16 v4, v[14:15], off
	;; [unrolled: 1-line block ×3, first 2 shown]
	s_waitcnt vmcnt(7)
	v_cvt_f32_f16_e32 v1, v48
	s_waitcnt vmcnt(6)
	v_fma_mix_f32 v41, v48, v42, 0 op_sel_hi:[1,1,0]
	s_waitcnt vmcnt(5)
	v_fma_mix_f32 v49, v48, v44, 0 op_sel_hi:[1,1,0]
	;; [unrolled: 2-line block ×4, first 2 shown]
	s_waitcnt vmcnt(2)
	v_cvt_f32_f16_e32 v2, v3
	v_fma_mix_f32 v41, v3, v42, v41 op_sel:[0,1,0] op_sel_hi:[1,1,0]
	v_fma_mix_f32 v42, v3, v44, v49 op_sel:[0,1,0] op_sel_hi:[1,1,0]
	;; [unrolled: 1-line block ×4, first 2 shown]
	s_waitcnt vmcnt(1)
	v_cvt_f32_f16_e32 v3, v4
	v_fma_mix_f32 v41, v4, v43, v41 op_sel_hi:[1,1,0]
	v_fma_mix_f32 v42, v4, v45, v42 op_sel_hi:[1,1,0]
	v_fma_mix_f32 v22, v4, v23, v22 op_sel_hi:[1,1,0]
	v_fma_mix_f32 v44, v4, v47, v44 op_sel_hi:[1,1,0]
	s_waitcnt vmcnt(0)
	v_cvt_f32_f16_e32 v4, v40
	v_fma_mix_f32 v43, v40, v43, v41 op_sel:[0,1,0] op_sel_hi:[1,1,0]
	v_fma_mix_f32 v42, v40, v45, v42 op_sel:[0,1,0] op_sel_hi:[1,1,0]
	;; [unrolled: 1-line block ×4, first 2 shown]
	s_and_not1_saveexec_b32 s52, s6
	s_cbranch_execz .LBB400_11
.LBB400_37:                             ;   in Loop: Header=BB400_9 Depth=1
	s_waitcnt lgkmcnt(0)
	v_dual_mov_b32 v40, 0 :: v_dual_mov_b32 v41, 0
	v_dual_mov_b32 v42, 0 :: v_dual_mov_b32 v43, 0
	s_and_saveexec_b32 s53, s3
	s_cbranch_execz .LBB400_44
; %bb.38:                               ;   in Loop: Header=BB400_9 Depth=1
	s_and_not1_b32 vcc_lo, exec_lo, s47
	s_cbranch_vccnz .LBB400_41
; %bb.39:                               ;   in Loop: Header=BB400_9 Depth=1
	v_dual_mov_b32 v23, v19 :: v_dual_mov_b32 v22, v18
	s_mov_b64 s[42:43], 0
	.p2align	6
.LBB400_40:                             ;   Parent Loop BB400_9 Depth=1
                                        ; =>  This Inner Loop Header: Depth=2
	global_load_u16 v40, v[22:23], off
	v_add_co_u32 v22, vcc_lo, v22, s34
	s_cmp_eq_u32 s42, 3
	v_add_co_ci_u32_e32 v23, vcc_lo, s35, v23, vcc_lo
	s_cselect_b32 vcc_lo, -1, 0
	s_cmp_eq_u32 s42, 2
	s_cselect_b32 s6, -1, 0
	s_cmp_eq_u32 s42, 1
	s_cselect_b32 s7, -1, 0
	s_cmp_eq_u32 s42, 0
	s_waitcnt vmcnt(0)
	v_cvt_f32_f16_e32 v40, v40
	s_delay_alu instid0(VALU_DEP_1)
	v_cndmask_b32_e32 v4, v4, v40, vcc_lo
	s_cselect_b32 vcc_lo, -1, 0
	v_cndmask_b32_e64 v3, v3, v40, s6
	v_cndmask_b32_e64 v2, v2, v40, s7
	v_cndmask_b32_e32 v1, v1, v40, vcc_lo
	s_add_u32 s42, s42, 1
	s_addc_u32 s43, s43, 0
	s_cmp_eq_u32 s11, s42
	s_cbranch_scc0 .LBB400_40
.LBB400_41:                             ;   in Loop: Header=BB400_9 Depth=1
	v_dual_mov_b32 v40, 0 :: v_dual_mov_b32 v41, 0
	v_dual_mov_b32 v42, 0 :: v_dual_mov_b32 v43, 0
	s_and_not1_b32 vcc_lo, exec_lo, s47
	s_cbranch_vccnz .LBB400_44
; %bb.42:                               ;   in Loop: Header=BB400_9 Depth=1
	v_dual_mov_b32 v23, v21 :: v_dual_mov_b32 v42, 0
	v_dual_mov_b32 v43, 0 :: v_dual_mov_b32 v22, v20
	;; [unrolled: 1-line block ×3, first 2 shown]
	s_mov_b64 s[42:43], 0
	s_set_inst_prefetch_distance 0x1
	.p2align	6
.LBB400_43:                             ;   Parent Loop BB400_9 Depth=1
                                        ; =>  This Inner Loop Header: Depth=2
	s_delay_alu instid0(VALU_DEP_2)
	v_add_co_u32 v44, vcc_lo, v22, s38
	v_add_co_ci_u32_e32 v45, vcc_lo, s39, v23, vcc_lo
	v_add_co_u32 v46, vcc_lo, v22, s40
	v_add_co_ci_u32_e32 v47, vcc_lo, s41, v23, vcc_lo
	;; [unrolled: 2-line block ×3, first 2 shown]
	s_clause 0x3
	global_load_u16 v50, v[22:23], off
	global_load_u16 v44, v[44:45], off
	global_load_u16 v45, v[46:47], off
	global_load_u16 v46, v[48:49], off
	s_cmp_eq_u32 s42, 1
	v_add_co_u32 v22, s6, v22, 2
	s_cselect_b32 vcc_lo, -1, 0
	s_cmp_eq_u32 s42, 2
	v_cndmask_b32_e32 v47, v1, v2, vcc_lo
	s_cselect_b32 vcc_lo, -1, 0
	s_cmp_eq_u32 s42, 3
	v_add_co_ci_u32_e64 v23, s6, 0, v23, s6
	s_delay_alu instid0(VALU_DEP_2)
	v_cndmask_b32_e32 v47, v47, v3, vcc_lo
	s_cselect_b32 vcc_lo, -1, 0
	s_add_u32 s42, s42, 1
	s_addc_u32 s43, s43, 0
	s_cmp_lg_u32 s11, s42
	v_cndmask_b32_e32 v47, v47, v4, vcc_lo
	s_waitcnt vmcnt(3)
	s_delay_alu instid0(VALU_DEP_1)
	v_fma_mix_f32 v43, v47, v50, v43 op_sel_hi:[0,1,0]
	s_waitcnt vmcnt(2)
	v_fma_mix_f32 v42, v47, v44, v42 op_sel_hi:[0,1,0]
	s_waitcnt vmcnt(1)
	;; [unrolled: 2-line block ×3, first 2 shown]
	v_fma_mix_f32 v40, v47, v46, v40 op_sel_hi:[0,1,0]
	s_cbranch_scc1 .LBB400_43
.LBB400_44:                             ;   in Loop: Header=BB400_9 Depth=1
	s_set_inst_prefetch_distance 0x2
	s_or_b32 exec_lo, exec_lo, s53
	s_delay_alu instid0(SALU_CYCLE_1)
	s_or_b32 exec_lo, exec_lo, s52
	s_and_saveexec_b32 s6, s0
	s_cbranch_execnz .LBB400_12
	s_branch .LBB400_13
.LBB400_45:                             ;   in Loop: Header=BB400_9 Depth=1
	ds_load_b32 v22, v37
	s_or_b32 exec_lo, exec_lo, s6
	s_and_saveexec_b32 s6, s0
	s_cbranch_execz .LBB400_17
.LBB400_46:                             ;   in Loop: Header=BB400_9 Depth=1
	s_waitcnt lgkmcnt(0)
	ds_bpermute_b32 v23, v34, v22
	s_waitcnt lgkmcnt(0)
	v_add_f32_e32 v22, v22, v23
	ds_bpermute_b32 v23, v35, v22
	s_waitcnt lgkmcnt(0)
	v_add_f32_e32 v22, v22, v23
	;; [unrolled: 3-line block ×3, first 2 shown]
	s_or_b32 exec_lo, exec_lo, s6
	s_and_saveexec_b32 s6, s0
	s_cbranch_execnz .LBB400_18
	s_branch .LBB400_19
.LBB400_47:                             ;   in Loop: Header=BB400_9 Depth=1
	ds_load_b32 v23, v37
	s_or_b32 exec_lo, exec_lo, s6
	s_and_saveexec_b32 s6, s0
	s_cbranch_execz .LBB400_23
.LBB400_48:                             ;   in Loop: Header=BB400_9 Depth=1
	s_waitcnt lgkmcnt(0)
	ds_bpermute_b32 v42, v34, v23
	s_waitcnt lgkmcnt(0)
	v_add_f32_e32 v23, v23, v42
	ds_bpermute_b32 v42, v35, v23
	s_waitcnt lgkmcnt(0)
	v_add_f32_e32 v23, v23, v42
	;; [unrolled: 3-line block ×3, first 2 shown]
	s_or_b32 exec_lo, exec_lo, s6
	s_and_saveexec_b32 s6, s0
	s_cbranch_execnz .LBB400_24
	s_branch .LBB400_25
.LBB400_49:                             ;   in Loop: Header=BB400_9 Depth=1
	ds_load_b32 v41, v37
	s_or_b32 exec_lo, exec_lo, s6
	s_and_saveexec_b32 s6, s0
	s_cbranch_execz .LBB400_29
.LBB400_50:                             ;   in Loop: Header=BB400_9 Depth=1
	s_waitcnt lgkmcnt(0)
	ds_bpermute_b32 v42, v34, v41
	s_waitcnt lgkmcnt(0)
	v_add_f32_e32 v41, v41, v42
	ds_bpermute_b32 v42, v35, v41
	s_waitcnt lgkmcnt(0)
	v_add_f32_e32 v41, v41, v42
	;; [unrolled: 3-line block ×3, first 2 shown]
	s_or_b32 exec_lo, exec_lo, s6
	s_and_saveexec_b32 s6, s0
	s_cbranch_execnz .LBB400_30
	s_branch .LBB400_31
.LBB400_51:                             ;   in Loop: Header=BB400_9 Depth=1
	ds_load_b32 v40, v37
	s_or_b32 exec_lo, exec_lo, s6
	s_and_saveexec_b32 s6, s0
	s_cbranch_execz .LBB400_35
.LBB400_52:                             ;   in Loop: Header=BB400_9 Depth=1
	s_waitcnt lgkmcnt(0)
	ds_bpermute_b32 v42, v34, v40
	s_waitcnt lgkmcnt(0)
	v_add_f32_e32 v40, v40, v42
	ds_bpermute_b32 v42, v35, v40
	s_waitcnt lgkmcnt(0)
	v_add_f32_e32 v40, v40, v42
	;; [unrolled: 3-line block ×3, first 2 shown]
	s_or_b32 exec_lo, exec_lo, s6
	s_and_saveexec_b32 s6, s5
	s_cbranch_execz .LBB400_8
.LBB400_53:                             ;   in Loop: Header=BB400_9 Depth=1
	s_mul_hi_u32 s43, s15, s12
	s_mul_i32 s42, s15, s12
	v_dual_mul_f32 v22, s10, v22 :: v_dual_mul_f32 v23, s10, v23
	s_lshl_b64 s[42:43], s[42:43], 2
	s_waitcnt lgkmcnt(0)
	v_mul_f32_e32 v40, s10, v40
	s_add_u32 s42, s48, s42
	s_addc_u32 s43, s49, s43
	s_or_b32 s7, s15, 1
	global_store_b32 v39, v22, s[42:43]
	s_mul_hi_u32 s53, s7, s12
	s_mul_i32 s52, s7, s12
	v_mul_f32_e32 v22, s10, v41
	s_lshl_b64 s[52:53], s[52:53], 2
	s_delay_alu instid0(SALU_CYCLE_1)
	s_add_u32 s52, s48, s52
	s_addc_u32 s53, s49, s53
	s_or_b32 s7, s15, 2
	global_store_b32 v39, v23, s[52:53]
	s_mul_hi_u32 s55, s7, s12
	s_mul_i32 s54, s7, s12
	s_delay_alu instid0(SALU_CYCLE_1) | instskip(NEXT) | instid1(SALU_CYCLE_1)
	s_lshl_b64 s[54:55], s[54:55], 2
	s_add_u32 s42, s48, s54
	s_addc_u32 s43, s49, s55
	s_or_b32 s7, s15, 3
	s_delay_alu instid0(SALU_CYCLE_1) | instskip(SKIP_1) | instid1(SALU_CYCLE_1)
	s_mul_hi_u32 s55, s7, s12
	s_mul_i32 s54, s7, s12
	s_lshl_b64 s[54:55], s[54:55], 2
	s_delay_alu instid0(SALU_CYCLE_1)
	s_add_u32 s52, s48, s54
	s_addc_u32 s53, s49, s55
	s_clause 0x1
	global_store_b32 v39, v22, s[42:43]
	global_store_b32 v39, v40, s[52:53]
	s_branch .LBB400_8
.LBB400_54:
	s_mov_b32 s15, 0
                                        ; implicit-def: $vgpr1_vgpr2_vgpr3_vgpr4
.LBB400_55:
	s_delay_alu instid0(SALU_CYCLE_1)
	s_cmp_ge_i32 s15, s9
	s_cbranch_scc1 .LBB400_79
; %bb.56:
	v_cmp_gt_u32_e32 vcc_lo, 16, v27
	v_cmp_ge_i32_e64 s0, s8, v30
	v_cmp_ge_i32_e64 s1, s8, v31
	v_mad_i64_i32 v[19:20], null, s26, v25, 0
	v_cndmask_b32_e64 v10, 0, 1, vcc_lo
	v_cmp_gt_u32_e32 vcc_lo, 24, v27
	s_cmp_gt_i32 s11, 0
	s_mov_b32 s35, 0
	s_mov_b32 s34, s14
	v_lshlrev_b32_e32 v10, 4, v10
	v_cndmask_b32_e64 v11, 0, 1, vcc_lo
	v_cmp_gt_u32_e32 vcc_lo, 28, v27
	s_cselect_b32 s8, -1, 0
	s_lshl_b64 s[6:7], s[34:35], 2
	v_add_lshl_u32 v22, v10, v27, 2
	v_lshlrev_b32_e32 v11, 3, v11
	v_cndmask_b32_e64 v12, 0, 1, vcc_lo
	v_cmp_gt_u32_e32 vcc_lo, 30, v27
	s_add_u32 s14, s33, s6
	s_addc_u32 s33, s44, s7
	v_add_lshl_u32 v23, v11, v27, 2
	v_lshlrev_b32_e32 v12, 2, v12
	v_cndmask_b32_e64 v13, 0, 1, vcc_lo
	v_cmp_ne_u32_e32 vcc_lo, 31, v27
	v_mad_i64_i32 v[10:11], null, s26, v9, 0
	s_delay_alu instid0(VALU_DEP_4) | instskip(NEXT) | instid1(VALU_DEP_4)
	v_add_lshl_u32 v30, v12, v27, 2
	v_lshlrev_b32_e32 v13, 1, v13
	v_add_co_ci_u32_e32 v14, vcc_lo, 0, v27, vcc_lo
	s_add_u32 s6, s22, s30
	s_addc_u32 s7, s23, s31
	s_delay_alu instid0(VALU_DEP_2)
	v_add_lshl_u32 v27, v13, v27, 2
	v_mad_i64_i32 v[12:13], null, s26, v28, 0
	v_lshlrev_b32_e32 v31, 2, v14
	v_mad_i64_i32 v[14:15], null, s26, v26, 0
	v_lshlrev_b64 v[17:18], 1, v[10:11]
	s_mul_hi_u32 s22, s24, s15
	v_cmp_gt_u32_e64 s2, 32, v0
	v_lshlrev_b64 v[11:12], 1, v[12:13]
	v_lshlrev_b32_e32 v21, 2, v24
	v_cmp_eq_u32_e64 s3, 0, v24
	v_add_co_u32 v9, vcc_lo, s13, v17
	v_lshlrev_b64 v[13:14], 1, v[14:15]
	v_add_co_ci_u32_e32 v10, vcc_lo, s45, v18, vcc_lo
	v_add_co_u32 v11, vcc_lo, s13, v11
	v_lshlrev_b64 v[15:16], 1, v[19:20]
	v_add_co_ci_u32_e32 v12, vcc_lo, s45, v12, vcc_lo
	v_add_co_u32 v13, vcc_lo, s13, v13
	v_add_co_ci_u32_e32 v14, vcc_lo, s45, v14, vcc_lo
	s_delay_alu instid0(VALU_DEP_4)
	v_add_co_u32 v15, vcc_lo, s13, v15
	s_add_u32 s13, s6, s28
	s_mul_i32 s6, s25, s15
	v_add_co_ci_u32_e32 v16, vcc_lo, s45, v16, vcc_lo
	s_addc_u32 s23, s7, s29
	s_add_i32 s7, s22, s6
	s_mul_i32 s6, s24, s15
	v_add_co_u32 v17, vcc_lo, s13, v17
	s_lshl_b64 s[6:7], s[6:7], 1
	v_add_co_ci_u32_e32 v18, vcc_lo, s23, v18, vcc_lo
	s_lshl_b64 s[22:23], s[26:27], 1
	s_add_u32 s6, s20, s6
	s_addc_u32 s7, s21, s7
	s_add_u32 s6, s6, s18
	s_addc_u32 s7, s7, s19
	;; [unrolled: 2-line block ×3, first 2 shown]
	v_add_co_u32 v7, vcc_lo, s6, v7
	v_and_b32_e32 v24, 28, v29
	v_cmp_gt_u32_e64 s4, 8, v0
	v_cmp_eq_u32_e64 s5, 0, v0
	v_mov_b32_e32 v0, 0
	v_add_co_ci_u32_e32 v8, vcc_lo, s7, v8, vcc_lo
	s_lshl_b64 s[16:17], s[24:25], 1
	s_branch .LBB400_58
.LBB400_57:                             ;   in Loop: Header=BB400_58 Depth=1
	s_or_b32 exec_lo, exec_lo, s6
	v_add_co_u32 v7, vcc_lo, v7, s16
	v_add_co_ci_u32_e32 v8, vcc_lo, s17, v8, vcc_lo
	s_add_i32 s15, s15, 1
	s_delay_alu instid0(SALU_CYCLE_1)
	s_cmp_ge_i32 s15, s9
	s_cbranch_scc1 .LBB400_79
.LBB400_58:                             ; =>This Loop Header: Depth=1
                                        ;     Child Loop BB400_71 Depth 2
                                        ;     Child Loop BB400_74 Depth 2
	v_mov_b32_e32 v25, s35
	s_and_saveexec_b32 s6, s0
	s_delay_alu instid0(SALU_CYCLE_1)
	s_xor_b32 s6, exec_lo, s6
	s_cbranch_execnz .LBB400_67
; %bb.59:                               ;   in Loop: Header=BB400_58 Depth=1
	s_and_not1_saveexec_b32 s13, s6
	s_cbranch_execnz .LBB400_68
.LBB400_60:                             ;   in Loop: Header=BB400_58 Depth=1
	s_or_b32 exec_lo, exec_lo, s13
	s_and_saveexec_b32 s6, s2
	s_cbranch_execz .LBB400_62
.LBB400_61:                             ;   in Loop: Header=BB400_58 Depth=1
	ds_store_b32 v21, v0
.LBB400_62:                             ;   in Loop: Header=BB400_58 Depth=1
	s_or_b32 exec_lo, exec_lo, s6
	s_waitcnt lgkmcnt(0)
	ds_bpermute_b32 v19, v22, v25
	s_waitcnt lgkmcnt(0)
	s_waitcnt_vscnt null, 0x0
	s_barrier
	buffer_gl0_inv
	v_add_f32_e32 v19, v25, v19
	ds_bpermute_b32 v20, v23, v19
	s_waitcnt lgkmcnt(0)
	v_add_f32_e32 v19, v19, v20
	ds_bpermute_b32 v20, v30, v19
	s_waitcnt lgkmcnt(0)
	;; [unrolled: 3-line block ×3, first 2 shown]
	v_add_f32_e32 v19, v19, v20
	ds_bpermute_b32 v20, v31, v19
	s_and_saveexec_b32 s6, s3
	s_cbranch_execz .LBB400_64
; %bb.63:                               ;   in Loop: Header=BB400_58 Depth=1
	s_waitcnt lgkmcnt(0)
	v_add_f32_e32 v19, v19, v20
	ds_store_b32 v24, v19
.LBB400_64:                             ;   in Loop: Header=BB400_58 Depth=1
	s_or_b32 exec_lo, exec_lo, s6
	v_mov_b32_e32 v19, 0
	s_waitcnt lgkmcnt(0)
	s_barrier
	buffer_gl0_inv
	s_and_saveexec_b32 s6, s4
	s_cbranch_execnz .LBB400_76
; %bb.65:                               ;   in Loop: Header=BB400_58 Depth=1
	s_or_b32 exec_lo, exec_lo, s6
	s_and_saveexec_b32 s6, s2
	s_cbranch_execnz .LBB400_77
.LBB400_66:                             ;   in Loop: Header=BB400_58 Depth=1
	s_or_b32 exec_lo, exec_lo, s6
	s_and_saveexec_b32 s6, s5
	s_cbranch_execz .LBB400_57
	s_branch .LBB400_78
.LBB400_67:                             ;   in Loop: Header=BB400_58 Depth=1
	s_mul_i32 s7, s15, s25
	s_mul_hi_u32 s13, s15, s24
	s_mul_i32 s18, s15, s24
	s_add_i32 s19, s13, s7
	s_delay_alu instid0(SALU_CYCLE_1) | instskip(NEXT) | instid1(SALU_CYCLE_1)
	s_lshl_b64 s[18:19], s[18:19], 1
	v_add_co_u32 v1, vcc_lo, v5, s18
	v_add_co_ci_u32_e32 v2, vcc_lo, s19, v6, vcc_lo
	s_waitcnt lgkmcnt(0)
	global_load_b64 v[19:20], v[1:2], off
	s_clause 0x3
	global_load_u16 v1, v[9:10], off
	global_load_u16 v2, v[11:12], off
	global_load_u16 v3, v[13:14], off
	global_load_u16 v25, v[15:16], off
	s_waitcnt vmcnt(3)
	v_fma_mix_f32 v4, v1, v19, 0 op_sel_hi:[1,1,0]
	v_cvt_f32_f16_e32 v1, v1
	s_waitcnt vmcnt(2)
	s_delay_alu instid0(VALU_DEP_2) | instskip(SKIP_2) | instid1(VALU_DEP_2)
	v_fma_mix_f32 v4, v2, v19, v4 op_sel:[0,1,0] op_sel_hi:[1,1,0]
	v_cvt_f32_f16_e32 v2, v2
	s_waitcnt vmcnt(1)
	v_fma_mix_f32 v19, v3, v20, v4 op_sel_hi:[1,1,0]
	v_cvt_f32_f16_e32 v3, v3
	s_waitcnt vmcnt(0)
	v_cvt_f32_f16_e32 v4, v25
	s_delay_alu instid0(VALU_DEP_3)
	v_fma_mix_f32 v25, v25, v20, v19 op_sel:[0,1,0] op_sel_hi:[1,1,0]
	s_and_not1_saveexec_b32 s13, s6
	s_cbranch_execz .LBB400_60
.LBB400_68:                             ;   in Loop: Header=BB400_58 Depth=1
	s_and_saveexec_b32 s20, s1
	s_cbranch_execz .LBB400_75
; %bb.69:                               ;   in Loop: Header=BB400_58 Depth=1
	s_and_not1_b32 vcc_lo, exec_lo, s8
	s_cbranch_vccnz .LBB400_72
; %bb.70:                               ;   in Loop: Header=BB400_58 Depth=1
	s_waitcnt lgkmcnt(0)
	v_dual_mov_b32 v20, v18 :: v_dual_mov_b32 v19, v17
	s_mov_b64 s[18:19], 0
	.p2align	6
.LBB400_71:                             ;   Parent Loop BB400_58 Depth=1
                                        ; =>  This Inner Loop Header: Depth=2
	global_load_u16 v26, v[19:20], off
	v_add_co_u32 v19, vcc_lo, v19, s22
	s_cmp_eq_u32 s18, 3
	v_add_co_ci_u32_e32 v20, vcc_lo, s23, v20, vcc_lo
	s_cselect_b32 vcc_lo, -1, 0
	s_cmp_eq_u32 s18, 2
	s_cselect_b32 s6, -1, 0
	s_cmp_eq_u32 s18, 1
	s_cselect_b32 s7, -1, 0
	s_cmp_eq_u32 s18, 0
	s_waitcnt vmcnt(0)
	v_cvt_f32_f16_e32 v26, v26
	s_delay_alu instid0(VALU_DEP_1)
	v_cndmask_b32_e32 v4, v4, v26, vcc_lo
	s_cselect_b32 vcc_lo, -1, 0
	v_cndmask_b32_e64 v3, v3, v26, s6
	v_cndmask_b32_e64 v2, v2, v26, s7
	v_cndmask_b32_e32 v1, v1, v26, vcc_lo
	s_add_u32 s18, s18, 1
	s_addc_u32 s19, s19, 0
	s_cmp_eq_u32 s11, s18
	s_cbranch_scc0 .LBB400_71
.LBB400_72:                             ;   in Loop: Header=BB400_58 Depth=1
	s_and_not1_b32 vcc_lo, exec_lo, s8
	s_cbranch_vccnz .LBB400_75
; %bb.73:                               ;   in Loop: Header=BB400_58 Depth=1
	s_waitcnt lgkmcnt(0)
	v_dual_mov_b32 v20, v8 :: v_dual_mov_b32 v19, v7
	s_mov_b64 s[6:7], 0
	.p2align	6
.LBB400_74:                             ;   Parent Loop BB400_58 Depth=1
                                        ; =>  This Inner Loop Header: Depth=2
	global_load_u16 v26, v[19:20], off
	s_cmp_eq_u32 s6, 1
	s_cselect_b32 vcc_lo, -1, 0
	s_cmp_eq_u32 s6, 2
	v_cndmask_b32_e32 v28, v1, v2, vcc_lo
	s_cselect_b32 vcc_lo, -1, 0
	s_cmp_eq_u32 s6, 3
	s_delay_alu instid0(VALU_DEP_1)
	v_cndmask_b32_e32 v28, v28, v3, vcc_lo
	s_cselect_b32 vcc_lo, -1, 0
	s_add_u32 s6, s6, 1
	s_addc_u32 s7, s7, 0
	s_cmp_lg_u32 s11, s6
	v_cndmask_b32_e32 v28, v28, v4, vcc_lo
	v_add_co_u32 v19, vcc_lo, v19, 2
	v_add_co_ci_u32_e32 v20, vcc_lo, 0, v20, vcc_lo
	s_waitcnt vmcnt(0)
	s_delay_alu instid0(VALU_DEP_3)
	v_fma_mix_f32 v25, v28, v26, v25 op_sel_hi:[0,1,0]
	s_cbranch_scc1 .LBB400_74
.LBB400_75:                             ;   in Loop: Header=BB400_58 Depth=1
	s_or_b32 exec_lo, exec_lo, s20
	s_delay_alu instid0(SALU_CYCLE_1)
	s_or_b32 exec_lo, exec_lo, s13
	s_and_saveexec_b32 s6, s2
	s_cbranch_execnz .LBB400_61
	s_branch .LBB400_62
.LBB400_76:                             ;   in Loop: Header=BB400_58 Depth=1
	ds_load_b32 v19, v21
	s_or_b32 exec_lo, exec_lo, s6
	s_and_saveexec_b32 s6, s2
	s_cbranch_execz .LBB400_66
.LBB400_77:                             ;   in Loop: Header=BB400_58 Depth=1
	s_waitcnt lgkmcnt(0)
	ds_bpermute_b32 v20, v30, v19
	s_waitcnt lgkmcnt(0)
	v_add_f32_e32 v19, v19, v20
	ds_bpermute_b32 v20, v27, v19
	s_waitcnt lgkmcnt(0)
	v_add_f32_e32 v19, v19, v20
	ds_bpermute_b32 v20, v31, v19
	s_waitcnt lgkmcnt(0)
	v_add_f32_e32 v19, v19, v20
	s_or_b32 exec_lo, exec_lo, s6
	s_and_saveexec_b32 s6, s5
	s_cbranch_execz .LBB400_57
.LBB400_78:                             ;   in Loop: Header=BB400_58 Depth=1
	s_mul_hi_u32 s19, s15, s12
	s_mul_i32 s18, s15, s12
	s_waitcnt lgkmcnt(0)
	v_mul_f32_e32 v19, s10, v19
	s_lshl_b64 s[18:19], s[18:19], 2
	s_delay_alu instid0(SALU_CYCLE_1)
	s_add_u32 s18, s14, s18
	s_addc_u32 s19, s33, s19
	global_store_b32 v0, v19, s[18:19]
	s_branch .LBB400_57
.LBB400_79:
	s_nop 0
	s_sendmsg sendmsg(MSG_DEALLOC_VGPRS)
	s_endpgm
	.section	.rodata,"a",@progbits
	.p2align	6, 0x0
	.amdhsa_kernel _ZL23rocblas_gemvt_sn_kernelILb0ELi256ELi4ElDF16_ffEviiT4_lPKT3_lilS3_lilPT5_i
		.amdhsa_group_segment_fixed_size 128
		.amdhsa_private_segment_fixed_size 0
		.amdhsa_kernarg_size 360
		.amdhsa_user_sgpr_count 14
		.amdhsa_user_sgpr_dispatch_ptr 0
		.amdhsa_user_sgpr_queue_ptr 0
		.amdhsa_user_sgpr_kernarg_segment_ptr 1
		.amdhsa_user_sgpr_dispatch_id 0
		.amdhsa_user_sgpr_private_segment_size 0
		.amdhsa_wavefront_size32 1
		.amdhsa_uses_dynamic_stack 0
		.amdhsa_enable_private_segment 0
		.amdhsa_system_sgpr_workgroup_id_x 1
		.amdhsa_system_sgpr_workgroup_id_y 0
		.amdhsa_system_sgpr_workgroup_id_z 1
		.amdhsa_system_sgpr_workgroup_info 0
		.amdhsa_system_vgpr_workitem_id 0
		.amdhsa_next_free_vgpr 51
		.amdhsa_next_free_sgpr 56
		.amdhsa_reserve_vcc 1
		.amdhsa_float_round_mode_32 0
		.amdhsa_float_round_mode_16_64 0
		.amdhsa_float_denorm_mode_32 3
		.amdhsa_float_denorm_mode_16_64 3
		.amdhsa_dx10_clamp 1
		.amdhsa_ieee_mode 1
		.amdhsa_fp16_overflow 0
		.amdhsa_workgroup_processor_mode 1
		.amdhsa_memory_ordered 1
		.amdhsa_forward_progress 0
		.amdhsa_shared_vgpr_count 0
		.amdhsa_exception_fp_ieee_invalid_op 0
		.amdhsa_exception_fp_denorm_src 0
		.amdhsa_exception_fp_ieee_div_zero 0
		.amdhsa_exception_fp_ieee_overflow 0
		.amdhsa_exception_fp_ieee_underflow 0
		.amdhsa_exception_fp_ieee_inexact 0
		.amdhsa_exception_int_div_zero 0
	.end_amdhsa_kernel
	.section	.text._ZL23rocblas_gemvt_sn_kernelILb0ELi256ELi4ElDF16_ffEviiT4_lPKT3_lilS3_lilPT5_i,"axG",@progbits,_ZL23rocblas_gemvt_sn_kernelILb0ELi256ELi4ElDF16_ffEviiT4_lPKT3_lilS3_lilPT5_i,comdat
.Lfunc_end400:
	.size	_ZL23rocblas_gemvt_sn_kernelILb0ELi256ELi4ElDF16_ffEviiT4_lPKT3_lilS3_lilPT5_i, .Lfunc_end400-_ZL23rocblas_gemvt_sn_kernelILb0ELi256ELi4ElDF16_ffEviiT4_lPKT3_lilS3_lilPT5_i
                                        ; -- End function
	.section	.AMDGPU.csdata,"",@progbits
; Kernel info:
; codeLenInByte = 4268
; NumSgprs: 58
; NumVgprs: 51
; ScratchSize: 0
; MemoryBound: 0
; FloatMode: 240
; IeeeMode: 1
; LDSByteSize: 128 bytes/workgroup (compile time only)
; SGPRBlocks: 7
; VGPRBlocks: 6
; NumSGPRsForWavesPerEU: 58
; NumVGPRsForWavesPerEU: 51
; Occupancy: 16
; WaveLimiterHint : 1
; COMPUTE_PGM_RSRC2:SCRATCH_EN: 0
; COMPUTE_PGM_RSRC2:USER_SGPR: 14
; COMPUTE_PGM_RSRC2:TRAP_HANDLER: 0
; COMPUTE_PGM_RSRC2:TGID_X_EN: 1
; COMPUTE_PGM_RSRC2:TGID_Y_EN: 0
; COMPUTE_PGM_RSRC2:TGID_Z_EN: 1
; COMPUTE_PGM_RSRC2:TIDIG_COMP_CNT: 0
	.section	.text._ZL23rocblas_gemvt_sn_reduceILi256ELi8EffDF16_EviT2_lPT3_lilPT1_i,"axG",@progbits,_ZL23rocblas_gemvt_sn_reduceILi256ELi8EffDF16_EviT2_lPT3_lilPT1_i,comdat
	.globl	_ZL23rocblas_gemvt_sn_reduceILi256ELi8EffDF16_EviT2_lPT3_lilPT1_i ; -- Begin function _ZL23rocblas_gemvt_sn_reduceILi256ELi8EffDF16_EviT2_lPT3_lilPT1_i
	.p2align	8
	.type	_ZL23rocblas_gemvt_sn_reduceILi256ELi8EffDF16_EviT2_lPT3_lilPT1_i,@function
_ZL23rocblas_gemvt_sn_reduceILi256ELi8EffDF16_EviT2_lPT3_lilPT1_i: ; @_ZL23rocblas_gemvt_sn_reduceILi256ELi8EffDF16_EviT2_lPT3_lilPT1_i
; %bb.0:
	s_clause 0x2
	s_load_b64 s[4:5], s[0:1], 0x0
	s_load_b32 s2, s[0:1], 0x44
	s_load_b64 s[6:7], s[0:1], 0x30
	v_dual_mov_b32 v3, 0 :: v_dual_lshlrev_b32 v4, 3, v0
	s_waitcnt lgkmcnt(0)
	s_ashr_i32 s8, s4, 31
	s_mul_i32 s9, s2, s15
	s_add_u32 s2, s0, 64
	s_addc_u32 s3, s1, 0
	s_lshr_b32 s10, s8, 29
	s_add_i32 s11, s9, s14
	s_add_i32 s9, s4, s10
	s_mul_i32 s8, s11, s8
	s_and_b32 s10, s9, -8
	s_mul_hi_u32 s9, s11, s4
	s_delay_alu instid0(SALU_CYCLE_1)
	s_add_i32 s9, s9, s8
	s_mul_i32 s8, s11, s4
	s_mov_b32 s11, exec_lo
	v_cmpx_gt_i32_e64 s10, v4
	s_cbranch_execz .LBB401_4
; %bb.1:
	s_load_b32 s2, s[2:3], 0xc
	v_lshlrev_b32_e32 v1, 5, v0
	s_lshl_b64 s[12:13], s[8:9], 2
	v_mov_b32_e32 v3, 0
	s_waitcnt lgkmcnt(0)
	s_and_b32 s2, s2, 0xffff
	s_delay_alu instid0(SALU_CYCLE_1) | instskip(SKIP_3) | instid1(VALU_DEP_1)
	s_lshl_b32 s3, s2, 3
	s_add_u32 s12, s6, s12
	s_addc_u32 s13, s7, s13
	v_add_co_u32 v1, s12, s12, v1
	v_add_co_ci_u32_e64 v2, null, s13, 0, s12
	s_mov_b32 s12, 0
	s_delay_alu instid0(VALU_DEP_2) | instskip(NEXT) | instid1(VALU_DEP_2)
	v_add_co_u32 v1, vcc_lo, v1, 28
	v_add_co_ci_u32_e32 v2, vcc_lo, 0, v2, vcc_lo
	s_lshl_b32 s13, s2, 5
	.p2align	6
.LBB401_2:                              ; =>This Inner Loop Header: Depth=1
	s_clause 0x1
	global_load_b128 v[5:8], v[1:2], off offset:-28
	global_load_b128 v[9:12], v[1:2], off offset:-12
	v_add_co_u32 v1, vcc_lo, v1, s13
	v_add_co_ci_u32_e32 v2, vcc_lo, 0, v2, vcc_lo
	v_add_nc_u32_e32 v4, s3, v4
	s_delay_alu instid0(VALU_DEP_1) | instskip(NEXT) | instid1(VALU_DEP_1)
	v_cmp_le_i32_e64 s2, s10, v4
	s_or_b32 s12, s2, s12
	s_waitcnt vmcnt(1)
	v_add_f32_e32 v3, v3, v5
	s_delay_alu instid0(VALU_DEP_1) | instskip(NEXT) | instid1(VALU_DEP_1)
	v_add_f32_e32 v3, v3, v6
	v_add_f32_e32 v3, v3, v7
	s_delay_alu instid0(VALU_DEP_1) | instskip(SKIP_1) | instid1(VALU_DEP_1)
	v_add_f32_e32 v3, v3, v8
	s_waitcnt vmcnt(0)
	v_add_f32_e32 v3, v3, v9
	s_delay_alu instid0(VALU_DEP_1) | instskip(NEXT) | instid1(VALU_DEP_1)
	v_add_f32_e32 v3, v3, v10
	v_add_f32_e32 v3, v3, v11
	s_delay_alu instid0(VALU_DEP_1)
	v_add_f32_e32 v3, v3, v12
	s_and_not1_b32 exec_lo, exec_lo, s12
	s_cbranch_execnz .LBB401_2
; %bb.3:
	s_or_b32 exec_lo, exec_lo, s12
.LBB401_4:
	s_delay_alu instid0(SALU_CYCLE_1) | instskip(SKIP_1) | instid1(SALU_CYCLE_1)
	s_or_b32 exec_lo, exec_lo, s11
	s_sub_i32 s2, s4, s10
	v_cmp_gt_u32_e32 vcc_lo, s2, v0
	s_and_saveexec_b32 s2, vcc_lo
	s_cbranch_execz .LBB401_6
; %bb.5:
	v_xad_u32 v1, v0, -1, s4
	v_mov_b32_e32 v2, 0
	s_lshl_b64 s[8:9], s[8:9], 2
	s_delay_alu instid0(SALU_CYCLE_1) | instskip(SKIP_1) | instid1(VALU_DEP_1)
	s_add_u32 s3, s6, s8
	s_addc_u32 s4, s7, s9
	v_lshlrev_b64 v[1:2], 2, v[1:2]
	s_delay_alu instid0(VALU_DEP_1) | instskip(NEXT) | instid1(VALU_DEP_2)
	v_add_co_u32 v1, vcc_lo, s3, v1
	v_add_co_ci_u32_e32 v2, vcc_lo, s4, v2, vcc_lo
	global_load_b32 v1, v[1:2], off
	s_waitcnt vmcnt(0)
	v_add_f32_e32 v3, v3, v1
.LBB401_6:
	s_or_b32 exec_lo, exec_lo, s2
	v_and_b32_e32 v1, 31, v0
	v_cmp_gt_u32_e32 vcc_lo, 32, v0
	s_delay_alu instid0(VALU_DEP_2)
	v_lshlrev_b32_e32 v2, 2, v1
	s_and_saveexec_b32 s2, vcc_lo
	s_cbranch_execz .LBB401_8
; %bb.7:
	v_mov_b32_e32 v4, 0
	ds_store_b32 v2, v4
.LBB401_8:
	s_or_b32 exec_lo, exec_lo, s2
	v_mbcnt_lo_u32_b32 v5, -1, 0
	s_mov_b32 s3, exec_lo
	s_waitcnt lgkmcnt(0)
	s_barrier
	buffer_gl0_inv
	v_cmp_gt_u32_e64 s2, 16, v5
	s_delay_alu instid0(VALU_DEP_1) | instskip(SKIP_1) | instid1(VALU_DEP_2)
	v_cndmask_b32_e64 v4, 0, 1, s2
	v_cmp_gt_u32_e64 s2, 24, v5
	v_lshlrev_b32_e32 v4, 4, v4
	s_delay_alu instid0(VALU_DEP_2) | instskip(SKIP_1) | instid1(VALU_DEP_3)
	v_cndmask_b32_e64 v6, 0, 1, s2
	v_cmp_gt_u32_e64 s2, 28, v5
	v_add_lshl_u32 v4, v4, v5, 2
	s_delay_alu instid0(VALU_DEP_3)
	v_lshlrev_b32_e32 v6, 3, v6
	ds_bpermute_b32 v4, v4, v3
	v_add_lshl_u32 v6, v6, v5, 2
	s_waitcnt lgkmcnt(0)
	v_add_f32_e32 v4, v3, v4
	v_cndmask_b32_e64 v3, 0, 1, s2
	v_cmp_gt_u32_e64 s2, 30, v5
	s_delay_alu instid0(VALU_DEP_2)
	v_lshlrev_b32_e32 v3, 2, v3
	ds_bpermute_b32 v6, v6, v4
	v_add_lshl_u32 v3, v3, v5, 2
	s_waitcnt lgkmcnt(0)
	v_add_f32_e32 v6, v4, v6
	v_cndmask_b32_e64 v4, 0, 1, s2
	v_cmp_ne_u32_e64 s2, 31, v5
	s_delay_alu instid0(VALU_DEP_2) | instskip(NEXT) | instid1(VALU_DEP_1)
	v_lshlrev_b32_e32 v4, 1, v4
	v_add_lshl_u32 v4, v4, v5, 2
	s_delay_alu instid0(VALU_DEP_3) | instskip(NEXT) | instid1(VALU_DEP_1)
	v_add_co_ci_u32_e64 v5, s2, 0, v5, s2
	v_lshlrev_b32_e32 v5, 2, v5
	ds_bpermute_b32 v7, v3, v6
	s_waitcnt lgkmcnt(0)
	v_add_f32_e32 v6, v6, v7
	ds_bpermute_b32 v7, v4, v6
	s_waitcnt lgkmcnt(0)
	v_add_f32_e32 v6, v6, v7
	ds_bpermute_b32 v7, v5, v6
	v_cmpx_eq_u32_e32 0, v1
	s_cbranch_execz .LBB401_10
; %bb.9:
	v_lshrrev_b32_e32 v1, 3, v0
	s_waitcnt lgkmcnt(0)
	s_delay_alu instid0(VALU_DEP_1)
	v_dual_add_f32 v6, v6, v7 :: v_dual_and_b32 v1, 28, v1
	ds_store_b32 v1, v6
.LBB401_10:
	s_or_b32 exec_lo, exec_lo, s3
	v_mov_b32_e32 v1, 0
	s_mov_b32 s3, exec_lo
	s_waitcnt lgkmcnt(0)
	s_barrier
	buffer_gl0_inv
	v_cmpx_gt_u32_e32 8, v0
	s_cbranch_execz .LBB401_12
; %bb.11:
	ds_load_b32 v1, v2
.LBB401_12:
	s_or_b32 exec_lo, exec_lo, s3
	s_and_saveexec_b32 s2, vcc_lo
	s_cbranch_execz .LBB401_14
; %bb.13:
	s_waitcnt lgkmcnt(0)
	ds_bpermute_b32 v2, v3, v1
	s_waitcnt lgkmcnt(0)
	v_add_f32_e32 v1, v1, v2
	ds_bpermute_b32 v2, v4, v1
	s_waitcnt lgkmcnt(0)
	v_add_f32_e32 v1, v1, v2
	ds_bpermute_b32 v2, v5, v1
	s_waitcnt lgkmcnt(0)
	v_add_f32_e32 v1, v1, v2
.LBB401_14:
	s_or_b32 exec_lo, exec_lo, s2
	s_delay_alu instid0(SALU_CYCLE_1)
	s_mov_b32 s2, exec_lo
	v_cmpx_eq_u32_e32 0, v0
	s_cbranch_execz .LBB401_18
; %bb.15:
	s_clause 0x2
	s_load_b64 s[6:7], s[0:1], 0x28
	s_load_b32 s4, s[0:1], 0x20
	s_load_b128 s[0:3], s[0:1], 0x10
	v_cmp_eq_f32_e64 s8, s5, 0
	s_waitcnt lgkmcnt(0)
	s_mul_i32 s7, s15, s7
	s_mul_hi_u32 s9, s15, s6
	s_mul_i32 s6, s15, s6
	s_add_i32 s7, s9, s7
	s_ashr_i32 s9, s4, 31
	s_lshl_b64 s[6:7], s[6:7], 1
	s_mul_hi_u32 s10, s4, s14
	s_add_u32 s6, s0, s6
	s_addc_u32 s7, s1, s7
	s_lshl_b64 s[0:1], s[2:3], 1
	s_mul_i32 s9, s9, s14
	s_add_u32 s2, s6, s0
	s_addc_u32 s3, s7, s1
	s_add_i32 s1, s10, s9
	s_and_b32 vcc_lo, exec_lo, s8
	s_mul_i32 s0, s4, s14
	s_cbranch_vccnz .LBB401_17
; %bb.16:
	s_lshl_b64 s[6:7], s[0:1], 1
	v_mov_b32_e32 v0, 0
	s_add_u32 s6, s2, s6
	s_addc_u32 s7, s3, s7
	global_load_u16 v0, v0, s[6:7]
	s_waitcnt vmcnt(0)
	v_fma_mix_f32 v1, v0, s5, v1 op_sel_hi:[1,0,0]
.LBB401_17:
	s_delay_alu instid0(VALU_DEP_1)
	v_cvt_f16_f32_e32 v0, v1
	s_lshl_b64 s[0:1], s[0:1], 1
	v_mov_b32_e32 v1, 0
	s_add_u32 s0, s2, s0
	s_addc_u32 s1, s3, s1
	global_store_b16 v1, v0, s[0:1]
.LBB401_18:
	s_nop 0
	s_sendmsg sendmsg(MSG_DEALLOC_VGPRS)
	s_endpgm
	.section	.rodata,"a",@progbits
	.p2align	6, 0x0
	.amdhsa_kernel _ZL23rocblas_gemvt_sn_reduceILi256ELi8EffDF16_EviT2_lPT3_lilPT1_i
		.amdhsa_group_segment_fixed_size 128
		.amdhsa_private_segment_fixed_size 0
		.amdhsa_kernarg_size 320
		.amdhsa_user_sgpr_count 13
		.amdhsa_user_sgpr_dispatch_ptr 0
		.amdhsa_user_sgpr_queue_ptr 0
		.amdhsa_user_sgpr_kernarg_segment_ptr 1
		.amdhsa_user_sgpr_dispatch_id 0
		.amdhsa_user_sgpr_private_segment_size 0
		.amdhsa_wavefront_size32 1
		.amdhsa_uses_dynamic_stack 0
		.amdhsa_enable_private_segment 0
		.amdhsa_system_sgpr_workgroup_id_x 1
		.amdhsa_system_sgpr_workgroup_id_y 1
		.amdhsa_system_sgpr_workgroup_id_z 1
		.amdhsa_system_sgpr_workgroup_info 0
		.amdhsa_system_vgpr_workitem_id 0
		.amdhsa_next_free_vgpr 13
		.amdhsa_next_free_sgpr 16
		.amdhsa_reserve_vcc 1
		.amdhsa_float_round_mode_32 0
		.amdhsa_float_round_mode_16_64 0
		.amdhsa_float_denorm_mode_32 3
		.amdhsa_float_denorm_mode_16_64 3
		.amdhsa_dx10_clamp 1
		.amdhsa_ieee_mode 1
		.amdhsa_fp16_overflow 0
		.amdhsa_workgroup_processor_mode 1
		.amdhsa_memory_ordered 1
		.amdhsa_forward_progress 0
		.amdhsa_shared_vgpr_count 0
		.amdhsa_exception_fp_ieee_invalid_op 0
		.amdhsa_exception_fp_denorm_src 0
		.amdhsa_exception_fp_ieee_div_zero 0
		.amdhsa_exception_fp_ieee_overflow 0
		.amdhsa_exception_fp_ieee_underflow 0
		.amdhsa_exception_fp_ieee_inexact 0
		.amdhsa_exception_int_div_zero 0
	.end_amdhsa_kernel
	.section	.text._ZL23rocblas_gemvt_sn_reduceILi256ELi8EffDF16_EviT2_lPT3_lilPT1_i,"axG",@progbits,_ZL23rocblas_gemvt_sn_reduceILi256ELi8EffDF16_EviT2_lPT3_lilPT1_i,comdat
.Lfunc_end401:
	.size	_ZL23rocblas_gemvt_sn_reduceILi256ELi8EffDF16_EviT2_lPT3_lilPT1_i, .Lfunc_end401-_ZL23rocblas_gemvt_sn_reduceILi256ELi8EffDF16_EviT2_lPT3_lilPT1_i
                                        ; -- End function
	.section	.AMDGPU.csdata,"",@progbits
; Kernel info:
; codeLenInByte = 1060
; NumSgprs: 18
; NumVgprs: 13
; ScratchSize: 0
; MemoryBound: 0
; FloatMode: 240
; IeeeMode: 1
; LDSByteSize: 128 bytes/workgroup (compile time only)
; SGPRBlocks: 2
; VGPRBlocks: 1
; NumSGPRsForWavesPerEU: 18
; NumVGPRsForWavesPerEU: 13
; Occupancy: 16
; WaveLimiterHint : 0
; COMPUTE_PGM_RSRC2:SCRATCH_EN: 0
; COMPUTE_PGM_RSRC2:USER_SGPR: 13
; COMPUTE_PGM_RSRC2:TRAP_HANDLER: 0
; COMPUTE_PGM_RSRC2:TGID_X_EN: 1
; COMPUTE_PGM_RSRC2:TGID_Y_EN: 1
; COMPUTE_PGM_RSRC2:TGID_Z_EN: 1
; COMPUTE_PGM_RSRC2:TIDIG_COMP_CNT: 0
	.section	.text._ZL32rocblas_gemvt_warp_reduce_kernelILb0ELi256EiDF16_PKfDF16_EviiT3_lPKT2_lT1_lS5_lS6_lS2_lPT4_lS6_li,"axG",@progbits,_ZL32rocblas_gemvt_warp_reduce_kernelILb0ELi256EiDF16_PKfDF16_EviiT3_lPKT2_lT1_lS5_lS6_lS2_lPT4_lS6_li,comdat
	.globl	_ZL32rocblas_gemvt_warp_reduce_kernelILb0ELi256EiDF16_PKfDF16_EviiT3_lPKT2_lT1_lS5_lS6_lS2_lPT4_lS6_li ; -- Begin function _ZL32rocblas_gemvt_warp_reduce_kernelILb0ELi256EiDF16_PKfDF16_EviiT3_lPKT2_lT1_lS5_lS6_lS2_lPT4_lS6_li
	.p2align	8
	.type	_ZL32rocblas_gemvt_warp_reduce_kernelILb0ELi256EiDF16_PKfDF16_EviiT3_lPKT2_lT1_lS5_lS6_lS2_lPT4_lS6_li,@function
_ZL32rocblas_gemvt_warp_reduce_kernelILb0ELi256EiDF16_PKfDF16_EviiT3_lPKT2_lT1_lS5_lS6_lS2_lPT4_lS6_li: ; @_ZL32rocblas_gemvt_warp_reduce_kernelILb0ELi256EiDF16_PKfDF16_EviiT3_lPKT2_lT1_lS5_lS6_lS2_lPT4_lS6_li
; %bb.0:
	s_clause 0x1
	s_load_b256 s[4:11], s[0:1], 0x8
	s_load_b256 s[16:23], s[0:1], 0x50
	s_mov_b32 s13, 0
	s_waitcnt lgkmcnt(0)
	s_mul_i32 s3, s15, s7
	s_mul_hi_u32 s7, s15, s6
	s_mul_i32 s2, s15, s6
	s_add_i32 s3, s7, s3
	s_mul_i32 s6, s15, s21
	s_lshl_b64 s[2:3], s[2:3], 2
	s_mul_hi_u32 s7, s15, s20
	s_add_u32 s2, s4, s2
	s_addc_u32 s3, s5, s3
	s_add_i32 s5, s7, s6
	s_mul_i32 s4, s15, s20
	s_delay_alu instid0(SALU_CYCLE_1) | instskip(NEXT) | instid1(SALU_CYCLE_1)
	s_lshl_b64 s[4:5], s[4:5], 2
	s_add_u32 s4, s18, s4
	s_addc_u32 s5, s19, s5
	s_load_b32 s18, s[2:3], 0x0
	s_load_b32 s12, s[4:5], 0x0
	s_waitcnt lgkmcnt(0)
	v_cmp_eq_f32_e64 s2, s18, 0
	v_cmp_eq_f32_e64 s3, s12, 1.0
	s_delay_alu instid0(VALU_DEP_1) | instskip(NEXT) | instid1(SALU_CYCLE_1)
	s_and_b32 s2, s2, s3
	s_and_b32 vcc_lo, exec_lo, s2
	s_cbranch_vccnz .LBB402_30
; %bb.1:
	s_clause 0x2
	s_load_b64 s[2:3], s[0:1], 0x80
	s_load_b64 s[4:5], s[0:1], 0x70
	s_load_b32 s19, s[0:1], 0x78
	v_cmp_neq_f32_e64 s20, s18, 0
	s_waitcnt lgkmcnt(0)
	s_mul_i32 s3, s15, s3
	s_mul_hi_u32 s6, s15, s2
	s_mul_i32 s2, s15, s2
	s_add_i32 s3, s6, s3
	s_delay_alu instid0(SALU_CYCLE_1) | instskip(NEXT) | instid1(SALU_CYCLE_1)
	s_lshl_b64 s[2:3], s[2:3], 1
	s_add_u32 s6, s22, s2
	s_addc_u32 s7, s23, s3
	s_lshl_b64 s[2:3], s[4:5], 1
	s_delay_alu instid0(SALU_CYCLE_1)
	s_add_u32 s6, s6, s2
	v_cmp_eq_u32_e64 s2, 0, v0
	s_addc_u32 s7, s7, s3
	s_and_b32 vcc_lo, exec_lo, s20
	s_cbranch_vccnz .LBB402_5
; %bb.2:
	s_mov_b32 s3, 0
                                        ; implicit-def: $vgpr1
                                        ; implicit-def: $sgpr4_sgpr5
	s_and_saveexec_b32 s20, s2
	s_cbranch_execz .LBB402_6
; %bb.3:
	v_cmp_eq_f32_e64 s2, s12, 0
	s_mul_i32 s4, s14, s19
	s_delay_alu instid0(SALU_CYCLE_1) | instskip(NEXT) | instid1(VALU_DEP_1)
	s_ashr_i32 s5, s4, 31
	s_and_b32 vcc_lo, exec_lo, s2
	s_cbranch_vccnz .LBB402_7
; %bb.4:
	s_lshl_b64 s[22:23], s[4:5], 1
	v_mov_b32_e32 v1, 0
	s_add_u32 s22, s6, s22
	s_addc_u32 s23, s7, s23
	global_load_u16 v1, v1, s[22:23]
	s_waitcnt vmcnt(0)
	v_fma_mixlo_f16 v1, s12, v1, 0 op_sel_hi:[0,1,0]
	s_branch .LBB402_8
.LBB402_5:
                                        ; implicit-def: $vgpr1
                                        ; implicit-def: $sgpr4_sgpr5
	s_cbranch_execnz .LBB402_9
	s_branch .LBB402_28
.LBB402_6:
	s_or_b32 exec_lo, exec_lo, s20
	s_delay_alu instid0(SALU_CYCLE_1)
	s_and_b32 vcc_lo, exec_lo, s3
	s_cbranch_vccnz .LBB402_9
	s_branch .LBB402_28
.LBB402_7:
	v_mov_b32_e32 v1, 0
.LBB402_8:
	s_mov_b32 s13, exec_lo
	s_or_b32 exec_lo, exec_lo, s20
	s_delay_alu instid0(SALU_CYCLE_1)
	s_and_b32 vcc_lo, exec_lo, s3
	s_cbranch_vccz .LBB402_28
.LBB402_9:
	s_mul_i32 s3, s15, s17
	s_mul_hi_u32 s17, s15, s16
	s_mul_i32 s2, s15, s16
	s_add_i32 s3, s17, s3
	s_clause 0x2
	s_load_b128 s[20:23], s[0:1], 0x30
	s_load_b64 s[4:5], s[0:1], 0x40
	s_load_b32 s24, s[0:1], 0x28
	s_lshl_b64 s[16:17], s[2:3], 1
	s_clause 0x1
	s_load_b32 s3, s[0:1], 0x0
	s_load_b32 s1, s[0:1], 0x48
	v_mov_b32_e32 v7, 0
	s_waitcnt lgkmcnt(0)
	s_add_u32 s2, s22, s16
	s_addc_u32 s17, s23, s17
	s_lshl_b64 s[4:5], s[4:5], 1
	s_mul_i32 s21, s15, s21
	s_mul_hi_u32 s22, s15, s20
	s_add_u32 s4, s2, s4
	v_cmp_gt_i32_e32 vcc_lo, s3, v0
	s_mul_i32 s16, s15, s20
	s_addc_u32 s5, s17, s5
	s_add_i32 s17, s22, s21
	s_delay_alu instid0(SALU_CYCLE_1)
	s_lshl_b64 s[16:17], s[16:17], 1
	v_cndmask_b32_e32 v1, 0, v0, vcc_lo
	s_add_u32 s2, s8, s16
	s_addc_u32 s15, s9, s17
	s_lshl_b64 s[8:9], s[10:11], 1
	s_mul_i32 s10, s14, s24
	s_add_u32 s2, s2, s8
	s_addc_u32 s15, s15, s9
	s_ashr_i32 s11, s10, 31
	v_lshlrev_b32_e32 v1, 1, v1
	s_lshl_b64 s[8:9], s[10:11], 1
	s_delay_alu instid0(SALU_CYCLE_1)
	s_add_u32 s0, s8, s2
	s_addc_u32 s8, s9, s15
	s_ashr_i32 s2, s3, 31
	v_add_co_u32 v1, s0, s0, v1
	s_lshr_b32 s2, s2, 24
	v_add_co_ci_u32_e64 v2, null, s8, 0, s0
	s_add_i32 s2, s3, s2
	s_mov_b32 s9, 0
	s_and_b32 s2, s2, 0xffffff00
	s_mov_b32 s8, exec_lo
	v_cmpx_gt_i32_e64 s2, v0
	s_cbranch_execz .LBB402_13
; %bb.10:
	v_mul_lo_u32 v3, v0, s1
	v_dual_mov_b32 v7, 0 :: v_dual_mov_b32 v6, v2
	v_dual_mov_b32 v5, v1 :: v_dual_mov_b32 v8, v0
	s_lshl_b32 s10, s1, 8
	.p2align	6
.LBB402_11:                             ; =>This Inner Loop Header: Depth=1
	s_delay_alu instid0(VALU_DEP_3) | instskip(NEXT) | instid1(VALU_DEP_2)
	v_ashrrev_i32_e32 v4, 31, v3
	v_add_nc_u32_e32 v8, 0x100, v8
	s_delay_alu instid0(VALU_DEP_2) | instskip(NEXT) | instid1(VALU_DEP_2)
	v_lshlrev_b64 v[9:10], 1, v[3:4]
	v_cmp_le_i32_e64 s0, s2, v8
	v_add_nc_u32_e32 v3, s10, v3
	s_delay_alu instid0(VALU_DEP_2) | instskip(NEXT) | instid1(VALU_DEP_3)
	s_or_b32 s9, s0, s9
	v_add_co_u32 v9, vcc_lo, s4, v9
	s_delay_alu instid0(VALU_DEP_4)
	v_add_co_ci_u32_e32 v10, vcc_lo, s5, v10, vcc_lo
	global_load_u16 v4, v[5:6], off
	global_load_u16 v9, v[9:10], off
	v_add_co_u32 v5, vcc_lo, 0x200, v5
	v_add_co_ci_u32_e32 v6, vcc_lo, 0, v6, vcc_lo
	s_waitcnt vmcnt(0)
	v_mul_f16_e32 v4, v4, v9
	s_delay_alu instid0(VALU_DEP_1) | instskip(NEXT) | instid1(VALU_DEP_1)
	v_cvt_f32_f16_e32 v4, v4
	v_add_f32_e32 v7, v7, v4
	s_and_not1_b32 exec_lo, exec_lo, s9
	s_cbranch_execnz .LBB402_11
; %bb.12:
	s_or_b32 exec_lo, exec_lo, s9
.LBB402_13:
	s_delay_alu instid0(SALU_CYCLE_1) | instskip(SKIP_2) | instid1(VALU_DEP_1)
	s_or_b32 exec_lo, exec_lo, s8
	v_add_nc_u32_e32 v3, s2, v0
	s_mov_b32 s0, exec_lo
	v_cmpx_gt_i32_e64 s3, v3
	s_cbranch_execz .LBB402_15
; %bb.14:
	v_mul_lo_u32 v3, v3, s1
	s_ashr_i32 s3, s2, 31
	s_delay_alu instid0(SALU_CYCLE_1) | instskip(NEXT) | instid1(SALU_CYCLE_1)
	s_lshl_b64 s[2:3], s[2:3], 1
	v_add_co_u32 v1, vcc_lo, v1, s2
	v_add_co_ci_u32_e32 v2, vcc_lo, s3, v2, vcc_lo
	s_delay_alu instid0(VALU_DEP_3) | instskip(NEXT) | instid1(VALU_DEP_1)
	v_ashrrev_i32_e32 v4, 31, v3
	v_lshlrev_b64 v[3:4], 1, v[3:4]
	s_delay_alu instid0(VALU_DEP_1) | instskip(NEXT) | instid1(VALU_DEP_2)
	v_add_co_u32 v3, vcc_lo, s4, v3
	v_add_co_ci_u32_e32 v4, vcc_lo, s5, v4, vcc_lo
	global_load_u16 v1, v[1:2], off
	global_load_u16 v2, v[3:4], off
	s_waitcnt vmcnt(0)
	v_mul_f16_e32 v1, v1, v2
	s_delay_alu instid0(VALU_DEP_1) | instskip(NEXT) | instid1(VALU_DEP_1)
	v_cvt_f32_f16_e32 v1, v1
	v_add_f32_e32 v7, v7, v1
.LBB402_15:
	s_or_b32 exec_lo, exec_lo, s0
	v_and_b32_e32 v4, 31, v0
	v_cmp_gt_u32_e32 vcc_lo, 32, v0
	s_delay_alu instid0(VALU_DEP_2)
	v_lshlrev_b32_e32 v1, 2, v4
	s_and_saveexec_b32 s0, vcc_lo
	s_cbranch_execz .LBB402_17
; %bb.16:
	v_mov_b32_e32 v2, 0
	ds_store_b32 v1, v2
.LBB402_17:
	s_or_b32 exec_lo, exec_lo, s0
	v_mbcnt_lo_u32_b32 v5, -1, 0
	s_mov_b32 s1, exec_lo
	s_waitcnt lgkmcnt(0)
	s_barrier
	buffer_gl0_inv
	v_cmp_gt_u32_e64 s0, 16, v5
	s_delay_alu instid0(VALU_DEP_1) | instskip(SKIP_1) | instid1(VALU_DEP_2)
	v_cndmask_b32_e64 v2, 0, 1, s0
	v_cmp_gt_u32_e64 s0, 24, v5
	v_lshlrev_b32_e32 v2, 4, v2
	s_delay_alu instid0(VALU_DEP_2) | instskip(SKIP_1) | instid1(VALU_DEP_3)
	v_cndmask_b32_e64 v3, 0, 1, s0
	v_cmp_gt_u32_e64 s0, 28, v5
	v_add_lshl_u32 v2, v2, v5, 2
	ds_bpermute_b32 v2, v2, v7
	s_waitcnt lgkmcnt(0)
	v_dual_add_f32 v6, v7, v2 :: v_dual_lshlrev_b32 v3, 3, v3
	s_delay_alu instid0(VALU_DEP_1) | instskip(SKIP_4) | instid1(VALU_DEP_1)
	v_add_lshl_u32 v3, v3, v5, 2
	v_cndmask_b32_e64 v2, 0, 1, s0
	v_cmp_gt_u32_e64 s0, 30, v5
	ds_bpermute_b32 v3, v3, v6
	v_lshlrev_b32_e32 v2, 2, v2
	v_add_lshl_u32 v2, v2, v5, 2
	s_waitcnt lgkmcnt(0)
	v_add_f32_e32 v6, v6, v3
	v_cndmask_b32_e64 v3, 0, 1, s0
	v_cmp_ne_u32_e64 s0, 31, v5
	s_delay_alu instid0(VALU_DEP_2) | instskip(NEXT) | instid1(VALU_DEP_1)
	v_lshlrev_b32_e32 v3, 1, v3
	v_add_lshl_u32 v3, v3, v5, 2
	s_delay_alu instid0(VALU_DEP_3) | instskip(NEXT) | instid1(VALU_DEP_1)
	v_add_co_ci_u32_e64 v5, s0, 0, v5, s0
	v_lshlrev_b32_e32 v5, 2, v5
	ds_bpermute_b32 v7, v2, v6
	s_waitcnt lgkmcnt(0)
	v_add_f32_e32 v6, v6, v7
	ds_bpermute_b32 v7, v3, v6
	s_waitcnt lgkmcnt(0)
	v_add_f32_e32 v6, v6, v7
	ds_bpermute_b32 v7, v5, v6
	v_cmpx_eq_u32_e32 0, v4
	s_cbranch_execz .LBB402_19
; %bb.18:
	v_lshrrev_b32_e32 v4, 3, v0
	s_waitcnt lgkmcnt(0)
	v_add_f32_e32 v6, v6, v7
	s_delay_alu instid0(VALU_DEP_2)
	v_and_b32_e32 v4, 28, v4
	ds_store_b32 v4, v6
.LBB402_19:
	s_or_b32 exec_lo, exec_lo, s1
	v_mov_b32_e32 v4, 0
	s_mov_b32 s1, exec_lo
	s_waitcnt lgkmcnt(0)
	s_barrier
	buffer_gl0_inv
	v_cmpx_gt_u32_e32 8, v0
	s_cbranch_execz .LBB402_21
; %bb.20:
	ds_load_b32 v4, v1
.LBB402_21:
	s_or_b32 exec_lo, exec_lo, s1
	s_and_saveexec_b32 s0, vcc_lo
	s_cbranch_execz .LBB402_23
; %bb.22:
	s_waitcnt lgkmcnt(0)
	ds_bpermute_b32 v1, v2, v4
	s_waitcnt lgkmcnt(0)
	v_add_f32_e32 v1, v4, v1
	ds_bpermute_b32 v2, v3, v1
	s_waitcnt lgkmcnt(0)
	v_add_f32_e32 v1, v1, v2
	;; [unrolled: 3-line block ×3, first 2 shown]
.LBB402_23:
	s_or_b32 exec_lo, exec_lo, s0
	s_delay_alu instid0(SALU_CYCLE_1)
	s_mov_b32 s0, exec_lo
                                        ; implicit-def: $vgpr1
                                        ; implicit-def: $sgpr4_sgpr5
	v_cmpx_eq_u32_e32 0, v0
	s_cbranch_execz .LBB402_27
; %bb.24:
	v_cmp_eq_f32_e64 s1, s12, 0
	s_waitcnt lgkmcnt(0)
	v_mul_f32_e32 v0, s18, v4
	s_mul_i32 s4, s14, s19
	s_delay_alu instid0(SALU_CYCLE_1)
	s_ashr_i32 s5, s4, 31
	s_and_b32 vcc_lo, exec_lo, s1
	s_cbranch_vccnz .LBB402_26
; %bb.25:
	s_lshl_b64 s[2:3], s[4:5], 1
	v_mov_b32_e32 v1, 0
	s_add_u32 s2, s6, s2
	s_addc_u32 s3, s7, s3
	global_load_u16 v1, v1, s[2:3]
	s_waitcnt vmcnt(0)
	v_fma_mix_f32 v0, s12, v1, v0 op_sel_hi:[0,1,0]
.LBB402_26:
	s_delay_alu instid0(VALU_DEP_1)
	v_cvt_f16_f32_e32 v1, v0
	s_or_b32 s13, s13, exec_lo
.LBB402_27:
	s_or_b32 exec_lo, exec_lo, s0
.LBB402_28:
	s_and_saveexec_b32 s0, s13
	s_cbranch_execz .LBB402_30
; %bb.29:
	s_lshl_b64 s[0:1], s[4:5], 1
	v_mov_b32_e32 v0, 0
	s_add_u32 s0, s6, s0
	s_addc_u32 s1, s7, s1
	global_store_b16 v0, v1, s[0:1]
.LBB402_30:
	s_nop 0
	s_sendmsg sendmsg(MSG_DEALLOC_VGPRS)
	s_endpgm
	.section	.rodata,"a",@progbits
	.p2align	6, 0x0
	.amdhsa_kernel _ZL32rocblas_gemvt_warp_reduce_kernelILb0ELi256EiDF16_PKfDF16_EviiT3_lPKT2_lT1_lS5_lS6_lS2_lPT4_lS6_li
		.amdhsa_group_segment_fixed_size 128
		.amdhsa_private_segment_fixed_size 0
		.amdhsa_kernarg_size 140
		.amdhsa_user_sgpr_count 14
		.amdhsa_user_sgpr_dispatch_ptr 0
		.amdhsa_user_sgpr_queue_ptr 0
		.amdhsa_user_sgpr_kernarg_segment_ptr 1
		.amdhsa_user_sgpr_dispatch_id 0
		.amdhsa_user_sgpr_private_segment_size 0
		.amdhsa_wavefront_size32 1
		.amdhsa_uses_dynamic_stack 0
		.amdhsa_enable_private_segment 0
		.amdhsa_system_sgpr_workgroup_id_x 1
		.amdhsa_system_sgpr_workgroup_id_y 0
		.amdhsa_system_sgpr_workgroup_id_z 1
		.amdhsa_system_sgpr_workgroup_info 0
		.amdhsa_system_vgpr_workitem_id 0
		.amdhsa_next_free_vgpr 11
		.amdhsa_next_free_sgpr 25
		.amdhsa_reserve_vcc 1
		.amdhsa_float_round_mode_32 0
		.amdhsa_float_round_mode_16_64 0
		.amdhsa_float_denorm_mode_32 3
		.amdhsa_float_denorm_mode_16_64 3
		.amdhsa_dx10_clamp 1
		.amdhsa_ieee_mode 1
		.amdhsa_fp16_overflow 0
		.amdhsa_workgroup_processor_mode 1
		.amdhsa_memory_ordered 1
		.amdhsa_forward_progress 0
		.amdhsa_shared_vgpr_count 0
		.amdhsa_exception_fp_ieee_invalid_op 0
		.amdhsa_exception_fp_denorm_src 0
		.amdhsa_exception_fp_ieee_div_zero 0
		.amdhsa_exception_fp_ieee_overflow 0
		.amdhsa_exception_fp_ieee_underflow 0
		.amdhsa_exception_fp_ieee_inexact 0
		.amdhsa_exception_int_div_zero 0
	.end_amdhsa_kernel
	.section	.text._ZL32rocblas_gemvt_warp_reduce_kernelILb0ELi256EiDF16_PKfDF16_EviiT3_lPKT2_lT1_lS5_lS6_lS2_lPT4_lS6_li,"axG",@progbits,_ZL32rocblas_gemvt_warp_reduce_kernelILb0ELi256EiDF16_PKfDF16_EviiT3_lPKT2_lT1_lS5_lS6_lS2_lPT4_lS6_li,comdat
.Lfunc_end402:
	.size	_ZL32rocblas_gemvt_warp_reduce_kernelILb0ELi256EiDF16_PKfDF16_EviiT3_lPKT2_lT1_lS5_lS6_lS2_lPT4_lS6_li, .Lfunc_end402-_ZL32rocblas_gemvt_warp_reduce_kernelILb0ELi256EiDF16_PKfDF16_EviiT3_lPKT2_lT1_lS5_lS6_lS2_lPT4_lS6_li
                                        ; -- End function
	.section	.AMDGPU.csdata,"",@progbits
; Kernel info:
; codeLenInByte = 1484
; NumSgprs: 27
; NumVgprs: 11
; ScratchSize: 0
; MemoryBound: 0
; FloatMode: 240
; IeeeMode: 1
; LDSByteSize: 128 bytes/workgroup (compile time only)
; SGPRBlocks: 3
; VGPRBlocks: 1
; NumSGPRsForWavesPerEU: 27
; NumVGPRsForWavesPerEU: 11
; Occupancy: 16
; WaveLimiterHint : 1
; COMPUTE_PGM_RSRC2:SCRATCH_EN: 0
; COMPUTE_PGM_RSRC2:USER_SGPR: 14
; COMPUTE_PGM_RSRC2:TRAP_HANDLER: 0
; COMPUTE_PGM_RSRC2:TGID_X_EN: 1
; COMPUTE_PGM_RSRC2:TGID_Y_EN: 0
; COMPUTE_PGM_RSRC2:TGID_Z_EN: 1
; COMPUTE_PGM_RSRC2:TIDIG_COMP_CNT: 0
	.section	.text._ZL32rocblas_gemvt_warp_reduce_kernelILb0ELi256ElDF16_PKfDF16_EviiT3_lPKT2_lT1_lS5_lS6_lS2_lPT4_lS6_li,"axG",@progbits,_ZL32rocblas_gemvt_warp_reduce_kernelILb0ELi256ElDF16_PKfDF16_EviiT3_lPKT2_lT1_lS5_lS6_lS2_lPT4_lS6_li,comdat
	.globl	_ZL32rocblas_gemvt_warp_reduce_kernelILb0ELi256ElDF16_PKfDF16_EviiT3_lPKT2_lT1_lS5_lS6_lS2_lPT4_lS6_li ; -- Begin function _ZL32rocblas_gemvt_warp_reduce_kernelILb0ELi256ElDF16_PKfDF16_EviiT3_lPKT2_lT1_lS5_lS6_lS2_lPT4_lS6_li
	.p2align	8
	.type	_ZL32rocblas_gemvt_warp_reduce_kernelILb0ELi256ElDF16_PKfDF16_EviiT3_lPKT2_lT1_lS5_lS6_lS2_lPT4_lS6_li,@function
_ZL32rocblas_gemvt_warp_reduce_kernelILb0ELi256ElDF16_PKfDF16_EviiT3_lPKT2_lT1_lS5_lS6_lS2_lPT4_lS6_li: ; @_ZL32rocblas_gemvt_warp_reduce_kernelILb0ELi256ElDF16_PKfDF16_EviiT3_lPKT2_lT1_lS5_lS6_lS2_lPT4_lS6_li
; %bb.0:
	s_clause 0x1
	s_load_b512 s[36:51], s[0:1], 0x8
	s_load_b512 s[16:31], s[0:1], 0x48
	s_mov_b32 s11, 0
	s_waitcnt lgkmcnt(0)
	s_mul_i32 s3, s15, s39
	s_mul_hi_u32 s4, s15, s38
	s_mul_i32 s2, s15, s38
	s_add_i32 s3, s4, s3
	s_mul_i32 s4, s15, s23
	s_lshl_b64 s[2:3], s[2:3], 2
	s_mul_hi_u32 s5, s15, s22
	s_add_u32 s2, s36, s2
	s_addc_u32 s3, s37, s3
	s_add_i32 s5, s5, s4
	s_mul_i32 s4, s15, s22
	s_delay_alu instid0(SALU_CYCLE_1) | instskip(NEXT) | instid1(SALU_CYCLE_1)
	s_lshl_b64 s[4:5], s[4:5], 2
	s_add_u32 s4, s20, s4
	s_addc_u32 s5, s21, s5
	s_load_b32 s12, s[2:3], 0x0
	s_load_b32 s10, s[4:5], 0x0
	s_waitcnt lgkmcnt(0)
	v_cmp_eq_f32_e64 s2, s12, 0
	v_cmp_eq_f32_e64 s3, s10, 1.0
	s_delay_alu instid0(VALU_DEP_1) | instskip(NEXT) | instid1(SALU_CYCLE_1)
	s_and_b32 s2, s2, s3
	s_and_b32 vcc_lo, exec_lo, s2
	s_cbranch_vccnz .LBB403_30
; %bb.1:
	s_mul_i32 s3, s15, s31
	s_mul_hi_u32 s4, s15, s30
	s_mul_i32 s2, s15, s30
	s_add_i32 s3, s4, s3
	v_cmp_neq_f32_e64 s4, s12, 0
	s_lshl_b64 s[2:3], s[2:3], 1
	s_delay_alu instid0(SALU_CYCLE_1) | instskip(SKIP_2) | instid1(SALU_CYCLE_1)
	s_add_u32 s5, s24, s2
	s_addc_u32 s6, s25, s3
	s_lshl_b64 s[2:3], s[26:27], 1
	s_add_u32 s8, s5, s2
	v_cmp_eq_u32_e64 s2, 0, v0
	s_addc_u32 s9, s6, s3
	s_and_b32 vcc_lo, exec_lo, s4
	s_cbranch_vccnz .LBB403_5
; %bb.2:
	s_mov_b32 s3, 0
                                        ; implicit-def: $vgpr1
                                        ; implicit-def: $sgpr4_sgpr5
	s_and_saveexec_b32 s6, s2
	s_cbranch_execz .LBB403_6
; %bb.3:
	v_cmp_eq_f32_e64 s2, s10, 0
	s_mul_i32 s4, s14, s29
	s_mul_hi_u32 s5, s14, s28
	s_ashr_i32 s7, s14, 31
	s_add_i32 s4, s5, s4
	s_mul_i32 s7, s7, s28
	s_and_b32 vcc_lo, exec_lo, s2
	s_add_i32 s5, s4, s7
	s_mul_i32 s4, s14, s28
	s_cbranch_vccnz .LBB403_7
; %bb.4:
	s_lshl_b64 s[20:21], s[4:5], 1
	v_mov_b32_e32 v1, 0
	s_add_u32 s20, s8, s20
	s_addc_u32 s21, s9, s21
	global_load_u16 v1, v1, s[20:21]
	s_waitcnt vmcnt(0)
	v_fma_mixlo_f16 v1, s10, v1, 0 op_sel_hi:[0,1,0]
	s_branch .LBB403_8
.LBB403_5:
                                        ; implicit-def: $vgpr1
                                        ; implicit-def: $sgpr4_sgpr5
	s_cbranch_execnz .LBB403_9
	s_branch .LBB403_28
.LBB403_6:
	s_or_b32 exec_lo, exec_lo, s6
	s_delay_alu instid0(SALU_CYCLE_1)
	s_and_b32 vcc_lo, exec_lo, s3
	s_cbranch_vccnz .LBB403_9
	s_branch .LBB403_28
.LBB403_7:
	v_mov_b32_e32 v1, 0
.LBB403_8:
	s_mov_b32 s11, exec_lo
	s_or_b32 exec_lo, exec_lo, s6
	s_delay_alu instid0(SALU_CYCLE_1)
	s_and_b32 vcc_lo, exec_lo, s3
	s_cbranch_vccz .LBB403_28
.LBB403_9:
	s_load_b32 s5, s[0:1], 0x0
	s_mul_i32 s3, s15, s47
	s_mul_hi_u32 s4, s15, s46
	s_mul_i32 s0, s15, s46
	s_add_i32 s1, s4, s3
	s_mul_i32 s2, s15, s19
	s_mul_hi_u32 s3, s15, s18
	s_lshl_b64 s[0:1], s[0:1], 1
	s_add_i32 s3, s3, s2
	s_add_u32 s2, s40, s0
	s_addc_u32 s4, s41, s1
	s_lshl_b64 s[0:1], s[42:43], 1
	s_mul_hi_u32 s6, s14, s44
	s_add_u32 s0, s2, s0
	s_addc_u32 s2, s4, s1
	s_mul_i32 s4, s14, s45
	s_ashr_i32 s1, s14, 31
	s_add_i32 s4, s6, s4
	s_mul_i32 s6, s1, s44
	v_mov_b32_e32 v7, 0
	s_waitcnt lgkmcnt(0)
	v_cmp_gt_i32_e32 vcc_lo, s5, v0
	s_add_i32 s7, s4, s6
	s_mul_i32 s6, s14, s44
	s_mov_b32 s13, exec_lo
	s_lshl_b64 s[6:7], s[6:7], 1
	v_cndmask_b32_e32 v1, 0, v0, vcc_lo
	s_add_u32 s0, s6, s0
	s_addc_u32 s2, s7, s2
	s_ashr_i32 s4, s5, 31
	s_delay_alu instid0(SALU_CYCLE_1) | instskip(SKIP_2) | instid1(SALU_CYCLE_1)
	s_lshr_b32 s4, s4, 24
	v_lshlrev_b32_e32 v1, 1, v1
	s_add_i32 s4, s5, s4
	s_and_b32 s4, s4, 0xffffff00
	s_delay_alu instid0(VALU_DEP_1) | instskip(NEXT) | instid1(VALU_DEP_1)
	v_add_co_u32 v1, s0, s0, v1
	v_add_co_ci_u32_e64 v2, null, s2, 0, s0
	s_mul_i32 s2, s15, s18
	s_mov_b32 s15, 0
	v_cmpx_gt_i32_e64 s4, v0
	s_cbranch_execz .LBB403_13
; %bb.10:
	v_mad_u64_u32 v[5:6], null, s16, v0, 0
	s_lshl_b64 s[18:19], s[50:51], 1
	s_lshl_b64 s[6:7], s[2:3], 1
	s_add_u32 s0, s48, s18
	s_addc_u32 s18, s49, s19
	s_add_u32 s0, s0, s6
	s_addc_u32 s6, s18, s7
	s_delay_alu instid0(VALU_DEP_1) | instskip(NEXT) | instid1(VALU_DEP_1)
	v_dual_mov_b32 v3, v6 :: v_dual_mov_b32 v8, v0
	v_mad_u64_u32 v[6:7], null, s17, v0, v[3:4]
	v_dual_mov_b32 v7, 0 :: v_dual_mov_b32 v4, v2
	v_mov_b32_e32 v3, v1
	s_delay_alu instid0(VALU_DEP_3) | instskip(NEXT) | instid1(VALU_DEP_1)
	v_lshlrev_b64 v[5:6], 1, v[5:6]
	v_add_co_u32 v5, vcc_lo, s0, v5
	s_delay_alu instid0(VALU_DEP_2)
	v_add_co_ci_u32_e32 v6, vcc_lo, s6, v6, vcc_lo
	s_lshl_b64 s[6:7], s[16:17], 9
	.p2align	6
.LBB403_11:                             ; =>This Inner Loop Header: Depth=1
	global_load_u16 v9, v[3:4], off
	global_load_u16 v10, v[5:6], off
	v_add_co_u32 v3, vcc_lo, 0x200, v3
	v_add_co_ci_u32_e32 v4, vcc_lo, 0, v4, vcc_lo
	v_add_co_u32 v5, vcc_lo, v5, s6
	v_add_co_ci_u32_e32 v6, vcc_lo, s7, v6, vcc_lo
	s_waitcnt vmcnt(0)
	v_mul_f16_e32 v9, v9, v10
	s_delay_alu instid0(VALU_DEP_1) | instskip(NEXT) | instid1(VALU_DEP_1)
	v_cvt_f32_f16_e32 v9, v9
	v_dual_add_f32 v7, v7, v9 :: v_dual_add_nc_u32 v8, 0x100, v8
	s_delay_alu instid0(VALU_DEP_1) | instskip(NEXT) | instid1(VALU_DEP_1)
	v_cmp_le_i32_e64 s0, s4, v8
	s_or_b32 s15, s0, s15
	s_delay_alu instid0(SALU_CYCLE_1)
	s_and_not1_b32 exec_lo, exec_lo, s15
	s_cbranch_execnz .LBB403_11
; %bb.12:
	s_or_b32 exec_lo, exec_lo, s15
.LBB403_13:
	s_delay_alu instid0(SALU_CYCLE_1) | instskip(SKIP_2) | instid1(VALU_DEP_1)
	s_or_b32 exec_lo, exec_lo, s13
	v_add_nc_u32_e32 v3, s4, v0
	s_mov_b32 s0, exec_lo
	v_cmpx_gt_i32_e64 s5, v3
	s_cbranch_execz .LBB403_15
; %bb.14:
	v_ashrrev_i32_e32 v6, 31, v3
	v_mul_lo_u32 v8, v3, s17
	v_mad_u64_u32 v[4:5], null, v3, s16, 0
	s_lshl_b64 s[2:3], s[2:3], 1
	s_delay_alu instid0(VALU_DEP_3) | instskip(SKIP_3) | instid1(SALU_CYCLE_1)
	v_mul_lo_u32 v3, v6, s16
	s_add_u32 s5, s48, s2
	s_addc_u32 s6, s49, s3
	s_lshl_b64 s[2:3], s[50:51], 1
	s_add_u32 s7, s5, s2
	s_addc_u32 s6, s6, s3
	s_ashr_i32 s5, s4, 31
	s_delay_alu instid0(VALU_DEP_1) | instskip(SKIP_1) | instid1(SALU_CYCLE_1)
	v_add3_u32 v5, v5, v8, v3
	s_lshl_b64 s[2:3], s[4:5], 1
	v_add_co_u32 v1, vcc_lo, v1, s2
	s_delay_alu instid0(VALU_DEP_2) | instskip(SKIP_1) | instid1(VALU_DEP_2)
	v_lshlrev_b64 v[3:4], 1, v[4:5]
	v_add_co_ci_u32_e32 v2, vcc_lo, s3, v2, vcc_lo
	v_add_co_u32 v3, vcc_lo, s7, v3
	s_delay_alu instid0(VALU_DEP_3) | instskip(SKIP_4) | instid1(VALU_DEP_1)
	v_add_co_ci_u32_e32 v4, vcc_lo, s6, v4, vcc_lo
	global_load_u16 v1, v[1:2], off
	global_load_u16 v2, v[3:4], off
	s_waitcnt vmcnt(0)
	v_mul_f16_e32 v1, v1, v2
	v_cvt_f32_f16_e32 v1, v1
	s_delay_alu instid0(VALU_DEP_1)
	v_add_f32_e32 v7, v7, v1
.LBB403_15:
	s_or_b32 exec_lo, exec_lo, s0
	v_and_b32_e32 v4, 31, v0
	v_cmp_gt_u32_e32 vcc_lo, 32, v0
	s_delay_alu instid0(VALU_DEP_2)
	v_lshlrev_b32_e32 v1, 2, v4
	s_and_saveexec_b32 s0, vcc_lo
	s_cbranch_execz .LBB403_17
; %bb.16:
	v_mov_b32_e32 v2, 0
	ds_store_b32 v1, v2
.LBB403_17:
	s_or_b32 exec_lo, exec_lo, s0
	v_mbcnt_lo_u32_b32 v5, -1, 0
	s_mov_b32 s2, exec_lo
	s_waitcnt lgkmcnt(0)
	s_barrier
	buffer_gl0_inv
	v_cmp_gt_u32_e64 s0, 16, v5
	s_delay_alu instid0(VALU_DEP_1) | instskip(SKIP_1) | instid1(VALU_DEP_2)
	v_cndmask_b32_e64 v2, 0, 1, s0
	v_cmp_gt_u32_e64 s0, 24, v5
	v_lshlrev_b32_e32 v2, 4, v2
	s_delay_alu instid0(VALU_DEP_2) | instskip(SKIP_1) | instid1(VALU_DEP_3)
	v_cndmask_b32_e64 v3, 0, 1, s0
	v_cmp_gt_u32_e64 s0, 28, v5
	v_add_lshl_u32 v2, v2, v5, 2
	ds_bpermute_b32 v2, v2, v7
	s_waitcnt lgkmcnt(0)
	v_dual_add_f32 v6, v7, v2 :: v_dual_lshlrev_b32 v3, 3, v3
	s_delay_alu instid0(VALU_DEP_1) | instskip(SKIP_4) | instid1(VALU_DEP_1)
	v_add_lshl_u32 v3, v3, v5, 2
	v_cndmask_b32_e64 v2, 0, 1, s0
	v_cmp_gt_u32_e64 s0, 30, v5
	ds_bpermute_b32 v3, v3, v6
	v_lshlrev_b32_e32 v2, 2, v2
	v_add_lshl_u32 v2, v2, v5, 2
	s_waitcnt lgkmcnt(0)
	v_add_f32_e32 v6, v6, v3
	v_cndmask_b32_e64 v3, 0, 1, s0
	v_cmp_ne_u32_e64 s0, 31, v5
	s_delay_alu instid0(VALU_DEP_2) | instskip(NEXT) | instid1(VALU_DEP_1)
	v_lshlrev_b32_e32 v3, 1, v3
	v_add_lshl_u32 v3, v3, v5, 2
	s_delay_alu instid0(VALU_DEP_3) | instskip(NEXT) | instid1(VALU_DEP_1)
	v_add_co_ci_u32_e64 v5, s0, 0, v5, s0
	v_lshlrev_b32_e32 v5, 2, v5
	ds_bpermute_b32 v7, v2, v6
	s_waitcnt lgkmcnt(0)
	v_add_f32_e32 v6, v6, v7
	ds_bpermute_b32 v7, v3, v6
	s_waitcnt lgkmcnt(0)
	v_add_f32_e32 v6, v6, v7
	ds_bpermute_b32 v7, v5, v6
	v_cmpx_eq_u32_e32 0, v4
	s_cbranch_execz .LBB403_19
; %bb.18:
	v_lshrrev_b32_e32 v4, 3, v0
	s_waitcnt lgkmcnt(0)
	v_add_f32_e32 v6, v6, v7
	s_delay_alu instid0(VALU_DEP_2)
	v_and_b32_e32 v4, 28, v4
	ds_store_b32 v4, v6
.LBB403_19:
	s_or_b32 exec_lo, exec_lo, s2
	v_mov_b32_e32 v4, 0
	s_mov_b32 s2, exec_lo
	s_waitcnt lgkmcnt(0)
	s_barrier
	buffer_gl0_inv
	v_cmpx_gt_u32_e32 8, v0
	s_cbranch_execz .LBB403_21
; %bb.20:
	ds_load_b32 v4, v1
.LBB403_21:
	s_or_b32 exec_lo, exec_lo, s2
	s_and_saveexec_b32 s0, vcc_lo
	s_cbranch_execz .LBB403_23
; %bb.22:
	s_waitcnt lgkmcnt(0)
	ds_bpermute_b32 v1, v2, v4
	s_waitcnt lgkmcnt(0)
	v_add_f32_e32 v1, v4, v1
	ds_bpermute_b32 v2, v3, v1
	s_waitcnt lgkmcnt(0)
	v_add_f32_e32 v1, v1, v2
	;; [unrolled: 3-line block ×3, first 2 shown]
.LBB403_23:
	s_or_b32 exec_lo, exec_lo, s0
	s_delay_alu instid0(SALU_CYCLE_1)
	s_mov_b32 s0, exec_lo
                                        ; implicit-def: $vgpr1
                                        ; implicit-def: $sgpr4_sgpr5
	v_cmpx_eq_u32_e32 0, v0
	s_cbranch_execz .LBB403_27
; %bb.24:
	v_cmp_eq_f32_e64 s4, s10, 0
	s_mul_i32 s2, s14, s29
	s_mul_hi_u32 s3, s14, s28
	s_waitcnt lgkmcnt(0)
	v_mul_f32_e32 v0, s12, v4
	s_add_i32 s2, s3, s2
	s_mul_i32 s1, s1, s28
	s_and_b32 vcc_lo, exec_lo, s4
	s_add_i32 s5, s2, s1
	s_mul_i32 s4, s14, s28
	s_cbranch_vccnz .LBB403_26
; %bb.25:
	s_lshl_b64 s[2:3], s[4:5], 1
	v_mov_b32_e32 v1, 0
	s_add_u32 s2, s8, s2
	s_addc_u32 s3, s9, s3
	global_load_u16 v1, v1, s[2:3]
	s_waitcnt vmcnt(0)
	v_fma_mix_f32 v0, s10, v1, v0 op_sel_hi:[0,1,0]
.LBB403_26:
	s_delay_alu instid0(VALU_DEP_1)
	v_cvt_f16_f32_e32 v1, v0
	s_or_b32 s11, s11, exec_lo
.LBB403_27:
	s_or_b32 exec_lo, exec_lo, s0
.LBB403_28:
	s_and_saveexec_b32 s0, s11
	s_cbranch_execz .LBB403_30
; %bb.29:
	s_lshl_b64 s[0:1], s[4:5], 1
	v_mov_b32_e32 v0, 0
	s_add_u32 s0, s8, s0
	s_addc_u32 s1, s9, s1
	global_store_b16 v0, v1, s[0:1]
.LBB403_30:
	s_nop 0
	s_sendmsg sendmsg(MSG_DEALLOC_VGPRS)
	s_endpgm
	.section	.rodata,"a",@progbits
	.p2align	6, 0x0
	.amdhsa_kernel _ZL32rocblas_gemvt_warp_reduce_kernelILb0ELi256ElDF16_PKfDF16_EviiT3_lPKT2_lT1_lS5_lS6_lS2_lPT4_lS6_li
		.amdhsa_group_segment_fixed_size 128
		.amdhsa_private_segment_fixed_size 0
		.amdhsa_kernarg_size 140
		.amdhsa_user_sgpr_count 14
		.amdhsa_user_sgpr_dispatch_ptr 0
		.amdhsa_user_sgpr_queue_ptr 0
		.amdhsa_user_sgpr_kernarg_segment_ptr 1
		.amdhsa_user_sgpr_dispatch_id 0
		.amdhsa_user_sgpr_private_segment_size 0
		.amdhsa_wavefront_size32 1
		.amdhsa_uses_dynamic_stack 0
		.amdhsa_enable_private_segment 0
		.amdhsa_system_sgpr_workgroup_id_x 1
		.amdhsa_system_sgpr_workgroup_id_y 0
		.amdhsa_system_sgpr_workgroup_id_z 1
		.amdhsa_system_sgpr_workgroup_info 0
		.amdhsa_system_vgpr_workitem_id 0
		.amdhsa_next_free_vgpr 11
		.amdhsa_next_free_sgpr 52
		.amdhsa_reserve_vcc 1
		.amdhsa_float_round_mode_32 0
		.amdhsa_float_round_mode_16_64 0
		.amdhsa_float_denorm_mode_32 3
		.amdhsa_float_denorm_mode_16_64 3
		.amdhsa_dx10_clamp 1
		.amdhsa_ieee_mode 1
		.amdhsa_fp16_overflow 0
		.amdhsa_workgroup_processor_mode 1
		.amdhsa_memory_ordered 1
		.amdhsa_forward_progress 0
		.amdhsa_shared_vgpr_count 0
		.amdhsa_exception_fp_ieee_invalid_op 0
		.amdhsa_exception_fp_denorm_src 0
		.amdhsa_exception_fp_ieee_div_zero 0
		.amdhsa_exception_fp_ieee_overflow 0
		.amdhsa_exception_fp_ieee_underflow 0
		.amdhsa_exception_fp_ieee_inexact 0
		.amdhsa_exception_int_div_zero 0
	.end_amdhsa_kernel
	.section	.text._ZL32rocblas_gemvt_warp_reduce_kernelILb0ELi256ElDF16_PKfDF16_EviiT3_lPKT2_lT1_lS5_lS6_lS2_lPT4_lS6_li,"axG",@progbits,_ZL32rocblas_gemvt_warp_reduce_kernelILb0ELi256ElDF16_PKfDF16_EviiT3_lPKT2_lT1_lS5_lS6_lS2_lPT4_lS6_li,comdat
.Lfunc_end403:
	.size	_ZL32rocblas_gemvt_warp_reduce_kernelILb0ELi256ElDF16_PKfDF16_EviiT3_lPKT2_lT1_lS5_lS6_lS2_lPT4_lS6_li, .Lfunc_end403-_ZL32rocblas_gemvt_warp_reduce_kernelILb0ELi256ElDF16_PKfDF16_EviiT3_lPKT2_lT1_lS5_lS6_lS2_lPT4_lS6_li
                                        ; -- End function
	.section	.AMDGPU.csdata,"",@progbits
; Kernel info:
; codeLenInByte = 1528
; NumSgprs: 54
; NumVgprs: 11
; ScratchSize: 0
; MemoryBound: 0
; FloatMode: 240
; IeeeMode: 1
; LDSByteSize: 128 bytes/workgroup (compile time only)
; SGPRBlocks: 6
; VGPRBlocks: 1
; NumSGPRsForWavesPerEU: 54
; NumVGPRsForWavesPerEU: 11
; Occupancy: 16
; WaveLimiterHint : 0
; COMPUTE_PGM_RSRC2:SCRATCH_EN: 0
; COMPUTE_PGM_RSRC2:USER_SGPR: 14
; COMPUTE_PGM_RSRC2:TRAP_HANDLER: 0
; COMPUTE_PGM_RSRC2:TGID_X_EN: 1
; COMPUTE_PGM_RSRC2:TGID_Y_EN: 0
; COMPUTE_PGM_RSRC2:TGID_Z_EN: 1
; COMPUTE_PGM_RSRC2:TIDIG_COMP_CNT: 0
	.section	.text._ZL32rocblas_gemvt_warp_reduce_kernelILb0ELi256EiDF16_fDF16_EviiT3_lPKT2_lT1_lS3_lS4_lS0_lPT4_lS4_li,"axG",@progbits,_ZL32rocblas_gemvt_warp_reduce_kernelILb0ELi256EiDF16_fDF16_EviiT3_lPKT2_lT1_lS3_lS4_lS0_lPT4_lS4_li,comdat
	.globl	_ZL32rocblas_gemvt_warp_reduce_kernelILb0ELi256EiDF16_fDF16_EviiT3_lPKT2_lT1_lS3_lS4_lS0_lPT4_lS4_li ; -- Begin function _ZL32rocblas_gemvt_warp_reduce_kernelILb0ELi256EiDF16_fDF16_EviiT3_lPKT2_lT1_lS3_lS4_lS0_lPT4_lS4_li
	.p2align	8
	.type	_ZL32rocblas_gemvt_warp_reduce_kernelILb0ELi256EiDF16_fDF16_EviiT3_lPKT2_lT1_lS3_lS4_lS0_lPT4_lS4_li,@function
_ZL32rocblas_gemvt_warp_reduce_kernelILb0ELi256EiDF16_fDF16_EviiT3_lPKT2_lT1_lS3_lS4_lS0_lPT4_lS4_li: ; @_ZL32rocblas_gemvt_warp_reduce_kernelILb0ELi256EiDF16_fDF16_EviiT3_lPKT2_lT1_lS3_lS4_lS0_lPT4_lS4_li
; %bb.0:
	s_clause 0x1
	s_load_b32 s10, s[0:1], 0x8
	s_load_b32 s8, s[0:1], 0x58
	s_mov_b32 s9, 0
	s_waitcnt lgkmcnt(0)
	v_cmp_eq_f32_e64 s2, s10, 0
	v_cmp_eq_f32_e64 s3, s8, 1.0
	s_delay_alu instid0(VALU_DEP_1) | instskip(NEXT) | instid1(SALU_CYCLE_1)
	s_and_b32 s2, s2, s3
	s_and_b32 vcc_lo, exec_lo, s2
	s_cbranch_vccnz .LBB404_30
; %bb.1:
	s_clause 0x2
	s_load_b64 s[2:3], s[0:1], 0x80
	s_load_b128 s[4:7], s[0:1], 0x68
	s_load_b32 s11, s[0:1], 0x78
	s_waitcnt lgkmcnt(0)
	s_mul_i32 s3, s15, s3
	s_mul_hi_u32 s12, s15, s2
	s_mul_i32 s2, s15, s2
	s_add_i32 s3, s12, s3
	v_cmp_neq_f32_e64 s12, s10, 0
	s_lshl_b64 s[2:3], s[2:3], 1
	s_delay_alu instid0(SALU_CYCLE_1) | instskip(SKIP_2) | instid1(SALU_CYCLE_1)
	s_add_u32 s4, s4, s2
	s_addc_u32 s5, s5, s3
	s_lshl_b64 s[2:3], s[6:7], 1
	s_add_u32 s6, s4, s2
	v_cmp_eq_u32_e64 s2, 0, v0
	s_addc_u32 s7, s5, s3
	s_and_b32 vcc_lo, exec_lo, s12
	s_cbranch_vccnz .LBB404_5
; %bb.2:
	s_mov_b32 s3, 0
                                        ; implicit-def: $vgpr1
                                        ; implicit-def: $sgpr4_sgpr5
	s_and_saveexec_b32 s12, s2
	s_cbranch_execz .LBB404_6
; %bb.3:
	v_cmp_eq_f32_e64 s2, s8, 0
	s_mul_i32 s4, s14, s11
	s_delay_alu instid0(SALU_CYCLE_1) | instskip(NEXT) | instid1(VALU_DEP_1)
	s_ashr_i32 s5, s4, 31
	s_and_b32 vcc_lo, exec_lo, s2
	s_cbranch_vccnz .LBB404_7
; %bb.4:
	s_lshl_b64 s[16:17], s[4:5], 1
	v_mov_b32_e32 v1, 0
	s_add_u32 s16, s6, s16
	s_addc_u32 s17, s7, s17
	global_load_u16 v1, v1, s[16:17]
	s_waitcnt vmcnt(0)
	v_fma_mixlo_f16 v1, v1, s8, 0 op_sel_hi:[1,0,0]
	s_branch .LBB404_8
.LBB404_5:
                                        ; implicit-def: $vgpr1
                                        ; implicit-def: $sgpr4_sgpr5
	s_cbranch_execnz .LBB404_9
	s_branch .LBB404_28
.LBB404_6:
	s_or_b32 exec_lo, exec_lo, s12
	s_delay_alu instid0(SALU_CYCLE_1)
	s_and_b32 vcc_lo, exec_lo, s3
	s_cbranch_vccnz .LBB404_9
	s_branch .LBB404_28
.LBB404_7:
	v_mov_b32_e32 v1, 0
.LBB404_8:
	s_mov_b32 s9, exec_lo
	s_or_b32 exec_lo, exec_lo, s12
	s_delay_alu instid0(SALU_CYCLE_1)
	s_and_b32 vcc_lo, exec_lo, s3
	s_cbranch_vccz .LBB404_28
.LBB404_9:
	s_clause 0x6
	s_load_b64 s[4:5], s[0:1], 0x50
	s_load_b128 s[16:19], s[0:1], 0x30
	s_load_b64 s[12:13], s[0:1], 0x40
	s_load_b32 s3, s[0:1], 0x0
	s_load_b128 s[20:23], s[0:1], 0x18
	s_load_b32 s2, s[0:1], 0x28
	s_load_b32 s1, s[0:1], 0x48
	v_mov_b32_e32 v7, 0
	s_waitcnt lgkmcnt(0)
	s_mul_i32 s0, s15, s5
	s_mul_hi_u32 s5, s15, s4
	s_mul_i32 s4, s15, s4
	s_add_i32 s5, s5, s0
	s_mul_i32 s0, s15, s17
	s_lshl_b64 s[4:5], s[4:5], 1
	s_mul_hi_u32 s17, s15, s16
	s_add_u32 s18, s18, s4
	s_addc_u32 s19, s19, s5
	s_lshl_b64 s[4:5], s[12:13], 1
	v_cmp_gt_i32_e32 vcc_lo, s3, v0
	s_add_u32 s4, s18, s4
	s_mul_i32 s12, s15, s16
	s_addc_u32 s5, s19, s5
	s_add_i32 s13, s17, s0
	v_cndmask_b32_e32 v1, 0, v0, vcc_lo
	s_lshl_b64 s[12:13], s[12:13], 1
	s_mul_i32 s16, s14, s2
	s_add_u32 s0, s20, s12
	s_addc_u32 s15, s21, s13
	s_lshl_b64 s[12:13], s[22:23], 1
	v_lshlrev_b32_e32 v1, 1, v1
	s_add_u32 s0, s0, s12
	s_addc_u32 s2, s15, s13
	s_ashr_i32 s17, s16, 31
	s_delay_alu instid0(SALU_CYCLE_1) | instskip(NEXT) | instid1(SALU_CYCLE_1)
	s_lshl_b64 s[12:13], s[16:17], 1
	s_add_u32 s0, s12, s0
	s_addc_u32 s12, s13, s2
	s_ashr_i32 s2, s3, 31
	v_add_co_u32 v1, s0, s0, v1
	s_lshr_b32 s2, s2, 24
	v_add_co_ci_u32_e64 v2, null, s12, 0, s0
	s_add_i32 s2, s3, s2
	s_mov_b32 s13, 0
	s_and_b32 s2, s2, 0xffffff00
	s_mov_b32 s12, exec_lo
	v_cmpx_gt_i32_e64 s2, v0
	s_cbranch_execz .LBB404_13
; %bb.10:
	v_mul_lo_u32 v3, v0, s1
	v_dual_mov_b32 v7, 0 :: v_dual_mov_b32 v6, v2
	v_dual_mov_b32 v5, v1 :: v_dual_mov_b32 v8, v0
	s_lshl_b32 s15, s1, 8
	.p2align	6
.LBB404_11:                             ; =>This Inner Loop Header: Depth=1
	s_delay_alu instid0(VALU_DEP_3) | instskip(NEXT) | instid1(VALU_DEP_2)
	v_ashrrev_i32_e32 v4, 31, v3
	v_add_nc_u32_e32 v8, 0x100, v8
	s_delay_alu instid0(VALU_DEP_2) | instskip(NEXT) | instid1(VALU_DEP_2)
	v_lshlrev_b64 v[9:10], 1, v[3:4]
	v_cmp_le_i32_e64 s0, s2, v8
	v_add_nc_u32_e32 v3, s15, v3
	s_delay_alu instid0(VALU_DEP_2) | instskip(NEXT) | instid1(VALU_DEP_3)
	s_or_b32 s13, s0, s13
	v_add_co_u32 v9, vcc_lo, s4, v9
	s_delay_alu instid0(VALU_DEP_4)
	v_add_co_ci_u32_e32 v10, vcc_lo, s5, v10, vcc_lo
	global_load_u16 v4, v[5:6], off
	global_load_u16 v9, v[9:10], off
	v_add_co_u32 v5, vcc_lo, 0x200, v5
	v_add_co_ci_u32_e32 v6, vcc_lo, 0, v6, vcc_lo
	s_waitcnt vmcnt(0)
	v_mul_f16_e32 v4, v4, v9
	s_delay_alu instid0(VALU_DEP_1) | instskip(NEXT) | instid1(VALU_DEP_1)
	v_cvt_f32_f16_e32 v4, v4
	v_add_f32_e32 v7, v7, v4
	s_and_not1_b32 exec_lo, exec_lo, s13
	s_cbranch_execnz .LBB404_11
; %bb.12:
	s_or_b32 exec_lo, exec_lo, s13
.LBB404_13:
	s_delay_alu instid0(SALU_CYCLE_1) | instskip(SKIP_2) | instid1(VALU_DEP_1)
	s_or_b32 exec_lo, exec_lo, s12
	v_add_nc_u32_e32 v3, s2, v0
	s_mov_b32 s0, exec_lo
	v_cmpx_gt_i32_e64 s3, v3
	s_cbranch_execz .LBB404_15
; %bb.14:
	v_mul_lo_u32 v3, v3, s1
	s_ashr_i32 s3, s2, 31
	s_delay_alu instid0(SALU_CYCLE_1) | instskip(NEXT) | instid1(SALU_CYCLE_1)
	s_lshl_b64 s[2:3], s[2:3], 1
	v_add_co_u32 v1, vcc_lo, v1, s2
	v_add_co_ci_u32_e32 v2, vcc_lo, s3, v2, vcc_lo
	s_delay_alu instid0(VALU_DEP_3) | instskip(NEXT) | instid1(VALU_DEP_1)
	v_ashrrev_i32_e32 v4, 31, v3
	v_lshlrev_b64 v[3:4], 1, v[3:4]
	s_delay_alu instid0(VALU_DEP_1) | instskip(NEXT) | instid1(VALU_DEP_2)
	v_add_co_u32 v3, vcc_lo, s4, v3
	v_add_co_ci_u32_e32 v4, vcc_lo, s5, v4, vcc_lo
	global_load_u16 v1, v[1:2], off
	global_load_u16 v2, v[3:4], off
	s_waitcnt vmcnt(0)
	v_mul_f16_e32 v1, v1, v2
	s_delay_alu instid0(VALU_DEP_1) | instskip(NEXT) | instid1(VALU_DEP_1)
	v_cvt_f32_f16_e32 v1, v1
	v_add_f32_e32 v7, v7, v1
.LBB404_15:
	s_or_b32 exec_lo, exec_lo, s0
	v_and_b32_e32 v4, 31, v0
	v_cmp_gt_u32_e32 vcc_lo, 32, v0
	s_delay_alu instid0(VALU_DEP_2)
	v_lshlrev_b32_e32 v1, 2, v4
	s_and_saveexec_b32 s0, vcc_lo
	s_cbranch_execz .LBB404_17
; %bb.16:
	v_mov_b32_e32 v2, 0
	ds_store_b32 v1, v2
.LBB404_17:
	s_or_b32 exec_lo, exec_lo, s0
	v_mbcnt_lo_u32_b32 v5, -1, 0
	s_mov_b32 s1, exec_lo
	s_waitcnt lgkmcnt(0)
	s_barrier
	buffer_gl0_inv
	v_cmp_gt_u32_e64 s0, 16, v5
	s_delay_alu instid0(VALU_DEP_1) | instskip(SKIP_1) | instid1(VALU_DEP_2)
	v_cndmask_b32_e64 v2, 0, 1, s0
	v_cmp_gt_u32_e64 s0, 24, v5
	v_lshlrev_b32_e32 v2, 4, v2
	s_delay_alu instid0(VALU_DEP_2) | instskip(SKIP_1) | instid1(VALU_DEP_3)
	v_cndmask_b32_e64 v3, 0, 1, s0
	v_cmp_gt_u32_e64 s0, 28, v5
	v_add_lshl_u32 v2, v2, v5, 2
	ds_bpermute_b32 v2, v2, v7
	s_waitcnt lgkmcnt(0)
	v_dual_add_f32 v6, v7, v2 :: v_dual_lshlrev_b32 v3, 3, v3
	s_delay_alu instid0(VALU_DEP_1) | instskip(SKIP_4) | instid1(VALU_DEP_1)
	v_add_lshl_u32 v3, v3, v5, 2
	v_cndmask_b32_e64 v2, 0, 1, s0
	v_cmp_gt_u32_e64 s0, 30, v5
	ds_bpermute_b32 v3, v3, v6
	v_lshlrev_b32_e32 v2, 2, v2
	v_add_lshl_u32 v2, v2, v5, 2
	s_waitcnt lgkmcnt(0)
	v_add_f32_e32 v6, v6, v3
	v_cndmask_b32_e64 v3, 0, 1, s0
	v_cmp_ne_u32_e64 s0, 31, v5
	s_delay_alu instid0(VALU_DEP_2) | instskip(NEXT) | instid1(VALU_DEP_1)
	v_lshlrev_b32_e32 v3, 1, v3
	v_add_lshl_u32 v3, v3, v5, 2
	s_delay_alu instid0(VALU_DEP_3) | instskip(NEXT) | instid1(VALU_DEP_1)
	v_add_co_ci_u32_e64 v5, s0, 0, v5, s0
	v_lshlrev_b32_e32 v5, 2, v5
	ds_bpermute_b32 v7, v2, v6
	s_waitcnt lgkmcnt(0)
	v_add_f32_e32 v6, v6, v7
	ds_bpermute_b32 v7, v3, v6
	s_waitcnt lgkmcnt(0)
	v_add_f32_e32 v6, v6, v7
	ds_bpermute_b32 v7, v5, v6
	v_cmpx_eq_u32_e32 0, v4
	s_cbranch_execz .LBB404_19
; %bb.18:
	v_lshrrev_b32_e32 v4, 3, v0
	s_waitcnt lgkmcnt(0)
	v_add_f32_e32 v6, v6, v7
	s_delay_alu instid0(VALU_DEP_2)
	v_and_b32_e32 v4, 28, v4
	ds_store_b32 v4, v6
.LBB404_19:
	s_or_b32 exec_lo, exec_lo, s1
	v_mov_b32_e32 v4, 0
	s_mov_b32 s1, exec_lo
	s_waitcnt lgkmcnt(0)
	s_barrier
	buffer_gl0_inv
	v_cmpx_gt_u32_e32 8, v0
	s_cbranch_execz .LBB404_21
; %bb.20:
	ds_load_b32 v4, v1
.LBB404_21:
	s_or_b32 exec_lo, exec_lo, s1
	s_and_saveexec_b32 s0, vcc_lo
	s_cbranch_execz .LBB404_23
; %bb.22:
	s_waitcnt lgkmcnt(0)
	ds_bpermute_b32 v1, v2, v4
	s_waitcnt lgkmcnt(0)
	v_add_f32_e32 v1, v4, v1
	ds_bpermute_b32 v2, v3, v1
	s_waitcnt lgkmcnt(0)
	v_add_f32_e32 v1, v1, v2
	;; [unrolled: 3-line block ×3, first 2 shown]
.LBB404_23:
	s_or_b32 exec_lo, exec_lo, s0
	s_delay_alu instid0(SALU_CYCLE_1)
	s_mov_b32 s0, exec_lo
                                        ; implicit-def: $vgpr1
                                        ; implicit-def: $sgpr4_sgpr5
	v_cmpx_eq_u32_e32 0, v0
	s_cbranch_execz .LBB404_27
; %bb.24:
	v_cmp_eq_f32_e64 s1, s8, 0
	s_waitcnt lgkmcnt(0)
	v_mul_f32_e32 v0, s10, v4
	s_mul_i32 s4, s14, s11
	s_delay_alu instid0(SALU_CYCLE_1)
	s_ashr_i32 s5, s4, 31
	s_and_b32 vcc_lo, exec_lo, s1
	s_cbranch_vccnz .LBB404_26
; %bb.25:
	s_lshl_b64 s[2:3], s[4:5], 1
	v_mov_b32_e32 v1, 0
	s_add_u32 s2, s6, s2
	s_addc_u32 s3, s7, s3
	global_load_u16 v1, v1, s[2:3]
	s_waitcnt vmcnt(0)
	v_fma_mix_f32 v0, v1, s8, v0 op_sel_hi:[1,0,0]
.LBB404_26:
	s_delay_alu instid0(VALU_DEP_1)
	v_cvt_f16_f32_e32 v1, v0
	s_or_b32 s9, s9, exec_lo
.LBB404_27:
	s_or_b32 exec_lo, exec_lo, s0
.LBB404_28:
	s_and_saveexec_b32 s0, s9
	s_cbranch_execz .LBB404_30
; %bb.29:
	s_lshl_b64 s[0:1], s[4:5], 1
	v_mov_b32_e32 v0, 0
	s_add_u32 s0, s6, s0
	s_addc_u32 s1, s7, s1
	global_store_b16 v0, v1, s[0:1]
.LBB404_30:
	s_nop 0
	s_sendmsg sendmsg(MSG_DEALLOC_VGPRS)
	s_endpgm
	.section	.rodata,"a",@progbits
	.p2align	6, 0x0
	.amdhsa_kernel _ZL32rocblas_gemvt_warp_reduce_kernelILb0ELi256EiDF16_fDF16_EviiT3_lPKT2_lT1_lS3_lS4_lS0_lPT4_lS4_li
		.amdhsa_group_segment_fixed_size 128
		.amdhsa_private_segment_fixed_size 0
		.amdhsa_kernarg_size 140
		.amdhsa_user_sgpr_count 14
		.amdhsa_user_sgpr_dispatch_ptr 0
		.amdhsa_user_sgpr_queue_ptr 0
		.amdhsa_user_sgpr_kernarg_segment_ptr 1
		.amdhsa_user_sgpr_dispatch_id 0
		.amdhsa_user_sgpr_private_segment_size 0
		.amdhsa_wavefront_size32 1
		.amdhsa_uses_dynamic_stack 0
		.amdhsa_enable_private_segment 0
		.amdhsa_system_sgpr_workgroup_id_x 1
		.amdhsa_system_sgpr_workgroup_id_y 0
		.amdhsa_system_sgpr_workgroup_id_z 1
		.amdhsa_system_sgpr_workgroup_info 0
		.amdhsa_system_vgpr_workitem_id 0
		.amdhsa_next_free_vgpr 11
		.amdhsa_next_free_sgpr 24
		.amdhsa_reserve_vcc 1
		.amdhsa_float_round_mode_32 0
		.amdhsa_float_round_mode_16_64 0
		.amdhsa_float_denorm_mode_32 3
		.amdhsa_float_denorm_mode_16_64 3
		.amdhsa_dx10_clamp 1
		.amdhsa_ieee_mode 1
		.amdhsa_fp16_overflow 0
		.amdhsa_workgroup_processor_mode 1
		.amdhsa_memory_ordered 1
		.amdhsa_forward_progress 0
		.amdhsa_shared_vgpr_count 0
		.amdhsa_exception_fp_ieee_invalid_op 0
		.amdhsa_exception_fp_denorm_src 0
		.amdhsa_exception_fp_ieee_div_zero 0
		.amdhsa_exception_fp_ieee_overflow 0
		.amdhsa_exception_fp_ieee_underflow 0
		.amdhsa_exception_fp_ieee_inexact 0
		.amdhsa_exception_int_div_zero 0
	.end_amdhsa_kernel
	.section	.text._ZL32rocblas_gemvt_warp_reduce_kernelILb0ELi256EiDF16_fDF16_EviiT3_lPKT2_lT1_lS3_lS4_lS0_lPT4_lS4_li,"axG",@progbits,_ZL32rocblas_gemvt_warp_reduce_kernelILb0ELi256EiDF16_fDF16_EviiT3_lPKT2_lT1_lS3_lS4_lS0_lPT4_lS4_li,comdat
.Lfunc_end404:
	.size	_ZL32rocblas_gemvt_warp_reduce_kernelILb0ELi256EiDF16_fDF16_EviiT3_lPKT2_lT1_lS3_lS4_lS0_lPT4_lS4_li, .Lfunc_end404-_ZL32rocblas_gemvt_warp_reduce_kernelILb0ELi256EiDF16_fDF16_EviiT3_lPKT2_lT1_lS3_lS4_lS0_lPT4_lS4_li
                                        ; -- End function
	.section	.AMDGPU.csdata,"",@progbits
; Kernel info:
; codeLenInByte = 1408
; NumSgprs: 26
; NumVgprs: 11
; ScratchSize: 0
; MemoryBound: 0
; FloatMode: 240
; IeeeMode: 1
; LDSByteSize: 128 bytes/workgroup (compile time only)
; SGPRBlocks: 3
; VGPRBlocks: 1
; NumSGPRsForWavesPerEU: 26
; NumVGPRsForWavesPerEU: 11
; Occupancy: 16
; WaveLimiterHint : 1
; COMPUTE_PGM_RSRC2:SCRATCH_EN: 0
; COMPUTE_PGM_RSRC2:USER_SGPR: 14
; COMPUTE_PGM_RSRC2:TRAP_HANDLER: 0
; COMPUTE_PGM_RSRC2:TGID_X_EN: 1
; COMPUTE_PGM_RSRC2:TGID_Y_EN: 0
; COMPUTE_PGM_RSRC2:TGID_Z_EN: 1
; COMPUTE_PGM_RSRC2:TIDIG_COMP_CNT: 0
	.section	.text._ZL32rocblas_gemvt_warp_reduce_kernelILb0ELi256ElDF16_fDF16_EviiT3_lPKT2_lT1_lS3_lS4_lS0_lPT4_lS4_li,"axG",@progbits,_ZL32rocblas_gemvt_warp_reduce_kernelILb0ELi256ElDF16_fDF16_EviiT3_lPKT2_lT1_lS3_lS4_lS0_lPT4_lS4_li,comdat
	.globl	_ZL32rocblas_gemvt_warp_reduce_kernelILb0ELi256ElDF16_fDF16_EviiT3_lPKT2_lT1_lS3_lS4_lS0_lPT4_lS4_li ; -- Begin function _ZL32rocblas_gemvt_warp_reduce_kernelILb0ELi256ElDF16_fDF16_EviiT3_lPKT2_lT1_lS3_lS4_lS0_lPT4_lS4_li
	.p2align	8
	.type	_ZL32rocblas_gemvt_warp_reduce_kernelILb0ELi256ElDF16_fDF16_EviiT3_lPKT2_lT1_lS3_lS4_lS0_lPT4_lS4_li,@function
_ZL32rocblas_gemvt_warp_reduce_kernelILb0ELi256ElDF16_fDF16_EviiT3_lPKT2_lT1_lS3_lS4_lS0_lPT4_lS4_li: ; @_ZL32rocblas_gemvt_warp_reduce_kernelILb0ELi256ElDF16_fDF16_EviiT3_lPKT2_lT1_lS3_lS4_lS0_lPT4_lS4_li
; %bb.0:
	s_clause 0x1
	s_load_b32 s33, s[0:1], 0x8
	s_load_b32 s12, s[0:1], 0x58
	s_mov_b32 s13, 0
	s_waitcnt lgkmcnt(0)
	v_cmp_eq_f32_e64 s2, s33, 0
	v_cmp_eq_f32_e64 s3, s12, 1.0
	s_delay_alu instid0(VALU_DEP_1) | instskip(NEXT) | instid1(SALU_CYCLE_1)
	s_and_b32 s2, s2, s3
	s_and_b32 vcc_lo, exec_lo, s2
	s_cbranch_vccnz .LBB405_30
; %bb.1:
	s_load_b256 s[4:11], s[0:1], 0x68
	v_cmp_neq_f32_e64 s16, s33, 0
	s_waitcnt lgkmcnt(0)
	s_mul_i32 s3, s15, s11
	s_mul_hi_u32 s11, s15, s10
	s_mul_i32 s2, s15, s10
	s_add_i32 s3, s11, s3
	s_delay_alu instid0(SALU_CYCLE_1) | instskip(NEXT) | instid1(SALU_CYCLE_1)
	s_lshl_b64 s[2:3], s[2:3], 1
	s_add_u32 s4, s4, s2
	s_addc_u32 s5, s5, s3
	s_lshl_b64 s[2:3], s[6:7], 1
	s_delay_alu instid0(SALU_CYCLE_1)
	s_add_u32 s10, s4, s2
	v_cmp_eq_u32_e64 s2, 0, v0
	s_addc_u32 s11, s5, s3
	s_and_b32 vcc_lo, exec_lo, s16
	s_cbranch_vccnz .LBB405_5
; %bb.2:
	s_mov_b32 s3, 0
                                        ; implicit-def: $vgpr1
                                        ; implicit-def: $sgpr4_sgpr5
	s_and_saveexec_b32 s6, s2
	s_cbranch_execz .LBB405_6
; %bb.3:
	v_cmp_eq_f32_e64 s2, s12, 0
	s_mul_i32 s4, s14, s9
	s_mul_hi_u32 s5, s14, s8
	s_ashr_i32 s7, s14, 31
	s_add_i32 s4, s5, s4
	s_mul_i32 s7, s7, s8
	s_and_b32 vcc_lo, exec_lo, s2
	s_add_i32 s5, s4, s7
	s_mul_i32 s4, s14, s8
	s_cbranch_vccnz .LBB405_7
; %bb.4:
	s_lshl_b64 s[16:17], s[4:5], 1
	v_mov_b32_e32 v1, 0
	s_add_u32 s16, s10, s16
	s_addc_u32 s17, s11, s17
	global_load_u16 v1, v1, s[16:17]
	s_waitcnt vmcnt(0)
	v_fma_mixlo_f16 v1, v1, s12, 0 op_sel_hi:[1,0,0]
	s_branch .LBB405_8
.LBB405_5:
                                        ; implicit-def: $vgpr1
                                        ; implicit-def: $sgpr4_sgpr5
	s_cbranch_execnz .LBB405_9
	s_branch .LBB405_28
.LBB405_6:
	s_or_b32 exec_lo, exec_lo, s6
	s_delay_alu instid0(SALU_CYCLE_1)
	s_and_b32 vcc_lo, exec_lo, s3
	s_cbranch_vccnz .LBB405_9
	s_branch .LBB405_28
.LBB405_7:
	v_mov_b32_e32 v1, 0
.LBB405_8:
	s_mov_b32 s13, exec_lo
	s_or_b32 exec_lo, exec_lo, s6
	s_delay_alu instid0(SALU_CYCLE_1)
	s_and_b32 vcc_lo, exec_lo, s3
	s_cbranch_vccz .LBB405_28
.LBB405_9:
	s_clause 0x1
	s_load_b512 s[16:31], s[0:1], 0x18
	s_load_b32 s5, s[0:1], 0x0
	v_mov_b32_e32 v7, 0
	s_waitcnt lgkmcnt(0)
	s_mul_i32 s1, s15, s23
	s_mul_hi_u32 s4, s15, s22
	s_mul_i32 s0, s15, s22
	s_add_i32 s1, s4, s1
	s_mul_i32 s2, s15, s31
	s_mul_hi_u32 s3, s15, s30
	s_lshl_b64 s[0:1], s[0:1], 1
	s_add_i32 s3, s3, s2
	v_cmp_gt_i32_e32 vcc_lo, s5, v0
	s_add_u32 s2, s16, s0
	s_addc_u32 s6, s17, s1
	s_lshl_b64 s[0:1], s[18:19], 1
	s_mul_i32 s4, s14, s21
	s_add_u32 s0, s2, s0
	s_mul_hi_u32 s7, s14, s20
	s_addc_u32 s2, s6, s1
	s_ashr_i32 s1, s14, 31
	v_cndmask_b32_e32 v1, 0, v0, vcc_lo
	s_add_i32 s4, s7, s4
	s_mul_i32 s7, s1, s20
	s_mul_i32 s6, s14, s20
	s_add_i32 s7, s4, s7
	v_lshlrev_b32_e32 v1, 1, v1
	s_lshl_b64 s[6:7], s[6:7], 1
	s_mov_b32 s16, 0
	s_add_u32 s0, s6, s0
	s_addc_u32 s2, s7, s2
	s_ashr_i32 s4, s5, 31
	v_add_co_u32 v1, s0, s0, v1
	s_lshr_b32 s4, s4, 24
	v_add_co_ci_u32_e64 v2, null, s2, 0, s0
	s_add_i32 s4, s5, s4
	s_mul_i32 s2, s15, s30
	s_and_b32 s4, s4, 0xffffff00
	s_mov_b32 s15, exec_lo
	v_cmpx_gt_i32_e64 s4, v0
	s_cbranch_execz .LBB405_13
; %bb.10:
	v_mad_u64_u32 v[5:6], null, s28, v0, 0
	s_lshl_b64 s[18:19], s[26:27], 1
	s_lshl_b64 s[6:7], s[2:3], 1
	s_add_u32 s0, s24, s18
	s_addc_u32 s17, s25, s19
	s_add_u32 s0, s0, s6
	s_addc_u32 s6, s17, s7
	s_delay_alu instid0(VALU_DEP_1) | instskip(NEXT) | instid1(VALU_DEP_1)
	v_dual_mov_b32 v3, v6 :: v_dual_mov_b32 v8, v0
	v_mad_u64_u32 v[6:7], null, s29, v0, v[3:4]
	v_dual_mov_b32 v7, 0 :: v_dual_mov_b32 v4, v2
	v_mov_b32_e32 v3, v1
	s_delay_alu instid0(VALU_DEP_3) | instskip(NEXT) | instid1(VALU_DEP_1)
	v_lshlrev_b64 v[5:6], 1, v[5:6]
	v_add_co_u32 v5, vcc_lo, s0, v5
	s_delay_alu instid0(VALU_DEP_2)
	v_add_co_ci_u32_e32 v6, vcc_lo, s6, v6, vcc_lo
	s_lshl_b64 s[6:7], s[28:29], 9
	.p2align	6
.LBB405_11:                             ; =>This Inner Loop Header: Depth=1
	global_load_u16 v9, v[3:4], off
	global_load_u16 v10, v[5:6], off
	v_add_co_u32 v3, vcc_lo, 0x200, v3
	v_add_co_ci_u32_e32 v4, vcc_lo, 0, v4, vcc_lo
	v_add_co_u32 v5, vcc_lo, v5, s6
	v_add_co_ci_u32_e32 v6, vcc_lo, s7, v6, vcc_lo
	s_waitcnt vmcnt(0)
	v_mul_f16_e32 v9, v9, v10
	s_delay_alu instid0(VALU_DEP_1) | instskip(NEXT) | instid1(VALU_DEP_1)
	v_cvt_f32_f16_e32 v9, v9
	v_dual_add_f32 v7, v7, v9 :: v_dual_add_nc_u32 v8, 0x100, v8
	s_delay_alu instid0(VALU_DEP_1) | instskip(NEXT) | instid1(VALU_DEP_1)
	v_cmp_le_i32_e64 s0, s4, v8
	s_or_b32 s16, s0, s16
	s_delay_alu instid0(SALU_CYCLE_1)
	s_and_not1_b32 exec_lo, exec_lo, s16
	s_cbranch_execnz .LBB405_11
; %bb.12:
	s_or_b32 exec_lo, exec_lo, s16
.LBB405_13:
	s_delay_alu instid0(SALU_CYCLE_1) | instskip(SKIP_2) | instid1(VALU_DEP_1)
	s_or_b32 exec_lo, exec_lo, s15
	v_add_nc_u32_e32 v3, s4, v0
	s_mov_b32 s0, exec_lo
	v_cmpx_gt_i32_e64 s5, v3
	s_cbranch_execz .LBB405_15
; %bb.14:
	v_ashrrev_i32_e32 v6, 31, v3
	v_mul_lo_u32 v8, v3, s29
	v_mad_u64_u32 v[4:5], null, v3, s28, 0
	s_lshl_b64 s[2:3], s[2:3], 1
	s_delay_alu instid0(VALU_DEP_3) | instskip(SKIP_3) | instid1(SALU_CYCLE_1)
	v_mul_lo_u32 v3, v6, s28
	s_add_u32 s5, s24, s2
	s_addc_u32 s6, s25, s3
	s_lshl_b64 s[2:3], s[26:27], 1
	s_add_u32 s7, s5, s2
	s_addc_u32 s6, s6, s3
	s_ashr_i32 s5, s4, 31
	s_delay_alu instid0(VALU_DEP_1) | instskip(SKIP_1) | instid1(SALU_CYCLE_1)
	v_add3_u32 v5, v5, v8, v3
	s_lshl_b64 s[2:3], s[4:5], 1
	v_add_co_u32 v1, vcc_lo, v1, s2
	s_delay_alu instid0(VALU_DEP_2) | instskip(SKIP_1) | instid1(VALU_DEP_2)
	v_lshlrev_b64 v[3:4], 1, v[4:5]
	v_add_co_ci_u32_e32 v2, vcc_lo, s3, v2, vcc_lo
	v_add_co_u32 v3, vcc_lo, s7, v3
	s_delay_alu instid0(VALU_DEP_3) | instskip(SKIP_4) | instid1(VALU_DEP_1)
	v_add_co_ci_u32_e32 v4, vcc_lo, s6, v4, vcc_lo
	global_load_u16 v1, v[1:2], off
	global_load_u16 v2, v[3:4], off
	s_waitcnt vmcnt(0)
	v_mul_f16_e32 v1, v1, v2
	v_cvt_f32_f16_e32 v1, v1
	s_delay_alu instid0(VALU_DEP_1)
	v_add_f32_e32 v7, v7, v1
.LBB405_15:
	s_or_b32 exec_lo, exec_lo, s0
	v_and_b32_e32 v4, 31, v0
	v_cmp_gt_u32_e32 vcc_lo, 32, v0
	s_delay_alu instid0(VALU_DEP_2)
	v_lshlrev_b32_e32 v1, 2, v4
	s_and_saveexec_b32 s0, vcc_lo
	s_cbranch_execz .LBB405_17
; %bb.16:
	v_mov_b32_e32 v2, 0
	ds_store_b32 v1, v2
.LBB405_17:
	s_or_b32 exec_lo, exec_lo, s0
	v_mbcnt_lo_u32_b32 v5, -1, 0
	s_mov_b32 s2, exec_lo
	s_waitcnt lgkmcnt(0)
	s_barrier
	buffer_gl0_inv
	v_cmp_gt_u32_e64 s0, 16, v5
	s_delay_alu instid0(VALU_DEP_1) | instskip(SKIP_1) | instid1(VALU_DEP_2)
	v_cndmask_b32_e64 v2, 0, 1, s0
	v_cmp_gt_u32_e64 s0, 24, v5
	v_lshlrev_b32_e32 v2, 4, v2
	s_delay_alu instid0(VALU_DEP_2) | instskip(SKIP_1) | instid1(VALU_DEP_3)
	v_cndmask_b32_e64 v3, 0, 1, s0
	v_cmp_gt_u32_e64 s0, 28, v5
	v_add_lshl_u32 v2, v2, v5, 2
	ds_bpermute_b32 v2, v2, v7
	s_waitcnt lgkmcnt(0)
	v_dual_add_f32 v6, v7, v2 :: v_dual_lshlrev_b32 v3, 3, v3
	s_delay_alu instid0(VALU_DEP_1) | instskip(SKIP_4) | instid1(VALU_DEP_1)
	v_add_lshl_u32 v3, v3, v5, 2
	v_cndmask_b32_e64 v2, 0, 1, s0
	v_cmp_gt_u32_e64 s0, 30, v5
	ds_bpermute_b32 v3, v3, v6
	v_lshlrev_b32_e32 v2, 2, v2
	v_add_lshl_u32 v2, v2, v5, 2
	s_waitcnt lgkmcnt(0)
	v_add_f32_e32 v6, v6, v3
	v_cndmask_b32_e64 v3, 0, 1, s0
	v_cmp_ne_u32_e64 s0, 31, v5
	s_delay_alu instid0(VALU_DEP_2) | instskip(NEXT) | instid1(VALU_DEP_1)
	v_lshlrev_b32_e32 v3, 1, v3
	v_add_lshl_u32 v3, v3, v5, 2
	s_delay_alu instid0(VALU_DEP_3) | instskip(NEXT) | instid1(VALU_DEP_1)
	v_add_co_ci_u32_e64 v5, s0, 0, v5, s0
	v_lshlrev_b32_e32 v5, 2, v5
	ds_bpermute_b32 v7, v2, v6
	s_waitcnt lgkmcnt(0)
	v_add_f32_e32 v6, v6, v7
	ds_bpermute_b32 v7, v3, v6
	s_waitcnt lgkmcnt(0)
	v_add_f32_e32 v6, v6, v7
	ds_bpermute_b32 v7, v5, v6
	v_cmpx_eq_u32_e32 0, v4
	s_cbranch_execz .LBB405_19
; %bb.18:
	v_lshrrev_b32_e32 v4, 3, v0
	s_waitcnt lgkmcnt(0)
	v_add_f32_e32 v6, v6, v7
	s_delay_alu instid0(VALU_DEP_2)
	v_and_b32_e32 v4, 28, v4
	ds_store_b32 v4, v6
.LBB405_19:
	s_or_b32 exec_lo, exec_lo, s2
	v_mov_b32_e32 v4, 0
	s_mov_b32 s2, exec_lo
	s_waitcnt lgkmcnt(0)
	s_barrier
	buffer_gl0_inv
	v_cmpx_gt_u32_e32 8, v0
	s_cbranch_execz .LBB405_21
; %bb.20:
	ds_load_b32 v4, v1
.LBB405_21:
	s_or_b32 exec_lo, exec_lo, s2
	s_and_saveexec_b32 s0, vcc_lo
	s_cbranch_execz .LBB405_23
; %bb.22:
	s_waitcnt lgkmcnt(0)
	ds_bpermute_b32 v1, v2, v4
	s_waitcnt lgkmcnt(0)
	v_add_f32_e32 v1, v4, v1
	ds_bpermute_b32 v2, v3, v1
	s_waitcnt lgkmcnt(0)
	v_add_f32_e32 v1, v1, v2
	;; [unrolled: 3-line block ×3, first 2 shown]
.LBB405_23:
	s_or_b32 exec_lo, exec_lo, s0
	s_delay_alu instid0(SALU_CYCLE_1)
	s_mov_b32 s0, exec_lo
                                        ; implicit-def: $vgpr1
                                        ; implicit-def: $sgpr4_sgpr5
	v_cmpx_eq_u32_e32 0, v0
	s_cbranch_execz .LBB405_27
; %bb.24:
	v_cmp_eq_f32_e64 s4, s12, 0
	s_mul_i32 s2, s14, s9
	s_mul_hi_u32 s3, s14, s8
	s_waitcnt lgkmcnt(0)
	v_mul_f32_e32 v0, s33, v4
	s_add_i32 s2, s3, s2
	s_mul_i32 s1, s1, s8
	s_and_b32 vcc_lo, exec_lo, s4
	s_add_i32 s5, s2, s1
	s_mul_i32 s4, s14, s8
	s_cbranch_vccnz .LBB405_26
; %bb.25:
	s_lshl_b64 s[2:3], s[4:5], 1
	v_mov_b32_e32 v1, 0
	s_add_u32 s2, s10, s2
	s_addc_u32 s3, s11, s3
	global_load_u16 v1, v1, s[2:3]
	s_waitcnt vmcnt(0)
	v_fma_mix_f32 v0, v1, s12, v0 op_sel_hi:[1,0,0]
.LBB405_26:
	s_delay_alu instid0(VALU_DEP_1)
	v_cvt_f16_f32_e32 v1, v0
	s_or_b32 s13, s13, exec_lo
.LBB405_27:
	s_or_b32 exec_lo, exec_lo, s0
.LBB405_28:
	s_and_saveexec_b32 s0, s13
	s_cbranch_execz .LBB405_30
; %bb.29:
	s_lshl_b64 s[0:1], s[4:5], 1
	v_mov_b32_e32 v0, 0
	s_add_u32 s0, s10, s0
	s_addc_u32 s1, s11, s1
	global_store_b16 v0, v1, s[0:1]
.LBB405_30:
	s_nop 0
	s_sendmsg sendmsg(MSG_DEALLOC_VGPRS)
	s_endpgm
	.section	.rodata,"a",@progbits
	.p2align	6, 0x0
	.amdhsa_kernel _ZL32rocblas_gemvt_warp_reduce_kernelILb0ELi256ElDF16_fDF16_EviiT3_lPKT2_lT1_lS3_lS4_lS0_lPT4_lS4_li
		.amdhsa_group_segment_fixed_size 128
		.amdhsa_private_segment_fixed_size 0
		.amdhsa_kernarg_size 140
		.amdhsa_user_sgpr_count 14
		.amdhsa_user_sgpr_dispatch_ptr 0
		.amdhsa_user_sgpr_queue_ptr 0
		.amdhsa_user_sgpr_kernarg_segment_ptr 1
		.amdhsa_user_sgpr_dispatch_id 0
		.amdhsa_user_sgpr_private_segment_size 0
		.amdhsa_wavefront_size32 1
		.amdhsa_uses_dynamic_stack 0
		.amdhsa_enable_private_segment 0
		.amdhsa_system_sgpr_workgroup_id_x 1
		.amdhsa_system_sgpr_workgroup_id_y 0
		.amdhsa_system_sgpr_workgroup_id_z 1
		.amdhsa_system_sgpr_workgroup_info 0
		.amdhsa_system_vgpr_workitem_id 0
		.amdhsa_next_free_vgpr 11
		.amdhsa_next_free_sgpr 34
		.amdhsa_reserve_vcc 1
		.amdhsa_float_round_mode_32 0
		.amdhsa_float_round_mode_16_64 0
		.amdhsa_float_denorm_mode_32 3
		.amdhsa_float_denorm_mode_16_64 3
		.amdhsa_dx10_clamp 1
		.amdhsa_ieee_mode 1
		.amdhsa_fp16_overflow 0
		.amdhsa_workgroup_processor_mode 1
		.amdhsa_memory_ordered 1
		.amdhsa_forward_progress 0
		.amdhsa_shared_vgpr_count 0
		.amdhsa_exception_fp_ieee_invalid_op 0
		.amdhsa_exception_fp_denorm_src 0
		.amdhsa_exception_fp_ieee_div_zero 0
		.amdhsa_exception_fp_ieee_overflow 0
		.amdhsa_exception_fp_ieee_underflow 0
		.amdhsa_exception_fp_ieee_inexact 0
		.amdhsa_exception_int_div_zero 0
	.end_amdhsa_kernel
	.section	.text._ZL32rocblas_gemvt_warp_reduce_kernelILb0ELi256ElDF16_fDF16_EviiT3_lPKT2_lT1_lS3_lS4_lS0_lPT4_lS4_li,"axG",@progbits,_ZL32rocblas_gemvt_warp_reduce_kernelILb0ELi256ElDF16_fDF16_EviiT3_lPKT2_lT1_lS3_lS4_lS0_lPT4_lS4_li,comdat
.Lfunc_end405:
	.size	_ZL32rocblas_gemvt_warp_reduce_kernelILb0ELi256ElDF16_fDF16_EviiT3_lPKT2_lT1_lS3_lS4_lS0_lPT4_lS4_li, .Lfunc_end405-_ZL32rocblas_gemvt_warp_reduce_kernelILb0ELi256ElDF16_fDF16_EviiT3_lPKT2_lT1_lS3_lS4_lS0_lPT4_lS4_li
                                        ; -- End function
	.section	.AMDGPU.csdata,"",@progbits
; Kernel info:
; codeLenInByte = 1468
; NumSgprs: 36
; NumVgprs: 11
; ScratchSize: 0
; MemoryBound: 0
; FloatMode: 240
; IeeeMode: 1
; LDSByteSize: 128 bytes/workgroup (compile time only)
; SGPRBlocks: 4
; VGPRBlocks: 1
; NumSGPRsForWavesPerEU: 36
; NumVGPRsForWavesPerEU: 11
; Occupancy: 16
; WaveLimiterHint : 1
; COMPUTE_PGM_RSRC2:SCRATCH_EN: 0
; COMPUTE_PGM_RSRC2:USER_SGPR: 14
; COMPUTE_PGM_RSRC2:TRAP_HANDLER: 0
; COMPUTE_PGM_RSRC2:TGID_X_EN: 1
; COMPUTE_PGM_RSRC2:TGID_Y_EN: 0
; COMPUTE_PGM_RSRC2:TGID_Z_EN: 1
; COMPUTE_PGM_RSRC2:TIDIG_COMP_CNT: 0
	.section	.text._ZL20rocblas_gemvt_kernelILb0ELi256EDF16_PKfDF16_EviiT2_lPKT1_lilS5_lilS2_lPT3_lili,"axG",@progbits,_ZL20rocblas_gemvt_kernelILb0ELi256EDF16_PKfDF16_EviiT2_lPKT1_lilS5_lilS2_lPT3_lili,comdat
	.globl	_ZL20rocblas_gemvt_kernelILb0ELi256EDF16_PKfDF16_EviiT2_lPKT1_lilS5_lilS2_lPT3_lili ; -- Begin function _ZL20rocblas_gemvt_kernelILb0ELi256EDF16_PKfDF16_EviiT2_lPKT1_lilS5_lilS2_lPT3_lili
	.p2align	8
	.type	_ZL20rocblas_gemvt_kernelILb0ELi256EDF16_PKfDF16_EviiT2_lPKT1_lilS5_lilS2_lPT3_lili,@function
_ZL20rocblas_gemvt_kernelILb0ELi256EDF16_PKfDF16_EviiT2_lPKT1_lilS5_lilS2_lPT3_lili: ; @_ZL20rocblas_gemvt_kernelILb0ELi256EDF16_PKfDF16_EviiT2_lPKT1_lilS5_lilS2_lPT3_lili
; %bb.0:
	s_clause 0x1
	s_load_b256 s[16:23], s[0:1], 0x8
	s_load_b256 s[4:11], s[0:1], 0x50
	s_waitcnt lgkmcnt(0)
	s_mul_i32 s3, s15, s19
	s_mul_hi_u32 s12, s15, s18
	s_mul_i32 s2, s15, s18
	s_add_i32 s3, s12, s3
	s_mul_i32 s9, s15, s9
	s_lshl_b64 s[2:3], s[2:3], 2
	s_mul_hi_u32 s12, s15, s8
	s_add_u32 s2, s16, s2
	s_addc_u32 s3, s17, s3
	s_add_i32 s9, s12, s9
	s_mul_i32 s8, s15, s8
	s_mov_b32 s17, 0
	s_lshl_b64 s[8:9], s[8:9], 2
	s_delay_alu instid0(SALU_CYCLE_1)
	s_add_u32 s6, s6, s8
	s_addc_u32 s7, s7, s9
	s_load_b32 s18, s[2:3], 0x0
	s_load_b32 s16, s[6:7], 0x0
	s_waitcnt lgkmcnt(0)
	v_cmp_eq_f32_e64 s2, s18, 0
	v_cmp_eq_f32_e64 s3, s16, 1.0
	s_delay_alu instid0(VALU_DEP_1) | instskip(NEXT) | instid1(SALU_CYCLE_1)
	s_and_b32 s2, s2, s3
	s_and_b32 vcc_lo, exec_lo, s2
	s_cbranch_vccnz .LBB406_37
; %bb.1:
	s_clause 0x2
	s_load_b64 s[2:3], s[0:1], 0x80
	s_load_b64 s[6:7], s[0:1], 0x70
	s_load_b32 s19, s[0:1], 0x78
	s_waitcnt lgkmcnt(0)
	s_mul_i32 s3, s15, s3
	s_mul_hi_u32 s8, s15, s2
	s_mul_i32 s2, s15, s2
	s_add_i32 s3, s8, s3
	v_cmp_neq_f32_e64 s8, s18, 0
	s_lshl_b64 s[2:3], s[2:3], 1
	s_delay_alu instid0(SALU_CYCLE_1) | instskip(SKIP_2) | instid1(SALU_CYCLE_1)
	s_add_u32 s9, s10, s2
	s_addc_u32 s10, s11, s3
	s_lshl_b64 s[2:3], s[6:7], 1
	s_add_u32 s12, s9, s2
	v_cmp_eq_u32_e64 s2, 0, v0
	s_addc_u32 s13, s10, s3
	s_and_b32 vcc_lo, exec_lo, s8
	s_cbranch_vccnz .LBB406_5
; %bb.2:
	s_mov_b32 s3, 0
                                        ; implicit-def: $vgpr1
                                        ; implicit-def: $sgpr6_sgpr7
	s_and_saveexec_b32 s8, s2
	s_cbranch_execz .LBB406_6
; %bb.3:
	v_cmp_eq_f32_e64 s2, s16, 0
	s_mul_hi_i32 s7, s19, s14
	s_mul_i32 s6, s19, s14
	s_delay_alu instid0(VALU_DEP_1)
	s_and_b32 vcc_lo, exec_lo, s2
	s_cbranch_vccnz .LBB406_7
; %bb.4:
	s_lshl_b64 s[10:11], s[6:7], 1
	v_mov_b32_e32 v1, 0
	s_add_u32 s10, s12, s10
	s_addc_u32 s11, s13, s11
	global_load_u16 v1, v1, s[10:11]
	s_waitcnt vmcnt(0)
	v_fma_mixlo_f16 v1, s16, v1, 0 op_sel_hi:[0,1,0]
	s_branch .LBB406_8
.LBB406_5:
                                        ; implicit-def: $vgpr1
                                        ; implicit-def: $sgpr6_sgpr7
	s_cbranch_execnz .LBB406_9
	s_branch .LBB406_35
.LBB406_6:
	s_or_b32 exec_lo, exec_lo, s8
	s_delay_alu instid0(SALU_CYCLE_1)
	s_and_b32 vcc_lo, exec_lo, s3
	s_cbranch_vccnz .LBB406_9
	s_branch .LBB406_35
.LBB406_7:
	v_mov_b32_e32 v1, 0
.LBB406_8:
	s_mov_b32 s17, exec_lo
	s_or_b32 exec_lo, exec_lo, s8
	s_delay_alu instid0(SALU_CYCLE_1)
	s_and_b32 vcc_lo, exec_lo, s3
	s_cbranch_vccz .LBB406_35
.LBB406_9:
	s_clause 0x4
	s_load_b128 s[8:11], s[0:1], 0x30
	s_load_b32 s7, s[0:1], 0x0
	s_load_b32 s6, s[0:1], 0x28
	s_load_b64 s[2:3], s[0:1], 0x40
	s_load_b32 s0, s[0:1], 0x48
	s_mul_i32 s5, s15, s5
	s_mul_hi_u32 s24, s15, s4
	v_mov_b32_e32 v7, 0
	s_add_i32 s5, s24, s5
	s_mul_i32 s4, s15, s4
	s_waitcnt lgkmcnt(0)
	s_mul_i32 s1, s15, s9
	s_mul_hi_u32 s9, s15, s8
	v_cmp_gt_i32_e32 vcc_lo, s7, v0
	s_mul_i32 s8, s15, s8
	s_add_i32 s9, s9, s1
	s_mul_hi_i32 s25, s6, s14
	s_lshl_b64 s[8:9], s[8:9], 1
	v_cndmask_b32_e32 v1, 0, v0, vcc_lo
	s_add_u32 s1, s20, s8
	s_addc_u32 s20, s21, s9
	s_lshl_b64 s[8:9], s[22:23], 1
	s_mul_i32 s24, s6, s14
	s_add_u32 s1, s1, s8
	s_addc_u32 s6, s20, s9
	s_lshl_b64 s[8:9], s[24:25], 1
	v_lshlrev_b32_e32 v1, 1, v1
	s_add_u32 s1, s8, s1
	s_addc_u32 s6, s9, s6
	s_ashr_i32 s8, s7, 31
	s_mov_b32 s15, 0
	s_lshr_b32 s8, s8, 24
	v_add_co_u32 v1, s1, s1, v1
	s_add_i32 s8, s7, s8
	v_add_co_ci_u32_e64 v2, null, s6, 0, s1
	s_and_b32 s6, s8, 0xffffff00
	s_cmpk_lt_i32 s7, 0x100
	s_cbranch_scc1 .LBB406_12
; %bb.10:
	v_mad_i64_i32 v[3:4], null, s0, v0, 0
	s_lshl_b64 s[20:21], s[2:3], 1
	s_ashr_i32 s1, s0, 31
	s_lshl_b64 s[8:9], s[4:5], 1
	s_add_u32 s20, s10, s20
	s_addc_u32 s21, s11, s21
	s_add_u32 s8, s20, s8
	s_delay_alu instid0(VALU_DEP_1) | instskip(SKIP_3) | instid1(VALU_DEP_3)
	v_lshlrev_b64 v[3:4], 1, v[3:4]
	s_addc_u32 s9, s21, s9
	v_dual_mov_b32 v7, 0 :: v_dual_mov_b32 v6, v2
	v_mov_b32_e32 v5, v1
	v_add_co_u32 v3, vcc_lo, s8, v3
	s_delay_alu instid0(VALU_DEP_4)
	v_add_co_ci_u32_e32 v4, vcc_lo, s9, v4, vcc_lo
	s_lshl_b64 s[8:9], s[0:1], 9
	.p2align	6
.LBB406_11:                             ; =>This Inner Loop Header: Depth=1
	global_load_u16 v8, v[5:6], off
	global_load_u16 v9, v[3:4], off
	v_add_co_u32 v3, vcc_lo, v3, s8
	v_add_co_ci_u32_e32 v4, vcc_lo, s9, v4, vcc_lo
	v_add_co_u32 v5, vcc_lo, 0x200, v5
	v_add_co_ci_u32_e32 v6, vcc_lo, 0, v6, vcc_lo
	s_addk_i32 s15, 0x100
	s_delay_alu instid0(SALU_CYCLE_1) | instskip(SKIP_2) | instid1(VALU_DEP_1)
	s_cmp_ge_i32 s15, s6
	s_waitcnt vmcnt(0)
	v_mul_f16_e32 v8, v8, v9
	v_cvt_f32_f16_e32 v8, v8
	s_delay_alu instid0(VALU_DEP_1)
	v_add_f32_e32 v7, v7, v8
	s_cbranch_scc0 .LBB406_11
.LBB406_12:
	v_add_nc_u32_e32 v3, s6, v0
	s_mov_b32 s1, exec_lo
	s_delay_alu instid0(VALU_DEP_1)
	v_cmpx_gt_i32_e64 s7, v3
	s_cbranch_execz .LBB406_14
; %bb.13:
	v_mad_i64_i32 v[4:5], null, s0, v3, 0
	s_lshl_b64 s[4:5], s[4:5], 1
	s_delay_alu instid0(SALU_CYCLE_1) | instskip(SKIP_2) | instid1(SALU_CYCLE_1)
	s_add_u32 s4, s10, s4
	s_addc_u32 s5, s11, s5
	s_lshl_b64 s[2:3], s[2:3], 1
	s_add_u32 s0, s4, s2
	s_addc_u32 s4, s5, s3
	s_ashr_i32 s7, s6, 31
	v_lshlrev_b64 v[3:4], 1, v[4:5]
	s_lshl_b64 s[2:3], s[6:7], 1
	s_delay_alu instid0(SALU_CYCLE_1) | instskip(SKIP_1) | instid1(VALU_DEP_3)
	v_add_co_u32 v1, vcc_lo, v1, s2
	v_add_co_ci_u32_e32 v2, vcc_lo, s3, v2, vcc_lo
	v_add_co_u32 v3, vcc_lo, s0, v3
	s_delay_alu instid0(VALU_DEP_4) | instskip(SKIP_4) | instid1(VALU_DEP_1)
	v_add_co_ci_u32_e32 v4, vcc_lo, s4, v4, vcc_lo
	global_load_u16 v1, v[1:2], off
	global_load_u16 v2, v[3:4], off
	s_waitcnt vmcnt(0)
	v_mul_f16_e32 v1, v1, v2
	v_cvt_f32_f16_e32 v1, v1
	s_delay_alu instid0(VALU_DEP_1)
	v_add_f32_e32 v7, v7, v1
.LBB406_14:
	s_or_b32 exec_lo, exec_lo, s1
	v_lshlrev_b32_e32 v1, 2, v0
	s_mov_b32 s0, exec_lo
	ds_store_b32 v1, v7
	s_waitcnt lgkmcnt(0)
	s_barrier
	buffer_gl0_inv
	v_cmpx_gt_u32_e32 0x80, v0
	s_cbranch_execz .LBB406_16
; %bb.15:
	ds_load_2addr_stride64_b32 v[2:3], v1 offset1:2
	s_waitcnt lgkmcnt(0)
	v_add_f32_e32 v2, v3, v2
	ds_store_b32 v1, v2
.LBB406_16:
	s_or_b32 exec_lo, exec_lo, s0
	s_delay_alu instid0(SALU_CYCLE_1)
	s_mov_b32 s0, exec_lo
	s_waitcnt lgkmcnt(0)
	s_barrier
	buffer_gl0_inv
	v_cmpx_gt_u32_e32 64, v0
	s_cbranch_execz .LBB406_18
; %bb.17:
	ds_load_2addr_stride64_b32 v[2:3], v1 offset1:1
	s_waitcnt lgkmcnt(0)
	v_add_f32_e32 v2, v3, v2
	ds_store_b32 v1, v2
.LBB406_18:
	s_or_b32 exec_lo, exec_lo, s0
	s_delay_alu instid0(SALU_CYCLE_1)
	s_mov_b32 s0, exec_lo
	s_waitcnt lgkmcnt(0)
	s_barrier
	buffer_gl0_inv
	v_cmpx_gt_u32_e32 32, v0
	s_cbranch_execz .LBB406_20
; %bb.19:
	ds_load_2addr_b32 v[2:3], v1 offset1:32
	s_waitcnt lgkmcnt(0)
	v_add_f32_e32 v2, v3, v2
	ds_store_b32 v1, v2
.LBB406_20:
	s_or_b32 exec_lo, exec_lo, s0
	s_delay_alu instid0(SALU_CYCLE_1)
	s_mov_b32 s0, exec_lo
	s_waitcnt lgkmcnt(0)
	s_barrier
	buffer_gl0_inv
	v_cmpx_gt_u32_e32 16, v0
	s_cbranch_execz .LBB406_22
; %bb.21:
	ds_load_2addr_b32 v[2:3], v1 offset1:16
	s_waitcnt lgkmcnt(0)
	v_add_f32_e32 v2, v3, v2
	ds_store_b32 v1, v2
.LBB406_22:
	;; [unrolled: 14-line block ×5, first 2 shown]
	s_or_b32 exec_lo, exec_lo, s0
	v_cmp_eq_u32_e32 vcc_lo, 0, v0
	s_waitcnt lgkmcnt(0)
	s_barrier
	buffer_gl0_inv
	s_and_saveexec_b32 s0, vcc_lo
	s_cbranch_execz .LBB406_30
; %bb.29:
	v_mov_b32_e32 v2, 0
	ds_load_b64 v[0:1], v2
	s_waitcnt lgkmcnt(0)
	v_add_f32_e32 v0, v1, v0
	ds_store_b32 v2, v0
.LBB406_30:
	s_or_b32 exec_lo, exec_lo, s0
	s_waitcnt lgkmcnt(0)
	s_barrier
	buffer_gl0_inv
                                        ; implicit-def: $vgpr1
                                        ; implicit-def: $sgpr6_sgpr7
	s_and_saveexec_b32 s0, vcc_lo
	s_cbranch_execz .LBB406_34
; %bb.31:
	v_mov_b32_e32 v1, 0
	v_cmp_eq_f32_e64 s1, s16, 0
	s_mul_hi_i32 s7, s19, s14
	s_mul_i32 s6, s19, s14
	ds_load_b32 v0, v1
	s_and_b32 vcc_lo, exec_lo, s1
	s_waitcnt lgkmcnt(0)
	v_mul_f32_e32 v0, s18, v0
	s_cbranch_vccnz .LBB406_33
; %bb.32:
	s_lshl_b64 s[2:3], s[6:7], 1
	s_delay_alu instid0(SALU_CYCLE_1)
	s_add_u32 s2, s12, s2
	s_addc_u32 s3, s13, s3
	global_load_u16 v1, v1, s[2:3]
	s_waitcnt vmcnt(0)
	v_fma_mix_f32 v0, s16, v1, v0 op_sel_hi:[0,1,0]
.LBB406_33:
	s_delay_alu instid0(VALU_DEP_1)
	v_cvt_f16_f32_e32 v1, v0
	s_or_b32 s17, s17, exec_lo
.LBB406_34:
	s_or_b32 exec_lo, exec_lo, s0
.LBB406_35:
	s_and_saveexec_b32 s0, s17
	s_cbranch_execz .LBB406_37
; %bb.36:
	s_lshl_b64 s[0:1], s[6:7], 1
	v_mov_b32_e32 v0, 0
	s_add_u32 s0, s12, s0
	s_addc_u32 s1, s13, s1
	global_store_b16 v0, v1, s[0:1]
.LBB406_37:
	s_nop 0
	s_sendmsg sendmsg(MSG_DEALLOC_VGPRS)
	s_endpgm
	.section	.rodata,"a",@progbits
	.p2align	6, 0x0
	.amdhsa_kernel _ZL20rocblas_gemvt_kernelILb0ELi256EDF16_PKfDF16_EviiT2_lPKT1_lilS5_lilS2_lPT3_lili
		.amdhsa_group_segment_fixed_size 1024
		.amdhsa_private_segment_fixed_size 0
		.amdhsa_kernarg_size 140
		.amdhsa_user_sgpr_count 14
		.amdhsa_user_sgpr_dispatch_ptr 0
		.amdhsa_user_sgpr_queue_ptr 0
		.amdhsa_user_sgpr_kernarg_segment_ptr 1
		.amdhsa_user_sgpr_dispatch_id 0
		.amdhsa_user_sgpr_private_segment_size 0
		.amdhsa_wavefront_size32 1
		.amdhsa_uses_dynamic_stack 0
		.amdhsa_enable_private_segment 0
		.amdhsa_system_sgpr_workgroup_id_x 1
		.amdhsa_system_sgpr_workgroup_id_y 0
		.amdhsa_system_sgpr_workgroup_id_z 1
		.amdhsa_system_sgpr_workgroup_info 0
		.amdhsa_system_vgpr_workitem_id 0
		.amdhsa_next_free_vgpr 10
		.amdhsa_next_free_sgpr 26
		.amdhsa_reserve_vcc 1
		.amdhsa_float_round_mode_32 0
		.amdhsa_float_round_mode_16_64 0
		.amdhsa_float_denorm_mode_32 3
		.amdhsa_float_denorm_mode_16_64 3
		.amdhsa_dx10_clamp 1
		.amdhsa_ieee_mode 1
		.amdhsa_fp16_overflow 0
		.amdhsa_workgroup_processor_mode 1
		.amdhsa_memory_ordered 1
		.amdhsa_forward_progress 0
		.amdhsa_shared_vgpr_count 0
		.amdhsa_exception_fp_ieee_invalid_op 0
		.amdhsa_exception_fp_denorm_src 0
		.amdhsa_exception_fp_ieee_div_zero 0
		.amdhsa_exception_fp_ieee_overflow 0
		.amdhsa_exception_fp_ieee_underflow 0
		.amdhsa_exception_fp_ieee_inexact 0
		.amdhsa_exception_int_div_zero 0
	.end_amdhsa_kernel
	.section	.text._ZL20rocblas_gemvt_kernelILb0ELi256EDF16_PKfDF16_EviiT2_lPKT1_lilS5_lilS2_lPT3_lili,"axG",@progbits,_ZL20rocblas_gemvt_kernelILb0ELi256EDF16_PKfDF16_EviiT2_lPKT1_lilS5_lilS2_lPT3_lili,comdat
.Lfunc_end406:
	.size	_ZL20rocblas_gemvt_kernelILb0ELi256EDF16_PKfDF16_EviiT2_lPKT1_lilS5_lilS2_lPT3_lili, .Lfunc_end406-_ZL20rocblas_gemvt_kernelILb0ELi256EDF16_PKfDF16_EviiT2_lPKT1_lilS5_lilS2_lPT3_lili
                                        ; -- End function
	.section	.AMDGPU.csdata,"",@progbits
; Kernel info:
; codeLenInByte = 1524
; NumSgprs: 28
; NumVgprs: 10
; ScratchSize: 0
; MemoryBound: 0
; FloatMode: 240
; IeeeMode: 1
; LDSByteSize: 1024 bytes/workgroup (compile time only)
; SGPRBlocks: 3
; VGPRBlocks: 1
; NumSGPRsForWavesPerEU: 28
; NumVGPRsForWavesPerEU: 10
; Occupancy: 16
; WaveLimiterHint : 1
; COMPUTE_PGM_RSRC2:SCRATCH_EN: 0
; COMPUTE_PGM_RSRC2:USER_SGPR: 14
; COMPUTE_PGM_RSRC2:TRAP_HANDLER: 0
; COMPUTE_PGM_RSRC2:TGID_X_EN: 1
; COMPUTE_PGM_RSRC2:TGID_Y_EN: 0
; COMPUTE_PGM_RSRC2:TGID_Z_EN: 1
; COMPUTE_PGM_RSRC2:TIDIG_COMP_CNT: 0
	.section	.text._ZL20rocblas_gemvt_kernelILb0ELi256EDF16_fDF16_EviiT2_lPKT1_lilS3_lilS0_lPT3_lili,"axG",@progbits,_ZL20rocblas_gemvt_kernelILb0ELi256EDF16_fDF16_EviiT2_lPKT1_lilS3_lilS0_lPT3_lili,comdat
	.globl	_ZL20rocblas_gemvt_kernelILb0ELi256EDF16_fDF16_EviiT2_lPKT1_lilS3_lilS0_lPT3_lili ; -- Begin function _ZL20rocblas_gemvt_kernelILb0ELi256EDF16_fDF16_EviiT2_lPKT1_lilS3_lilS0_lPT3_lili
	.p2align	8
	.type	_ZL20rocblas_gemvt_kernelILb0ELi256EDF16_fDF16_EviiT2_lPKT1_lilS3_lilS0_lPT3_lili,@function
_ZL20rocblas_gemvt_kernelILb0ELi256EDF16_fDF16_EviiT2_lPKT1_lilS3_lilS0_lPT3_lili: ; @_ZL20rocblas_gemvt_kernelILb0ELi256EDF16_fDF16_EviiT2_lPKT1_lilS3_lilS0_lPT3_lili
; %bb.0:
	s_clause 0x1
	s_load_b32 s18, s[0:1], 0x8
	s_load_b32 s16, s[0:1], 0x58
	s_mov_b32 s17, 0
	s_waitcnt lgkmcnt(0)
	v_cmp_eq_f32_e64 s2, s18, 0
	v_cmp_eq_f32_e64 s3, s16, 1.0
	s_delay_alu instid0(VALU_DEP_1) | instskip(NEXT) | instid1(SALU_CYCLE_1)
	s_and_b32 s2, s2, s3
	s_and_b32 vcc_lo, exec_lo, s2
	s_cbranch_vccnz .LBB407_37
; %bb.1:
	s_clause 0x2
	s_load_b64 s[2:3], s[0:1], 0x80
	s_load_b128 s[4:7], s[0:1], 0x68
	s_load_b32 s19, s[0:1], 0x78
	s_waitcnt lgkmcnt(0)
	s_mul_i32 s3, s15, s3
	s_mul_hi_u32 s8, s15, s2
	s_mul_i32 s2, s15, s2
	s_add_i32 s3, s8, s3
	v_cmp_neq_f32_e64 s8, s18, 0
	s_lshl_b64 s[2:3], s[2:3], 1
	s_delay_alu instid0(SALU_CYCLE_1) | instskip(SKIP_2) | instid1(SALU_CYCLE_1)
	s_add_u32 s4, s4, s2
	s_addc_u32 s5, s5, s3
	s_lshl_b64 s[2:3], s[6:7], 1
	s_add_u32 s12, s4, s2
	v_cmp_eq_u32_e64 s2, 0, v0
	s_addc_u32 s13, s5, s3
	s_and_b32 vcc_lo, exec_lo, s8
	s_cbranch_vccnz .LBB407_5
; %bb.2:
	s_mov_b32 s3, 0
                                        ; implicit-def: $vgpr1
                                        ; implicit-def: $sgpr4_sgpr5
	s_and_saveexec_b32 s6, s2
	s_cbranch_execz .LBB407_6
; %bb.3:
	v_cmp_eq_f32_e64 s2, s16, 0
	s_mul_hi_i32 s5, s19, s14
	s_mul_i32 s4, s19, s14
	s_delay_alu instid0(VALU_DEP_1)
	s_and_b32 vcc_lo, exec_lo, s2
	s_cbranch_vccnz .LBB407_7
; %bb.4:
	s_lshl_b64 s[8:9], s[4:5], 1
	v_mov_b32_e32 v1, 0
	s_add_u32 s8, s12, s8
	s_addc_u32 s9, s13, s9
	global_load_u16 v1, v1, s[8:9]
	s_waitcnt vmcnt(0)
	v_fma_mixlo_f16 v1, v1, s16, 0 op_sel_hi:[1,0,0]
	s_branch .LBB407_8
.LBB407_5:
                                        ; implicit-def: $vgpr1
                                        ; implicit-def: $sgpr4_sgpr5
	s_cbranch_execnz .LBB407_9
	s_branch .LBB407_35
.LBB407_6:
	s_or_b32 exec_lo, exec_lo, s6
	s_delay_alu instid0(SALU_CYCLE_1)
	s_and_b32 vcc_lo, exec_lo, s3
	s_cbranch_vccnz .LBB407_9
	s_branch .LBB407_35
.LBB407_7:
	v_mov_b32_e32 v1, 0
.LBB407_8:
	s_mov_b32 s17, exec_lo
	s_or_b32 exec_lo, exec_lo, s6
	s_delay_alu instid0(SALU_CYCLE_1)
	s_and_b32 vcc_lo, exec_lo, s3
	s_cbranch_vccz .LBB407_35
.LBB407_9:
	s_clause 0x6
	s_load_b64 s[10:11], s[0:1], 0x50
	s_load_b128 s[4:7], s[0:1], 0x30
	s_load_b32 s9, s[0:1], 0x0
	s_load_b32 s8, s[0:1], 0x28
	s_load_b128 s[20:23], s[0:1], 0x18
	s_load_b64 s[2:3], s[0:1], 0x40
	s_load_b32 s0, s[0:1], 0x48
	v_mov_b32_e32 v7, 0
	s_waitcnt lgkmcnt(0)
	s_mul_i32 s1, s15, s11
	s_mul_i32 s5, s15, s5
	s_mul_hi_u32 s24, s15, s4
	v_cmp_gt_i32_e32 vcc_lo, s9, v0
	s_mul_i32 s4, s15, s4
	s_add_i32 s5, s24, s5
	s_mul_hi_u32 s11, s15, s10
	s_lshl_b64 s[26:27], s[4:5], 1
	v_cndmask_b32_e32 v1, 0, v0, vcc_lo
	s_add_i32 s5, s11, s1
	s_add_u32 s1, s20, s26
	s_addc_u32 s4, s21, s27
	s_lshl_b64 s[20:21], s[22:23], 1
	s_mul_hi_i32 s25, s8, s14
	s_mul_i32 s24, s8, s14
	s_add_u32 s1, s1, s20
	s_addc_u32 s4, s4, s21
	s_lshl_b64 s[20:21], s[24:25], 1
	v_lshlrev_b32_e32 v1, 1, v1
	s_add_u32 s1, s20, s1
	s_addc_u32 s8, s21, s4
	s_ashr_i32 s4, s9, 31
	s_delay_alu instid0(SALU_CYCLE_1)
	s_lshr_b32 s11, s4, 24
	v_add_co_u32 v1, s1, s1, v1
	s_mul_i32 s4, s15, s10
	s_add_i32 s10, s9, s11
	v_add_co_ci_u32_e64 v2, null, s8, 0, s1
	s_and_b32 s8, s10, 0xffffff00
	s_cmpk_lt_i32 s9, 0x100
	s_mov_b32 s15, 0
	s_cbranch_scc1 .LBB407_12
; %bb.10:
	v_mad_i64_i32 v[3:4], null, s0, v0, 0
	s_lshl_b64 s[20:21], s[2:3], 1
	s_ashr_i32 s1, s0, 31
	s_lshl_b64 s[10:11], s[4:5], 1
	s_add_u32 s20, s6, s20
	s_addc_u32 s21, s7, s21
	s_add_u32 s10, s20, s10
	s_delay_alu instid0(VALU_DEP_1) | instskip(SKIP_3) | instid1(VALU_DEP_3)
	v_lshlrev_b64 v[3:4], 1, v[3:4]
	s_addc_u32 s11, s21, s11
	v_dual_mov_b32 v7, 0 :: v_dual_mov_b32 v6, v2
	v_mov_b32_e32 v5, v1
	v_add_co_u32 v3, vcc_lo, s10, v3
	s_delay_alu instid0(VALU_DEP_4)
	v_add_co_ci_u32_e32 v4, vcc_lo, s11, v4, vcc_lo
	s_lshl_b64 s[10:11], s[0:1], 9
	.p2align	6
.LBB407_11:                             ; =>This Inner Loop Header: Depth=1
	global_load_u16 v8, v[5:6], off
	global_load_u16 v9, v[3:4], off
	v_add_co_u32 v3, vcc_lo, v3, s10
	v_add_co_ci_u32_e32 v4, vcc_lo, s11, v4, vcc_lo
	v_add_co_u32 v5, vcc_lo, 0x200, v5
	v_add_co_ci_u32_e32 v6, vcc_lo, 0, v6, vcc_lo
	s_addk_i32 s15, 0x100
	s_delay_alu instid0(SALU_CYCLE_1) | instskip(SKIP_2) | instid1(VALU_DEP_1)
	s_cmp_ge_i32 s15, s8
	s_waitcnt vmcnt(0)
	v_mul_f16_e32 v8, v8, v9
	v_cvt_f32_f16_e32 v8, v8
	s_delay_alu instid0(VALU_DEP_1)
	v_add_f32_e32 v7, v7, v8
	s_cbranch_scc0 .LBB407_11
.LBB407_12:
	v_add_nc_u32_e32 v3, s8, v0
	s_mov_b32 s1, exec_lo
	s_delay_alu instid0(VALU_DEP_1)
	v_cmpx_gt_i32_e64 s9, v3
	s_cbranch_execz .LBB407_14
; %bb.13:
	v_mad_i64_i32 v[4:5], null, s0, v3, 0
	s_lshl_b64 s[4:5], s[4:5], 1
	s_delay_alu instid0(SALU_CYCLE_1) | instskip(SKIP_2) | instid1(SALU_CYCLE_1)
	s_add_u32 s4, s6, s4
	s_addc_u32 s5, s7, s5
	s_lshl_b64 s[2:3], s[2:3], 1
	s_add_u32 s0, s4, s2
	s_addc_u32 s4, s5, s3
	s_ashr_i32 s9, s8, 31
	v_lshlrev_b64 v[3:4], 1, v[4:5]
	s_lshl_b64 s[2:3], s[8:9], 1
	s_delay_alu instid0(SALU_CYCLE_1) | instskip(SKIP_1) | instid1(VALU_DEP_3)
	v_add_co_u32 v1, vcc_lo, v1, s2
	v_add_co_ci_u32_e32 v2, vcc_lo, s3, v2, vcc_lo
	v_add_co_u32 v3, vcc_lo, s0, v3
	s_delay_alu instid0(VALU_DEP_4) | instskip(SKIP_4) | instid1(VALU_DEP_1)
	v_add_co_ci_u32_e32 v4, vcc_lo, s4, v4, vcc_lo
	global_load_u16 v1, v[1:2], off
	global_load_u16 v2, v[3:4], off
	s_waitcnt vmcnt(0)
	v_mul_f16_e32 v1, v1, v2
	v_cvt_f32_f16_e32 v1, v1
	s_delay_alu instid0(VALU_DEP_1)
	v_add_f32_e32 v7, v7, v1
.LBB407_14:
	s_or_b32 exec_lo, exec_lo, s1
	v_lshlrev_b32_e32 v1, 2, v0
	s_mov_b32 s0, exec_lo
	ds_store_b32 v1, v7
	s_waitcnt lgkmcnt(0)
	s_barrier
	buffer_gl0_inv
	v_cmpx_gt_u32_e32 0x80, v0
	s_cbranch_execz .LBB407_16
; %bb.15:
	ds_load_2addr_stride64_b32 v[2:3], v1 offset1:2
	s_waitcnt lgkmcnt(0)
	v_add_f32_e32 v2, v3, v2
	ds_store_b32 v1, v2
.LBB407_16:
	s_or_b32 exec_lo, exec_lo, s0
	s_delay_alu instid0(SALU_CYCLE_1)
	s_mov_b32 s0, exec_lo
	s_waitcnt lgkmcnt(0)
	s_barrier
	buffer_gl0_inv
	v_cmpx_gt_u32_e32 64, v0
	s_cbranch_execz .LBB407_18
; %bb.17:
	ds_load_2addr_stride64_b32 v[2:3], v1 offset1:1
	s_waitcnt lgkmcnt(0)
	v_add_f32_e32 v2, v3, v2
	ds_store_b32 v1, v2
.LBB407_18:
	s_or_b32 exec_lo, exec_lo, s0
	s_delay_alu instid0(SALU_CYCLE_1)
	s_mov_b32 s0, exec_lo
	s_waitcnt lgkmcnt(0)
	s_barrier
	buffer_gl0_inv
	v_cmpx_gt_u32_e32 32, v0
	s_cbranch_execz .LBB407_20
; %bb.19:
	ds_load_2addr_b32 v[2:3], v1 offset1:32
	s_waitcnt lgkmcnt(0)
	v_add_f32_e32 v2, v3, v2
	ds_store_b32 v1, v2
.LBB407_20:
	s_or_b32 exec_lo, exec_lo, s0
	s_delay_alu instid0(SALU_CYCLE_1)
	s_mov_b32 s0, exec_lo
	s_waitcnt lgkmcnt(0)
	s_barrier
	buffer_gl0_inv
	v_cmpx_gt_u32_e32 16, v0
	s_cbranch_execz .LBB407_22
; %bb.21:
	ds_load_2addr_b32 v[2:3], v1 offset1:16
	s_waitcnt lgkmcnt(0)
	v_add_f32_e32 v2, v3, v2
	ds_store_b32 v1, v2
.LBB407_22:
	s_or_b32 exec_lo, exec_lo, s0
	s_delay_alu instid0(SALU_CYCLE_1)
	s_mov_b32 s0, exec_lo
	s_waitcnt lgkmcnt(0)
	s_barrier
	buffer_gl0_inv
	v_cmpx_gt_u32_e32 8, v0
	s_cbranch_execz .LBB407_24
; %bb.23:
	ds_load_2addr_b32 v[2:3], v1 offset1:8
	s_waitcnt lgkmcnt(0)
	v_add_f32_e32 v2, v3, v2
	ds_store_b32 v1, v2
.LBB407_24:
	s_or_b32 exec_lo, exec_lo, s0
	s_delay_alu instid0(SALU_CYCLE_1)
	s_mov_b32 s0, exec_lo
	s_waitcnt lgkmcnt(0)
	s_barrier
	buffer_gl0_inv
	v_cmpx_gt_u32_e32 4, v0
	s_cbranch_execz .LBB407_26
; %bb.25:
	ds_load_2addr_b32 v[2:3], v1 offset1:4
	s_waitcnt lgkmcnt(0)
	v_add_f32_e32 v2, v3, v2
	ds_store_b32 v1, v2
.LBB407_26:
	s_or_b32 exec_lo, exec_lo, s0
	s_delay_alu instid0(SALU_CYCLE_1)
	s_mov_b32 s0, exec_lo
	s_waitcnt lgkmcnt(0)
	s_barrier
	buffer_gl0_inv
	v_cmpx_gt_u32_e32 2, v0
	s_cbranch_execz .LBB407_28
; %bb.27:
	ds_load_2addr_b32 v[2:3], v1 offset1:2
	s_waitcnt lgkmcnt(0)
	v_add_f32_e32 v2, v3, v2
	ds_store_b32 v1, v2
.LBB407_28:
	s_or_b32 exec_lo, exec_lo, s0
	v_cmp_eq_u32_e32 vcc_lo, 0, v0
	s_waitcnt lgkmcnt(0)
	s_barrier
	buffer_gl0_inv
	s_and_saveexec_b32 s0, vcc_lo
	s_cbranch_execz .LBB407_30
; %bb.29:
	v_mov_b32_e32 v2, 0
	ds_load_b64 v[0:1], v2
	s_waitcnt lgkmcnt(0)
	v_add_f32_e32 v0, v1, v0
	ds_store_b32 v2, v0
.LBB407_30:
	s_or_b32 exec_lo, exec_lo, s0
	s_waitcnt lgkmcnt(0)
	s_barrier
	buffer_gl0_inv
                                        ; implicit-def: $vgpr1
                                        ; implicit-def: $sgpr4_sgpr5
	s_and_saveexec_b32 s0, vcc_lo
	s_cbranch_execz .LBB407_34
; %bb.31:
	v_mov_b32_e32 v1, 0
	v_cmp_eq_f32_e64 s1, s16, 0
	s_mul_hi_i32 s5, s19, s14
	s_mul_i32 s4, s19, s14
	ds_load_b32 v0, v1
	s_and_b32 vcc_lo, exec_lo, s1
	s_waitcnt lgkmcnt(0)
	v_mul_f32_e32 v0, s18, v0
	s_cbranch_vccnz .LBB407_33
; %bb.32:
	s_lshl_b64 s[2:3], s[4:5], 1
	s_delay_alu instid0(SALU_CYCLE_1)
	s_add_u32 s2, s12, s2
	s_addc_u32 s3, s13, s3
	global_load_u16 v1, v1, s[2:3]
	s_waitcnt vmcnt(0)
	v_fma_mix_f32 v0, v1, s16, v0 op_sel_hi:[1,0,0]
.LBB407_33:
	s_delay_alu instid0(VALU_DEP_1)
	v_cvt_f16_f32_e32 v1, v0
	s_or_b32 s17, s17, exec_lo
.LBB407_34:
	s_or_b32 exec_lo, exec_lo, s0
.LBB407_35:
	s_and_saveexec_b32 s0, s17
	s_cbranch_execz .LBB407_37
; %bb.36:
	s_lshl_b64 s[0:1], s[4:5], 1
	v_mov_b32_e32 v0, 0
	s_add_u32 s0, s12, s0
	s_addc_u32 s1, s13, s1
	global_store_b16 v0, v1, s[0:1]
.LBB407_37:
	s_nop 0
	s_sendmsg sendmsg(MSG_DEALLOC_VGPRS)
	s_endpgm
	.section	.rodata,"a",@progbits
	.p2align	6, 0x0
	.amdhsa_kernel _ZL20rocblas_gemvt_kernelILb0ELi256EDF16_fDF16_EviiT2_lPKT1_lilS3_lilS0_lPT3_lili
		.amdhsa_group_segment_fixed_size 1024
		.amdhsa_private_segment_fixed_size 0
		.amdhsa_kernarg_size 140
		.amdhsa_user_sgpr_count 14
		.amdhsa_user_sgpr_dispatch_ptr 0
		.amdhsa_user_sgpr_queue_ptr 0
		.amdhsa_user_sgpr_kernarg_segment_ptr 1
		.amdhsa_user_sgpr_dispatch_id 0
		.amdhsa_user_sgpr_private_segment_size 0
		.amdhsa_wavefront_size32 1
		.amdhsa_uses_dynamic_stack 0
		.amdhsa_enable_private_segment 0
		.amdhsa_system_sgpr_workgroup_id_x 1
		.amdhsa_system_sgpr_workgroup_id_y 0
		.amdhsa_system_sgpr_workgroup_id_z 1
		.amdhsa_system_sgpr_workgroup_info 0
		.amdhsa_system_vgpr_workitem_id 0
		.amdhsa_next_free_vgpr 10
		.amdhsa_next_free_sgpr 28
		.amdhsa_reserve_vcc 1
		.amdhsa_float_round_mode_32 0
		.amdhsa_float_round_mode_16_64 0
		.amdhsa_float_denorm_mode_32 3
		.amdhsa_float_denorm_mode_16_64 3
		.amdhsa_dx10_clamp 1
		.amdhsa_ieee_mode 1
		.amdhsa_fp16_overflow 0
		.amdhsa_workgroup_processor_mode 1
		.amdhsa_memory_ordered 1
		.amdhsa_forward_progress 0
		.amdhsa_shared_vgpr_count 0
		.amdhsa_exception_fp_ieee_invalid_op 0
		.amdhsa_exception_fp_denorm_src 0
		.amdhsa_exception_fp_ieee_div_zero 0
		.amdhsa_exception_fp_ieee_overflow 0
		.amdhsa_exception_fp_ieee_underflow 0
		.amdhsa_exception_fp_ieee_inexact 0
		.amdhsa_exception_int_div_zero 0
	.end_amdhsa_kernel
	.section	.text._ZL20rocblas_gemvt_kernelILb0ELi256EDF16_fDF16_EviiT2_lPKT1_lilS3_lilS0_lPT3_lili,"axG",@progbits,_ZL20rocblas_gemvt_kernelILb0ELi256EDF16_fDF16_EviiT2_lPKT1_lilS3_lilS0_lPT3_lili,comdat
.Lfunc_end407:
	.size	_ZL20rocblas_gemvt_kernelILb0ELi256EDF16_fDF16_EviiT2_lPKT1_lilS3_lilS0_lPT3_lili, .Lfunc_end407-_ZL20rocblas_gemvt_kernelILb0ELi256EDF16_fDF16_EviiT2_lPKT1_lilS3_lilS0_lPT3_lili
                                        ; -- End function
	.section	.AMDGPU.csdata,"",@progbits
; Kernel info:
; codeLenInByte = 1464
; NumSgprs: 30
; NumVgprs: 10
; ScratchSize: 0
; MemoryBound: 0
; FloatMode: 240
; IeeeMode: 1
; LDSByteSize: 1024 bytes/workgroup (compile time only)
; SGPRBlocks: 3
; VGPRBlocks: 1
; NumSGPRsForWavesPerEU: 30
; NumVGPRsForWavesPerEU: 10
; Occupancy: 16
; WaveLimiterHint : 1
; COMPUTE_PGM_RSRC2:SCRATCH_EN: 0
; COMPUTE_PGM_RSRC2:USER_SGPR: 14
; COMPUTE_PGM_RSRC2:TRAP_HANDLER: 0
; COMPUTE_PGM_RSRC2:TGID_X_EN: 1
; COMPUTE_PGM_RSRC2:TGID_Y_EN: 0
; COMPUTE_PGM_RSRC2:TGID_Z_EN: 1
; COMPUTE_PGM_RSRC2:TIDIG_COMP_CNT: 0
	.section	.text._ZL32rocblas_gemvt_warp_reduce_kernelILb0ELi1024EiDF16_PKfDF16_EviiT3_lPKT2_lT1_lS5_lS6_lS2_lPT4_lS6_li,"axG",@progbits,_ZL32rocblas_gemvt_warp_reduce_kernelILb0ELi1024EiDF16_PKfDF16_EviiT3_lPKT2_lT1_lS5_lS6_lS2_lPT4_lS6_li,comdat
	.globl	_ZL32rocblas_gemvt_warp_reduce_kernelILb0ELi1024EiDF16_PKfDF16_EviiT3_lPKT2_lT1_lS5_lS6_lS2_lPT4_lS6_li ; -- Begin function _ZL32rocblas_gemvt_warp_reduce_kernelILb0ELi1024EiDF16_PKfDF16_EviiT3_lPKT2_lT1_lS5_lS6_lS2_lPT4_lS6_li
	.p2align	8
	.type	_ZL32rocblas_gemvt_warp_reduce_kernelILb0ELi1024EiDF16_PKfDF16_EviiT3_lPKT2_lT1_lS5_lS6_lS2_lPT4_lS6_li,@function
_ZL32rocblas_gemvt_warp_reduce_kernelILb0ELi1024EiDF16_PKfDF16_EviiT3_lPKT2_lT1_lS5_lS6_lS2_lPT4_lS6_li: ; @_ZL32rocblas_gemvt_warp_reduce_kernelILb0ELi1024EiDF16_PKfDF16_EviiT3_lPKT2_lT1_lS5_lS6_lS2_lPT4_lS6_li
; %bb.0:
	s_clause 0x1
	s_load_b256 s[4:11], s[0:1], 0x8
	s_load_b256 s[16:23], s[0:1], 0x50
	s_mov_b32 s13, 0
	s_waitcnt lgkmcnt(0)
	s_mul_i32 s3, s15, s7
	s_mul_hi_u32 s7, s15, s6
	s_mul_i32 s2, s15, s6
	s_add_i32 s3, s7, s3
	s_mul_i32 s6, s15, s21
	s_lshl_b64 s[2:3], s[2:3], 2
	s_mul_hi_u32 s7, s15, s20
	s_add_u32 s2, s4, s2
	s_addc_u32 s3, s5, s3
	s_add_i32 s5, s7, s6
	s_mul_i32 s4, s15, s20
	s_delay_alu instid0(SALU_CYCLE_1) | instskip(NEXT) | instid1(SALU_CYCLE_1)
	s_lshl_b64 s[4:5], s[4:5], 2
	s_add_u32 s4, s18, s4
	s_addc_u32 s5, s19, s5
	s_load_b32 s18, s[2:3], 0x0
	s_load_b32 s12, s[4:5], 0x0
	s_waitcnt lgkmcnt(0)
	v_cmp_eq_f32_e64 s2, s18, 0
	v_cmp_eq_f32_e64 s3, s12, 1.0
	s_delay_alu instid0(VALU_DEP_1) | instskip(NEXT) | instid1(SALU_CYCLE_1)
	s_and_b32 s2, s2, s3
	s_and_b32 vcc_lo, exec_lo, s2
	s_cbranch_vccnz .LBB408_30
; %bb.1:
	s_clause 0x2
	s_load_b64 s[2:3], s[0:1], 0x80
	s_load_b64 s[4:5], s[0:1], 0x70
	s_load_b32 s19, s[0:1], 0x78
	v_cmp_neq_f32_e64 s20, s18, 0
	s_waitcnt lgkmcnt(0)
	s_mul_i32 s3, s15, s3
	s_mul_hi_u32 s6, s15, s2
	s_mul_i32 s2, s15, s2
	s_add_i32 s3, s6, s3
	s_delay_alu instid0(SALU_CYCLE_1) | instskip(NEXT) | instid1(SALU_CYCLE_1)
	s_lshl_b64 s[2:3], s[2:3], 1
	s_add_u32 s6, s22, s2
	s_addc_u32 s7, s23, s3
	s_lshl_b64 s[2:3], s[4:5], 1
	s_delay_alu instid0(SALU_CYCLE_1)
	s_add_u32 s6, s6, s2
	v_cmp_eq_u32_e64 s2, 0, v0
	s_addc_u32 s7, s7, s3
	s_and_b32 vcc_lo, exec_lo, s20
	s_cbranch_vccnz .LBB408_5
; %bb.2:
	s_mov_b32 s3, 0
                                        ; implicit-def: $vgpr1
                                        ; implicit-def: $sgpr4_sgpr5
	s_and_saveexec_b32 s20, s2
	s_cbranch_execz .LBB408_6
; %bb.3:
	v_cmp_eq_f32_e64 s2, s12, 0
	s_mul_i32 s4, s14, s19
	s_delay_alu instid0(SALU_CYCLE_1) | instskip(NEXT) | instid1(VALU_DEP_1)
	s_ashr_i32 s5, s4, 31
	s_and_b32 vcc_lo, exec_lo, s2
	s_cbranch_vccnz .LBB408_7
; %bb.4:
	s_lshl_b64 s[22:23], s[4:5], 1
	v_mov_b32_e32 v1, 0
	s_add_u32 s22, s6, s22
	s_addc_u32 s23, s7, s23
	global_load_u16 v1, v1, s[22:23]
	s_waitcnt vmcnt(0)
	v_fma_mixlo_f16 v1, s12, v1, 0 op_sel_hi:[0,1,0]
	s_branch .LBB408_8
.LBB408_5:
                                        ; implicit-def: $vgpr1
                                        ; implicit-def: $sgpr4_sgpr5
	s_cbranch_execnz .LBB408_9
	s_branch .LBB408_28
.LBB408_6:
	s_or_b32 exec_lo, exec_lo, s20
	s_delay_alu instid0(SALU_CYCLE_1)
	s_and_b32 vcc_lo, exec_lo, s3
	s_cbranch_vccnz .LBB408_9
	s_branch .LBB408_28
.LBB408_7:
	v_mov_b32_e32 v1, 0
.LBB408_8:
	s_mov_b32 s13, exec_lo
	s_or_b32 exec_lo, exec_lo, s20
	s_delay_alu instid0(SALU_CYCLE_1)
	s_and_b32 vcc_lo, exec_lo, s3
	s_cbranch_vccz .LBB408_28
.LBB408_9:
	s_mul_i32 s3, s15, s17
	s_mul_hi_u32 s17, s15, s16
	s_mul_i32 s2, s15, s16
	s_add_i32 s3, s17, s3
	s_clause 0x2
	s_load_b128 s[20:23], s[0:1], 0x30
	s_load_b64 s[4:5], s[0:1], 0x40
	s_load_b32 s24, s[0:1], 0x28
	s_lshl_b64 s[16:17], s[2:3], 1
	s_clause 0x1
	s_load_b32 s3, s[0:1], 0x0
	s_load_b32 s1, s[0:1], 0x48
	v_mov_b32_e32 v7, 0
	s_waitcnt lgkmcnt(0)
	s_add_u32 s2, s22, s16
	s_addc_u32 s17, s23, s17
	s_lshl_b64 s[4:5], s[4:5], 1
	s_mul_i32 s21, s15, s21
	s_mul_hi_u32 s22, s15, s20
	s_add_u32 s4, s2, s4
	v_cmp_gt_i32_e32 vcc_lo, s3, v0
	s_mul_i32 s16, s15, s20
	s_addc_u32 s5, s17, s5
	s_add_i32 s17, s22, s21
	s_delay_alu instid0(SALU_CYCLE_1)
	s_lshl_b64 s[16:17], s[16:17], 1
	v_cndmask_b32_e32 v1, 0, v0, vcc_lo
	s_add_u32 s2, s8, s16
	s_addc_u32 s15, s9, s17
	s_lshl_b64 s[8:9], s[10:11], 1
	s_mul_i32 s10, s14, s24
	s_add_u32 s2, s2, s8
	s_addc_u32 s15, s15, s9
	s_ashr_i32 s11, s10, 31
	v_lshlrev_b32_e32 v1, 1, v1
	s_lshl_b64 s[8:9], s[10:11], 1
	s_delay_alu instid0(SALU_CYCLE_1)
	s_add_u32 s0, s8, s2
	s_addc_u32 s8, s9, s15
	s_ashr_i32 s2, s3, 31
	v_add_co_u32 v1, s0, s0, v1
	s_lshr_b32 s2, s2, 22
	v_add_co_ci_u32_e64 v2, null, s8, 0, s0
	s_add_i32 s2, s3, s2
	s_mov_b32 s9, 0
	s_and_b32 s2, s2, 0xfffffc00
	s_mov_b32 s8, exec_lo
	v_cmpx_gt_i32_e64 s2, v0
	s_cbranch_execz .LBB408_13
; %bb.10:
	v_mul_lo_u32 v3, v0, s1
	v_dual_mov_b32 v7, 0 :: v_dual_mov_b32 v6, v2
	v_dual_mov_b32 v5, v1 :: v_dual_mov_b32 v8, v0
	s_lshl_b32 s10, s1, 10
	.p2align	6
.LBB408_11:                             ; =>This Inner Loop Header: Depth=1
	s_delay_alu instid0(VALU_DEP_3) | instskip(NEXT) | instid1(VALU_DEP_2)
	v_ashrrev_i32_e32 v4, 31, v3
	v_add_nc_u32_e32 v8, 0x400, v8
	s_delay_alu instid0(VALU_DEP_2) | instskip(NEXT) | instid1(VALU_DEP_2)
	v_lshlrev_b64 v[9:10], 1, v[3:4]
	v_cmp_le_i32_e64 s0, s2, v8
	v_add_nc_u32_e32 v3, s10, v3
	s_delay_alu instid0(VALU_DEP_2) | instskip(NEXT) | instid1(VALU_DEP_3)
	s_or_b32 s9, s0, s9
	v_add_co_u32 v9, vcc_lo, s4, v9
	s_delay_alu instid0(VALU_DEP_4)
	v_add_co_ci_u32_e32 v10, vcc_lo, s5, v10, vcc_lo
	global_load_u16 v4, v[5:6], off
	global_load_u16 v9, v[9:10], off
	v_add_co_u32 v5, vcc_lo, 0x800, v5
	v_add_co_ci_u32_e32 v6, vcc_lo, 0, v6, vcc_lo
	s_waitcnt vmcnt(0)
	v_mul_f16_e32 v4, v4, v9
	s_delay_alu instid0(VALU_DEP_1) | instskip(NEXT) | instid1(VALU_DEP_1)
	v_cvt_f32_f16_e32 v4, v4
	v_add_f32_e32 v7, v7, v4
	s_and_not1_b32 exec_lo, exec_lo, s9
	s_cbranch_execnz .LBB408_11
; %bb.12:
	s_or_b32 exec_lo, exec_lo, s9
.LBB408_13:
	s_delay_alu instid0(SALU_CYCLE_1) | instskip(SKIP_2) | instid1(VALU_DEP_1)
	s_or_b32 exec_lo, exec_lo, s8
	v_or_b32_e32 v3, s2, v0
	s_mov_b32 s0, exec_lo
	v_cmpx_gt_i32_e64 s3, v3
	s_cbranch_execz .LBB408_15
; %bb.14:
	v_mul_lo_u32 v3, v3, s1
	s_ashr_i32 s3, s2, 31
	s_delay_alu instid0(SALU_CYCLE_1) | instskip(NEXT) | instid1(SALU_CYCLE_1)
	s_lshl_b64 s[2:3], s[2:3], 1
	v_add_co_u32 v1, vcc_lo, v1, s2
	v_add_co_ci_u32_e32 v2, vcc_lo, s3, v2, vcc_lo
	s_delay_alu instid0(VALU_DEP_3) | instskip(NEXT) | instid1(VALU_DEP_1)
	v_ashrrev_i32_e32 v4, 31, v3
	v_lshlrev_b64 v[3:4], 1, v[3:4]
	s_delay_alu instid0(VALU_DEP_1) | instskip(NEXT) | instid1(VALU_DEP_2)
	v_add_co_u32 v3, vcc_lo, s4, v3
	v_add_co_ci_u32_e32 v4, vcc_lo, s5, v4, vcc_lo
	global_load_u16 v1, v[1:2], off
	global_load_u16 v2, v[3:4], off
	s_waitcnt vmcnt(0)
	v_mul_f16_e32 v1, v1, v2
	s_delay_alu instid0(VALU_DEP_1) | instskip(NEXT) | instid1(VALU_DEP_1)
	v_cvt_f32_f16_e32 v1, v1
	v_add_f32_e32 v7, v7, v1
.LBB408_15:
	s_or_b32 exec_lo, exec_lo, s0
	v_and_b32_e32 v6, 31, v0
	v_cmp_gt_u32_e32 vcc_lo, 32, v0
	s_delay_alu instid0(VALU_DEP_2)
	v_lshlrev_b32_e32 v1, 2, v6
	s_and_saveexec_b32 s0, vcc_lo
	s_cbranch_execz .LBB408_17
; %bb.16:
	v_mov_b32_e32 v2, 0
	ds_store_b32 v1, v2
.LBB408_17:
	s_or_b32 exec_lo, exec_lo, s0
	v_mbcnt_lo_u32_b32 v8, -1, 0
	s_mov_b32 s1, exec_lo
	s_waitcnt lgkmcnt(0)
	s_barrier
	buffer_gl0_inv
	v_cmp_gt_u32_e64 s0, 16, v8
	s_delay_alu instid0(VALU_DEP_1) | instskip(SKIP_1) | instid1(VALU_DEP_2)
	v_cndmask_b32_e64 v2, 0, 1, s0
	v_cmp_gt_u32_e64 s0, 24, v8
	v_lshlrev_b32_e32 v2, 4, v2
	s_delay_alu instid0(VALU_DEP_2) | instskip(SKIP_1) | instid1(VALU_DEP_3)
	v_cndmask_b32_e64 v3, 0, 1, s0
	v_cmp_gt_u32_e64 s0, 28, v8
	v_add_lshl_u32 v2, v2, v8, 2
	s_delay_alu instid0(VALU_DEP_3)
	v_lshlrev_b32_e32 v3, 3, v3
	ds_bpermute_b32 v4, v2, v7
	v_add_lshl_u32 v3, v3, v8, 2
	s_waitcnt lgkmcnt(0)
	v_add_f32_e32 v5, v7, v4
	v_cndmask_b32_e64 v4, 0, 1, s0
	v_cmp_gt_u32_e64 s0, 30, v8
	ds_bpermute_b32 v7, v3, v5
	s_waitcnt lgkmcnt(0)
	v_dual_add_f32 v7, v5, v7 :: v_dual_lshlrev_b32 v4, 2, v4
	s_delay_alu instid0(VALU_DEP_1)
	v_add_lshl_u32 v4, v4, v8, 2
	v_cndmask_b32_e64 v5, 0, 1, s0
	v_cmp_ne_u32_e64 s0, 31, v8
	ds_bpermute_b32 v9, v4, v7
	v_lshlrev_b32_e32 v5, 1, v5
	v_add_co_ci_u32_e64 v10, s0, 0, v8, s0
	s_delay_alu instid0(VALU_DEP_2)
	v_add_lshl_u32 v5, v5, v8, 2
	s_waitcnt lgkmcnt(0)
	v_add_f32_e32 v7, v7, v9
	ds_bpermute_b32 v9, v5, v7
	s_waitcnt lgkmcnt(0)
	v_dual_add_f32 v8, v7, v9 :: v_dual_lshlrev_b32 v7, 2, v10
	ds_bpermute_b32 v9, v7, v8
	v_cmpx_eq_u32_e32 0, v6
	s_cbranch_execz .LBB408_19
; %bb.18:
	v_lshrrev_b32_e32 v6, 3, v0
	s_waitcnt lgkmcnt(0)
	v_add_f32_e32 v8, v8, v9
	s_delay_alu instid0(VALU_DEP_2)
	v_and_b32_e32 v6, 0x7c, v6
	ds_store_b32 v6, v8
.LBB408_19:
	s_or_b32 exec_lo, exec_lo, s1
	v_mov_b32_e32 v6, 0
	s_waitcnt lgkmcnt(0)
	s_barrier
	buffer_gl0_inv
	s_and_saveexec_b32 s0, vcc_lo
	s_cbranch_execz .LBB408_21
; %bb.20:
	ds_load_b32 v6, v1
.LBB408_21:
	s_or_b32 exec_lo, exec_lo, s0
	s_and_saveexec_b32 s0, vcc_lo
	s_cbranch_execz .LBB408_23
; %bb.22:
	s_waitcnt lgkmcnt(0)
	ds_bpermute_b32 v1, v2, v6
	s_waitcnt lgkmcnt(0)
	v_add_f32_e32 v1, v6, v1
	ds_bpermute_b32 v2, v3, v1
	s_waitcnt lgkmcnt(0)
	v_add_f32_e32 v1, v1, v2
	;; [unrolled: 3-line block ×5, first 2 shown]
.LBB408_23:
	s_or_b32 exec_lo, exec_lo, s0
	s_delay_alu instid0(SALU_CYCLE_1)
	s_mov_b32 s0, exec_lo
                                        ; implicit-def: $vgpr1
                                        ; implicit-def: $sgpr4_sgpr5
	v_cmpx_eq_u32_e32 0, v0
	s_cbranch_execz .LBB408_27
; %bb.24:
	v_cmp_eq_f32_e64 s1, s12, 0
	s_waitcnt lgkmcnt(0)
	v_mul_f32_e32 v0, s18, v6
	s_mul_i32 s4, s14, s19
	s_delay_alu instid0(SALU_CYCLE_1)
	s_ashr_i32 s5, s4, 31
	s_and_b32 vcc_lo, exec_lo, s1
	s_cbranch_vccnz .LBB408_26
; %bb.25:
	s_lshl_b64 s[2:3], s[4:5], 1
	v_mov_b32_e32 v1, 0
	s_add_u32 s2, s6, s2
	s_addc_u32 s3, s7, s3
	global_load_u16 v1, v1, s[2:3]
	s_waitcnt vmcnt(0)
	v_fma_mix_f32 v0, s12, v1, v0 op_sel_hi:[0,1,0]
.LBB408_26:
	s_delay_alu instid0(VALU_DEP_1)
	v_cvt_f16_f32_e32 v1, v0
	s_or_b32 s13, s13, exec_lo
.LBB408_27:
	s_or_b32 exec_lo, exec_lo, s0
.LBB408_28:
	s_and_saveexec_b32 s0, s13
	s_cbranch_execz .LBB408_30
; %bb.29:
	s_lshl_b64 s[0:1], s[4:5], 1
	v_mov_b32_e32 v0, 0
	s_add_u32 s0, s6, s0
	s_addc_u32 s1, s7, s1
	global_store_b16 v0, v1, s[0:1]
.LBB408_30:
	s_nop 0
	s_sendmsg sendmsg(MSG_DEALLOC_VGPRS)
	s_endpgm
	.section	.rodata,"a",@progbits
	.p2align	6, 0x0
	.amdhsa_kernel _ZL32rocblas_gemvt_warp_reduce_kernelILb0ELi1024EiDF16_PKfDF16_EviiT3_lPKT2_lT1_lS5_lS6_lS2_lPT4_lS6_li
		.amdhsa_group_segment_fixed_size 128
		.amdhsa_private_segment_fixed_size 0
		.amdhsa_kernarg_size 140
		.amdhsa_user_sgpr_count 14
		.amdhsa_user_sgpr_dispatch_ptr 0
		.amdhsa_user_sgpr_queue_ptr 0
		.amdhsa_user_sgpr_kernarg_segment_ptr 1
		.amdhsa_user_sgpr_dispatch_id 0
		.amdhsa_user_sgpr_private_segment_size 0
		.amdhsa_wavefront_size32 1
		.amdhsa_uses_dynamic_stack 0
		.amdhsa_enable_private_segment 0
		.amdhsa_system_sgpr_workgroup_id_x 1
		.amdhsa_system_sgpr_workgroup_id_y 0
		.amdhsa_system_sgpr_workgroup_id_z 1
		.amdhsa_system_sgpr_workgroup_info 0
		.amdhsa_system_vgpr_workitem_id 0
		.amdhsa_next_free_vgpr 11
		.amdhsa_next_free_sgpr 25
		.amdhsa_reserve_vcc 1
		.amdhsa_float_round_mode_32 0
		.amdhsa_float_round_mode_16_64 0
		.amdhsa_float_denorm_mode_32 3
		.amdhsa_float_denorm_mode_16_64 3
		.amdhsa_dx10_clamp 1
		.amdhsa_ieee_mode 1
		.amdhsa_fp16_overflow 0
		.amdhsa_workgroup_processor_mode 1
		.amdhsa_memory_ordered 1
		.amdhsa_forward_progress 0
		.amdhsa_shared_vgpr_count 0
		.amdhsa_exception_fp_ieee_invalid_op 0
		.amdhsa_exception_fp_denorm_src 0
		.amdhsa_exception_fp_ieee_div_zero 0
		.amdhsa_exception_fp_ieee_overflow 0
		.amdhsa_exception_fp_ieee_underflow 0
		.amdhsa_exception_fp_ieee_inexact 0
		.amdhsa_exception_int_div_zero 0
	.end_amdhsa_kernel
	.section	.text._ZL32rocblas_gemvt_warp_reduce_kernelILb0ELi1024EiDF16_PKfDF16_EviiT3_lPKT2_lT1_lS5_lS6_lS2_lPT4_lS6_li,"axG",@progbits,_ZL32rocblas_gemvt_warp_reduce_kernelILb0ELi1024EiDF16_PKfDF16_EviiT3_lPKT2_lT1_lS5_lS6_lS2_lPT4_lS6_li,comdat
.Lfunc_end408:
	.size	_ZL32rocblas_gemvt_warp_reduce_kernelILb0ELi1024EiDF16_PKfDF16_EviiT3_lPKT2_lT1_lS5_lS6_lS2_lPT4_lS6_li, .Lfunc_end408-_ZL32rocblas_gemvt_warp_reduce_kernelILb0ELi1024EiDF16_PKfDF16_EviiT3_lPKT2_lT1_lS5_lS6_lS2_lPT4_lS6_li
                                        ; -- End function
	.section	.AMDGPU.csdata,"",@progbits
; Kernel info:
; codeLenInByte = 1516
; NumSgprs: 27
; NumVgprs: 11
; ScratchSize: 0
; MemoryBound: 0
; FloatMode: 240
; IeeeMode: 1
; LDSByteSize: 128 bytes/workgroup (compile time only)
; SGPRBlocks: 3
; VGPRBlocks: 1
; NumSGPRsForWavesPerEU: 27
; NumVGPRsForWavesPerEU: 11
; Occupancy: 16
; WaveLimiterHint : 1
; COMPUTE_PGM_RSRC2:SCRATCH_EN: 0
; COMPUTE_PGM_RSRC2:USER_SGPR: 14
; COMPUTE_PGM_RSRC2:TRAP_HANDLER: 0
; COMPUTE_PGM_RSRC2:TGID_X_EN: 1
; COMPUTE_PGM_RSRC2:TGID_Y_EN: 0
; COMPUTE_PGM_RSRC2:TGID_Z_EN: 1
; COMPUTE_PGM_RSRC2:TIDIG_COMP_CNT: 0
	.section	.text._ZL32rocblas_gemvt_warp_reduce_kernelILb0ELi1024ElDF16_PKfDF16_EviiT3_lPKT2_lT1_lS5_lS6_lS2_lPT4_lS6_li,"axG",@progbits,_ZL32rocblas_gemvt_warp_reduce_kernelILb0ELi1024ElDF16_PKfDF16_EviiT3_lPKT2_lT1_lS5_lS6_lS2_lPT4_lS6_li,comdat
	.globl	_ZL32rocblas_gemvt_warp_reduce_kernelILb0ELi1024ElDF16_PKfDF16_EviiT3_lPKT2_lT1_lS5_lS6_lS2_lPT4_lS6_li ; -- Begin function _ZL32rocblas_gemvt_warp_reduce_kernelILb0ELi1024ElDF16_PKfDF16_EviiT3_lPKT2_lT1_lS5_lS6_lS2_lPT4_lS6_li
	.p2align	8
	.type	_ZL32rocblas_gemvt_warp_reduce_kernelILb0ELi1024ElDF16_PKfDF16_EviiT3_lPKT2_lT1_lS5_lS6_lS2_lPT4_lS6_li,@function
_ZL32rocblas_gemvt_warp_reduce_kernelILb0ELi1024ElDF16_PKfDF16_EviiT3_lPKT2_lT1_lS5_lS6_lS2_lPT4_lS6_li: ; @_ZL32rocblas_gemvt_warp_reduce_kernelILb0ELi1024ElDF16_PKfDF16_EviiT3_lPKT2_lT1_lS5_lS6_lS2_lPT4_lS6_li
; %bb.0:
	s_clause 0x1
	s_load_b512 s[36:51], s[0:1], 0x8
	s_load_b512 s[16:31], s[0:1], 0x48
	s_mov_b32 s11, 0
	s_waitcnt lgkmcnt(0)
	s_mul_i32 s3, s15, s39
	s_mul_hi_u32 s4, s15, s38
	s_mul_i32 s2, s15, s38
	s_add_i32 s3, s4, s3
	s_mul_i32 s4, s15, s23
	s_lshl_b64 s[2:3], s[2:3], 2
	s_mul_hi_u32 s5, s15, s22
	s_add_u32 s2, s36, s2
	s_addc_u32 s3, s37, s3
	s_add_i32 s5, s5, s4
	s_mul_i32 s4, s15, s22
	s_delay_alu instid0(SALU_CYCLE_1) | instskip(NEXT) | instid1(SALU_CYCLE_1)
	s_lshl_b64 s[4:5], s[4:5], 2
	s_add_u32 s4, s20, s4
	s_addc_u32 s5, s21, s5
	s_load_b32 s12, s[2:3], 0x0
	s_load_b32 s10, s[4:5], 0x0
	s_waitcnt lgkmcnt(0)
	v_cmp_eq_f32_e64 s2, s12, 0
	v_cmp_eq_f32_e64 s3, s10, 1.0
	s_delay_alu instid0(VALU_DEP_1) | instskip(NEXT) | instid1(SALU_CYCLE_1)
	s_and_b32 s2, s2, s3
	s_and_b32 vcc_lo, exec_lo, s2
	s_cbranch_vccnz .LBB409_30
; %bb.1:
	s_mul_i32 s3, s15, s31
	s_mul_hi_u32 s4, s15, s30
	s_mul_i32 s2, s15, s30
	s_add_i32 s3, s4, s3
	v_cmp_neq_f32_e64 s4, s12, 0
	s_lshl_b64 s[2:3], s[2:3], 1
	s_delay_alu instid0(SALU_CYCLE_1) | instskip(SKIP_2) | instid1(SALU_CYCLE_1)
	s_add_u32 s5, s24, s2
	s_addc_u32 s6, s25, s3
	s_lshl_b64 s[2:3], s[26:27], 1
	s_add_u32 s8, s5, s2
	v_cmp_eq_u32_e64 s2, 0, v0
	s_addc_u32 s9, s6, s3
	s_and_b32 vcc_lo, exec_lo, s4
	s_cbranch_vccnz .LBB409_5
; %bb.2:
	s_mov_b32 s3, 0
                                        ; implicit-def: $vgpr1
                                        ; implicit-def: $sgpr4_sgpr5
	s_and_saveexec_b32 s6, s2
	s_cbranch_execz .LBB409_6
; %bb.3:
	v_cmp_eq_f32_e64 s2, s10, 0
	s_mul_i32 s4, s14, s29
	s_mul_hi_u32 s5, s14, s28
	s_ashr_i32 s7, s14, 31
	s_add_i32 s4, s5, s4
	s_mul_i32 s7, s7, s28
	s_and_b32 vcc_lo, exec_lo, s2
	s_add_i32 s5, s4, s7
	s_mul_i32 s4, s14, s28
	s_cbranch_vccnz .LBB409_7
; %bb.4:
	s_lshl_b64 s[20:21], s[4:5], 1
	v_mov_b32_e32 v1, 0
	s_add_u32 s20, s8, s20
	s_addc_u32 s21, s9, s21
	global_load_u16 v1, v1, s[20:21]
	s_waitcnt vmcnt(0)
	v_fma_mixlo_f16 v1, s10, v1, 0 op_sel_hi:[0,1,0]
	s_branch .LBB409_8
.LBB409_5:
                                        ; implicit-def: $vgpr1
                                        ; implicit-def: $sgpr4_sgpr5
	s_cbranch_execnz .LBB409_9
	s_branch .LBB409_28
.LBB409_6:
	s_or_b32 exec_lo, exec_lo, s6
	s_delay_alu instid0(SALU_CYCLE_1)
	s_and_b32 vcc_lo, exec_lo, s3
	s_cbranch_vccnz .LBB409_9
	s_branch .LBB409_28
.LBB409_7:
	v_mov_b32_e32 v1, 0
.LBB409_8:
	s_mov_b32 s11, exec_lo
	s_or_b32 exec_lo, exec_lo, s6
	s_delay_alu instid0(SALU_CYCLE_1)
	s_and_b32 vcc_lo, exec_lo, s3
	s_cbranch_vccz .LBB409_28
.LBB409_9:
	s_load_b32 s5, s[0:1], 0x0
	s_mul_i32 s3, s15, s47
	s_mul_hi_u32 s4, s15, s46
	s_mul_i32 s0, s15, s46
	s_add_i32 s1, s4, s3
	s_mul_i32 s2, s15, s19
	s_mul_hi_u32 s3, s15, s18
	s_lshl_b64 s[0:1], s[0:1], 1
	s_add_i32 s3, s3, s2
	s_add_u32 s2, s40, s0
	s_addc_u32 s4, s41, s1
	s_lshl_b64 s[0:1], s[42:43], 1
	s_mul_hi_u32 s6, s14, s44
	s_add_u32 s0, s2, s0
	s_addc_u32 s2, s4, s1
	s_mul_i32 s4, s14, s45
	s_ashr_i32 s1, s14, 31
	s_add_i32 s4, s6, s4
	s_mul_i32 s6, s1, s44
	v_mov_b32_e32 v7, 0
	s_waitcnt lgkmcnt(0)
	v_cmp_gt_i32_e32 vcc_lo, s5, v0
	s_add_i32 s7, s4, s6
	s_mul_i32 s6, s14, s44
	s_mov_b32 s13, exec_lo
	s_lshl_b64 s[6:7], s[6:7], 1
	v_cndmask_b32_e32 v1, 0, v0, vcc_lo
	s_add_u32 s0, s6, s0
	s_addc_u32 s2, s7, s2
	s_ashr_i32 s4, s5, 31
	s_delay_alu instid0(SALU_CYCLE_1) | instskip(SKIP_2) | instid1(SALU_CYCLE_1)
	s_lshr_b32 s4, s4, 22
	v_lshlrev_b32_e32 v1, 1, v1
	s_add_i32 s4, s5, s4
	s_and_b32 s4, s4, 0xfffffc00
	s_delay_alu instid0(VALU_DEP_1) | instskip(NEXT) | instid1(VALU_DEP_1)
	v_add_co_u32 v1, s0, s0, v1
	v_add_co_ci_u32_e64 v2, null, s2, 0, s0
	s_mul_i32 s2, s15, s18
	s_mov_b32 s15, 0
	v_cmpx_gt_i32_e64 s4, v0
	s_cbranch_execz .LBB409_13
; %bb.10:
	v_mad_u64_u32 v[5:6], null, s16, v0, 0
	s_lshl_b64 s[18:19], s[50:51], 1
	s_lshl_b64 s[6:7], s[2:3], 1
	s_add_u32 s0, s48, s18
	s_addc_u32 s18, s49, s19
	s_add_u32 s0, s0, s6
	s_addc_u32 s6, s18, s7
	s_delay_alu instid0(VALU_DEP_1) | instskip(NEXT) | instid1(VALU_DEP_1)
	v_dual_mov_b32 v3, v6 :: v_dual_mov_b32 v8, v0
	v_mad_u64_u32 v[6:7], null, s17, v0, v[3:4]
	v_dual_mov_b32 v7, 0 :: v_dual_mov_b32 v4, v2
	v_mov_b32_e32 v3, v1
	s_delay_alu instid0(VALU_DEP_3) | instskip(NEXT) | instid1(VALU_DEP_1)
	v_lshlrev_b64 v[5:6], 1, v[5:6]
	v_add_co_u32 v5, vcc_lo, s0, v5
	s_delay_alu instid0(VALU_DEP_2)
	v_add_co_ci_u32_e32 v6, vcc_lo, s6, v6, vcc_lo
	s_lshl_b64 s[6:7], s[16:17], 11
	.p2align	6
.LBB409_11:                             ; =>This Inner Loop Header: Depth=1
	global_load_u16 v9, v[3:4], off
	global_load_u16 v10, v[5:6], off
	v_add_co_u32 v3, vcc_lo, 0x800, v3
	v_add_co_ci_u32_e32 v4, vcc_lo, 0, v4, vcc_lo
	v_add_co_u32 v5, vcc_lo, v5, s6
	v_add_co_ci_u32_e32 v6, vcc_lo, s7, v6, vcc_lo
	s_waitcnt vmcnt(0)
	v_mul_f16_e32 v9, v9, v10
	s_delay_alu instid0(VALU_DEP_1) | instskip(NEXT) | instid1(VALU_DEP_1)
	v_cvt_f32_f16_e32 v9, v9
	v_dual_add_f32 v7, v7, v9 :: v_dual_add_nc_u32 v8, 0x400, v8
	s_delay_alu instid0(VALU_DEP_1) | instskip(NEXT) | instid1(VALU_DEP_1)
	v_cmp_le_i32_e64 s0, s4, v8
	s_or_b32 s15, s0, s15
	s_delay_alu instid0(SALU_CYCLE_1)
	s_and_not1_b32 exec_lo, exec_lo, s15
	s_cbranch_execnz .LBB409_11
; %bb.12:
	s_or_b32 exec_lo, exec_lo, s15
.LBB409_13:
	s_delay_alu instid0(SALU_CYCLE_1) | instskip(SKIP_2) | instid1(VALU_DEP_1)
	s_or_b32 exec_lo, exec_lo, s13
	v_or_b32_e32 v3, s4, v0
	s_mov_b32 s0, exec_lo
	v_cmpx_gt_i32_e64 s5, v3
	s_cbranch_execz .LBB409_15
; %bb.14:
	v_ashrrev_i32_e32 v6, 31, v3
	v_mul_lo_u32 v8, v3, s17
	v_mad_u64_u32 v[4:5], null, v3, s16, 0
	s_lshl_b64 s[2:3], s[2:3], 1
	s_delay_alu instid0(VALU_DEP_3) | instskip(SKIP_3) | instid1(SALU_CYCLE_1)
	v_mul_lo_u32 v3, v6, s16
	s_add_u32 s5, s48, s2
	s_addc_u32 s6, s49, s3
	s_lshl_b64 s[2:3], s[50:51], 1
	s_add_u32 s7, s5, s2
	s_addc_u32 s6, s6, s3
	s_ashr_i32 s5, s4, 31
	s_delay_alu instid0(VALU_DEP_1) | instskip(SKIP_1) | instid1(SALU_CYCLE_1)
	v_add3_u32 v5, v5, v8, v3
	s_lshl_b64 s[2:3], s[4:5], 1
	v_add_co_u32 v1, vcc_lo, v1, s2
	s_delay_alu instid0(VALU_DEP_2) | instskip(SKIP_1) | instid1(VALU_DEP_2)
	v_lshlrev_b64 v[3:4], 1, v[4:5]
	v_add_co_ci_u32_e32 v2, vcc_lo, s3, v2, vcc_lo
	v_add_co_u32 v3, vcc_lo, s7, v3
	s_delay_alu instid0(VALU_DEP_3) | instskip(SKIP_4) | instid1(VALU_DEP_1)
	v_add_co_ci_u32_e32 v4, vcc_lo, s6, v4, vcc_lo
	global_load_u16 v1, v[1:2], off
	global_load_u16 v2, v[3:4], off
	s_waitcnt vmcnt(0)
	v_mul_f16_e32 v1, v1, v2
	v_cvt_f32_f16_e32 v1, v1
	s_delay_alu instid0(VALU_DEP_1)
	v_add_f32_e32 v7, v7, v1
.LBB409_15:
	s_or_b32 exec_lo, exec_lo, s0
	v_and_b32_e32 v6, 31, v0
	v_cmp_gt_u32_e32 vcc_lo, 32, v0
	s_delay_alu instid0(VALU_DEP_2)
	v_lshlrev_b32_e32 v1, 2, v6
	s_and_saveexec_b32 s0, vcc_lo
	s_cbranch_execz .LBB409_17
; %bb.16:
	v_mov_b32_e32 v2, 0
	ds_store_b32 v1, v2
.LBB409_17:
	s_or_b32 exec_lo, exec_lo, s0
	v_mbcnt_lo_u32_b32 v8, -1, 0
	s_mov_b32 s2, exec_lo
	s_waitcnt lgkmcnt(0)
	s_barrier
	buffer_gl0_inv
	v_cmp_gt_u32_e64 s0, 16, v8
	s_delay_alu instid0(VALU_DEP_1) | instskip(SKIP_1) | instid1(VALU_DEP_2)
	v_cndmask_b32_e64 v2, 0, 1, s0
	v_cmp_gt_u32_e64 s0, 24, v8
	v_lshlrev_b32_e32 v2, 4, v2
	s_delay_alu instid0(VALU_DEP_2) | instskip(SKIP_1) | instid1(VALU_DEP_3)
	v_cndmask_b32_e64 v3, 0, 1, s0
	v_cmp_gt_u32_e64 s0, 28, v8
	v_add_lshl_u32 v2, v2, v8, 2
	s_delay_alu instid0(VALU_DEP_3)
	v_lshlrev_b32_e32 v3, 3, v3
	ds_bpermute_b32 v4, v2, v7
	v_add_lshl_u32 v3, v3, v8, 2
	s_waitcnt lgkmcnt(0)
	v_add_f32_e32 v5, v7, v4
	v_cndmask_b32_e64 v4, 0, 1, s0
	v_cmp_gt_u32_e64 s0, 30, v8
	ds_bpermute_b32 v7, v3, v5
	s_waitcnt lgkmcnt(0)
	v_dual_add_f32 v7, v5, v7 :: v_dual_lshlrev_b32 v4, 2, v4
	s_delay_alu instid0(VALU_DEP_1)
	v_add_lshl_u32 v4, v4, v8, 2
	v_cndmask_b32_e64 v5, 0, 1, s0
	v_cmp_ne_u32_e64 s0, 31, v8
	ds_bpermute_b32 v9, v4, v7
	v_lshlrev_b32_e32 v5, 1, v5
	v_add_co_ci_u32_e64 v10, s0, 0, v8, s0
	s_delay_alu instid0(VALU_DEP_2)
	v_add_lshl_u32 v5, v5, v8, 2
	s_waitcnt lgkmcnt(0)
	v_add_f32_e32 v7, v7, v9
	ds_bpermute_b32 v9, v5, v7
	s_waitcnt lgkmcnt(0)
	v_dual_add_f32 v8, v7, v9 :: v_dual_lshlrev_b32 v7, 2, v10
	ds_bpermute_b32 v9, v7, v8
	v_cmpx_eq_u32_e32 0, v6
	s_cbranch_execz .LBB409_19
; %bb.18:
	v_lshrrev_b32_e32 v6, 3, v0
	s_waitcnt lgkmcnt(0)
	v_add_f32_e32 v8, v8, v9
	s_delay_alu instid0(VALU_DEP_2)
	v_and_b32_e32 v6, 0x7c, v6
	ds_store_b32 v6, v8
.LBB409_19:
	s_or_b32 exec_lo, exec_lo, s2
	v_mov_b32_e32 v6, 0
	s_waitcnt lgkmcnt(0)
	s_barrier
	buffer_gl0_inv
	s_and_saveexec_b32 s0, vcc_lo
	s_cbranch_execz .LBB409_21
; %bb.20:
	ds_load_b32 v6, v1
.LBB409_21:
	s_or_b32 exec_lo, exec_lo, s0
	s_and_saveexec_b32 s0, vcc_lo
	s_cbranch_execz .LBB409_23
; %bb.22:
	s_waitcnt lgkmcnt(0)
	ds_bpermute_b32 v1, v2, v6
	s_waitcnt lgkmcnt(0)
	v_add_f32_e32 v1, v6, v1
	ds_bpermute_b32 v2, v3, v1
	s_waitcnt lgkmcnt(0)
	v_add_f32_e32 v1, v1, v2
	ds_bpermute_b32 v2, v4, v1
	s_waitcnt lgkmcnt(0)
	v_add_f32_e32 v1, v1, v2
	ds_bpermute_b32 v2, v5, v1
	s_waitcnt lgkmcnt(0)
	v_add_f32_e32 v1, v1, v2
	ds_bpermute_b32 v2, v7, v1
	s_waitcnt lgkmcnt(0)
	v_add_f32_e32 v6, v1, v2
.LBB409_23:
	s_or_b32 exec_lo, exec_lo, s0
	s_delay_alu instid0(SALU_CYCLE_1)
	s_mov_b32 s0, exec_lo
                                        ; implicit-def: $vgpr1
                                        ; implicit-def: $sgpr4_sgpr5
	v_cmpx_eq_u32_e32 0, v0
	s_cbranch_execz .LBB409_27
; %bb.24:
	v_cmp_eq_f32_e64 s4, s10, 0
	s_mul_i32 s2, s14, s29
	s_mul_hi_u32 s3, s14, s28
	s_waitcnt lgkmcnt(0)
	v_mul_f32_e32 v0, s12, v6
	s_add_i32 s2, s3, s2
	s_mul_i32 s1, s1, s28
	s_and_b32 vcc_lo, exec_lo, s4
	s_add_i32 s5, s2, s1
	s_mul_i32 s4, s14, s28
	s_cbranch_vccnz .LBB409_26
; %bb.25:
	s_lshl_b64 s[2:3], s[4:5], 1
	v_mov_b32_e32 v1, 0
	s_add_u32 s2, s8, s2
	s_addc_u32 s3, s9, s3
	global_load_u16 v1, v1, s[2:3]
	s_waitcnt vmcnt(0)
	v_fma_mix_f32 v0, s10, v1, v0 op_sel_hi:[0,1,0]
.LBB409_26:
	s_delay_alu instid0(VALU_DEP_1)
	v_cvt_f16_f32_e32 v1, v0
	s_or_b32 s11, s11, exec_lo
.LBB409_27:
	s_or_b32 exec_lo, exec_lo, s0
.LBB409_28:
	s_and_saveexec_b32 s0, s11
	s_cbranch_execz .LBB409_30
; %bb.29:
	s_lshl_b64 s[0:1], s[4:5], 1
	v_mov_b32_e32 v0, 0
	s_add_u32 s0, s8, s0
	s_addc_u32 s1, s9, s1
	global_store_b16 v0, v1, s[0:1]
.LBB409_30:
	s_nop 0
	s_sendmsg sendmsg(MSG_DEALLOC_VGPRS)
	s_endpgm
	.section	.rodata,"a",@progbits
	.p2align	6, 0x0
	.amdhsa_kernel _ZL32rocblas_gemvt_warp_reduce_kernelILb0ELi1024ElDF16_PKfDF16_EviiT3_lPKT2_lT1_lS5_lS6_lS2_lPT4_lS6_li
		.amdhsa_group_segment_fixed_size 128
		.amdhsa_private_segment_fixed_size 0
		.amdhsa_kernarg_size 140
		.amdhsa_user_sgpr_count 14
		.amdhsa_user_sgpr_dispatch_ptr 0
		.amdhsa_user_sgpr_queue_ptr 0
		.amdhsa_user_sgpr_kernarg_segment_ptr 1
		.amdhsa_user_sgpr_dispatch_id 0
		.amdhsa_user_sgpr_private_segment_size 0
		.amdhsa_wavefront_size32 1
		.amdhsa_uses_dynamic_stack 0
		.amdhsa_enable_private_segment 0
		.amdhsa_system_sgpr_workgroup_id_x 1
		.amdhsa_system_sgpr_workgroup_id_y 0
		.amdhsa_system_sgpr_workgroup_id_z 1
		.amdhsa_system_sgpr_workgroup_info 0
		.amdhsa_system_vgpr_workitem_id 0
		.amdhsa_next_free_vgpr 11
		.amdhsa_next_free_sgpr 52
		.amdhsa_reserve_vcc 1
		.amdhsa_float_round_mode_32 0
		.amdhsa_float_round_mode_16_64 0
		.amdhsa_float_denorm_mode_32 3
		.amdhsa_float_denorm_mode_16_64 3
		.amdhsa_dx10_clamp 1
		.amdhsa_ieee_mode 1
		.amdhsa_fp16_overflow 0
		.amdhsa_workgroup_processor_mode 1
		.amdhsa_memory_ordered 1
		.amdhsa_forward_progress 0
		.amdhsa_shared_vgpr_count 0
		.amdhsa_exception_fp_ieee_invalid_op 0
		.amdhsa_exception_fp_denorm_src 0
		.amdhsa_exception_fp_ieee_div_zero 0
		.amdhsa_exception_fp_ieee_overflow 0
		.amdhsa_exception_fp_ieee_underflow 0
		.amdhsa_exception_fp_ieee_inexact 0
		.amdhsa_exception_int_div_zero 0
	.end_amdhsa_kernel
	.section	.text._ZL32rocblas_gemvt_warp_reduce_kernelILb0ELi1024ElDF16_PKfDF16_EviiT3_lPKT2_lT1_lS5_lS6_lS2_lPT4_lS6_li,"axG",@progbits,_ZL32rocblas_gemvt_warp_reduce_kernelILb0ELi1024ElDF16_PKfDF16_EviiT3_lPKT2_lT1_lS5_lS6_lS2_lPT4_lS6_li,comdat
.Lfunc_end409:
	.size	_ZL32rocblas_gemvt_warp_reduce_kernelILb0ELi1024ElDF16_PKfDF16_EviiT3_lPKT2_lT1_lS5_lS6_lS2_lPT4_lS6_li, .Lfunc_end409-_ZL32rocblas_gemvt_warp_reduce_kernelILb0ELi1024ElDF16_PKfDF16_EviiT3_lPKT2_lT1_lS5_lS6_lS2_lPT4_lS6_li
                                        ; -- End function
	.section	.AMDGPU.csdata,"",@progbits
; Kernel info:
; codeLenInByte = 1560
; NumSgprs: 54
; NumVgprs: 11
; ScratchSize: 0
; MemoryBound: 0
; FloatMode: 240
; IeeeMode: 1
; LDSByteSize: 128 bytes/workgroup (compile time only)
; SGPRBlocks: 6
; VGPRBlocks: 1
; NumSGPRsForWavesPerEU: 54
; NumVGPRsForWavesPerEU: 11
; Occupancy: 16
; WaveLimiterHint : 0
; COMPUTE_PGM_RSRC2:SCRATCH_EN: 0
; COMPUTE_PGM_RSRC2:USER_SGPR: 14
; COMPUTE_PGM_RSRC2:TRAP_HANDLER: 0
; COMPUTE_PGM_RSRC2:TGID_X_EN: 1
; COMPUTE_PGM_RSRC2:TGID_Y_EN: 0
; COMPUTE_PGM_RSRC2:TGID_Z_EN: 1
; COMPUTE_PGM_RSRC2:TIDIG_COMP_CNT: 0
	.section	.text._ZL32rocblas_gemvt_warp_reduce_kernelILb0ELi1024EiDF16_fDF16_EviiT3_lPKT2_lT1_lS3_lS4_lS0_lPT4_lS4_li,"axG",@progbits,_ZL32rocblas_gemvt_warp_reduce_kernelILb0ELi1024EiDF16_fDF16_EviiT3_lPKT2_lT1_lS3_lS4_lS0_lPT4_lS4_li,comdat
	.globl	_ZL32rocblas_gemvt_warp_reduce_kernelILb0ELi1024EiDF16_fDF16_EviiT3_lPKT2_lT1_lS3_lS4_lS0_lPT4_lS4_li ; -- Begin function _ZL32rocblas_gemvt_warp_reduce_kernelILb0ELi1024EiDF16_fDF16_EviiT3_lPKT2_lT1_lS3_lS4_lS0_lPT4_lS4_li
	.p2align	8
	.type	_ZL32rocblas_gemvt_warp_reduce_kernelILb0ELi1024EiDF16_fDF16_EviiT3_lPKT2_lT1_lS3_lS4_lS0_lPT4_lS4_li,@function
_ZL32rocblas_gemvt_warp_reduce_kernelILb0ELi1024EiDF16_fDF16_EviiT3_lPKT2_lT1_lS3_lS4_lS0_lPT4_lS4_li: ; @_ZL32rocblas_gemvt_warp_reduce_kernelILb0ELi1024EiDF16_fDF16_EviiT3_lPKT2_lT1_lS3_lS4_lS0_lPT4_lS4_li
; %bb.0:
	s_clause 0x1
	s_load_b32 s10, s[0:1], 0x8
	s_load_b32 s8, s[0:1], 0x58
	s_mov_b32 s9, 0
	s_waitcnt lgkmcnt(0)
	v_cmp_eq_f32_e64 s2, s10, 0
	v_cmp_eq_f32_e64 s3, s8, 1.0
	s_delay_alu instid0(VALU_DEP_1) | instskip(NEXT) | instid1(SALU_CYCLE_1)
	s_and_b32 s2, s2, s3
	s_and_b32 vcc_lo, exec_lo, s2
	s_cbranch_vccnz .LBB410_30
; %bb.1:
	s_clause 0x2
	s_load_b64 s[2:3], s[0:1], 0x80
	s_load_b128 s[4:7], s[0:1], 0x68
	s_load_b32 s11, s[0:1], 0x78
	s_waitcnt lgkmcnt(0)
	s_mul_i32 s3, s15, s3
	s_mul_hi_u32 s12, s15, s2
	s_mul_i32 s2, s15, s2
	s_add_i32 s3, s12, s3
	v_cmp_neq_f32_e64 s12, s10, 0
	s_lshl_b64 s[2:3], s[2:3], 1
	s_delay_alu instid0(SALU_CYCLE_1) | instskip(SKIP_2) | instid1(SALU_CYCLE_1)
	s_add_u32 s4, s4, s2
	s_addc_u32 s5, s5, s3
	s_lshl_b64 s[2:3], s[6:7], 1
	s_add_u32 s6, s4, s2
	v_cmp_eq_u32_e64 s2, 0, v0
	s_addc_u32 s7, s5, s3
	s_and_b32 vcc_lo, exec_lo, s12
	s_cbranch_vccnz .LBB410_5
; %bb.2:
	s_mov_b32 s3, 0
                                        ; implicit-def: $vgpr1
                                        ; implicit-def: $sgpr4_sgpr5
	s_and_saveexec_b32 s12, s2
	s_cbranch_execz .LBB410_6
; %bb.3:
	v_cmp_eq_f32_e64 s2, s8, 0
	s_mul_i32 s4, s14, s11
	s_delay_alu instid0(SALU_CYCLE_1) | instskip(NEXT) | instid1(VALU_DEP_1)
	s_ashr_i32 s5, s4, 31
	s_and_b32 vcc_lo, exec_lo, s2
	s_cbranch_vccnz .LBB410_7
; %bb.4:
	s_lshl_b64 s[16:17], s[4:5], 1
	v_mov_b32_e32 v1, 0
	s_add_u32 s16, s6, s16
	s_addc_u32 s17, s7, s17
	global_load_u16 v1, v1, s[16:17]
	s_waitcnt vmcnt(0)
	v_fma_mixlo_f16 v1, v1, s8, 0 op_sel_hi:[1,0,0]
	s_branch .LBB410_8
.LBB410_5:
                                        ; implicit-def: $vgpr1
                                        ; implicit-def: $sgpr4_sgpr5
	s_cbranch_execnz .LBB410_9
	s_branch .LBB410_28
.LBB410_6:
	s_or_b32 exec_lo, exec_lo, s12
	s_delay_alu instid0(SALU_CYCLE_1)
	s_and_b32 vcc_lo, exec_lo, s3
	s_cbranch_vccnz .LBB410_9
	s_branch .LBB410_28
.LBB410_7:
	v_mov_b32_e32 v1, 0
.LBB410_8:
	s_mov_b32 s9, exec_lo
	s_or_b32 exec_lo, exec_lo, s12
	s_delay_alu instid0(SALU_CYCLE_1)
	s_and_b32 vcc_lo, exec_lo, s3
	s_cbranch_vccz .LBB410_28
.LBB410_9:
	s_clause 0x6
	s_load_b64 s[4:5], s[0:1], 0x50
	s_load_b128 s[16:19], s[0:1], 0x30
	s_load_b64 s[12:13], s[0:1], 0x40
	s_load_b32 s3, s[0:1], 0x0
	s_load_b128 s[20:23], s[0:1], 0x18
	s_load_b32 s2, s[0:1], 0x28
	s_load_b32 s1, s[0:1], 0x48
	v_mov_b32_e32 v7, 0
	s_waitcnt lgkmcnt(0)
	s_mul_i32 s0, s15, s5
	s_mul_hi_u32 s5, s15, s4
	s_mul_i32 s4, s15, s4
	s_add_i32 s5, s5, s0
	s_mul_i32 s0, s15, s17
	s_lshl_b64 s[4:5], s[4:5], 1
	s_mul_hi_u32 s17, s15, s16
	s_add_u32 s18, s18, s4
	s_addc_u32 s19, s19, s5
	s_lshl_b64 s[4:5], s[12:13], 1
	v_cmp_gt_i32_e32 vcc_lo, s3, v0
	s_add_u32 s4, s18, s4
	s_mul_i32 s12, s15, s16
	s_addc_u32 s5, s19, s5
	s_add_i32 s13, s17, s0
	v_cndmask_b32_e32 v1, 0, v0, vcc_lo
	s_lshl_b64 s[12:13], s[12:13], 1
	s_mul_i32 s16, s14, s2
	s_add_u32 s0, s20, s12
	s_addc_u32 s15, s21, s13
	s_lshl_b64 s[12:13], s[22:23], 1
	v_lshlrev_b32_e32 v1, 1, v1
	s_add_u32 s0, s0, s12
	s_addc_u32 s2, s15, s13
	s_ashr_i32 s17, s16, 31
	s_delay_alu instid0(SALU_CYCLE_1) | instskip(NEXT) | instid1(SALU_CYCLE_1)
	s_lshl_b64 s[12:13], s[16:17], 1
	s_add_u32 s0, s12, s0
	s_addc_u32 s12, s13, s2
	s_ashr_i32 s2, s3, 31
	v_add_co_u32 v1, s0, s0, v1
	s_lshr_b32 s2, s2, 22
	v_add_co_ci_u32_e64 v2, null, s12, 0, s0
	s_add_i32 s2, s3, s2
	s_mov_b32 s13, 0
	s_and_b32 s2, s2, 0xfffffc00
	s_mov_b32 s12, exec_lo
	v_cmpx_gt_i32_e64 s2, v0
	s_cbranch_execz .LBB410_13
; %bb.10:
	v_mul_lo_u32 v3, v0, s1
	v_dual_mov_b32 v7, 0 :: v_dual_mov_b32 v6, v2
	v_dual_mov_b32 v5, v1 :: v_dual_mov_b32 v8, v0
	s_lshl_b32 s15, s1, 10
	.p2align	6
.LBB410_11:                             ; =>This Inner Loop Header: Depth=1
	s_delay_alu instid0(VALU_DEP_3) | instskip(NEXT) | instid1(VALU_DEP_2)
	v_ashrrev_i32_e32 v4, 31, v3
	v_add_nc_u32_e32 v8, 0x400, v8
	s_delay_alu instid0(VALU_DEP_2) | instskip(NEXT) | instid1(VALU_DEP_2)
	v_lshlrev_b64 v[9:10], 1, v[3:4]
	v_cmp_le_i32_e64 s0, s2, v8
	v_add_nc_u32_e32 v3, s15, v3
	s_delay_alu instid0(VALU_DEP_2) | instskip(NEXT) | instid1(VALU_DEP_3)
	s_or_b32 s13, s0, s13
	v_add_co_u32 v9, vcc_lo, s4, v9
	s_delay_alu instid0(VALU_DEP_4)
	v_add_co_ci_u32_e32 v10, vcc_lo, s5, v10, vcc_lo
	global_load_u16 v4, v[5:6], off
	global_load_u16 v9, v[9:10], off
	v_add_co_u32 v5, vcc_lo, 0x800, v5
	v_add_co_ci_u32_e32 v6, vcc_lo, 0, v6, vcc_lo
	s_waitcnt vmcnt(0)
	v_mul_f16_e32 v4, v4, v9
	s_delay_alu instid0(VALU_DEP_1) | instskip(NEXT) | instid1(VALU_DEP_1)
	v_cvt_f32_f16_e32 v4, v4
	v_add_f32_e32 v7, v7, v4
	s_and_not1_b32 exec_lo, exec_lo, s13
	s_cbranch_execnz .LBB410_11
; %bb.12:
	s_or_b32 exec_lo, exec_lo, s13
.LBB410_13:
	s_delay_alu instid0(SALU_CYCLE_1) | instskip(SKIP_2) | instid1(VALU_DEP_1)
	s_or_b32 exec_lo, exec_lo, s12
	v_or_b32_e32 v3, s2, v0
	s_mov_b32 s0, exec_lo
	v_cmpx_gt_i32_e64 s3, v3
	s_cbranch_execz .LBB410_15
; %bb.14:
	v_mul_lo_u32 v3, v3, s1
	s_ashr_i32 s3, s2, 31
	s_delay_alu instid0(SALU_CYCLE_1) | instskip(NEXT) | instid1(SALU_CYCLE_1)
	s_lshl_b64 s[2:3], s[2:3], 1
	v_add_co_u32 v1, vcc_lo, v1, s2
	v_add_co_ci_u32_e32 v2, vcc_lo, s3, v2, vcc_lo
	s_delay_alu instid0(VALU_DEP_3) | instskip(NEXT) | instid1(VALU_DEP_1)
	v_ashrrev_i32_e32 v4, 31, v3
	v_lshlrev_b64 v[3:4], 1, v[3:4]
	s_delay_alu instid0(VALU_DEP_1) | instskip(NEXT) | instid1(VALU_DEP_2)
	v_add_co_u32 v3, vcc_lo, s4, v3
	v_add_co_ci_u32_e32 v4, vcc_lo, s5, v4, vcc_lo
	global_load_u16 v1, v[1:2], off
	global_load_u16 v2, v[3:4], off
	s_waitcnt vmcnt(0)
	v_mul_f16_e32 v1, v1, v2
	s_delay_alu instid0(VALU_DEP_1) | instskip(NEXT) | instid1(VALU_DEP_1)
	v_cvt_f32_f16_e32 v1, v1
	v_add_f32_e32 v7, v7, v1
.LBB410_15:
	s_or_b32 exec_lo, exec_lo, s0
	v_and_b32_e32 v6, 31, v0
	v_cmp_gt_u32_e32 vcc_lo, 32, v0
	s_delay_alu instid0(VALU_DEP_2)
	v_lshlrev_b32_e32 v1, 2, v6
	s_and_saveexec_b32 s0, vcc_lo
	s_cbranch_execz .LBB410_17
; %bb.16:
	v_mov_b32_e32 v2, 0
	ds_store_b32 v1, v2
.LBB410_17:
	s_or_b32 exec_lo, exec_lo, s0
	v_mbcnt_lo_u32_b32 v8, -1, 0
	s_mov_b32 s1, exec_lo
	s_waitcnt lgkmcnt(0)
	s_barrier
	buffer_gl0_inv
	v_cmp_gt_u32_e64 s0, 16, v8
	s_delay_alu instid0(VALU_DEP_1) | instskip(SKIP_1) | instid1(VALU_DEP_2)
	v_cndmask_b32_e64 v2, 0, 1, s0
	v_cmp_gt_u32_e64 s0, 24, v8
	v_lshlrev_b32_e32 v2, 4, v2
	s_delay_alu instid0(VALU_DEP_2) | instskip(SKIP_1) | instid1(VALU_DEP_3)
	v_cndmask_b32_e64 v3, 0, 1, s0
	v_cmp_gt_u32_e64 s0, 28, v8
	v_add_lshl_u32 v2, v2, v8, 2
	s_delay_alu instid0(VALU_DEP_3)
	v_lshlrev_b32_e32 v3, 3, v3
	ds_bpermute_b32 v4, v2, v7
	v_add_lshl_u32 v3, v3, v8, 2
	s_waitcnt lgkmcnt(0)
	v_add_f32_e32 v5, v7, v4
	v_cndmask_b32_e64 v4, 0, 1, s0
	v_cmp_gt_u32_e64 s0, 30, v8
	ds_bpermute_b32 v7, v3, v5
	s_waitcnt lgkmcnt(0)
	v_dual_add_f32 v7, v5, v7 :: v_dual_lshlrev_b32 v4, 2, v4
	s_delay_alu instid0(VALU_DEP_1)
	v_add_lshl_u32 v4, v4, v8, 2
	v_cndmask_b32_e64 v5, 0, 1, s0
	v_cmp_ne_u32_e64 s0, 31, v8
	ds_bpermute_b32 v9, v4, v7
	v_lshlrev_b32_e32 v5, 1, v5
	v_add_co_ci_u32_e64 v10, s0, 0, v8, s0
	s_delay_alu instid0(VALU_DEP_2)
	v_add_lshl_u32 v5, v5, v8, 2
	s_waitcnt lgkmcnt(0)
	v_add_f32_e32 v7, v7, v9
	ds_bpermute_b32 v9, v5, v7
	s_waitcnt lgkmcnt(0)
	v_dual_add_f32 v8, v7, v9 :: v_dual_lshlrev_b32 v7, 2, v10
	ds_bpermute_b32 v9, v7, v8
	v_cmpx_eq_u32_e32 0, v6
	s_cbranch_execz .LBB410_19
; %bb.18:
	v_lshrrev_b32_e32 v6, 3, v0
	s_waitcnt lgkmcnt(0)
	v_add_f32_e32 v8, v8, v9
	s_delay_alu instid0(VALU_DEP_2)
	v_and_b32_e32 v6, 0x7c, v6
	ds_store_b32 v6, v8
.LBB410_19:
	s_or_b32 exec_lo, exec_lo, s1
	v_mov_b32_e32 v6, 0
	s_waitcnt lgkmcnt(0)
	s_barrier
	buffer_gl0_inv
	s_and_saveexec_b32 s0, vcc_lo
	s_cbranch_execz .LBB410_21
; %bb.20:
	ds_load_b32 v6, v1
.LBB410_21:
	s_or_b32 exec_lo, exec_lo, s0
	s_and_saveexec_b32 s0, vcc_lo
	s_cbranch_execz .LBB410_23
; %bb.22:
	s_waitcnt lgkmcnt(0)
	ds_bpermute_b32 v1, v2, v6
	s_waitcnt lgkmcnt(0)
	v_add_f32_e32 v1, v6, v1
	ds_bpermute_b32 v2, v3, v1
	s_waitcnt lgkmcnt(0)
	v_add_f32_e32 v1, v1, v2
	;; [unrolled: 3-line block ×5, first 2 shown]
.LBB410_23:
	s_or_b32 exec_lo, exec_lo, s0
	s_delay_alu instid0(SALU_CYCLE_1)
	s_mov_b32 s0, exec_lo
                                        ; implicit-def: $vgpr1
                                        ; implicit-def: $sgpr4_sgpr5
	v_cmpx_eq_u32_e32 0, v0
	s_cbranch_execz .LBB410_27
; %bb.24:
	v_cmp_eq_f32_e64 s1, s8, 0
	s_waitcnt lgkmcnt(0)
	v_mul_f32_e32 v0, s10, v6
	s_mul_i32 s4, s14, s11
	s_delay_alu instid0(SALU_CYCLE_1)
	s_ashr_i32 s5, s4, 31
	s_and_b32 vcc_lo, exec_lo, s1
	s_cbranch_vccnz .LBB410_26
; %bb.25:
	s_lshl_b64 s[2:3], s[4:5], 1
	v_mov_b32_e32 v1, 0
	s_add_u32 s2, s6, s2
	s_addc_u32 s3, s7, s3
	global_load_u16 v1, v1, s[2:3]
	s_waitcnt vmcnt(0)
	v_fma_mix_f32 v0, v1, s8, v0 op_sel_hi:[1,0,0]
.LBB410_26:
	s_delay_alu instid0(VALU_DEP_1)
	v_cvt_f16_f32_e32 v1, v0
	s_or_b32 s9, s9, exec_lo
.LBB410_27:
	s_or_b32 exec_lo, exec_lo, s0
.LBB410_28:
	s_and_saveexec_b32 s0, s9
	s_cbranch_execz .LBB410_30
; %bb.29:
	s_lshl_b64 s[0:1], s[4:5], 1
	v_mov_b32_e32 v0, 0
	s_add_u32 s0, s6, s0
	s_addc_u32 s1, s7, s1
	global_store_b16 v0, v1, s[0:1]
.LBB410_30:
	s_nop 0
	s_sendmsg sendmsg(MSG_DEALLOC_VGPRS)
	s_endpgm
	.section	.rodata,"a",@progbits
	.p2align	6, 0x0
	.amdhsa_kernel _ZL32rocblas_gemvt_warp_reduce_kernelILb0ELi1024EiDF16_fDF16_EviiT3_lPKT2_lT1_lS3_lS4_lS0_lPT4_lS4_li
		.amdhsa_group_segment_fixed_size 128
		.amdhsa_private_segment_fixed_size 0
		.amdhsa_kernarg_size 140
		.amdhsa_user_sgpr_count 14
		.amdhsa_user_sgpr_dispatch_ptr 0
		.amdhsa_user_sgpr_queue_ptr 0
		.amdhsa_user_sgpr_kernarg_segment_ptr 1
		.amdhsa_user_sgpr_dispatch_id 0
		.amdhsa_user_sgpr_private_segment_size 0
		.amdhsa_wavefront_size32 1
		.amdhsa_uses_dynamic_stack 0
		.amdhsa_enable_private_segment 0
		.amdhsa_system_sgpr_workgroup_id_x 1
		.amdhsa_system_sgpr_workgroup_id_y 0
		.amdhsa_system_sgpr_workgroup_id_z 1
		.amdhsa_system_sgpr_workgroup_info 0
		.amdhsa_system_vgpr_workitem_id 0
		.amdhsa_next_free_vgpr 11
		.amdhsa_next_free_sgpr 24
		.amdhsa_reserve_vcc 1
		.amdhsa_float_round_mode_32 0
		.amdhsa_float_round_mode_16_64 0
		.amdhsa_float_denorm_mode_32 3
		.amdhsa_float_denorm_mode_16_64 3
		.amdhsa_dx10_clamp 1
		.amdhsa_ieee_mode 1
		.amdhsa_fp16_overflow 0
		.amdhsa_workgroup_processor_mode 1
		.amdhsa_memory_ordered 1
		.amdhsa_forward_progress 0
		.amdhsa_shared_vgpr_count 0
		.amdhsa_exception_fp_ieee_invalid_op 0
		.amdhsa_exception_fp_denorm_src 0
		.amdhsa_exception_fp_ieee_div_zero 0
		.amdhsa_exception_fp_ieee_overflow 0
		.amdhsa_exception_fp_ieee_underflow 0
		.amdhsa_exception_fp_ieee_inexact 0
		.amdhsa_exception_int_div_zero 0
	.end_amdhsa_kernel
	.section	.text._ZL32rocblas_gemvt_warp_reduce_kernelILb0ELi1024EiDF16_fDF16_EviiT3_lPKT2_lT1_lS3_lS4_lS0_lPT4_lS4_li,"axG",@progbits,_ZL32rocblas_gemvt_warp_reduce_kernelILb0ELi1024EiDF16_fDF16_EviiT3_lPKT2_lT1_lS3_lS4_lS0_lPT4_lS4_li,comdat
.Lfunc_end410:
	.size	_ZL32rocblas_gemvt_warp_reduce_kernelILb0ELi1024EiDF16_fDF16_EviiT3_lPKT2_lT1_lS3_lS4_lS0_lPT4_lS4_li, .Lfunc_end410-_ZL32rocblas_gemvt_warp_reduce_kernelILb0ELi1024EiDF16_fDF16_EviiT3_lPKT2_lT1_lS3_lS4_lS0_lPT4_lS4_li
                                        ; -- End function
	.section	.AMDGPU.csdata,"",@progbits
; Kernel info:
; codeLenInByte = 1440
; NumSgprs: 26
; NumVgprs: 11
; ScratchSize: 0
; MemoryBound: 0
; FloatMode: 240
; IeeeMode: 1
; LDSByteSize: 128 bytes/workgroup (compile time only)
; SGPRBlocks: 3
; VGPRBlocks: 1
; NumSGPRsForWavesPerEU: 26
; NumVGPRsForWavesPerEU: 11
; Occupancy: 16
; WaveLimiterHint : 1
; COMPUTE_PGM_RSRC2:SCRATCH_EN: 0
; COMPUTE_PGM_RSRC2:USER_SGPR: 14
; COMPUTE_PGM_RSRC2:TRAP_HANDLER: 0
; COMPUTE_PGM_RSRC2:TGID_X_EN: 1
; COMPUTE_PGM_RSRC2:TGID_Y_EN: 0
; COMPUTE_PGM_RSRC2:TGID_Z_EN: 1
; COMPUTE_PGM_RSRC2:TIDIG_COMP_CNT: 0
	.section	.text._ZL32rocblas_gemvt_warp_reduce_kernelILb0ELi1024ElDF16_fDF16_EviiT3_lPKT2_lT1_lS3_lS4_lS0_lPT4_lS4_li,"axG",@progbits,_ZL32rocblas_gemvt_warp_reduce_kernelILb0ELi1024ElDF16_fDF16_EviiT3_lPKT2_lT1_lS3_lS4_lS0_lPT4_lS4_li,comdat
	.globl	_ZL32rocblas_gemvt_warp_reduce_kernelILb0ELi1024ElDF16_fDF16_EviiT3_lPKT2_lT1_lS3_lS4_lS0_lPT4_lS4_li ; -- Begin function _ZL32rocblas_gemvt_warp_reduce_kernelILb0ELi1024ElDF16_fDF16_EviiT3_lPKT2_lT1_lS3_lS4_lS0_lPT4_lS4_li
	.p2align	8
	.type	_ZL32rocblas_gemvt_warp_reduce_kernelILb0ELi1024ElDF16_fDF16_EviiT3_lPKT2_lT1_lS3_lS4_lS0_lPT4_lS4_li,@function
_ZL32rocblas_gemvt_warp_reduce_kernelILb0ELi1024ElDF16_fDF16_EviiT3_lPKT2_lT1_lS3_lS4_lS0_lPT4_lS4_li: ; @_ZL32rocblas_gemvt_warp_reduce_kernelILb0ELi1024ElDF16_fDF16_EviiT3_lPKT2_lT1_lS3_lS4_lS0_lPT4_lS4_li
; %bb.0:
	s_clause 0x1
	s_load_b32 s33, s[0:1], 0x8
	s_load_b32 s12, s[0:1], 0x58
	s_mov_b32 s13, 0
	s_waitcnt lgkmcnt(0)
	v_cmp_eq_f32_e64 s2, s33, 0
	v_cmp_eq_f32_e64 s3, s12, 1.0
	s_delay_alu instid0(VALU_DEP_1) | instskip(NEXT) | instid1(SALU_CYCLE_1)
	s_and_b32 s2, s2, s3
	s_and_b32 vcc_lo, exec_lo, s2
	s_cbranch_vccnz .LBB411_30
; %bb.1:
	s_load_b256 s[4:11], s[0:1], 0x68
	v_cmp_neq_f32_e64 s16, s33, 0
	s_waitcnt lgkmcnt(0)
	s_mul_i32 s3, s15, s11
	s_mul_hi_u32 s11, s15, s10
	s_mul_i32 s2, s15, s10
	s_add_i32 s3, s11, s3
	s_delay_alu instid0(SALU_CYCLE_1) | instskip(NEXT) | instid1(SALU_CYCLE_1)
	s_lshl_b64 s[2:3], s[2:3], 1
	s_add_u32 s4, s4, s2
	s_addc_u32 s5, s5, s3
	s_lshl_b64 s[2:3], s[6:7], 1
	s_delay_alu instid0(SALU_CYCLE_1)
	s_add_u32 s10, s4, s2
	v_cmp_eq_u32_e64 s2, 0, v0
	s_addc_u32 s11, s5, s3
	s_and_b32 vcc_lo, exec_lo, s16
	s_cbranch_vccnz .LBB411_5
; %bb.2:
	s_mov_b32 s3, 0
                                        ; implicit-def: $vgpr1
                                        ; implicit-def: $sgpr4_sgpr5
	s_and_saveexec_b32 s6, s2
	s_cbranch_execz .LBB411_6
; %bb.3:
	v_cmp_eq_f32_e64 s2, s12, 0
	s_mul_i32 s4, s14, s9
	s_mul_hi_u32 s5, s14, s8
	s_ashr_i32 s7, s14, 31
	s_add_i32 s4, s5, s4
	s_mul_i32 s7, s7, s8
	s_and_b32 vcc_lo, exec_lo, s2
	s_add_i32 s5, s4, s7
	s_mul_i32 s4, s14, s8
	s_cbranch_vccnz .LBB411_7
; %bb.4:
	s_lshl_b64 s[16:17], s[4:5], 1
	v_mov_b32_e32 v1, 0
	s_add_u32 s16, s10, s16
	s_addc_u32 s17, s11, s17
	global_load_u16 v1, v1, s[16:17]
	s_waitcnt vmcnt(0)
	v_fma_mixlo_f16 v1, v1, s12, 0 op_sel_hi:[1,0,0]
	s_branch .LBB411_8
.LBB411_5:
                                        ; implicit-def: $vgpr1
                                        ; implicit-def: $sgpr4_sgpr5
	s_cbranch_execnz .LBB411_9
	s_branch .LBB411_28
.LBB411_6:
	s_or_b32 exec_lo, exec_lo, s6
	s_delay_alu instid0(SALU_CYCLE_1)
	s_and_b32 vcc_lo, exec_lo, s3
	s_cbranch_vccnz .LBB411_9
	s_branch .LBB411_28
.LBB411_7:
	v_mov_b32_e32 v1, 0
.LBB411_8:
	s_mov_b32 s13, exec_lo
	s_or_b32 exec_lo, exec_lo, s6
	s_delay_alu instid0(SALU_CYCLE_1)
	s_and_b32 vcc_lo, exec_lo, s3
	s_cbranch_vccz .LBB411_28
.LBB411_9:
	s_clause 0x1
	s_load_b512 s[16:31], s[0:1], 0x18
	s_load_b32 s5, s[0:1], 0x0
	v_mov_b32_e32 v7, 0
	s_waitcnt lgkmcnt(0)
	s_mul_i32 s1, s15, s23
	s_mul_hi_u32 s4, s15, s22
	s_mul_i32 s0, s15, s22
	s_add_i32 s1, s4, s1
	s_mul_i32 s2, s15, s31
	s_mul_hi_u32 s3, s15, s30
	s_lshl_b64 s[0:1], s[0:1], 1
	s_add_i32 s3, s3, s2
	v_cmp_gt_i32_e32 vcc_lo, s5, v0
	s_add_u32 s2, s16, s0
	s_addc_u32 s6, s17, s1
	s_lshl_b64 s[0:1], s[18:19], 1
	s_mul_i32 s4, s14, s21
	s_add_u32 s0, s2, s0
	s_mul_hi_u32 s7, s14, s20
	s_addc_u32 s2, s6, s1
	s_ashr_i32 s1, s14, 31
	v_cndmask_b32_e32 v1, 0, v0, vcc_lo
	s_add_i32 s4, s7, s4
	s_mul_i32 s7, s1, s20
	s_mul_i32 s6, s14, s20
	s_add_i32 s7, s4, s7
	v_lshlrev_b32_e32 v1, 1, v1
	s_lshl_b64 s[6:7], s[6:7], 1
	s_mov_b32 s16, 0
	s_add_u32 s0, s6, s0
	s_addc_u32 s2, s7, s2
	s_ashr_i32 s4, s5, 31
	v_add_co_u32 v1, s0, s0, v1
	s_lshr_b32 s4, s4, 22
	v_add_co_ci_u32_e64 v2, null, s2, 0, s0
	s_add_i32 s4, s5, s4
	s_mul_i32 s2, s15, s30
	s_and_b32 s4, s4, 0xfffffc00
	s_mov_b32 s15, exec_lo
	v_cmpx_gt_i32_e64 s4, v0
	s_cbranch_execz .LBB411_13
; %bb.10:
	v_mad_u64_u32 v[5:6], null, s28, v0, 0
	s_lshl_b64 s[18:19], s[26:27], 1
	s_lshl_b64 s[6:7], s[2:3], 1
	s_add_u32 s0, s24, s18
	s_addc_u32 s17, s25, s19
	s_add_u32 s0, s0, s6
	s_addc_u32 s6, s17, s7
	s_delay_alu instid0(VALU_DEP_1) | instskip(NEXT) | instid1(VALU_DEP_1)
	v_dual_mov_b32 v3, v6 :: v_dual_mov_b32 v8, v0
	v_mad_u64_u32 v[6:7], null, s29, v0, v[3:4]
	v_dual_mov_b32 v7, 0 :: v_dual_mov_b32 v4, v2
	v_mov_b32_e32 v3, v1
	s_delay_alu instid0(VALU_DEP_3) | instskip(NEXT) | instid1(VALU_DEP_1)
	v_lshlrev_b64 v[5:6], 1, v[5:6]
	v_add_co_u32 v5, vcc_lo, s0, v5
	s_delay_alu instid0(VALU_DEP_2)
	v_add_co_ci_u32_e32 v6, vcc_lo, s6, v6, vcc_lo
	s_lshl_b64 s[6:7], s[28:29], 11
	.p2align	6
.LBB411_11:                             ; =>This Inner Loop Header: Depth=1
	global_load_u16 v9, v[3:4], off
	global_load_u16 v10, v[5:6], off
	v_add_co_u32 v3, vcc_lo, 0x800, v3
	v_add_co_ci_u32_e32 v4, vcc_lo, 0, v4, vcc_lo
	v_add_co_u32 v5, vcc_lo, v5, s6
	v_add_co_ci_u32_e32 v6, vcc_lo, s7, v6, vcc_lo
	s_waitcnt vmcnt(0)
	v_mul_f16_e32 v9, v9, v10
	s_delay_alu instid0(VALU_DEP_1) | instskip(NEXT) | instid1(VALU_DEP_1)
	v_cvt_f32_f16_e32 v9, v9
	v_dual_add_f32 v7, v7, v9 :: v_dual_add_nc_u32 v8, 0x400, v8
	s_delay_alu instid0(VALU_DEP_1) | instskip(NEXT) | instid1(VALU_DEP_1)
	v_cmp_le_i32_e64 s0, s4, v8
	s_or_b32 s16, s0, s16
	s_delay_alu instid0(SALU_CYCLE_1)
	s_and_not1_b32 exec_lo, exec_lo, s16
	s_cbranch_execnz .LBB411_11
; %bb.12:
	s_or_b32 exec_lo, exec_lo, s16
.LBB411_13:
	s_delay_alu instid0(SALU_CYCLE_1) | instskip(SKIP_2) | instid1(VALU_DEP_1)
	s_or_b32 exec_lo, exec_lo, s15
	v_or_b32_e32 v3, s4, v0
	s_mov_b32 s0, exec_lo
	v_cmpx_gt_i32_e64 s5, v3
	s_cbranch_execz .LBB411_15
; %bb.14:
	v_ashrrev_i32_e32 v6, 31, v3
	v_mul_lo_u32 v8, v3, s29
	v_mad_u64_u32 v[4:5], null, v3, s28, 0
	s_lshl_b64 s[2:3], s[2:3], 1
	s_delay_alu instid0(VALU_DEP_3) | instskip(SKIP_3) | instid1(SALU_CYCLE_1)
	v_mul_lo_u32 v3, v6, s28
	s_add_u32 s5, s24, s2
	s_addc_u32 s6, s25, s3
	s_lshl_b64 s[2:3], s[26:27], 1
	s_add_u32 s7, s5, s2
	s_addc_u32 s6, s6, s3
	s_ashr_i32 s5, s4, 31
	s_delay_alu instid0(VALU_DEP_1) | instskip(SKIP_1) | instid1(SALU_CYCLE_1)
	v_add3_u32 v5, v5, v8, v3
	s_lshl_b64 s[2:3], s[4:5], 1
	v_add_co_u32 v1, vcc_lo, v1, s2
	s_delay_alu instid0(VALU_DEP_2) | instskip(SKIP_1) | instid1(VALU_DEP_2)
	v_lshlrev_b64 v[3:4], 1, v[4:5]
	v_add_co_ci_u32_e32 v2, vcc_lo, s3, v2, vcc_lo
	v_add_co_u32 v3, vcc_lo, s7, v3
	s_delay_alu instid0(VALU_DEP_3) | instskip(SKIP_4) | instid1(VALU_DEP_1)
	v_add_co_ci_u32_e32 v4, vcc_lo, s6, v4, vcc_lo
	global_load_u16 v1, v[1:2], off
	global_load_u16 v2, v[3:4], off
	s_waitcnt vmcnt(0)
	v_mul_f16_e32 v1, v1, v2
	v_cvt_f32_f16_e32 v1, v1
	s_delay_alu instid0(VALU_DEP_1)
	v_add_f32_e32 v7, v7, v1
.LBB411_15:
	s_or_b32 exec_lo, exec_lo, s0
	v_and_b32_e32 v6, 31, v0
	v_cmp_gt_u32_e32 vcc_lo, 32, v0
	s_delay_alu instid0(VALU_DEP_2)
	v_lshlrev_b32_e32 v1, 2, v6
	s_and_saveexec_b32 s0, vcc_lo
	s_cbranch_execz .LBB411_17
; %bb.16:
	v_mov_b32_e32 v2, 0
	ds_store_b32 v1, v2
.LBB411_17:
	s_or_b32 exec_lo, exec_lo, s0
	v_mbcnt_lo_u32_b32 v8, -1, 0
	s_mov_b32 s2, exec_lo
	s_waitcnt lgkmcnt(0)
	s_barrier
	buffer_gl0_inv
	v_cmp_gt_u32_e64 s0, 16, v8
	s_delay_alu instid0(VALU_DEP_1) | instskip(SKIP_1) | instid1(VALU_DEP_2)
	v_cndmask_b32_e64 v2, 0, 1, s0
	v_cmp_gt_u32_e64 s0, 24, v8
	v_lshlrev_b32_e32 v2, 4, v2
	s_delay_alu instid0(VALU_DEP_2) | instskip(SKIP_1) | instid1(VALU_DEP_3)
	v_cndmask_b32_e64 v3, 0, 1, s0
	v_cmp_gt_u32_e64 s0, 28, v8
	v_add_lshl_u32 v2, v2, v8, 2
	s_delay_alu instid0(VALU_DEP_3)
	v_lshlrev_b32_e32 v3, 3, v3
	ds_bpermute_b32 v4, v2, v7
	v_add_lshl_u32 v3, v3, v8, 2
	s_waitcnt lgkmcnt(0)
	v_add_f32_e32 v5, v7, v4
	v_cndmask_b32_e64 v4, 0, 1, s0
	v_cmp_gt_u32_e64 s0, 30, v8
	ds_bpermute_b32 v7, v3, v5
	s_waitcnt lgkmcnt(0)
	v_dual_add_f32 v7, v5, v7 :: v_dual_lshlrev_b32 v4, 2, v4
	s_delay_alu instid0(VALU_DEP_1)
	v_add_lshl_u32 v4, v4, v8, 2
	v_cndmask_b32_e64 v5, 0, 1, s0
	v_cmp_ne_u32_e64 s0, 31, v8
	ds_bpermute_b32 v9, v4, v7
	v_lshlrev_b32_e32 v5, 1, v5
	v_add_co_ci_u32_e64 v10, s0, 0, v8, s0
	s_delay_alu instid0(VALU_DEP_2)
	v_add_lshl_u32 v5, v5, v8, 2
	s_waitcnt lgkmcnt(0)
	v_add_f32_e32 v7, v7, v9
	ds_bpermute_b32 v9, v5, v7
	s_waitcnt lgkmcnt(0)
	v_dual_add_f32 v8, v7, v9 :: v_dual_lshlrev_b32 v7, 2, v10
	ds_bpermute_b32 v9, v7, v8
	v_cmpx_eq_u32_e32 0, v6
	s_cbranch_execz .LBB411_19
; %bb.18:
	v_lshrrev_b32_e32 v6, 3, v0
	s_waitcnt lgkmcnt(0)
	v_add_f32_e32 v8, v8, v9
	s_delay_alu instid0(VALU_DEP_2)
	v_and_b32_e32 v6, 0x7c, v6
	ds_store_b32 v6, v8
.LBB411_19:
	s_or_b32 exec_lo, exec_lo, s2
	v_mov_b32_e32 v6, 0
	s_waitcnt lgkmcnt(0)
	s_barrier
	buffer_gl0_inv
	s_and_saveexec_b32 s0, vcc_lo
	s_cbranch_execz .LBB411_21
; %bb.20:
	ds_load_b32 v6, v1
.LBB411_21:
	s_or_b32 exec_lo, exec_lo, s0
	s_and_saveexec_b32 s0, vcc_lo
	s_cbranch_execz .LBB411_23
; %bb.22:
	s_waitcnt lgkmcnt(0)
	ds_bpermute_b32 v1, v2, v6
	s_waitcnt lgkmcnt(0)
	v_add_f32_e32 v1, v6, v1
	ds_bpermute_b32 v2, v3, v1
	s_waitcnt lgkmcnt(0)
	v_add_f32_e32 v1, v1, v2
	;; [unrolled: 3-line block ×5, first 2 shown]
.LBB411_23:
	s_or_b32 exec_lo, exec_lo, s0
	s_delay_alu instid0(SALU_CYCLE_1)
	s_mov_b32 s0, exec_lo
                                        ; implicit-def: $vgpr1
                                        ; implicit-def: $sgpr4_sgpr5
	v_cmpx_eq_u32_e32 0, v0
	s_cbranch_execz .LBB411_27
; %bb.24:
	v_cmp_eq_f32_e64 s4, s12, 0
	s_mul_i32 s2, s14, s9
	s_mul_hi_u32 s3, s14, s8
	s_waitcnt lgkmcnt(0)
	v_mul_f32_e32 v0, s33, v6
	s_add_i32 s2, s3, s2
	s_mul_i32 s1, s1, s8
	s_and_b32 vcc_lo, exec_lo, s4
	s_add_i32 s5, s2, s1
	s_mul_i32 s4, s14, s8
	s_cbranch_vccnz .LBB411_26
; %bb.25:
	s_lshl_b64 s[2:3], s[4:5], 1
	v_mov_b32_e32 v1, 0
	s_add_u32 s2, s10, s2
	s_addc_u32 s3, s11, s3
	global_load_u16 v1, v1, s[2:3]
	s_waitcnt vmcnt(0)
	v_fma_mix_f32 v0, v1, s12, v0 op_sel_hi:[1,0,0]
.LBB411_26:
	s_delay_alu instid0(VALU_DEP_1)
	v_cvt_f16_f32_e32 v1, v0
	s_or_b32 s13, s13, exec_lo
.LBB411_27:
	s_or_b32 exec_lo, exec_lo, s0
.LBB411_28:
	s_and_saveexec_b32 s0, s13
	s_cbranch_execz .LBB411_30
; %bb.29:
	s_lshl_b64 s[0:1], s[4:5], 1
	v_mov_b32_e32 v0, 0
	s_add_u32 s0, s10, s0
	s_addc_u32 s1, s11, s1
	global_store_b16 v0, v1, s[0:1]
.LBB411_30:
	s_nop 0
	s_sendmsg sendmsg(MSG_DEALLOC_VGPRS)
	s_endpgm
	.section	.rodata,"a",@progbits
	.p2align	6, 0x0
	.amdhsa_kernel _ZL32rocblas_gemvt_warp_reduce_kernelILb0ELi1024ElDF16_fDF16_EviiT3_lPKT2_lT1_lS3_lS4_lS0_lPT4_lS4_li
		.amdhsa_group_segment_fixed_size 128
		.amdhsa_private_segment_fixed_size 0
		.amdhsa_kernarg_size 140
		.amdhsa_user_sgpr_count 14
		.amdhsa_user_sgpr_dispatch_ptr 0
		.amdhsa_user_sgpr_queue_ptr 0
		.amdhsa_user_sgpr_kernarg_segment_ptr 1
		.amdhsa_user_sgpr_dispatch_id 0
		.amdhsa_user_sgpr_private_segment_size 0
		.amdhsa_wavefront_size32 1
		.amdhsa_uses_dynamic_stack 0
		.amdhsa_enable_private_segment 0
		.amdhsa_system_sgpr_workgroup_id_x 1
		.amdhsa_system_sgpr_workgroup_id_y 0
		.amdhsa_system_sgpr_workgroup_id_z 1
		.amdhsa_system_sgpr_workgroup_info 0
		.amdhsa_system_vgpr_workitem_id 0
		.amdhsa_next_free_vgpr 11
		.amdhsa_next_free_sgpr 34
		.amdhsa_reserve_vcc 1
		.amdhsa_float_round_mode_32 0
		.amdhsa_float_round_mode_16_64 0
		.amdhsa_float_denorm_mode_32 3
		.amdhsa_float_denorm_mode_16_64 3
		.amdhsa_dx10_clamp 1
		.amdhsa_ieee_mode 1
		.amdhsa_fp16_overflow 0
		.amdhsa_workgroup_processor_mode 1
		.amdhsa_memory_ordered 1
		.amdhsa_forward_progress 0
		.amdhsa_shared_vgpr_count 0
		.amdhsa_exception_fp_ieee_invalid_op 0
		.amdhsa_exception_fp_denorm_src 0
		.amdhsa_exception_fp_ieee_div_zero 0
		.amdhsa_exception_fp_ieee_overflow 0
		.amdhsa_exception_fp_ieee_underflow 0
		.amdhsa_exception_fp_ieee_inexact 0
		.amdhsa_exception_int_div_zero 0
	.end_amdhsa_kernel
	.section	.text._ZL32rocblas_gemvt_warp_reduce_kernelILb0ELi1024ElDF16_fDF16_EviiT3_lPKT2_lT1_lS3_lS4_lS0_lPT4_lS4_li,"axG",@progbits,_ZL32rocblas_gemvt_warp_reduce_kernelILb0ELi1024ElDF16_fDF16_EviiT3_lPKT2_lT1_lS3_lS4_lS0_lPT4_lS4_li,comdat
.Lfunc_end411:
	.size	_ZL32rocblas_gemvt_warp_reduce_kernelILb0ELi1024ElDF16_fDF16_EviiT3_lPKT2_lT1_lS3_lS4_lS0_lPT4_lS4_li, .Lfunc_end411-_ZL32rocblas_gemvt_warp_reduce_kernelILb0ELi1024ElDF16_fDF16_EviiT3_lPKT2_lT1_lS3_lS4_lS0_lPT4_lS4_li
                                        ; -- End function
	.section	.AMDGPU.csdata,"",@progbits
; Kernel info:
; codeLenInByte = 1500
; NumSgprs: 36
; NumVgprs: 11
; ScratchSize: 0
; MemoryBound: 0
; FloatMode: 240
; IeeeMode: 1
; LDSByteSize: 128 bytes/workgroup (compile time only)
; SGPRBlocks: 4
; VGPRBlocks: 1
; NumSGPRsForWavesPerEU: 36
; NumVGPRsForWavesPerEU: 11
; Occupancy: 16
; WaveLimiterHint : 1
; COMPUTE_PGM_RSRC2:SCRATCH_EN: 0
; COMPUTE_PGM_RSRC2:USER_SGPR: 14
; COMPUTE_PGM_RSRC2:TRAP_HANDLER: 0
; COMPUTE_PGM_RSRC2:TGID_X_EN: 1
; COMPUTE_PGM_RSRC2:TGID_Y_EN: 0
; COMPUTE_PGM_RSRC2:TGID_Z_EN: 1
; COMPUTE_PGM_RSRC2:TIDIG_COMP_CNT: 0
	.section	.text._ZL22rocblas_gemvtsm_kernelILb1ELi256EDF16_PKfDF16_EviiT2_lPKT1_lilS5_lilS2_lPT3_lil,"axG",@progbits,_ZL22rocblas_gemvtsm_kernelILb1ELi256EDF16_PKfDF16_EviiT2_lPKT1_lilS5_lilS2_lPT3_lil,comdat
	.globl	_ZL22rocblas_gemvtsm_kernelILb1ELi256EDF16_PKfDF16_EviiT2_lPKT1_lilS5_lilS2_lPT3_lil ; -- Begin function _ZL22rocblas_gemvtsm_kernelILb1ELi256EDF16_PKfDF16_EviiT2_lPKT1_lilS5_lilS2_lPT3_lil
	.p2align	8
	.type	_ZL22rocblas_gemvtsm_kernelILb1ELi256EDF16_PKfDF16_EviiT2_lPKT1_lilS5_lilS2_lPT3_lil,@function
_ZL22rocblas_gemvtsm_kernelILb1ELi256EDF16_PKfDF16_EviiT2_lPKT1_lilS5_lilS2_lPT3_lil: ; @_ZL22rocblas_gemvtsm_kernelILb1ELi256EDF16_PKfDF16_EviiT2_lPKT1_lilS5_lilS2_lPT3_lil
; %bb.0:
	s_clause 0x1
	s_load_b256 s[4:11], s[0:1], 0x8
	s_load_b256 s[16:23], s[0:1], 0x50
	s_waitcnt lgkmcnt(0)
	s_mul_i32 s3, s15, s7
	s_mul_hi_u32 s7, s15, s6
	s_mul_i32 s2, s15, s6
	s_add_i32 s3, s7, s3
	s_mul_i32 s6, s15, s21
	s_lshl_b64 s[2:3], s[2:3], 2
	s_mul_hi_u32 s7, s15, s20
	s_add_u32 s2, s4, s2
	s_addc_u32 s3, s5, s3
	s_add_i32 s5, s7, s6
	s_mul_i32 s4, s15, s20
	s_delay_alu instid0(SALU_CYCLE_1) | instskip(NEXT) | instid1(SALU_CYCLE_1)
	s_lshl_b64 s[4:5], s[4:5], 2
	s_add_u32 s4, s18, s4
	s_addc_u32 s5, s19, s5
	s_load_b32 s26, s[2:3], 0x0
	s_load_b32 s14, s[4:5], 0x0
	s_waitcnt lgkmcnt(0)
	v_cmp_eq_f32_e64 s2, s26, 0
	v_cmp_eq_f32_e64 s3, s14, 1.0
	s_delay_alu instid0(VALU_DEP_1) | instskip(NEXT) | instid1(SALU_CYCLE_1)
	s_and_b32 s2, s2, s3
	s_and_b32 vcc_lo, exec_lo, s2
	s_cbranch_vccnz .LBB412_34
; %bb.1:
	s_clause 0x3
	s_load_b64 s[2:3], s[0:1], 0x80
	s_load_b32 s12, s[0:1], 0x78
	s_load_b64 s[20:21], s[0:1], 0x70
	s_load_b64 s[18:19], s[0:1], 0x0
	v_cmp_neq_f32_e64 s4, s26, 0
	s_delay_alu instid0(VALU_DEP_1)
	s_and_b32 vcc_lo, exec_lo, s4
	s_waitcnt lgkmcnt(0)
	s_mul_i32 s3, s15, s3
	s_mul_hi_u32 s4, s15, s2
	s_mul_i32 s24, s15, s2
	s_add_i32 s25, s4, s3
	s_cbranch_vccnz .LBB412_9
; %bb.2:
	s_cmp_gt_i32 s19, 0
	v_cmp_neq_f32_e64 s2, s14, 0
	s_cselect_b32 s4, -1, 0
	s_delay_alu instid0(SALU_CYCLE_1) | instskip(NEXT) | instid1(VALU_DEP_2)
	v_cndmask_b32_e64 v1, 0, 1, s4
	s_and_b32 vcc_lo, exec_lo, s2
	s_delay_alu instid0(VALU_DEP_1)
	v_cmp_ne_u32_e64 s2, 1, v1
	s_cbranch_vccnz .LBB412_10
; %bb.3:
	s_delay_alu instid0(VALU_DEP_1)
	s_and_b32 vcc_lo, exec_lo, s2
	s_cbranch_vccnz .LBB412_8
; %bb.4:
	v_mad_i64_i32 v[1:2], null, s12, v0, 0
	s_lshl_b64 s[6:7], s[20:21], 1
	s_ashr_i32 s13, s12, 31
	s_lshl_b64 s[2:3], s[24:25], 1
	s_add_u32 s5, s22, s6
	s_addc_u32 s6, s23, s7
	s_add_u32 s2, s5, s2
	s_delay_alu instid0(VALU_DEP_1) | instskip(SKIP_3) | instid1(VALU_DEP_2)
	v_lshlrev_b64 v[1:2], 1, v[1:2]
	s_addc_u32 s3, s6, s3
	v_mov_b32_e32 v3, 0
	s_mov_b32 s5, 0
	v_add_co_u32 v1, vcc_lo, s2, v1
	s_delay_alu instid0(VALU_DEP_3)
	v_add_co_ci_u32_e32 v2, vcc_lo, s3, v2, vcc_lo
	s_lshl_b64 s[2:3], s[12:13], 9
	s_branch .LBB412_6
.LBB412_5:                              ;   in Loop: Header=BB412_6 Depth=1
	s_or_b32 exec_lo, exec_lo, s6
	v_add_co_u32 v1, vcc_lo, v1, s2
	v_add_co_ci_u32_e32 v2, vcc_lo, s3, v2, vcc_lo
	s_addk_i32 s5, 0x100
	s_delay_alu instid0(SALU_CYCLE_1)
	s_cmp_ge_i32 s5, s19
	s_cbranch_scc1 .LBB412_8
.LBB412_6:                              ; =>This Inner Loop Header: Depth=1
	v_add_nc_u32_e32 v4, s5, v0
	s_mov_b32 s6, exec_lo
	s_delay_alu instid0(VALU_DEP_1)
	v_cmpx_gt_i32_e64 s19, v4
	s_cbranch_execz .LBB412_5
; %bb.7:                                ;   in Loop: Header=BB412_6 Depth=1
	global_store_b16 v[1:2], v3, off
	s_branch .LBB412_5
.LBB412_8:
	s_cbranch_execz .LBB412_11
	s_branch .LBB412_16
.LBB412_9:
	s_branch .LBB412_17
.LBB412_10:
.LBB412_11:
	s_and_not1_b32 vcc_lo, exec_lo, s4
	s_cbranch_vccnz .LBB412_16
; %bb.12:
	v_mad_i64_i32 v[1:2], null, s12, v0, 0
	s_lshl_b64 s[4:5], s[20:21], 1
	s_ashr_i32 s13, s12, 31
	s_lshl_b64 s[2:3], s[24:25], 1
	s_add_u32 s4, s22, s4
	s_addc_u32 s5, s23, s5
	s_add_u32 s2, s4, s2
	s_delay_alu instid0(VALU_DEP_1) | instskip(SKIP_2) | instid1(VALU_DEP_1)
	v_lshlrev_b64 v[1:2], 1, v[1:2]
	s_addc_u32 s3, s5, s3
	s_mov_b32 s4, 0
	v_add_co_u32 v1, vcc_lo, s2, v1
	s_delay_alu instid0(VALU_DEP_2)
	v_add_co_ci_u32_e32 v2, vcc_lo, s3, v2, vcc_lo
	s_lshl_b64 s[2:3], s[12:13], 9
	s_branch .LBB412_14
	.p2align	6
.LBB412_13:                             ;   in Loop: Header=BB412_14 Depth=1
	s_or_b32 exec_lo, exec_lo, s5
	v_add_co_u32 v1, vcc_lo, v1, s2
	v_add_co_ci_u32_e32 v2, vcc_lo, s3, v2, vcc_lo
	s_addk_i32 s4, 0x100
	s_delay_alu instid0(SALU_CYCLE_1)
	s_cmp_ge_i32 s4, s19
	s_cbranch_scc1 .LBB412_16
.LBB412_14:                             ; =>This Inner Loop Header: Depth=1
	v_add_nc_u32_e32 v3, s4, v0
	s_mov_b32 s5, exec_lo
	s_delay_alu instid0(VALU_DEP_1)
	v_cmpx_gt_i32_e64 s19, v3
	s_cbranch_execz .LBB412_13
; %bb.15:                               ;   in Loop: Header=BB412_14 Depth=1
	global_load_u16 v3, v[1:2], off
	s_waitcnt vmcnt(0)
	v_fma_mixlo_f16 v3, s14, v3, 0 op_sel_hi:[0,1,0]
	global_store_b16 v[1:2], v3, off
	s_branch .LBB412_13
.LBB412_16:
	s_cbranch_execnz .LBB412_34
.LBB412_17:
	s_clause 0x1
	s_load_b128 s[4:7], s[0:1], 0x30
	s_load_b64 s[2:3], s[0:1], 0x40
	s_mov_b32 s13, exec_lo
	v_cmpx_gt_i32_e64 s18, v0
	s_cbranch_execz .LBB412_19
; %bb.18:
	s_load_b32 s27, s[0:1], 0x48
	s_mul_i32 s17, s15, s17
	s_mul_hi_u32 s28, s15, s16
	s_mul_i32 s16, s15, s16
	s_add_i32 s17, s28, s17
	s_delay_alu instid0(SALU_CYCLE_1) | instskip(SKIP_4) | instid1(SALU_CYCLE_1)
	s_lshl_b64 s[16:17], s[16:17], 1
	s_waitcnt lgkmcnt(0)
	s_add_u32 s6, s6, s16
	s_addc_u32 s7, s7, s17
	s_lshl_b64 s[2:3], s[2:3], 1
	s_add_u32 s2, s6, s2
	s_addc_u32 s3, s7, s3
	v_mad_i64_i32 v[1:2], null, s27, v0, 0
	s_delay_alu instid0(VALU_DEP_1) | instskip(NEXT) | instid1(VALU_DEP_1)
	v_lshlrev_b64 v[1:2], 1, v[1:2]
	v_add_co_u32 v1, vcc_lo, s2, v1
	s_delay_alu instid0(VALU_DEP_2) | instskip(SKIP_4) | instid1(VALU_DEP_1)
	v_add_co_ci_u32_e32 v2, vcc_lo, s3, v2, vcc_lo
	global_load_u16 v1, v[1:2], off
	v_lshlrev_b32_e32 v2, 2, v0
	s_waitcnt vmcnt(0)
	v_cvt_f32_f16_e32 v1, v1
	v_mul_f32_e32 v1, s26, v1
	ds_store_b32 v2, v1
.LBB412_19:
	s_or_b32 exec_lo, exec_lo, s13
	s_cmp_lt_i32 s19, 1
	s_waitcnt lgkmcnt(0)
	s_waitcnt_vscnt null, 0x0
	s_barrier
	buffer_gl0_inv
	s_cbranch_scc1 .LBB412_34
; %bb.20:
	s_load_b32 s0, s[0:1], 0x28
	s_lshl_b64 s[2:3], s[24:25], 1
	s_mul_i32 s17, s5, s15
	s_add_u32 s1, s22, s2
	s_mul_hi_u32 s25, s4, s15
	s_mul_i32 s24, s4, s15
	s_addc_u32 s6, s23, s3
	s_lshl_b64 s[4:5], s[20:21], 1
	v_cmp_neq_f32_e64 s2, s14, 0
	s_add_u32 s3, s1, s4
	s_addc_u32 s4, s6, s5
	s_ashr_i32 s5, s12, 31
	s_waitcnt lgkmcnt(0)
	s_ashr_i32 s1, s0, 31
	s_cmp_gt_i32 s18, 0
	v_mad_i64_i32 v[1:2], null, s0, v0, 0
	s_cselect_b32 s6, -1, 0
	s_and_b32 s7, s18, 7
	s_cmp_gt_u32 s18, 7
	s_cselect_b32 s13, -1, 0
	s_and_b32 s15, s18, 0x7ffffff8
	s_cmp_lg_u32 s7, 0
	s_delay_alu instid0(VALU_DEP_1)
	v_lshlrev_b64 v[1:2], 1, v[1:2]
	s_cselect_b32 s16, -1, 0
	s_add_i32 s25, s25, s17
	s_lshl_b64 s[10:11], s[10:11], 1
	s_lshl_b64 s[20:21], s[24:25], 1
	s_add_u32 s8, s8, s10
	s_addc_u32 s9, s9, s11
	s_add_u32 s8, s8, s20
	s_addc_u32 s9, s9, s21
	v_add_co_u32 v7, vcc_lo, s8, v1
	v_add_co_ci_u32_e32 v8, vcc_lo, s9, v2, vcc_lo
	s_mov_b32 s8, 0
	s_delay_alu instid0(VALU_DEP_2) | instskip(NEXT) | instid1(VALU_DEP_2)
	v_add_co_u32 v1, vcc_lo, v7, 14
	v_add_co_ci_u32_e32 v2, vcc_lo, 0, v8, vcc_lo
	s_lshl_b64 s[0:1], s[0:1], 9
	s_branch .LBB412_23
.LBB412_21:                             ;   in Loop: Header=BB412_23 Depth=1
	s_delay_alu instid0(VALU_DEP_2) | instskip(NEXT) | instid1(VALU_DEP_2)
	v_add_co_u32 v3, vcc_lo, s3, v3
	v_cvt_f16_f32_e32 v5, v9
	v_add_co_ci_u32_e32 v4, vcc_lo, s4, v4, vcc_lo
	global_store_b16 v[3:4], v5, off
.LBB412_22:                             ;   in Loop: Header=BB412_23 Depth=1
	s_or_b32 exec_lo, exec_lo, s9
	v_add_co_u32 v1, vcc_lo, v1, s0
	v_add_co_ci_u32_e32 v2, vcc_lo, s1, v2, vcc_lo
	v_add_co_u32 v7, vcc_lo, v7, s0
	v_add_co_ci_u32_e32 v8, vcc_lo, s1, v8, vcc_lo
	s_addk_i32 s8, 0x100
	s_delay_alu instid0(SALU_CYCLE_1)
	s_cmp_ge_i32 s8, s19
	s_cbranch_scc1 .LBB412_34
.LBB412_23:                             ; =>This Loop Header: Depth=1
                                        ;     Child Loop BB412_29 Depth 2
                                        ;     Child Loop BB412_33 Depth 2
	v_add_nc_u32_e32 v3, s8, v0
	s_mov_b32 s9, exec_lo
	s_delay_alu instid0(VALU_DEP_1)
	v_cmpx_gt_i32_e64 s19, v3
	s_cbranch_execz .LBB412_22
; %bb.24:                               ;   in Loop: Header=BB412_23 Depth=1
	v_mad_u64_u32 v[4:5], null, v3, s12, 0
	s_and_not1_b32 vcc_lo, exec_lo, s2
	s_delay_alu instid0(VALU_DEP_1) | instskip(NEXT) | instid1(VALU_DEP_1)
	v_mad_u64_u32 v[9:10], null, v3, s5, v[5:6]
	v_mov_b32_e32 v5, v9
	s_delay_alu instid0(VALU_DEP_1)
	v_lshlrev_b64 v[3:4], 1, v[4:5]
	s_cbranch_vccnz .LBB412_26
; %bb.25:                               ;   in Loop: Header=BB412_23 Depth=1
	s_delay_alu instid0(VALU_DEP_1) | instskip(NEXT) | instid1(VALU_DEP_2)
	v_add_co_u32 v5, vcc_lo, s3, v3
	v_add_co_ci_u32_e32 v6, vcc_lo, s4, v4, vcc_lo
	global_load_u16 v5, v[5:6], off
	s_waitcnt vmcnt(0)
	v_cvt_f32_f16_e32 v5, v5
	s_delay_alu instid0(VALU_DEP_1)
	v_mul_f32_e32 v9, s14, v5
	s_and_not1_b32 vcc_lo, exec_lo, s6
	s_cbranch_vccz .LBB412_27
	s_branch .LBB412_21
.LBB412_26:                             ;   in Loop: Header=BB412_23 Depth=1
	v_mov_b32_e32 v9, 0
	s_and_not1_b32 vcc_lo, exec_lo, s6
	s_cbranch_vccnz .LBB412_21
.LBB412_27:                             ;   in Loop: Header=BB412_23 Depth=1
	s_and_not1_b32 vcc_lo, exec_lo, s13
	s_cbranch_vccnz .LBB412_31
; %bb.28:                               ;   in Loop: Header=BB412_23 Depth=1
	v_dual_mov_b32 v6, v2 :: v_dual_mov_b32 v5, v1
	s_mov_b32 s10, 0
	s_mov_b32 s11, 0
	.p2align	6
.LBB412_29:                             ;   Parent Loop BB412_23 Depth=1
                                        ; =>  This Inner Loop Header: Depth=2
	global_load_b128 v[10:13], v[5:6], off offset:-14
	v_mov_b32_e32 v18, s10
	v_add_co_u32 v5, vcc_lo, v5, 16
	v_add_co_ci_u32_e32 v6, vcc_lo, 0, v6, vcc_lo
	ds_load_b128 v[14:17], v18
	ds_load_b128 v[18:21], v18 offset:16
	s_add_i32 s11, s11, 8
	s_add_i32 s10, s10, 32
	s_cmp_eq_u32 s15, s11
	s_waitcnt vmcnt(0) lgkmcnt(1)
	v_fma_mix_f32 v9, v14, v10, v9 op_sel_hi:[0,1,0]
	s_delay_alu instid0(VALU_DEP_1) | instskip(NEXT) | instid1(VALU_DEP_1)
	v_fma_mix_f32 v9, v15, v10, v9 op_sel:[0,1,0] op_sel_hi:[0,1,0]
	v_fma_mix_f32 v9, v16, v11, v9 op_sel_hi:[0,1,0]
	s_delay_alu instid0(VALU_DEP_1) | instskip(SKIP_1) | instid1(VALU_DEP_1)
	v_fma_mix_f32 v9, v17, v11, v9 op_sel:[0,1,0] op_sel_hi:[0,1,0]
	s_waitcnt lgkmcnt(0)
	v_fma_mix_f32 v9, v18, v12, v9 op_sel_hi:[0,1,0]
	s_delay_alu instid0(VALU_DEP_1) | instskip(NEXT) | instid1(VALU_DEP_1)
	v_fma_mix_f32 v9, v19, v12, v9 op_sel:[0,1,0] op_sel_hi:[0,1,0]
	v_fma_mix_f32 v9, v20, v13, v9 op_sel_hi:[0,1,0]
	s_delay_alu instid0(VALU_DEP_1)
	v_fma_mix_f32 v9, v21, v13, v9 op_sel:[0,1,0] op_sel_hi:[0,1,0]
	s_cbranch_scc0 .LBB412_29
; %bb.30:                               ;   in Loop: Header=BB412_23 Depth=1
	s_mov_b32 s10, s15
	s_and_not1_b32 vcc_lo, exec_lo, s16
	s_cbranch_vccz .LBB412_32
	s_branch .LBB412_21
.LBB412_31:                             ;   in Loop: Header=BB412_23 Depth=1
	s_mov_b32 s10, 0
	s_and_not1_b32 vcc_lo, exec_lo, s16
	s_cbranch_vccnz .LBB412_21
.LBB412_32:                             ;   in Loop: Header=BB412_23 Depth=1
	s_lshl_b32 s11, s10, 1
	s_lshl_b32 s10, s10, 2
	v_add_co_u32 v5, vcc_lo, v7, s11
	v_add_co_ci_u32_e32 v6, vcc_lo, 0, v8, vcc_lo
	s_mov_b32 s11, s7
.LBB412_33:                             ;   Parent Loop BB412_23 Depth=1
                                        ; =>  This Inner Loop Header: Depth=2
	global_load_u16 v10, v[5:6], off
	v_mov_b32_e32 v11, s10
	v_add_co_u32 v5, vcc_lo, v5, 2
	v_add_co_ci_u32_e32 v6, vcc_lo, 0, v6, vcc_lo
	ds_load_b32 v11, v11
	s_add_i32 s11, s11, -1
	s_add_i32 s10, s10, 4
	s_cmp_lg_u32 s11, 0
	s_waitcnt vmcnt(0) lgkmcnt(0)
	v_fma_mix_f32 v9, v11, v10, v9 op_sel_hi:[0,1,0]
	s_cbranch_scc1 .LBB412_33
	s_branch .LBB412_21
.LBB412_34:
	s_nop 0
	s_sendmsg sendmsg(MSG_DEALLOC_VGPRS)
	s_endpgm
	.section	.rodata,"a",@progbits
	.p2align	6, 0x0
	.amdhsa_kernel _ZL22rocblas_gemvtsm_kernelILb1ELi256EDF16_PKfDF16_EviiT2_lPKT1_lilS5_lilS2_lPT3_lil
		.amdhsa_group_segment_fixed_size 256
		.amdhsa_private_segment_fixed_size 0
		.amdhsa_kernarg_size 136
		.amdhsa_user_sgpr_count 15
		.amdhsa_user_sgpr_dispatch_ptr 0
		.amdhsa_user_sgpr_queue_ptr 0
		.amdhsa_user_sgpr_kernarg_segment_ptr 1
		.amdhsa_user_sgpr_dispatch_id 0
		.amdhsa_user_sgpr_private_segment_size 0
		.amdhsa_wavefront_size32 1
		.amdhsa_uses_dynamic_stack 0
		.amdhsa_enable_private_segment 0
		.amdhsa_system_sgpr_workgroup_id_x 1
		.amdhsa_system_sgpr_workgroup_id_y 0
		.amdhsa_system_sgpr_workgroup_id_z 0
		.amdhsa_system_sgpr_workgroup_info 0
		.amdhsa_system_vgpr_workitem_id 0
		.amdhsa_next_free_vgpr 22
		.amdhsa_next_free_sgpr 29
		.amdhsa_reserve_vcc 1
		.amdhsa_float_round_mode_32 0
		.amdhsa_float_round_mode_16_64 0
		.amdhsa_float_denorm_mode_32 3
		.amdhsa_float_denorm_mode_16_64 3
		.amdhsa_dx10_clamp 1
		.amdhsa_ieee_mode 1
		.amdhsa_fp16_overflow 0
		.amdhsa_workgroup_processor_mode 1
		.amdhsa_memory_ordered 1
		.amdhsa_forward_progress 0
		.amdhsa_shared_vgpr_count 0
		.amdhsa_exception_fp_ieee_invalid_op 0
		.amdhsa_exception_fp_denorm_src 0
		.amdhsa_exception_fp_ieee_div_zero 0
		.amdhsa_exception_fp_ieee_overflow 0
		.amdhsa_exception_fp_ieee_underflow 0
		.amdhsa_exception_fp_ieee_inexact 0
		.amdhsa_exception_int_div_zero 0
	.end_amdhsa_kernel
	.section	.text._ZL22rocblas_gemvtsm_kernelILb1ELi256EDF16_PKfDF16_EviiT2_lPKT1_lilS5_lilS2_lPT3_lil,"axG",@progbits,_ZL22rocblas_gemvtsm_kernelILb1ELi256EDF16_PKfDF16_EviiT2_lPKT1_lilS5_lilS2_lPT3_lil,comdat
.Lfunc_end412:
	.size	_ZL22rocblas_gemvtsm_kernelILb1ELi256EDF16_PKfDF16_EviiT2_lPKT1_lilS5_lilS2_lPT3_lil, .Lfunc_end412-_ZL22rocblas_gemvtsm_kernelILb1ELi256EDF16_PKfDF16_EviiT2_lPKT1_lilS5_lilS2_lPT3_lil
                                        ; -- End function
	.section	.AMDGPU.csdata,"",@progbits
; Kernel info:
; codeLenInByte = 1488
; NumSgprs: 31
; NumVgprs: 22
; ScratchSize: 0
; MemoryBound: 0
; FloatMode: 240
; IeeeMode: 1
; LDSByteSize: 256 bytes/workgroup (compile time only)
; SGPRBlocks: 3
; VGPRBlocks: 2
; NumSGPRsForWavesPerEU: 31
; NumVGPRsForWavesPerEU: 22
; Occupancy: 16
; WaveLimiterHint : 1
; COMPUTE_PGM_RSRC2:SCRATCH_EN: 0
; COMPUTE_PGM_RSRC2:USER_SGPR: 15
; COMPUTE_PGM_RSRC2:TRAP_HANDLER: 0
; COMPUTE_PGM_RSRC2:TGID_X_EN: 1
; COMPUTE_PGM_RSRC2:TGID_Y_EN: 0
; COMPUTE_PGM_RSRC2:TGID_Z_EN: 0
; COMPUTE_PGM_RSRC2:TIDIG_COMP_CNT: 0
	.section	.text._ZL22rocblas_gemvtsm_kernelILb1ELi256EDF16_fDF16_EviiT2_lPKT1_lilS3_lilS0_lPT3_lil,"axG",@progbits,_ZL22rocblas_gemvtsm_kernelILb1ELi256EDF16_fDF16_EviiT2_lPKT1_lilS3_lilS0_lPT3_lil,comdat
	.globl	_ZL22rocblas_gemvtsm_kernelILb1ELi256EDF16_fDF16_EviiT2_lPKT1_lilS3_lilS0_lPT3_lil ; -- Begin function _ZL22rocblas_gemvtsm_kernelILb1ELi256EDF16_fDF16_EviiT2_lPKT1_lilS3_lilS0_lPT3_lil
	.p2align	8
	.type	_ZL22rocblas_gemvtsm_kernelILb1ELi256EDF16_fDF16_EviiT2_lPKT1_lilS3_lilS0_lPT3_lil,@function
_ZL22rocblas_gemvtsm_kernelILb1ELi256EDF16_fDF16_EviiT2_lPKT1_lilS3_lilS0_lPT3_lil: ; @_ZL22rocblas_gemvtsm_kernelILb1ELi256EDF16_fDF16_EviiT2_lPKT1_lilS3_lilS0_lPT3_lil
; %bb.0:
	s_load_b128 s[4:7], s[0:1], 0x0
	s_waitcnt lgkmcnt(0)
	s_load_b32 s7, s[0:1], 0x58
	v_cmp_eq_f32_e64 s2, s6, 0
	s_waitcnt lgkmcnt(0)
	v_cmp_eq_f32_e64 s3, s7, 1.0
	s_delay_alu instid0(VALU_DEP_1) | instskip(NEXT) | instid1(SALU_CYCLE_1)
	s_and_b32 s2, s2, s3
	s_and_b32 vcc_lo, exec_lo, s2
	s_cbranch_vccnz .LBB413_34
; %bb.1:
	s_clause 0x2
	s_load_b64 s[2:3], s[0:1], 0x80
	s_load_b128 s[8:11], s[0:1], 0x68
	s_load_b32 s12, s[0:1], 0x78
	v_cmp_neq_f32_e64 s13, s6, 0
	s_delay_alu instid0(VALU_DEP_1)
	s_and_b32 vcc_lo, exec_lo, s13
	s_waitcnt lgkmcnt(0)
	s_mul_i32 s3, s15, s3
	s_mul_hi_u32 s13, s15, s2
	s_mul_i32 s20, s15, s2
	s_add_i32 s21, s13, s3
	s_cbranch_vccnz .LBB413_9
; %bb.2:
	s_cmp_gt_i32 s5, 0
	v_cmp_neq_f32_e64 s2, s7, 0
	s_cselect_b32 s14, -1, 0
	s_delay_alu instid0(SALU_CYCLE_1) | instskip(NEXT) | instid1(VALU_DEP_2)
	v_cndmask_b32_e64 v1, 0, 1, s14
	s_and_b32 vcc_lo, exec_lo, s2
	s_delay_alu instid0(VALU_DEP_1)
	v_cmp_ne_u32_e64 s2, 1, v1
	s_cbranch_vccnz .LBB413_10
; %bb.3:
	s_delay_alu instid0(VALU_DEP_1)
	s_and_b32 vcc_lo, exec_lo, s2
	s_cbranch_vccnz .LBB413_8
; %bb.4:
	v_mad_i64_i32 v[1:2], null, s12, v0, 0
	s_lshl_b64 s[16:17], s[10:11], 1
	s_ashr_i32 s13, s12, 31
	s_lshl_b64 s[2:3], s[20:21], 1
	s_add_u32 s16, s8, s16
	s_addc_u32 s17, s9, s17
	s_add_u32 s2, s16, s2
	s_delay_alu instid0(VALU_DEP_1) | instskip(SKIP_2) | instid1(VALU_DEP_2)
	v_lshlrev_b64 v[1:2], 1, v[1:2]
	s_addc_u32 s3, s17, s3
	v_mov_b32_e32 v3, 0
	v_add_co_u32 v1, vcc_lo, s2, v1
	s_delay_alu instid0(VALU_DEP_3)
	v_add_co_ci_u32_e32 v2, vcc_lo, s3, v2, vcc_lo
	s_lshl_b64 s[2:3], s[12:13], 9
	s_mov_b32 s13, 0
	s_branch .LBB413_6
.LBB413_5:                              ;   in Loop: Header=BB413_6 Depth=1
	s_or_b32 exec_lo, exec_lo, s16
	v_add_co_u32 v1, vcc_lo, v1, s2
	v_add_co_ci_u32_e32 v2, vcc_lo, s3, v2, vcc_lo
	s_addk_i32 s13, 0x100
	s_delay_alu instid0(SALU_CYCLE_1)
	s_cmp_ge_i32 s13, s5
	s_cbranch_scc1 .LBB413_8
.LBB413_6:                              ; =>This Inner Loop Header: Depth=1
	v_add_nc_u32_e32 v4, s13, v0
	s_mov_b32 s16, exec_lo
	s_delay_alu instid0(VALU_DEP_1)
	v_cmpx_gt_i32_e64 s5, v4
	s_cbranch_execz .LBB413_5
; %bb.7:                                ;   in Loop: Header=BB413_6 Depth=1
	global_store_b16 v[1:2], v3, off
	s_branch .LBB413_5
.LBB413_8:
	s_cbranch_execz .LBB413_11
	s_branch .LBB413_16
.LBB413_9:
	s_branch .LBB413_17
.LBB413_10:
.LBB413_11:
	s_and_not1_b32 vcc_lo, exec_lo, s14
	s_cbranch_vccnz .LBB413_16
; %bb.12:
	v_mad_i64_i32 v[1:2], null, s12, v0, 0
	s_lshl_b64 s[16:17], s[10:11], 1
	s_ashr_i32 s13, s12, 31
	s_lshl_b64 s[2:3], s[20:21], 1
	s_add_u32 s14, s8, s16
	s_addc_u32 s16, s9, s17
	s_add_u32 s2, s14, s2
	s_delay_alu instid0(VALU_DEP_1) | instskip(SKIP_1) | instid1(VALU_DEP_1)
	v_lshlrev_b64 v[1:2], 1, v[1:2]
	s_addc_u32 s3, s16, s3
	v_add_co_u32 v1, vcc_lo, s2, v1
	s_delay_alu instid0(VALU_DEP_2)
	v_add_co_ci_u32_e32 v2, vcc_lo, s3, v2, vcc_lo
	s_lshl_b64 s[2:3], s[12:13], 9
	s_mov_b32 s13, 0
	s_branch .LBB413_14
	.p2align	6
.LBB413_13:                             ;   in Loop: Header=BB413_14 Depth=1
	s_or_b32 exec_lo, exec_lo, s14
	v_add_co_u32 v1, vcc_lo, v1, s2
	v_add_co_ci_u32_e32 v2, vcc_lo, s3, v2, vcc_lo
	s_addk_i32 s13, 0x100
	s_delay_alu instid0(SALU_CYCLE_1)
	s_cmp_ge_i32 s13, s5
	s_cbranch_scc1 .LBB413_16
.LBB413_14:                             ; =>This Inner Loop Header: Depth=1
	v_add_nc_u32_e32 v3, s13, v0
	s_mov_b32 s14, exec_lo
	s_delay_alu instid0(VALU_DEP_1)
	v_cmpx_gt_i32_e64 s5, v3
	s_cbranch_execz .LBB413_13
; %bb.15:                               ;   in Loop: Header=BB413_14 Depth=1
	global_load_u16 v3, v[1:2], off
	s_waitcnt vmcnt(0)
	v_fma_mixlo_f16 v3, v3, s7, 0 op_sel_hi:[1,0,0]
	global_store_b16 v[1:2], v3, off
	s_branch .LBB413_13
.LBB413_16:
	s_cbranch_execnz .LBB413_34
.LBB413_17:
	s_clause 0x1
	s_load_b128 s[16:19], s[0:1], 0x30
	s_load_b64 s[2:3], s[0:1], 0x40
	s_mov_b32 s13, exec_lo
	v_cmpx_gt_i32_e64 s4, v0
	s_cbranch_execz .LBB413_19
; %bb.18:
	s_clause 0x1
	s_load_b64 s[22:23], s[0:1], 0x50
	s_load_b32 s14, s[0:1], 0x48
	s_waitcnt lgkmcnt(0)
	s_mul_i32 s23, s15, s23
	v_mad_i64_i32 v[1:2], null, s14, v0, 0
	s_mul_hi_u32 s24, s15, s22
	s_mul_i32 s22, s15, s22
	s_add_i32 s23, s24, s23
	s_delay_alu instid0(SALU_CYCLE_1) | instskip(NEXT) | instid1(SALU_CYCLE_1)
	s_lshl_b64 s[22:23], s[22:23], 1
	s_add_u32 s14, s18, s22
	s_delay_alu instid0(VALU_DEP_1) | instskip(SKIP_2) | instid1(SALU_CYCLE_1)
	v_lshlrev_b64 v[1:2], 1, v[1:2]
	s_addc_u32 s18, s19, s23
	s_lshl_b64 s[2:3], s[2:3], 1
	s_add_u32 s2, s14, s2
	s_addc_u32 s3, s18, s3
	s_delay_alu instid0(VALU_DEP_1)
	v_add_co_u32 v1, vcc_lo, s2, v1
	v_add_co_ci_u32_e32 v2, vcc_lo, s3, v2, vcc_lo
	global_load_u16 v1, v[1:2], off
	v_lshlrev_b32_e32 v2, 2, v0
	s_waitcnt vmcnt(0)
	v_cvt_f32_f16_e32 v1, v1
	s_delay_alu instid0(VALU_DEP_1)
	v_mul_f32_e32 v1, s6, v1
	ds_store_b32 v2, v1
.LBB413_19:
	s_or_b32 exec_lo, exec_lo, s13
	s_cmp_lt_i32 s5, 1
	s_waitcnt lgkmcnt(0)
	s_waitcnt_vscnt null, 0x0
	s_barrier
	buffer_gl0_inv
	s_cbranch_scc1 .LBB413_34
; %bb.20:
	s_clause 0x1
	s_load_b32 s18, s[0:1], 0x28
	s_load_b128 s[0:3], s[0:1], 0x18
	s_lshl_b64 s[20:21], s[20:21], 1
	s_mul_i32 s17, s17, s15
	s_add_u32 s13, s8, s20
	s_addc_u32 s14, s9, s21
	s_lshl_b64 s[8:9], s[10:11], 1
	s_mul_hi_u32 s22, s16, s15
	s_add_u32 s8, s13, s8
	s_addc_u32 s9, s14, s9
	s_ashr_i32 s10, s12, 31
	s_mul_i32 s16, s16, s15
	v_cmp_neq_f32_e64 s6, s7, 0
	s_waitcnt lgkmcnt(0)
	s_ashr_i32 s19, s18, 31
	s_cmp_gt_i32 s4, 0
	v_mad_i64_i32 v[1:2], null, s18, v0, 0
	s_cselect_b32 s11, -1, 0
	s_and_b32 s13, s4, 7
	s_cmp_gt_u32 s4, 7
	s_cselect_b32 s14, -1, 0
	s_and_b32 s4, s4, 0x7ffffff8
	s_cmp_lg_u32 s13, 0
	s_delay_alu instid0(VALU_DEP_1)
	v_lshlrev_b64 v[1:2], 1, v[1:2]
	s_cselect_b32 s15, -1, 0
	s_add_i32 s17, s22, s17
	s_lshl_b64 s[2:3], s[2:3], 1
	s_lshl_b64 s[16:17], s[16:17], 1
	s_add_u32 s0, s0, s2
	s_addc_u32 s1, s1, s3
	s_add_u32 s0, s0, s16
	s_addc_u32 s1, s1, s17
	v_add_co_u32 v7, vcc_lo, s0, v1
	v_add_co_ci_u32_e32 v8, vcc_lo, s1, v2, vcc_lo
	s_mov_b32 s2, 0
	s_delay_alu instid0(VALU_DEP_2) | instskip(NEXT) | instid1(VALU_DEP_2)
	v_add_co_u32 v1, vcc_lo, v7, 14
	v_add_co_ci_u32_e32 v2, vcc_lo, 0, v8, vcc_lo
	s_lshl_b64 s[0:1], s[18:19], 9
	s_branch .LBB413_23
.LBB413_21:                             ;   in Loop: Header=BB413_23 Depth=1
	s_delay_alu instid0(VALU_DEP_2) | instskip(NEXT) | instid1(VALU_DEP_2)
	v_add_co_u32 v3, vcc_lo, s8, v3
	v_cvt_f16_f32_e32 v5, v9
	v_add_co_ci_u32_e32 v4, vcc_lo, s9, v4, vcc_lo
	global_store_b16 v[3:4], v5, off
.LBB413_22:                             ;   in Loop: Header=BB413_23 Depth=1
	s_or_b32 exec_lo, exec_lo, s3
	v_add_co_u32 v1, vcc_lo, v1, s0
	v_add_co_ci_u32_e32 v2, vcc_lo, s1, v2, vcc_lo
	v_add_co_u32 v7, vcc_lo, v7, s0
	v_add_co_ci_u32_e32 v8, vcc_lo, s1, v8, vcc_lo
	s_addk_i32 s2, 0x100
	s_delay_alu instid0(SALU_CYCLE_1)
	s_cmp_ge_i32 s2, s5
	s_cbranch_scc1 .LBB413_34
.LBB413_23:                             ; =>This Loop Header: Depth=1
                                        ;     Child Loop BB413_29 Depth 2
                                        ;     Child Loop BB413_33 Depth 2
	v_add_nc_u32_e32 v3, s2, v0
	s_mov_b32 s3, exec_lo
	s_delay_alu instid0(VALU_DEP_1)
	v_cmpx_gt_i32_e64 s5, v3
	s_cbranch_execz .LBB413_22
; %bb.24:                               ;   in Loop: Header=BB413_23 Depth=1
	v_mad_u64_u32 v[4:5], null, v3, s12, 0
	s_and_not1_b32 vcc_lo, exec_lo, s6
	s_delay_alu instid0(VALU_DEP_1) | instskip(NEXT) | instid1(VALU_DEP_1)
	v_mad_u64_u32 v[9:10], null, v3, s10, v[5:6]
	v_mov_b32_e32 v5, v9
	s_delay_alu instid0(VALU_DEP_1)
	v_lshlrev_b64 v[3:4], 1, v[4:5]
	s_cbranch_vccnz .LBB413_26
; %bb.25:                               ;   in Loop: Header=BB413_23 Depth=1
	s_delay_alu instid0(VALU_DEP_1) | instskip(NEXT) | instid1(VALU_DEP_2)
	v_add_co_u32 v5, vcc_lo, s8, v3
	v_add_co_ci_u32_e32 v6, vcc_lo, s9, v4, vcc_lo
	global_load_u16 v5, v[5:6], off
	s_waitcnt vmcnt(0)
	v_cvt_f32_f16_e32 v5, v5
	s_delay_alu instid0(VALU_DEP_1)
	v_mul_f32_e32 v9, s7, v5
	s_and_not1_b32 vcc_lo, exec_lo, s11
	s_cbranch_vccz .LBB413_27
	s_branch .LBB413_21
.LBB413_26:                             ;   in Loop: Header=BB413_23 Depth=1
	v_mov_b32_e32 v9, 0
	s_and_not1_b32 vcc_lo, exec_lo, s11
	s_cbranch_vccnz .LBB413_21
.LBB413_27:                             ;   in Loop: Header=BB413_23 Depth=1
	s_and_not1_b32 vcc_lo, exec_lo, s14
	s_cbranch_vccnz .LBB413_31
; %bb.28:                               ;   in Loop: Header=BB413_23 Depth=1
	v_dual_mov_b32 v6, v2 :: v_dual_mov_b32 v5, v1
	s_mov_b32 s16, 0
	s_mov_b32 s17, 0
	.p2align	6
.LBB413_29:                             ;   Parent Loop BB413_23 Depth=1
                                        ; =>  This Inner Loop Header: Depth=2
	global_load_b128 v[10:13], v[5:6], off offset:-14
	v_mov_b32_e32 v18, s16
	v_add_co_u32 v5, vcc_lo, v5, 16
	v_add_co_ci_u32_e32 v6, vcc_lo, 0, v6, vcc_lo
	ds_load_b128 v[14:17], v18
	ds_load_b128 v[18:21], v18 offset:16
	s_add_i32 s17, s17, 8
	s_add_i32 s16, s16, 32
	s_cmp_eq_u32 s4, s17
	s_waitcnt vmcnt(0) lgkmcnt(1)
	v_fma_mix_f32 v9, v14, v10, v9 op_sel_hi:[0,1,0]
	s_delay_alu instid0(VALU_DEP_1) | instskip(NEXT) | instid1(VALU_DEP_1)
	v_fma_mix_f32 v9, v15, v10, v9 op_sel:[0,1,0] op_sel_hi:[0,1,0]
	v_fma_mix_f32 v9, v16, v11, v9 op_sel_hi:[0,1,0]
	s_delay_alu instid0(VALU_DEP_1) | instskip(SKIP_1) | instid1(VALU_DEP_1)
	v_fma_mix_f32 v9, v17, v11, v9 op_sel:[0,1,0] op_sel_hi:[0,1,0]
	s_waitcnt lgkmcnt(0)
	v_fma_mix_f32 v9, v18, v12, v9 op_sel_hi:[0,1,0]
	s_delay_alu instid0(VALU_DEP_1) | instskip(NEXT) | instid1(VALU_DEP_1)
	v_fma_mix_f32 v9, v19, v12, v9 op_sel:[0,1,0] op_sel_hi:[0,1,0]
	v_fma_mix_f32 v9, v20, v13, v9 op_sel_hi:[0,1,0]
	s_delay_alu instid0(VALU_DEP_1)
	v_fma_mix_f32 v9, v21, v13, v9 op_sel:[0,1,0] op_sel_hi:[0,1,0]
	s_cbranch_scc0 .LBB413_29
; %bb.30:                               ;   in Loop: Header=BB413_23 Depth=1
	s_mov_b32 s16, s4
	s_and_not1_b32 vcc_lo, exec_lo, s15
	s_cbranch_vccz .LBB413_32
	s_branch .LBB413_21
.LBB413_31:                             ;   in Loop: Header=BB413_23 Depth=1
	s_mov_b32 s16, 0
	s_and_not1_b32 vcc_lo, exec_lo, s15
	s_cbranch_vccnz .LBB413_21
.LBB413_32:                             ;   in Loop: Header=BB413_23 Depth=1
	s_lshl_b32 s17, s16, 1
	s_lshl_b32 s16, s16, 2
	v_add_co_u32 v5, vcc_lo, v7, s17
	v_add_co_ci_u32_e32 v6, vcc_lo, 0, v8, vcc_lo
	s_mov_b32 s17, s13
.LBB413_33:                             ;   Parent Loop BB413_23 Depth=1
                                        ; =>  This Inner Loop Header: Depth=2
	global_load_u16 v10, v[5:6], off
	v_mov_b32_e32 v11, s16
	v_add_co_u32 v5, vcc_lo, v5, 2
	v_add_co_ci_u32_e32 v6, vcc_lo, 0, v6, vcc_lo
	ds_load_b32 v11, v11
	s_add_i32 s17, s17, -1
	s_add_i32 s16, s16, 4
	s_cmp_lg_u32 s17, 0
	s_waitcnt vmcnt(0) lgkmcnt(0)
	v_fma_mix_f32 v9, v11, v10, v9 op_sel_hi:[0,1,0]
	s_cbranch_scc1 .LBB413_33
	s_branch .LBB413_21
.LBB413_34:
	s_nop 0
	s_sendmsg sendmsg(MSG_DEALLOC_VGPRS)
	s_endpgm
	.section	.rodata,"a",@progbits
	.p2align	6, 0x0
	.amdhsa_kernel _ZL22rocblas_gemvtsm_kernelILb1ELi256EDF16_fDF16_EviiT2_lPKT1_lilS3_lilS0_lPT3_lil
		.amdhsa_group_segment_fixed_size 256
		.amdhsa_private_segment_fixed_size 0
		.amdhsa_kernarg_size 136
		.amdhsa_user_sgpr_count 15
		.amdhsa_user_sgpr_dispatch_ptr 0
		.amdhsa_user_sgpr_queue_ptr 0
		.amdhsa_user_sgpr_kernarg_segment_ptr 1
		.amdhsa_user_sgpr_dispatch_id 0
		.amdhsa_user_sgpr_private_segment_size 0
		.amdhsa_wavefront_size32 1
		.amdhsa_uses_dynamic_stack 0
		.amdhsa_enable_private_segment 0
		.amdhsa_system_sgpr_workgroup_id_x 1
		.amdhsa_system_sgpr_workgroup_id_y 0
		.amdhsa_system_sgpr_workgroup_id_z 0
		.amdhsa_system_sgpr_workgroup_info 0
		.amdhsa_system_vgpr_workitem_id 0
		.amdhsa_next_free_vgpr 22
		.amdhsa_next_free_sgpr 25
		.amdhsa_reserve_vcc 1
		.amdhsa_float_round_mode_32 0
		.amdhsa_float_round_mode_16_64 0
		.amdhsa_float_denorm_mode_32 3
		.amdhsa_float_denorm_mode_16_64 3
		.amdhsa_dx10_clamp 1
		.amdhsa_ieee_mode 1
		.amdhsa_fp16_overflow 0
		.amdhsa_workgroup_processor_mode 1
		.amdhsa_memory_ordered 1
		.amdhsa_forward_progress 0
		.amdhsa_shared_vgpr_count 0
		.amdhsa_exception_fp_ieee_invalid_op 0
		.amdhsa_exception_fp_denorm_src 0
		.amdhsa_exception_fp_ieee_div_zero 0
		.amdhsa_exception_fp_ieee_overflow 0
		.amdhsa_exception_fp_ieee_underflow 0
		.amdhsa_exception_fp_ieee_inexact 0
		.amdhsa_exception_int_div_zero 0
	.end_amdhsa_kernel
	.section	.text._ZL22rocblas_gemvtsm_kernelILb1ELi256EDF16_fDF16_EviiT2_lPKT1_lilS3_lilS0_lPT3_lil,"axG",@progbits,_ZL22rocblas_gemvtsm_kernelILb1ELi256EDF16_fDF16_EviiT2_lPKT1_lilS3_lilS0_lPT3_lil,comdat
.Lfunc_end413:
	.size	_ZL22rocblas_gemvtsm_kernelILb1ELi256EDF16_fDF16_EviiT2_lPKT1_lilS3_lilS0_lPT3_lil, .Lfunc_end413-_ZL22rocblas_gemvtsm_kernelILb1ELi256EDF16_fDF16_EviiT2_lPKT1_lilS3_lilS0_lPT3_lil
                                        ; -- End function
	.section	.AMDGPU.csdata,"",@progbits
; Kernel info:
; codeLenInByte = 1428
; NumSgprs: 27
; NumVgprs: 22
; ScratchSize: 0
; MemoryBound: 0
; FloatMode: 240
; IeeeMode: 1
; LDSByteSize: 256 bytes/workgroup (compile time only)
; SGPRBlocks: 3
; VGPRBlocks: 2
; NumSGPRsForWavesPerEU: 27
; NumVGPRsForWavesPerEU: 22
; Occupancy: 16
; WaveLimiterHint : 1
; COMPUTE_PGM_RSRC2:SCRATCH_EN: 0
; COMPUTE_PGM_RSRC2:USER_SGPR: 15
; COMPUTE_PGM_RSRC2:TRAP_HANDLER: 0
; COMPUTE_PGM_RSRC2:TGID_X_EN: 1
; COMPUTE_PGM_RSRC2:TGID_Y_EN: 0
; COMPUTE_PGM_RSRC2:TGID_Z_EN: 0
; COMPUTE_PGM_RSRC2:TIDIG_COMP_CNT: 0
	.section	.text._ZL23rocblas_gemvt_sn_kernelILb1ELi256ELi4EiDF16_PKffEviiT4_lPKT3_lilS5_lilPT5_i,"axG",@progbits,_ZL23rocblas_gemvt_sn_kernelILb1ELi256ELi4EiDF16_PKffEviiT4_lPKT3_lilS5_lilPT5_i,comdat
	.globl	_ZL23rocblas_gemvt_sn_kernelILb1ELi256ELi4EiDF16_PKffEviiT4_lPKT3_lilS5_lilPT5_i ; -- Begin function _ZL23rocblas_gemvt_sn_kernelILb1ELi256ELi4EiDF16_PKffEviiT4_lPKT3_lilS5_lilPT5_i
	.p2align	8
	.type	_ZL23rocblas_gemvt_sn_kernelILb1ELi256ELi4EiDF16_PKffEviiT4_lPKT3_lilS5_lilPT5_i,@function
_ZL23rocblas_gemvt_sn_kernelILb1ELi256ELi4EiDF16_PKffEviiT4_lPKT3_lilS5_lilPT5_i: ; @_ZL23rocblas_gemvt_sn_kernelILb1ELi256ELi4EiDF16_PKffEviiT4_lPKT3_lilS5_lilPT5_i
; %bb.0:
	s_clause 0x2
	s_load_b256 s[4:11], s[0:1], 0x8
	s_load_b64 s[12:13], s[0:1], 0x0
	s_load_b32 s16, s[0:1], 0x68
	s_waitcnt lgkmcnt(0)
	s_mul_i32 s3, s15, s7
	s_mul_hi_u32 s7, s15, s6
	s_mul_i32 s2, s15, s6
	s_add_i32 s3, s7, s3
	s_mul_i32 s17, s13, s15
	s_lshl_b64 s[2:3], s[2:3], 2
	s_delay_alu instid0(SALU_CYCLE_1)
	s_add_u32 s2, s4, s2
	s_addc_u32 s3, s5, s3
	s_load_b32 s33, s[2:3], 0x0
	s_load_b128 s[4:7], s[0:1], 0x50
	s_ashr_i32 s19, s13, 31
	s_mul_hi_u32 s2, s13, s15
	s_mul_i32 s3, s19, s15
	s_delay_alu instid0(SALU_CYCLE_1) | instskip(SKIP_4) | instid1(SALU_CYCLE_1)
	s_add_i32 s2, s2, s3
	s_mul_hi_u32 s3, s17, s16
	s_mul_i32 s18, s2, s16
	s_mul_i32 s2, s17, s16
	s_add_i32 s3, s3, s18
	s_lshl_b64 s[2:3], s[2:3], 2
	s_waitcnt lgkmcnt(0)
	v_cmp_neq_f32_e64 s17, s33, 0
	s_add_u32 s38, s6, s2
	v_cmp_eq_u32_e64 s2, 0, v0
	s_addc_u32 s37, s7, s3
	s_delay_alu instid0(VALU_DEP_2)
	s_and_b32 vcc_lo, exec_lo, s17
	s_mov_b32 s17, 0
	s_cbranch_vccnz .LBB414_5
; %bb.1:
	s_cmp_gt_i32 s13, 0
	s_cselect_b32 s3, -1, 0
	s_delay_alu instid0(SALU_CYCLE_1) | instskip(NEXT) | instid1(SALU_CYCLE_1)
	s_and_b32 s2, s2, s3
	s_and_saveexec_b32 s18, s2
	s_cbranch_execz .LBB414_4
; %bb.2:
	s_mov_b32 s2, s15
	s_mov_b32 s15, 0
	v_mov_b32_e32 v1, 0
	s_lshl_b64 s[6:7], s[14:15], 2
	s_mov_b32 s15, s2
	s_add_u32 s2, s38, s6
	s_addc_u32 s3, s37, s7
	s_lshl_b64 s[6:7], s[16:17], 2
	s_mov_b32 s17, s13
.LBB414_3:                              ; =>This Inner Loop Header: Depth=1
	s_delay_alu instid0(SALU_CYCLE_1)
	s_add_i32 s17, s17, -1
	global_store_b32 v1, v1, s[2:3]
	s_add_u32 s2, s2, s6
	s_addc_u32 s3, s3, s7
	s_cmp_eq_u32 s17, 0
	s_cbranch_scc0 .LBB414_3
.LBB414_4:
	s_or_b32 exec_lo, exec_lo, s18
	s_cbranch_execz .LBB414_6
	s_branch .LBB414_79
.LBB414_5:
.LBB414_6:
	s_clause 0x1
	s_load_b128 s[20:23], s[0:1], 0x30
	s_load_b64 s[2:3], s[0:1], 0x40
	s_mul_i32 s5, s15, s5
	s_mul_hi_u32 s6, s15, s4
	s_mul_i32 s4, s15, s4
	s_add_i32 s5, s6, s5
	s_load_b32 s17, s[0:1], 0x48
	s_lshl_b64 s[4:5], s[4:5], 1
	v_and_b32_e32 v6, 31, v0
	v_mbcnt_lo_u32_b32 v22, -1, 0
	v_lshrrev_b32_e32 v23, 3, v0
	s_waitcnt lgkmcnt(0)
	s_add_u32 s6, s22, s4
	s_addc_u32 s5, s23, s5
	s_lshl_b64 s[2:3], s[2:3], 1
	s_mul_i32 s7, s15, s21
	s_mul_hi_u32 s18, s15, s20
	s_add_u32 s34, s6, s2
	s_mul_i32 s4, s15, s20
	s_addc_u32 s35, s5, s3
	s_add_i32 s5, s18, s7
	s_load_b32 s18, s[0:1], 0x28
	s_lshl_b64 s[20:21], s[4:5], 1
	v_cmp_gt_u32_e64 s0, 32, v0
	s_add_u32 s1, s8, s20
	s_addc_u32 s2, s9, s21
	s_lshl_b64 s[10:11], s[10:11], 1
	s_delay_alu instid0(SALU_CYCLE_1)
	s_add_u32 s3, s1, s10
	s_addc_u32 s2, s2, s11
	s_lshl_b32 s1, s14, 10
	s_ashr_i32 s4, s12, 31
	v_lshl_or_b32 v1, v0, 2, s1
	s_lshr_b32 s4, s4, 30
	s_lshr_b32 s5, s19, 30
	s_add_i32 s4, s12, s4
	s_add_i32 s5, s13, s5
	v_ashrrev_i32_e32 v2, 31, v1
	s_and_b32 s4, s4, -4
	v_mul_lo_u32 v5, v1, s17
	s_sub_i32 s36, s12, s4
	v_cmp_gt_u32_e64 s1, 8, v0
	v_lshlrev_b64 v[7:8], 1, v[1:2]
	v_add_nc_u32_e32 v24, 4, v1
	v_add_nc_u32_e32 v25, s36, v1
	s_and_b32 s15, s5, -4
	s_delay_alu instid0(SALU_CYCLE_1) | instskip(NEXT) | instid1(VALU_DEP_3)
	s_cmp_lt_i32 s15, 1
	v_add_co_u32 v20, vcc_lo, s3, v7
	v_add_co_ci_u32_e32 v21, vcc_lo, s2, v8, vcc_lo
	s_cbranch_scc1 .LBB414_54
; %bb.7:
	v_cmp_gt_u32_e32 vcc_lo, 16, v22
	v_mul_lo_u32 v9, v1, s17
	s_cmp_gt_i32 s36, 0
	s_mov_b32 s23, 0
	s_cselect_b32 s39, -1, 0
	v_cndmask_b32_e64 v2, 0, 1, vcc_lo
	v_cmp_gt_u32_e32 vcc_lo, 24, v22
	s_waitcnt lgkmcnt(0)
	s_lshl_b32 s40, s18, 2
	s_lshl_b32 s22, s18, 1
	s_add_u32 s6, s20, s10
	v_dual_mov_b32 v35, 0 :: v_dual_lshlrev_b32 v2, 4, v2
	v_cndmask_b32_e64 v3, 0, 1, vcc_lo
	v_cmp_gt_u32_e32 vcc_lo, 28, v22
	s_addc_u32 s7, s21, s11
	s_delay_alu instid0(VALU_DEP_3)
	v_add_lshl_u32 v26, v2, v22, 2
	s_add_u32 s6, s8, s6
	v_lshlrev_b32_e32 v2, 3, v3
	v_cndmask_b32_e64 v4, 0, 1, vcc_lo
	v_cmp_gt_u32_e32 vcc_lo, 30, v22
	s_addc_u32 s7, s9, s7
	v_cmp_ge_i32_e64 s2, s12, v24
	v_add_lshl_u32 v27, v2, v22, 2
	v_lshlrev_b32_e32 v3, 2, v4
	v_cndmask_b32_e64 v10, 0, 1, vcc_lo
	v_cmp_ne_u32_e32 vcc_lo, 31, v22
	v_cmp_ge_i32_e64 s3, s12, v25
	v_cmp_eq_u32_e64 s4, 0, v6
	v_add_lshl_u32 v28, v3, v22, 2
	v_lshlrev_b32_e32 v1, 1, v10
	v_ashrrev_i32_e32 v10, 31, v9
	v_add_co_ci_u32_e32 v4, vcc_lo, 0, v22, vcc_lo
	v_lshlrev_b32_e32 v31, 2, v6
	s_delay_alu instid0(VALU_DEP_4)
	v_add_lshl_u32 v29, v1, v22, 2
	v_add_nc_u32_e32 v1, s17, v9
	v_lshlrev_b64 v[10:11], 1, v[9:10]
	v_lshlrev_b32_e32 v30, 2, v4
	v_and_b32_e32 v32, 28, v23
	v_cmp_eq_u32_e64 s5, 0, v0
	v_add_nc_u32_e32 v3, s17, v1
	v_ashrrev_i32_e32 v2, 31, v1
	v_add_co_u32 v10, vcc_lo, s34, v10
	v_add_co_ci_u32_e32 v11, vcc_lo, s35, v11, vcc_lo
	s_delay_alu instid0(VALU_DEP_4) | instskip(NEXT) | instid1(VALU_DEP_4)
	v_add_nc_u32_e32 v14, s17, v3
	v_lshlrev_b64 v[1:2], 1, v[1:2]
	v_ashrrev_i32_e32 v4, 31, v3
	s_mov_b32 s19, s23
	s_mul_i32 s41, s18, 3
	v_ashrrev_i32_e32 v15, 31, v14
	s_mov_b32 s42, s23
	v_lshlrev_b64 v[3:4], 1, v[3:4]
	v_add_co_u32 v12, vcc_lo, s34, v1
	v_add_co_ci_u32_e32 v13, vcc_lo, s35, v2, vcc_lo
	v_lshlrev_b64 v[1:2], 1, v[14:15]
	s_delay_alu instid0(VALU_DEP_4) | instskip(SKIP_2) | instid1(VALU_DEP_3)
	v_add_co_u32 v14, vcc_lo, s34, v3
	v_add_co_ci_u32_e32 v15, vcc_lo, s35, v4, vcc_lo
	s_mov_b32 s24, s23
	v_add_co_u32 v16, vcc_lo, s34, v1
	s_delay_alu instid0(VALU_DEP_4)
	v_add_co_ci_u32_e32 v17, vcc_lo, s35, v2, vcc_lo
	v_add_co_u32 v33, vcc_lo, s6, v7
	v_add_co_ci_u32_e32 v34, vcc_lo, s7, v8, vcc_lo
	s_mov_b64 s[26:27], s[22:23]
	s_mov_b64 s[28:29], s[18:19]
	s_mov_b32 s19, 0
                                        ; implicit-def: $vgpr1_vgpr2_vgpr3_vgpr4
	s_branch .LBB414_9
.LBB414_8:                              ;   in Loop: Header=BB414_9 Depth=1
	s_or_b32 exec_lo, exec_lo, s6
	s_add_i32 s19, s19, 4
	s_add_u32 s28, s28, s40
	s_addc_u32 s29, s29, 0
	s_add_u32 s26, s26, s40
	s_addc_u32 s27, s27, 0
	;; [unrolled: 2-line block ×3, first 2 shown]
	s_add_i32 s24, s24, s40
	s_cmp_ge_i32 s19, s15
	s_cbranch_scc1 .LBB414_55
.LBB414_9:                              ; =>This Loop Header: Depth=1
                                        ;     Child Loop BB414_40 Depth 2
                                        ;     Child Loop BB414_43 Depth 2
                                        ; implicit-def: $vgpr36
                                        ; implicit-def: $vgpr37
                                        ; implicit-def: $vgpr38
                                        ; implicit-def: $vgpr39
	s_and_saveexec_b32 s6, s2
	s_delay_alu instid0(SALU_CYCLE_1)
	s_xor_b32 s6, exec_lo, s6
	s_cbranch_execnz .LBB414_36
; %bb.10:                               ;   in Loop: Header=BB414_9 Depth=1
	s_and_not1_saveexec_b32 s22, s6
	s_cbranch_execnz .LBB414_37
.LBB414_11:                             ;   in Loop: Header=BB414_9 Depth=1
	s_or_b32 exec_lo, exec_lo, s22
	s_and_saveexec_b32 s6, s0
	s_cbranch_execz .LBB414_13
.LBB414_12:                             ;   in Loop: Header=BB414_9 Depth=1
	ds_store_b32 v31, v35
.LBB414_13:                             ;   in Loop: Header=BB414_9 Depth=1
	s_or_b32 exec_lo, exec_lo, s6
	ds_bpermute_b32 v18, v26, v39
	s_waitcnt lgkmcnt(0)
	s_waitcnt_vscnt null, 0x0
	s_barrier
	buffer_gl0_inv
	v_add_f32_e32 v18, v39, v18
	ds_bpermute_b32 v19, v27, v18
	s_waitcnt lgkmcnt(0)
	v_add_f32_e32 v18, v18, v19
	ds_bpermute_b32 v19, v28, v18
	s_waitcnt lgkmcnt(0)
	;; [unrolled: 3-line block ×3, first 2 shown]
	v_add_f32_e32 v18, v18, v19
	ds_bpermute_b32 v19, v30, v18
	s_and_saveexec_b32 s6, s4
	s_cbranch_execz .LBB414_15
; %bb.14:                               ;   in Loop: Header=BB414_9 Depth=1
	s_waitcnt lgkmcnt(0)
	v_add_f32_e32 v18, v18, v19
	ds_store_b32 v32, v18
.LBB414_15:                             ;   in Loop: Header=BB414_9 Depth=1
	s_or_b32 exec_lo, exec_lo, s6
	v_mov_b32_e32 v18, 0
	s_waitcnt lgkmcnt(0)
	s_barrier
	buffer_gl0_inv
	s_and_saveexec_b32 s6, s1
	s_cbranch_execnz .LBB414_45
; %bb.16:                               ;   in Loop: Header=BB414_9 Depth=1
	s_or_b32 exec_lo, exec_lo, s6
	s_and_saveexec_b32 s6, s0
	s_cbranch_execnz .LBB414_46
.LBB414_17:                             ;   in Loop: Header=BB414_9 Depth=1
	s_or_b32 exec_lo, exec_lo, s6
	s_and_saveexec_b32 s6, s0
	s_cbranch_execz .LBB414_19
.LBB414_18:                             ;   in Loop: Header=BB414_9 Depth=1
	ds_store_b32 v31, v35
.LBB414_19:                             ;   in Loop: Header=BB414_9 Depth=1
	s_or_b32 exec_lo, exec_lo, s6
	ds_bpermute_b32 v19, v26, v38
	s_waitcnt lgkmcnt(0)
	s_barrier
	buffer_gl0_inv
	v_add_f32_e32 v19, v38, v19
	ds_bpermute_b32 v38, v27, v19
	s_waitcnt lgkmcnt(0)
	v_add_f32_e32 v19, v19, v38
	ds_bpermute_b32 v38, v28, v19
	s_waitcnt lgkmcnt(0)
	;; [unrolled: 3-line block ×3, first 2 shown]
	v_add_f32_e32 v19, v19, v38
	ds_bpermute_b32 v38, v30, v19
	s_and_saveexec_b32 s6, s4
	s_cbranch_execz .LBB414_21
; %bb.20:                               ;   in Loop: Header=BB414_9 Depth=1
	s_waitcnt lgkmcnt(0)
	v_add_f32_e32 v19, v19, v38
	ds_store_b32 v32, v19
.LBB414_21:                             ;   in Loop: Header=BB414_9 Depth=1
	s_or_b32 exec_lo, exec_lo, s6
	v_mov_b32_e32 v19, 0
	s_waitcnt lgkmcnt(0)
	s_barrier
	buffer_gl0_inv
	s_and_saveexec_b32 s6, s1
	s_cbranch_execnz .LBB414_47
; %bb.22:                               ;   in Loop: Header=BB414_9 Depth=1
	s_or_b32 exec_lo, exec_lo, s6
	s_and_saveexec_b32 s6, s0
	s_cbranch_execnz .LBB414_48
.LBB414_23:                             ;   in Loop: Header=BB414_9 Depth=1
	s_or_b32 exec_lo, exec_lo, s6
	s_and_saveexec_b32 s6, s0
	s_cbranch_execz .LBB414_25
.LBB414_24:                             ;   in Loop: Header=BB414_9 Depth=1
	ds_store_b32 v31, v35
.LBB414_25:                             ;   in Loop: Header=BB414_9 Depth=1
	s_or_b32 exec_lo, exec_lo, s6
	ds_bpermute_b32 v38, v26, v37
	s_waitcnt lgkmcnt(0)
	s_barrier
	buffer_gl0_inv
	v_add_f32_e32 v37, v37, v38
	ds_bpermute_b32 v38, v27, v37
	s_waitcnt lgkmcnt(0)
	v_add_f32_e32 v37, v37, v38
	ds_bpermute_b32 v38, v28, v37
	s_waitcnt lgkmcnt(0)
	;; [unrolled: 3-line block ×3, first 2 shown]
	v_add_f32_e32 v37, v37, v38
	ds_bpermute_b32 v38, v30, v37
	s_and_saveexec_b32 s6, s4
	s_cbranch_execz .LBB414_27
; %bb.26:                               ;   in Loop: Header=BB414_9 Depth=1
	s_waitcnt lgkmcnt(0)
	v_add_f32_e32 v37, v37, v38
	ds_store_b32 v32, v37
.LBB414_27:                             ;   in Loop: Header=BB414_9 Depth=1
	s_or_b32 exec_lo, exec_lo, s6
	v_mov_b32_e32 v37, 0
	s_waitcnt lgkmcnt(0)
	s_barrier
	buffer_gl0_inv
	s_and_saveexec_b32 s6, s1
	s_cbranch_execnz .LBB414_49
; %bb.28:                               ;   in Loop: Header=BB414_9 Depth=1
	s_or_b32 exec_lo, exec_lo, s6
	s_and_saveexec_b32 s6, s0
	s_cbranch_execnz .LBB414_50
.LBB414_29:                             ;   in Loop: Header=BB414_9 Depth=1
	s_or_b32 exec_lo, exec_lo, s6
	s_and_saveexec_b32 s6, s0
	s_cbranch_execz .LBB414_31
.LBB414_30:                             ;   in Loop: Header=BB414_9 Depth=1
	ds_store_b32 v31, v35
.LBB414_31:                             ;   in Loop: Header=BB414_9 Depth=1
	s_or_b32 exec_lo, exec_lo, s6
	ds_bpermute_b32 v38, v26, v36
	s_waitcnt lgkmcnt(0)
	s_barrier
	buffer_gl0_inv
	v_add_f32_e32 v36, v36, v38
	ds_bpermute_b32 v38, v27, v36
	s_waitcnt lgkmcnt(0)
	v_add_f32_e32 v36, v36, v38
	ds_bpermute_b32 v38, v28, v36
	s_waitcnt lgkmcnt(0)
	;; [unrolled: 3-line block ×3, first 2 shown]
	v_add_f32_e32 v36, v36, v38
	ds_bpermute_b32 v38, v30, v36
	s_and_saveexec_b32 s6, s4
	s_cbranch_execz .LBB414_33
; %bb.32:                               ;   in Loop: Header=BB414_9 Depth=1
	s_waitcnt lgkmcnt(0)
	v_add_f32_e32 v36, v36, v38
	ds_store_b32 v32, v36
.LBB414_33:                             ;   in Loop: Header=BB414_9 Depth=1
	s_or_b32 exec_lo, exec_lo, s6
	v_mov_b32_e32 v36, 0
	s_waitcnt lgkmcnt(0)
	s_barrier
	buffer_gl0_inv
	s_and_saveexec_b32 s6, s1
	s_cbranch_execnz .LBB414_51
; %bb.34:                               ;   in Loop: Header=BB414_9 Depth=1
	s_or_b32 exec_lo, exec_lo, s6
	s_and_saveexec_b32 s6, s0
	s_cbranch_execnz .LBB414_52
.LBB414_35:                             ;   in Loop: Header=BB414_9 Depth=1
	s_or_b32 exec_lo, exec_lo, s6
	s_and_saveexec_b32 s6, s5
	s_cbranch_execz .LBB414_8
	s_branch .LBB414_53
.LBB414_36:                             ;   in Loop: Header=BB414_9 Depth=1
	s_mul_i32 s30, s19, s18
	s_delay_alu instid0(SALU_CYCLE_1)
	s_ashr_i32 s31, s30, 31
	s_add_i32 s44, s30, s18
	s_lshl_b64 s[30:31], s[30:31], 1
	s_ashr_i32 s45, s44, 31
	v_add_co_u32 v1, vcc_lo, v20, s30
	v_add_co_ci_u32_e32 v2, vcc_lo, s31, v21, vcc_lo
	s_lshl_b64 s[30:31], s[44:45], 1
	s_add_i32 s44, s44, s18
	v_add_co_u32 v3, vcc_lo, v20, s30
	s_ashr_i32 s45, s44, 31
	s_add_i32 s30, s44, s18
	s_lshl_b64 s[44:45], s[44:45], 1
	v_add_co_ci_u32_e32 v4, vcc_lo, s31, v21, vcc_lo
	s_ashr_i32 s31, s30, 31
	v_add_co_u32 v18, vcc_lo, v20, s44
	s_lshl_b64 s[30:31], s[30:31], 1
	v_add_co_ci_u32_e32 v19, vcc_lo, s45, v21, vcc_lo
	s_waitcnt lgkmcnt(0)
	v_add_co_u32 v36, vcc_lo, v20, s30
	v_add_co_ci_u32_e32 v37, vcc_lo, s31, v21, vcc_lo
	global_load_u16 v44, v[10:11], off
	s_clause 0x3
	global_load_b64 v[38:39], v[1:2], off
	global_load_b64 v[40:41], v[3:4], off
	;; [unrolled: 1-line block ×4, first 2 shown]
	s_clause 0x2
	global_load_u16 v3, v[12:13], off
	global_load_u16 v4, v[14:15], off
	;; [unrolled: 1-line block ×3, first 2 shown]
	s_waitcnt vmcnt(7)
	v_cvt_f32_f16_e32 v1, v44
	s_waitcnt vmcnt(6)
	v_fma_mix_f32 v37, v44, v38, 0 op_sel_hi:[1,1,0]
	s_waitcnt vmcnt(5)
	v_fma_mix_f32 v45, v44, v40, 0 op_sel_hi:[1,1,0]
	;; [unrolled: 2-line block ×4, first 2 shown]
	s_waitcnt vmcnt(2)
	v_cvt_f32_f16_e32 v2, v3
	v_fma_mix_f32 v37, v3, v38, v37 op_sel:[0,1,0] op_sel_hi:[1,1,0]
	v_fma_mix_f32 v38, v3, v40, v45 op_sel:[0,1,0] op_sel_hi:[1,1,0]
	;; [unrolled: 1-line block ×4, first 2 shown]
	s_waitcnt vmcnt(1)
	v_cvt_f32_f16_e32 v3, v4
	v_fma_mix_f32 v37, v4, v39, v37 op_sel_hi:[1,1,0]
	v_fma_mix_f32 v38, v4, v41, v38 op_sel_hi:[1,1,0]
	;; [unrolled: 1-line block ×4, first 2 shown]
	s_waitcnt vmcnt(0)
	v_cvt_f32_f16_e32 v4, v36
	v_fma_mix_f32 v39, v36, v39, v37 op_sel:[0,1,0] op_sel_hi:[1,1,0]
	v_fma_mix_f32 v38, v36, v41, v38 op_sel:[0,1,0] op_sel_hi:[1,1,0]
	;; [unrolled: 1-line block ×4, first 2 shown]
	s_and_not1_saveexec_b32 s22, s6
	s_cbranch_execz .LBB414_11
.LBB414_37:                             ;   in Loop: Header=BB414_9 Depth=1
	s_waitcnt lgkmcnt(0)
	v_dual_mov_b32 v36, 0 :: v_dual_mov_b32 v37, 0
	v_dual_mov_b32 v38, 0 :: v_dual_mov_b32 v39, 0
	s_and_saveexec_b32 s43, s3
	s_cbranch_execz .LBB414_44
; %bb.38:                               ;   in Loop: Header=BB414_9 Depth=1
	s_and_not1_b32 vcc_lo, exec_lo, s39
	s_cbranch_vccnz .LBB414_41
; %bb.39:                               ;   in Loop: Header=BB414_9 Depth=1
	v_mov_b32_e32 v18, v9
	s_mov_b64 s[30:31], 0
	.p2align	6
.LBB414_40:                             ;   Parent Loop BB414_9 Depth=1
                                        ; =>  This Inner Loop Header: Depth=2
	s_delay_alu instid0(VALU_DEP_1) | instskip(SKIP_1) | instid1(VALU_DEP_1)
	v_ashrrev_i32_e32 v19, 31, v18
	s_cmp_eq_u32 s30, 3
	v_lshlrev_b64 v[36:37], 1, v[18:19]
	s_delay_alu instid0(VALU_DEP_1) | instskip(NEXT) | instid1(VALU_DEP_2)
	v_add_co_u32 v36, vcc_lo, s34, v36
	v_add_co_ci_u32_e32 v37, vcc_lo, s35, v37, vcc_lo
	s_cselect_b32 vcc_lo, -1, 0
	s_cmp_eq_u32 s30, 2
	s_cselect_b32 s6, -1, 0
	global_load_u16 v19, v[36:37], off
	s_cmp_eq_u32 s30, 1
	s_cselect_b32 s7, -1, 0
	s_cmp_eq_u32 s30, 0
	s_waitcnt vmcnt(0)
	v_cvt_f32_f16_e32 v19, v19
	s_delay_alu instid0(VALU_DEP_1)
	v_cndmask_b32_e32 v4, v4, v19, vcc_lo
	s_cselect_b32 vcc_lo, -1, 0
	v_dual_cndmask_b32 v1, v1, v19 :: v_dual_add_nc_u32 v18, s17, v18
	v_cndmask_b32_e64 v3, v3, v19, s6
	v_cndmask_b32_e64 v2, v2, v19, s7
	s_add_u32 s30, s30, 1
	s_addc_u32 s31, s31, 0
	s_cmp_eq_u32 s36, s30
	s_cbranch_scc0 .LBB414_40
.LBB414_41:                             ;   in Loop: Header=BB414_9 Depth=1
	v_dual_mov_b32 v36, 0 :: v_dual_mov_b32 v37, 0
	v_dual_mov_b32 v38, 0 :: v_dual_mov_b32 v39, 0
	s_and_not1_b32 vcc_lo, exec_lo, s39
	s_cbranch_vccnz .LBB414_44
; %bb.42:                               ;   in Loop: Header=BB414_9 Depth=1
	s_ashr_i32 s25, s24, 31
	v_dual_mov_b32 v39, 0 :: v_dual_mov_b32 v38, 0
	s_lshl_b64 s[6:7], s[24:25], 1
	v_dual_mov_b32 v37, 0 :: v_dual_mov_b32 v36, 0
	v_add_co_u32 v18, vcc_lo, v33, s6
	v_add_co_ci_u32_e32 v19, vcc_lo, s7, v34, vcc_lo
	s_mov_b64 s[30:31], 0
.LBB414_43:                             ;   Parent Loop BB414_9 Depth=1
                                        ; =>  This Inner Loop Header: Depth=2
	s_delay_alu instid0(SALU_CYCLE_1)
	s_cmp_eq_u32 s30, 1
	s_cselect_b32 vcc_lo, -1, 0
	s_cmp_eq_u32 s30, 2
	v_cndmask_b32_e32 v40, v1, v2, vcc_lo
	s_cselect_b32 vcc_lo, -1, 0
	s_cmp_eq_u32 s30, 3
	s_delay_alu instid0(VALU_DEP_1)
	v_cndmask_b32_e32 v46, v40, v3, vcc_lo
	s_cselect_b32 vcc_lo, -1, 0
	s_add_i32 s6, s28, s30
	s_add_i32 s44, s26, s30
	s_ashr_i32 s7, s6, 31
	s_ashr_i32 s45, s44, 31
	s_lshl_b64 s[6:7], s[6:7], 1
	s_add_i32 s46, s41, s30
	v_add_co_u32 v40, s6, v20, s6
	s_lshl_b64 s[44:45], s[44:45], 1
	s_ashr_i32 s47, s46, 31
	v_add_co_ci_u32_e64 v41, s6, s7, v21, s6
	v_add_co_u32 v42, s6, v20, s44
	s_lshl_b64 s[46:47], s[46:47], 1
	v_add_co_ci_u32_e64 v43, s6, s45, v21, s6
	v_add_co_u32 v44, s6, v20, s46
	s_delay_alu instid0(VALU_DEP_1)
	v_add_co_ci_u32_e64 v45, s6, s47, v21, s6
	global_load_u16 v47, v[18:19], off
	s_clause 0x2
	global_load_u16 v40, v[40:41], off
	global_load_u16 v41, v[42:43], off
	;; [unrolled: 1-line block ×3, first 2 shown]
	v_cndmask_b32_e32 v43, v46, v4, vcc_lo
	v_add_co_u32 v18, s6, v18, 2
	s_delay_alu instid0(VALU_DEP_1)
	v_add_co_ci_u32_e64 v19, s6, 0, v19, s6
	s_add_u32 s30, s30, 1
	s_addc_u32 s31, s31, 0
	s_cmp_lg_u32 s36, s30
	s_waitcnt vmcnt(3)
	v_fma_mix_f32 v39, v43, v47, v39 op_sel_hi:[0,1,0]
	s_waitcnt vmcnt(2)
	v_fma_mix_f32 v38, v43, v40, v38 op_sel_hi:[0,1,0]
	;; [unrolled: 2-line block ×4, first 2 shown]
	s_cbranch_scc1 .LBB414_43
.LBB414_44:                             ;   in Loop: Header=BB414_9 Depth=1
	s_or_b32 exec_lo, exec_lo, s43
	s_delay_alu instid0(SALU_CYCLE_1)
	s_or_b32 exec_lo, exec_lo, s22
	s_and_saveexec_b32 s6, s0
	s_cbranch_execnz .LBB414_12
	s_branch .LBB414_13
.LBB414_45:                             ;   in Loop: Header=BB414_9 Depth=1
	ds_load_b32 v18, v31
	s_or_b32 exec_lo, exec_lo, s6
	s_and_saveexec_b32 s6, s0
	s_cbranch_execz .LBB414_17
.LBB414_46:                             ;   in Loop: Header=BB414_9 Depth=1
	s_waitcnt lgkmcnt(0)
	ds_bpermute_b32 v19, v28, v18
	s_waitcnt lgkmcnt(0)
	v_add_f32_e32 v18, v18, v19
	ds_bpermute_b32 v19, v29, v18
	s_waitcnt lgkmcnt(0)
	v_add_f32_e32 v18, v18, v19
	;; [unrolled: 3-line block ×3, first 2 shown]
	s_or_b32 exec_lo, exec_lo, s6
	s_and_saveexec_b32 s6, s0
	s_cbranch_execnz .LBB414_18
	s_branch .LBB414_19
.LBB414_47:                             ;   in Loop: Header=BB414_9 Depth=1
	ds_load_b32 v19, v31
	s_or_b32 exec_lo, exec_lo, s6
	s_and_saveexec_b32 s6, s0
	s_cbranch_execz .LBB414_23
.LBB414_48:                             ;   in Loop: Header=BB414_9 Depth=1
	s_waitcnt lgkmcnt(0)
	ds_bpermute_b32 v38, v28, v19
	s_waitcnt lgkmcnt(0)
	v_add_f32_e32 v19, v19, v38
	ds_bpermute_b32 v38, v29, v19
	s_waitcnt lgkmcnt(0)
	v_add_f32_e32 v19, v19, v38
	;; [unrolled: 3-line block ×3, first 2 shown]
	s_or_b32 exec_lo, exec_lo, s6
	s_and_saveexec_b32 s6, s0
	s_cbranch_execnz .LBB414_24
	s_branch .LBB414_25
.LBB414_49:                             ;   in Loop: Header=BB414_9 Depth=1
	ds_load_b32 v37, v31
	s_or_b32 exec_lo, exec_lo, s6
	s_and_saveexec_b32 s6, s0
	s_cbranch_execz .LBB414_29
.LBB414_50:                             ;   in Loop: Header=BB414_9 Depth=1
	s_waitcnt lgkmcnt(0)
	ds_bpermute_b32 v38, v28, v37
	s_waitcnt lgkmcnt(0)
	v_add_f32_e32 v37, v37, v38
	ds_bpermute_b32 v38, v29, v37
	s_waitcnt lgkmcnt(0)
	v_add_f32_e32 v37, v37, v38
	;; [unrolled: 3-line block ×3, first 2 shown]
	s_or_b32 exec_lo, exec_lo, s6
	s_and_saveexec_b32 s6, s0
	s_cbranch_execnz .LBB414_30
	s_branch .LBB414_31
.LBB414_51:                             ;   in Loop: Header=BB414_9 Depth=1
	ds_load_b32 v36, v31
	s_or_b32 exec_lo, exec_lo, s6
	s_and_saveexec_b32 s6, s0
	s_cbranch_execz .LBB414_35
.LBB414_52:                             ;   in Loop: Header=BB414_9 Depth=1
	s_waitcnt lgkmcnt(0)
	ds_bpermute_b32 v38, v28, v36
	s_waitcnt lgkmcnt(0)
	v_add_f32_e32 v36, v36, v38
	ds_bpermute_b32 v38, v29, v36
	s_waitcnt lgkmcnt(0)
	v_add_f32_e32 v36, v36, v38
	;; [unrolled: 3-line block ×3, first 2 shown]
	s_or_b32 exec_lo, exec_lo, s6
	s_and_saveexec_b32 s6, s5
	s_cbranch_execz .LBB414_8
.LBB414_53:                             ;   in Loop: Header=BB414_9 Depth=1
	s_mul_i32 s7, s19, s16
	v_dual_mul_f32 v18, s33, v18 :: v_dual_mul_f32 v19, s33, v19
	s_add_i32 s22, s7, s14
	v_mul_f32_e32 v37, s33, v37
	s_lshl_b64 s[30:31], s[22:23], 2
	s_delay_alu instid0(SALU_CYCLE_1)
	s_add_u32 s30, s38, s30
	s_addc_u32 s31, s37, s31
	s_add_i32 s22, s22, s16
	global_store_b32 v35, v18, s[30:31]
	s_waitcnt lgkmcnt(0)
	v_mul_f32_e32 v18, s33, v36
	s_lshl_b64 s[44:45], s[22:23], 2
	s_delay_alu instid0(SALU_CYCLE_1) | instskip(SKIP_4) | instid1(SALU_CYCLE_1)
	s_add_u32 s44, s38, s44
	s_addc_u32 s45, s37, s45
	s_add_i32 s22, s22, s16
	global_store_b32 v35, v19, s[44:45]
	s_lshl_b64 s[46:47], s[22:23], 2
	s_add_u32 s30, s38, s46
	s_addc_u32 s31, s37, s47
	s_add_i32 s22, s22, s16
	s_delay_alu instid0(SALU_CYCLE_1) | instskip(NEXT) | instid1(SALU_CYCLE_1)
	s_lshl_b64 s[46:47], s[22:23], 2
	s_add_u32 s44, s38, s46
	s_addc_u32 s45, s37, s47
	s_clause 0x1
	global_store_b32 v35, v37, s[30:31]
	global_store_b32 v35, v18, s[44:45]
	s_branch .LBB414_8
.LBB414_54:
	s_mov_b32 s19, 0
                                        ; implicit-def: $vgpr1_vgpr2_vgpr3_vgpr4
.LBB414_55:
	s_delay_alu instid0(SALU_CYCLE_1)
	s_cmp_ge_i32 s19, s13
	s_cbranch_scc1 .LBB414_79
; %bb.56:
	v_cmp_gt_u32_e32 vcc_lo, 16, v22
	v_lshlrev_b32_e32 v17, 2, v6
	v_cmp_eq_u32_e64 s3, 0, v6
	v_ashrrev_i32_e32 v6, 31, v5
	v_cmp_ge_i32_e64 s0, s12, v24
	v_cndmask_b32_e64 v9, 0, 1, vcc_lo
	v_cmp_gt_u32_e32 vcc_lo, 24, v22
	v_cmp_ge_i32_e64 s1, s12, v25
	s_cmp_gt_i32 s36, 0
	s_mov_b32 s15, 0
	v_lshlrev_b32_e32 v9, 4, v9
	v_cndmask_b32_e64 v10, 0, 1, vcc_lo
	v_cmp_gt_u32_e32 vcc_lo, 28, v22
	s_cselect_b32 s12, -1, 0
	s_lshl_b64 s[6:7], s[14:15], 2
	v_add_lshl_u32 v18, v9, v22, 2
	v_add_nc_u32_e32 v9, s17, v5
	v_cndmask_b32_e64 v11, 0, 1, vcc_lo
	v_cmp_gt_u32_e32 vcc_lo, 30, v22
	v_lshlrev_b32_e32 v10, 3, v10
	s_add_u32 s14, s38, s6
	s_addc_u32 s22, s37, s7
	v_lshlrev_b32_e32 v11, 2, v11
	v_cndmask_b32_e64 v12, 0, 1, vcc_lo
	v_cmp_ne_u32_e32 vcc_lo, 31, v22
	v_add_lshl_u32 v19, v10, v22, 2
	v_ashrrev_i32_e32 v10, 31, v9
	v_add_lshl_u32 v24, v11, v22, 2
	v_add_nc_u32_e32 v11, s17, v9
	v_add_co_ci_u32_e32 v13, vcc_lo, 0, v22, vcc_lo
	v_lshlrev_b32_e32 v12, 1, v12
	v_lshlrev_b64 v[15:16], 1, v[9:10]
	s_delay_alu instid0(VALU_DEP_4) | instskip(NEXT) | instid1(VALU_DEP_4)
	v_add_nc_u32_e32 v26, s17, v11
	v_lshlrev_b32_e32 v25, 2, v13
	v_lshlrev_b64 v[13:14], 1, v[5:6]
	v_add_lshl_u32 v22, v12, v22, 2
	v_ashrrev_i32_e32 v12, 31, v11
	v_ashrrev_i32_e32 v27, 31, v26
	s_add_u32 s6, s20, s10
	s_addc_u32 s7, s21, s11
	v_add_co_u32 v9, vcc_lo, s34, v13
	v_add_co_ci_u32_e32 v10, vcc_lo, s35, v14, vcc_lo
	v_lshlrev_b64 v[13:14], 1, v[11:12]
	v_add_co_u32 v11, vcc_lo, s34, v15
	v_add_co_ci_u32_e32 v12, vcc_lo, s35, v16, vcc_lo
	v_lshlrev_b64 v[15:16], 1, v[26:27]
	v_mov_b32_e32 v26, 0
	v_add_co_u32 v13, vcc_lo, s34, v13
	v_add_co_ci_u32_e32 v14, vcc_lo, s35, v14, vcc_lo
	s_delay_alu instid0(VALU_DEP_4)
	v_add_co_u32 v15, vcc_lo, s34, v15
	s_add_u32 s6, s8, s6
	v_add_co_ci_u32_e32 v16, vcc_lo, s35, v16, vcc_lo
	v_cmp_gt_u32_e64 s2, 32, v0
	v_cmp_gt_u32_e64 s4, 8, v0
	v_cmp_eq_u32_e64 s5, 0, v0
	s_addc_u32 s7, s9, s7
	v_add_co_u32 v0, vcc_lo, s6, v7
	v_and_b32_e32 v23, 28, v23
	v_add_co_ci_u32_e32 v8, vcc_lo, s7, v8, vcc_lo
	s_waitcnt lgkmcnt(0)
	s_mul_i32 s8, s19, s18
	s_branch .LBB414_58
.LBB414_57:                             ;   in Loop: Header=BB414_58 Depth=1
	s_or_b32 exec_lo, exec_lo, s6
	s_add_i32 s19, s19, 1
	s_add_i32 s8, s8, s18
	s_cmp_ge_i32 s19, s13
	s_cbranch_scc1 .LBB414_79
.LBB414_58:                             ; =>This Loop Header: Depth=1
                                        ;     Child Loop BB414_71 Depth 2
                                        ;     Child Loop BB414_74 Depth 2
	v_mov_b32_e32 v27, s15
	s_and_saveexec_b32 s6, s0
	s_delay_alu instid0(SALU_CYCLE_1)
	s_xor_b32 s6, exec_lo, s6
	s_cbranch_execnz .LBB414_67
; %bb.59:                               ;   in Loop: Header=BB414_58 Depth=1
	s_and_not1_saveexec_b32 s20, s6
	s_cbranch_execnz .LBB414_68
.LBB414_60:                             ;   in Loop: Header=BB414_58 Depth=1
	s_or_b32 exec_lo, exec_lo, s20
	s_and_saveexec_b32 s6, s2
	s_cbranch_execz .LBB414_62
.LBB414_61:                             ;   in Loop: Header=BB414_58 Depth=1
	ds_store_b32 v17, v26
.LBB414_62:                             ;   in Loop: Header=BB414_58 Depth=1
	s_or_b32 exec_lo, exec_lo, s6
	s_waitcnt lgkmcnt(0)
	ds_bpermute_b32 v6, v18, v27
	s_waitcnt lgkmcnt(0)
	s_waitcnt_vscnt null, 0x0
	s_barrier
	buffer_gl0_inv
	v_add_f32_e32 v6, v27, v6
	ds_bpermute_b32 v7, v19, v6
	s_waitcnt lgkmcnt(0)
	v_add_f32_e32 v6, v6, v7
	ds_bpermute_b32 v7, v24, v6
	s_waitcnt lgkmcnt(0)
	v_add_f32_e32 v6, v6, v7
	ds_bpermute_b32 v7, v22, v6
	s_waitcnt lgkmcnt(0)
	v_add_f32_e32 v6, v6, v7
	ds_bpermute_b32 v7, v25, v6
	s_and_saveexec_b32 s6, s3
	s_cbranch_execz .LBB414_64
; %bb.63:                               ;   in Loop: Header=BB414_58 Depth=1
	s_waitcnt lgkmcnt(0)
	v_add_f32_e32 v6, v6, v7
	ds_store_b32 v23, v6
.LBB414_64:                             ;   in Loop: Header=BB414_58 Depth=1
	s_or_b32 exec_lo, exec_lo, s6
	v_mov_b32_e32 v6, 0
	s_waitcnt lgkmcnt(0)
	s_barrier
	buffer_gl0_inv
	s_and_saveexec_b32 s6, s4
	s_cbranch_execnz .LBB414_76
; %bb.65:                               ;   in Loop: Header=BB414_58 Depth=1
	s_or_b32 exec_lo, exec_lo, s6
	s_and_saveexec_b32 s6, s2
	s_cbranch_execnz .LBB414_77
.LBB414_66:                             ;   in Loop: Header=BB414_58 Depth=1
	s_or_b32 exec_lo, exec_lo, s6
	s_and_saveexec_b32 s6, s5
	s_cbranch_execz .LBB414_57
	s_branch .LBB414_78
.LBB414_67:                             ;   in Loop: Header=BB414_58 Depth=1
	s_mul_i32 s10, s19, s18
	s_delay_alu instid0(SALU_CYCLE_1) | instskip(NEXT) | instid1(SALU_CYCLE_1)
	s_ashr_i32 s11, s10, 31
	s_lshl_b64 s[10:11], s[10:11], 1
	s_delay_alu instid0(SALU_CYCLE_1)
	v_add_co_u32 v1, vcc_lo, v20, s10
	v_add_co_ci_u32_e32 v2, vcc_lo, s11, v21, vcc_lo
	s_waitcnt lgkmcnt(0)
	global_load_b64 v[6:7], v[1:2], off
	s_clause 0x3
	global_load_u16 v1, v[9:10], off
	global_load_u16 v2, v[11:12], off
	;; [unrolled: 1-line block ×4, first 2 shown]
	s_waitcnt vmcnt(3)
	v_fma_mix_f32 v4, v1, v6, 0 op_sel_hi:[1,1,0]
	v_cvt_f32_f16_e32 v1, v1
	s_waitcnt vmcnt(2)
	s_delay_alu instid0(VALU_DEP_2) | instskip(SKIP_2) | instid1(VALU_DEP_2)
	v_fma_mix_f32 v4, v2, v6, v4 op_sel:[0,1,0] op_sel_hi:[1,1,0]
	v_cvt_f32_f16_e32 v2, v2
	s_waitcnt vmcnt(1)
	v_fma_mix_f32 v6, v3, v7, v4 op_sel_hi:[1,1,0]
	v_cvt_f32_f16_e32 v3, v3
	s_waitcnt vmcnt(0)
	v_cvt_f32_f16_e32 v4, v27
	s_delay_alu instid0(VALU_DEP_3)
	v_fma_mix_f32 v27, v27, v7, v6 op_sel:[0,1,0] op_sel_hi:[1,1,0]
	s_and_not1_saveexec_b32 s20, s6
	s_cbranch_execz .LBB414_60
.LBB414_68:                             ;   in Loop: Header=BB414_58 Depth=1
	s_and_saveexec_b32 s21, s1
	s_cbranch_execz .LBB414_75
; %bb.69:                               ;   in Loop: Header=BB414_58 Depth=1
	s_and_not1_b32 vcc_lo, exec_lo, s12
	s_cbranch_vccnz .LBB414_72
; %bb.70:                               ;   in Loop: Header=BB414_58 Depth=1
	s_waitcnt lgkmcnt(0)
	v_mov_b32_e32 v6, v5
	s_mov_b64 s[10:11], 0
	.p2align	6
.LBB414_71:                             ;   Parent Loop BB414_58 Depth=1
                                        ; =>  This Inner Loop Header: Depth=2
	s_delay_alu instid0(VALU_DEP_1) | instskip(SKIP_1) | instid1(VALU_DEP_1)
	v_ashrrev_i32_e32 v7, 31, v6
	s_cmp_eq_u32 s10, 3
	v_lshlrev_b64 v[28:29], 1, v[6:7]
	s_delay_alu instid0(VALU_DEP_1) | instskip(NEXT) | instid1(VALU_DEP_2)
	v_add_co_u32 v28, vcc_lo, s34, v28
	v_add_co_ci_u32_e32 v29, vcc_lo, s35, v29, vcc_lo
	s_cselect_b32 vcc_lo, -1, 0
	s_cmp_eq_u32 s10, 2
	s_cselect_b32 s6, -1, 0
	global_load_u16 v7, v[28:29], off
	s_cmp_eq_u32 s10, 1
	s_cselect_b32 s7, -1, 0
	s_cmp_eq_u32 s10, 0
	s_waitcnt vmcnt(0)
	v_cvt_f32_f16_e32 v7, v7
	s_delay_alu instid0(VALU_DEP_1)
	v_cndmask_b32_e32 v4, v4, v7, vcc_lo
	s_cselect_b32 vcc_lo, -1, 0
	v_dual_cndmask_b32 v1, v1, v7 :: v_dual_add_nc_u32 v6, s17, v6
	v_cndmask_b32_e64 v3, v3, v7, s6
	v_cndmask_b32_e64 v2, v2, v7, s7
	s_add_u32 s10, s10, 1
	s_addc_u32 s11, s11, 0
	s_cmp_eq_u32 s36, s10
	s_cbranch_scc0 .LBB414_71
.LBB414_72:                             ;   in Loop: Header=BB414_58 Depth=1
	s_and_not1_b32 vcc_lo, exec_lo, s12
	s_cbranch_vccnz .LBB414_75
; %bb.73:                               ;   in Loop: Header=BB414_58 Depth=1
	s_ashr_i32 s9, s8, 31
	s_delay_alu instid0(SALU_CYCLE_1)
	s_lshl_b64 s[6:7], s[8:9], 1
	s_waitcnt lgkmcnt(0)
	v_add_co_u32 v6, vcc_lo, v0, s6
	v_add_co_ci_u32_e32 v7, vcc_lo, s7, v8, vcc_lo
	s_mov_b64 s[6:7], 0
	.p2align	6
.LBB414_74:                             ;   Parent Loop BB414_58 Depth=1
                                        ; =>  This Inner Loop Header: Depth=2
	global_load_u16 v28, v[6:7], off
	s_cmp_eq_u32 s6, 1
	s_cselect_b32 vcc_lo, -1, 0
	s_cmp_eq_u32 s6, 2
	v_cndmask_b32_e32 v29, v1, v2, vcc_lo
	s_cselect_b32 vcc_lo, -1, 0
	s_cmp_eq_u32 s6, 3
	s_delay_alu instid0(VALU_DEP_1)
	v_cndmask_b32_e32 v29, v29, v3, vcc_lo
	s_cselect_b32 vcc_lo, -1, 0
	s_add_u32 s6, s6, 1
	s_addc_u32 s7, s7, 0
	s_cmp_lg_u32 s36, s6
	v_cndmask_b32_e32 v29, v29, v4, vcc_lo
	v_add_co_u32 v6, vcc_lo, v6, 2
	v_add_co_ci_u32_e32 v7, vcc_lo, 0, v7, vcc_lo
	s_waitcnt vmcnt(0)
	s_delay_alu instid0(VALU_DEP_3)
	v_fma_mix_f32 v27, v29, v28, v27 op_sel_hi:[0,1,0]
	s_cbranch_scc1 .LBB414_74
.LBB414_75:                             ;   in Loop: Header=BB414_58 Depth=1
	s_or_b32 exec_lo, exec_lo, s21
	s_delay_alu instid0(SALU_CYCLE_1)
	s_or_b32 exec_lo, exec_lo, s20
	s_and_saveexec_b32 s6, s2
	s_cbranch_execnz .LBB414_61
	s_branch .LBB414_62
.LBB414_76:                             ;   in Loop: Header=BB414_58 Depth=1
	ds_load_b32 v6, v17
	s_or_b32 exec_lo, exec_lo, s6
	s_and_saveexec_b32 s6, s2
	s_cbranch_execz .LBB414_66
.LBB414_77:                             ;   in Loop: Header=BB414_58 Depth=1
	s_waitcnt lgkmcnt(0)
	ds_bpermute_b32 v7, v24, v6
	s_waitcnt lgkmcnt(0)
	v_add_f32_e32 v6, v6, v7
	ds_bpermute_b32 v7, v22, v6
	s_waitcnt lgkmcnt(0)
	v_add_f32_e32 v6, v6, v7
	;; [unrolled: 3-line block ×3, first 2 shown]
	s_or_b32 exec_lo, exec_lo, s6
	s_and_saveexec_b32 s6, s5
	s_cbranch_execz .LBB414_57
.LBB414_78:                             ;   in Loop: Header=BB414_58 Depth=1
	s_mul_hi_u32 s11, s19, s16
	s_mul_i32 s10, s19, s16
	s_waitcnt lgkmcnt(0)
	v_mul_f32_e32 v6, s33, v6
	s_lshl_b64 s[10:11], s[10:11], 2
	s_delay_alu instid0(SALU_CYCLE_1)
	s_add_u32 s10, s14, s10
	s_addc_u32 s11, s22, s11
	global_store_b32 v26, v6, s[10:11]
	s_branch .LBB414_57
.LBB414_79:
	s_nop 0
	s_sendmsg sendmsg(MSG_DEALLOC_VGPRS)
	s_endpgm
	.section	.rodata,"a",@progbits
	.p2align	6, 0x0
	.amdhsa_kernel _ZL23rocblas_gemvt_sn_kernelILb1ELi256ELi4EiDF16_PKffEviiT4_lPKT3_lilS5_lilPT5_i
		.amdhsa_group_segment_fixed_size 128
		.amdhsa_private_segment_fixed_size 0
		.amdhsa_kernarg_size 360
		.amdhsa_user_sgpr_count 14
		.amdhsa_user_sgpr_dispatch_ptr 0
		.amdhsa_user_sgpr_queue_ptr 0
		.amdhsa_user_sgpr_kernarg_segment_ptr 1
		.amdhsa_user_sgpr_dispatch_id 0
		.amdhsa_user_sgpr_private_segment_size 0
		.amdhsa_wavefront_size32 1
		.amdhsa_uses_dynamic_stack 0
		.amdhsa_enable_private_segment 0
		.amdhsa_system_sgpr_workgroup_id_x 1
		.amdhsa_system_sgpr_workgroup_id_y 0
		.amdhsa_system_sgpr_workgroup_id_z 1
		.amdhsa_system_sgpr_workgroup_info 0
		.amdhsa_system_vgpr_workitem_id 0
		.amdhsa_next_free_vgpr 48
		.amdhsa_next_free_sgpr 48
		.amdhsa_reserve_vcc 1
		.amdhsa_float_round_mode_32 0
		.amdhsa_float_round_mode_16_64 0
		.amdhsa_float_denorm_mode_32 3
		.amdhsa_float_denorm_mode_16_64 3
		.amdhsa_dx10_clamp 1
		.amdhsa_ieee_mode 1
		.amdhsa_fp16_overflow 0
		.amdhsa_workgroup_processor_mode 1
		.amdhsa_memory_ordered 1
		.amdhsa_forward_progress 0
		.amdhsa_shared_vgpr_count 0
		.amdhsa_exception_fp_ieee_invalid_op 0
		.amdhsa_exception_fp_denorm_src 0
		.amdhsa_exception_fp_ieee_div_zero 0
		.amdhsa_exception_fp_ieee_overflow 0
		.amdhsa_exception_fp_ieee_underflow 0
		.amdhsa_exception_fp_ieee_inexact 0
		.amdhsa_exception_int_div_zero 0
	.end_amdhsa_kernel
	.section	.text._ZL23rocblas_gemvt_sn_kernelILb1ELi256ELi4EiDF16_PKffEviiT4_lPKT3_lilS5_lilPT5_i,"axG",@progbits,_ZL23rocblas_gemvt_sn_kernelILb1ELi256ELi4EiDF16_PKffEviiT4_lPKT3_lilS5_lilPT5_i,comdat
.Lfunc_end414:
	.size	_ZL23rocblas_gemvt_sn_kernelILb1ELi256ELi4EiDF16_PKffEviiT4_lPKT3_lilS5_lilPT5_i, .Lfunc_end414-_ZL23rocblas_gemvt_sn_kernelILb1ELi256ELi4EiDF16_PKffEviiT4_lPKT3_lilS5_lilPT5_i
                                        ; -- End function
	.section	.AMDGPU.csdata,"",@progbits
; Kernel info:
; codeLenInByte = 4272
; NumSgprs: 50
; NumVgprs: 48
; ScratchSize: 0
; MemoryBound: 0
; FloatMode: 240
; IeeeMode: 1
; LDSByteSize: 128 bytes/workgroup (compile time only)
; SGPRBlocks: 6
; VGPRBlocks: 5
; NumSGPRsForWavesPerEU: 50
; NumVGPRsForWavesPerEU: 48
; Occupancy: 16
; WaveLimiterHint : 1
; COMPUTE_PGM_RSRC2:SCRATCH_EN: 0
; COMPUTE_PGM_RSRC2:USER_SGPR: 14
; COMPUTE_PGM_RSRC2:TRAP_HANDLER: 0
; COMPUTE_PGM_RSRC2:TGID_X_EN: 1
; COMPUTE_PGM_RSRC2:TGID_Y_EN: 0
; COMPUTE_PGM_RSRC2:TGID_Z_EN: 1
; COMPUTE_PGM_RSRC2:TIDIG_COMP_CNT: 0
	.section	.text._ZL23rocblas_gemvt_sn_kernelILb1ELi256ELi4ElDF16_PKffEviiT4_lPKT3_lilS5_lilPT5_i,"axG",@progbits,_ZL23rocblas_gemvt_sn_kernelILb1ELi256ELi4ElDF16_PKffEviiT4_lPKT3_lilS5_lilPT5_i,comdat
	.globl	_ZL23rocblas_gemvt_sn_kernelILb1ELi256ELi4ElDF16_PKffEviiT4_lPKT3_lilS5_lilPT5_i ; -- Begin function _ZL23rocblas_gemvt_sn_kernelILb1ELi256ELi4ElDF16_PKffEviiT4_lPKT3_lilS5_lilPT5_i
	.p2align	8
	.type	_ZL23rocblas_gemvt_sn_kernelILb1ELi256ELi4ElDF16_PKffEviiT4_lPKT3_lilS5_lilPT5_i,@function
_ZL23rocblas_gemvt_sn_kernelILb1ELi256ELi4ElDF16_PKffEviiT4_lPKT3_lilS5_lilPT5_i: ; @_ZL23rocblas_gemvt_sn_kernelILb1ELi256ELi4ElDF16_PKffEviiT4_lPKT3_lilS5_lilPT5_i
; %bb.0:
	s_clause 0x2
	s_load_b256 s[4:11], s[0:1], 0x8
	s_load_b64 s[12:13], s[0:1], 0x0
	s_load_b32 s20, s[0:1], 0x68
	s_mov_b32 s21, 0
	s_waitcnt lgkmcnt(0)
	s_mul_i32 s3, s15, s7
	s_mul_hi_u32 s7, s15, s6
	s_mul_i32 s2, s15, s6
	s_add_i32 s3, s7, s3
	s_mul_i32 s16, s13, s15
	s_lshl_b64 s[2:3], s[2:3], 2
	s_delay_alu instid0(SALU_CYCLE_1)
	s_add_u32 s2, s4, s2
	s_addc_u32 s3, s5, s3
	s_load_b32 s33, s[2:3], 0x0
	s_load_b128 s[4:7], s[0:1], 0x50
	s_ashr_i32 s30, s13, 31
	s_mul_hi_u32 s2, s13, s15
	s_mul_i32 s3, s30, s15
	s_delay_alu instid0(SALU_CYCLE_1) | instskip(SKIP_4) | instid1(SALU_CYCLE_1)
	s_add_i32 s2, s2, s3
	s_mul_hi_u32 s3, s16, s20
	s_mul_i32 s17, s2, s20
	s_mul_i32 s2, s16, s20
	s_add_i32 s3, s3, s17
	s_lshl_b64 s[2:3], s[2:3], 2
	s_waitcnt lgkmcnt(0)
	v_cmp_neq_f32_e64 s16, s33, 0
	s_add_u32 s42, s6, s2
	v_cmp_eq_u32_e64 s2, 0, v0
	s_addc_u32 s43, s7, s3
	s_delay_alu instid0(VALU_DEP_2)
	s_and_b32 vcc_lo, exec_lo, s16
	s_cbranch_vccnz .LBB415_5
; %bb.1:
	s_cmp_gt_i32 s13, 0
	s_cselect_b32 s3, -1, 0
	s_delay_alu instid0(SALU_CYCLE_1) | instskip(NEXT) | instid1(SALU_CYCLE_1)
	s_and_b32 s2, s2, s3
	s_and_saveexec_b32 s16, s2
	s_cbranch_execz .LBB415_4
; %bb.2:
	s_mov_b32 s2, s15
	s_mov_b32 s15, 0
	v_mov_b32_e32 v1, 0
	s_lshl_b64 s[6:7], s[14:15], 2
	s_mov_b32 s15, s2
	s_add_u32 s2, s42, s6
	s_addc_u32 s3, s43, s7
	s_lshl_b64 s[6:7], s[20:21], 2
	s_mov_b32 s17, s13
.LBB415_3:                              ; =>This Inner Loop Header: Depth=1
	s_delay_alu instid0(SALU_CYCLE_1)
	s_add_i32 s17, s17, -1
	global_store_b32 v1, v1, s[2:3]
	s_add_u32 s2, s2, s6
	s_addc_u32 s3, s3, s7
	s_cmp_eq_u32 s17, 0
	s_cbranch_scc0 .LBB415_3
.LBB415_4:
	s_or_b32 exec_lo, exec_lo, s16
	s_cbranch_execz .LBB415_6
	s_branch .LBB415_79
.LBB415_5:
.LBB415_6:
	s_clause 0x3
	s_load_b32 s22, s[0:1], 0x28
	s_load_b32 s24, s[0:1], 0x48
	s_load_b128 s[16:19], s[0:1], 0x30
	s_load_b64 s[0:1], s[0:1], 0x40
	s_mul_i32 s3, s15, s5
	s_mul_hi_u32 s5, s15, s4
	s_mul_i32 s2, s15, s4
	s_add_i32 s3, s5, s3
	v_and_b32_e32 v24, 31, v0
	s_lshl_b64 s[26:27], s[2:3], 1
	v_mbcnt_lo_u32_b32 v27, -1, 0
	v_lshrrev_b32_e32 v29, 3, v0
	s_waitcnt lgkmcnt(0)
	s_ashr_i32 s23, s22, 31
	s_ashr_i32 s25, s24, 31
	s_add_u32 s5, s18, s26
	s_addc_u32 s6, s19, s27
	s_lshl_b64 s[28:29], s[0:1], 1
	s_mul_i32 s3, s15, s17
	s_mul_hi_u32 s4, s15, s16
	s_add_u32 s44, s5, s28
	s_mul_i32 s2, s15, s16
	s_addc_u32 s45, s6, s29
	s_add_i32 s3, s4, s3
	v_cmp_gt_u32_e64 s0, 32, v0
	s_lshl_b64 s[16:17], s[2:3], 1
	v_cmp_gt_u32_e64 s1, 8, v0
	s_add_u32 s2, s8, s16
	s_addc_u32 s3, s9, s17
	s_lshl_b64 s[10:11], s[10:11], 1
	s_delay_alu instid0(SALU_CYCLE_1)
	s_add_u32 s2, s2, s10
	s_addc_u32 s3, s3, s11
	s_lshl_b32 s4, s14, 10
	s_ashr_i32 s5, s12, 31
	v_lshl_or_b32 v9, v0, 2, s4
	s_lshr_b32 s4, s30, 30
	s_lshr_b32 s5, s5, 30
	s_add_i32 s4, s13, s4
	s_add_i32 s5, s12, s5
	v_ashrrev_i32_e32 v10, 31, v9
	s_and_b32 s46, s4, -4
	s_and_b32 s4, s5, -4
	v_add_nc_u32_e32 v30, 4, v9
	s_sub_i32 s21, s12, s4
	v_lshlrev_b64 v[7:8], 1, v[9:10]
	v_or_b32_e32 v28, 1, v9
	v_or_b32_e32 v26, 2, v9
	v_add_nc_u32_e32 v31, s21, v9
	v_or_b32_e32 v25, 3, v9
	s_cmp_lt_i32 s46, 1
	v_add_co_u32 v5, vcc_lo, s2, v7
	v_add_co_ci_u32_e32 v6, vcc_lo, s3, v8, vcc_lo
	s_cbranch_scc1 .LBB415_54
; %bb.7:
	v_cmp_gt_u32_e32 vcc_lo, 16, v27
	v_mad_i64_i32 v[12:13], null, s24, v26, 0
	v_mad_i64_i32 v[14:15], null, s24, v25, 0
	v_cndmask_b32_e64 v1, 0, 1, vcc_lo
	v_cmp_gt_u32_e32 vcc_lo, 24, v27
	s_mov_b32 s15, 0
	s_cmp_gt_i32 s21, 0
	s_delay_alu instid0(VALU_DEP_4)
	v_lshlrev_b64 v[16:17], 1, v[12:13]
	v_lshlrev_b32_e32 v1, 4, v1
	v_cndmask_b32_e64 v2, 0, 1, vcc_lo
	v_cmp_gt_u32_e32 vcc_lo, 28, v27
	s_cselect_b32 s47, -1, 0
	s_lshl_b64 s[6:7], s[14:15], 2
	s_delay_alu instid0(VALU_DEP_2)
	v_dual_mov_b32 v39, 0 :: v_dual_lshlrev_b32 v2, 3, v2
	v_cndmask_b32_e64 v3, 0, 1, vcc_lo
	v_cmp_gt_u32_e32 vcc_lo, 30, v27
	s_add_u32 s48, s42, s6
	s_addc_u32 s49, s43, s7
	v_add_lshl_u32 v33, v2, v27, 2
	v_lshlrev_b32_e32 v3, 2, v3
	v_cndmask_b32_e64 v4, 0, 1, vcc_lo
	v_cmp_ne_u32_e32 vcc_lo, 31, v27
	v_dual_mov_b32 v21, v6 :: v_dual_mov_b32 v20, v5
	v_add_lshl_u32 v32, v1, v27, 2
	s_delay_alu instid0(VALU_DEP_4) | instskip(SKIP_3) | instid1(VALU_DEP_4)
	v_lshlrev_b32_e32 v4, 1, v4
	v_mad_i64_i32 v[1:2], null, s24, v9, 0
	v_add_lshl_u32 v34, v3, v27, 2
	v_add_co_ci_u32_e32 v10, vcc_lo, 0, v27, vcc_lo
	v_add_lshl_u32 v35, v4, v27, 2
	v_mad_i64_i32 v[3:4], null, s24, v28, 0
	v_lshlrev_b64 v[1:2], 1, v[1:2]
	s_delay_alu instid0(VALU_DEP_4) | instskip(SKIP_4) | instid1(VALU_DEP_3)
	v_lshlrev_b32_e32 v36, 2, v10
	s_add_u32 s6, s18, s28
	s_addc_u32 s7, s19, s29
	s_add_u32 s6, s6, s26
	s_addc_u32 s7, s7, s27
	v_lshlrev_b64 v[3:4], 1, v[3:4]
	v_add_co_u32 v10, vcc_lo, s44, v1
	v_add_co_ci_u32_e32 v11, vcc_lo, s45, v2, vcc_lo
	v_cmp_ge_i32_e64 s2, s12, v30
	s_delay_alu instid0(VALU_DEP_4)
	v_add_co_u32 v12, vcc_lo, s44, v3
	v_add_co_ci_u32_e32 v13, vcc_lo, s45, v4, vcc_lo
	v_lshlrev_b64 v[3:4], 1, v[14:15]
	v_add_co_u32 v14, vcc_lo, s44, v16
	v_add_co_ci_u32_e32 v15, vcc_lo, s45, v17, vcc_lo
	v_cmp_ge_i32_e64 s3, s12, v31
	s_delay_alu instid0(VALU_DEP_4)
	v_add_co_u32 v16, vcc_lo, s44, v3
	v_add_co_ci_u32_e32 v17, vcc_lo, s45, v4, vcc_lo
	v_add_co_u32 v18, vcc_lo, s6, v1
	v_cmp_eq_u32_e64 s4, 0, v24
	v_lshlrev_b32_e32 v37, 2, v24
	v_and_b32_e32 v38, 28, v29
	v_cmp_eq_u32_e64 s5, 0, v0
	v_add_co_ci_u32_e32 v19, vcc_lo, s7, v2, vcc_lo
	s_lshl_b64 s[30:31], s[24:25], 1
	s_lshl_b64 s[34:35], s[22:23], 3
	;; [unrolled: 1-line block ×4, first 2 shown]
	s_mul_hi_i32 s50, s22, 6
	s_mul_i32 s51, s22, 6
                                        ; implicit-def: $vgpr1_vgpr2_vgpr3_vgpr4
	s_branch .LBB415_9
.LBB415_8:                              ;   in Loop: Header=BB415_9 Depth=1
	s_or_b32 exec_lo, exec_lo, s6
	v_add_co_u32 v20, vcc_lo, v20, s34
	v_add_co_ci_u32_e32 v21, vcc_lo, s35, v21, vcc_lo
	s_add_i32 s15, s15, 4
	s_delay_alu instid0(SALU_CYCLE_1)
	s_cmp_ge_i32 s15, s46
	s_cbranch_scc1 .LBB415_55
.LBB415_9:                              ; =>This Loop Header: Depth=1
                                        ;     Child Loop BB415_40 Depth 2
                                        ;     Child Loop BB415_43 Depth 2
                                        ; implicit-def: $vgpr40
                                        ; implicit-def: $vgpr41
                                        ; implicit-def: $vgpr42
                                        ; implicit-def: $vgpr43
	s_and_saveexec_b32 s6, s2
	s_delay_alu instid0(SALU_CYCLE_1)
	s_xor_b32 s6, exec_lo, s6
	s_cbranch_execnz .LBB415_36
; %bb.10:                               ;   in Loop: Header=BB415_9 Depth=1
	s_and_not1_saveexec_b32 s52, s6
	s_cbranch_execnz .LBB415_37
.LBB415_11:                             ;   in Loop: Header=BB415_9 Depth=1
	s_or_b32 exec_lo, exec_lo, s52
	s_and_saveexec_b32 s6, s0
	s_cbranch_execz .LBB415_13
.LBB415_12:                             ;   in Loop: Header=BB415_9 Depth=1
	ds_store_b32 v37, v39
.LBB415_13:                             ;   in Loop: Header=BB415_9 Depth=1
	s_or_b32 exec_lo, exec_lo, s6
	ds_bpermute_b32 v22, v32, v43
	s_waitcnt lgkmcnt(0)
	s_waitcnt_vscnt null, 0x0
	s_barrier
	buffer_gl0_inv
	v_add_f32_e32 v22, v43, v22
	ds_bpermute_b32 v23, v33, v22
	s_waitcnt lgkmcnt(0)
	v_add_f32_e32 v22, v22, v23
	ds_bpermute_b32 v23, v34, v22
	s_waitcnt lgkmcnt(0)
	;; [unrolled: 3-line block ×3, first 2 shown]
	v_add_f32_e32 v22, v22, v23
	ds_bpermute_b32 v23, v36, v22
	s_and_saveexec_b32 s6, s4
	s_cbranch_execz .LBB415_15
; %bb.14:                               ;   in Loop: Header=BB415_9 Depth=1
	s_waitcnt lgkmcnt(0)
	v_add_f32_e32 v22, v22, v23
	ds_store_b32 v38, v22
.LBB415_15:                             ;   in Loop: Header=BB415_9 Depth=1
	s_or_b32 exec_lo, exec_lo, s6
	v_mov_b32_e32 v22, 0
	s_waitcnt lgkmcnt(0)
	s_barrier
	buffer_gl0_inv
	s_and_saveexec_b32 s6, s1
	s_cbranch_execnz .LBB415_45
; %bb.16:                               ;   in Loop: Header=BB415_9 Depth=1
	s_or_b32 exec_lo, exec_lo, s6
	s_and_saveexec_b32 s6, s0
	s_cbranch_execnz .LBB415_46
.LBB415_17:                             ;   in Loop: Header=BB415_9 Depth=1
	s_or_b32 exec_lo, exec_lo, s6
	s_and_saveexec_b32 s6, s0
	s_cbranch_execz .LBB415_19
.LBB415_18:                             ;   in Loop: Header=BB415_9 Depth=1
	ds_store_b32 v37, v39
.LBB415_19:                             ;   in Loop: Header=BB415_9 Depth=1
	s_or_b32 exec_lo, exec_lo, s6
	ds_bpermute_b32 v23, v32, v42
	s_waitcnt lgkmcnt(0)
	s_barrier
	buffer_gl0_inv
	v_add_f32_e32 v23, v42, v23
	ds_bpermute_b32 v42, v33, v23
	s_waitcnt lgkmcnt(0)
	v_add_f32_e32 v23, v23, v42
	ds_bpermute_b32 v42, v34, v23
	s_waitcnt lgkmcnt(0)
	;; [unrolled: 3-line block ×3, first 2 shown]
	v_add_f32_e32 v23, v23, v42
	ds_bpermute_b32 v42, v36, v23
	s_and_saveexec_b32 s6, s4
	s_cbranch_execz .LBB415_21
; %bb.20:                               ;   in Loop: Header=BB415_9 Depth=1
	s_waitcnt lgkmcnt(0)
	v_add_f32_e32 v23, v23, v42
	ds_store_b32 v38, v23
.LBB415_21:                             ;   in Loop: Header=BB415_9 Depth=1
	s_or_b32 exec_lo, exec_lo, s6
	v_mov_b32_e32 v23, 0
	s_waitcnt lgkmcnt(0)
	s_barrier
	buffer_gl0_inv
	s_and_saveexec_b32 s6, s1
	s_cbranch_execnz .LBB415_47
; %bb.22:                               ;   in Loop: Header=BB415_9 Depth=1
	s_or_b32 exec_lo, exec_lo, s6
	s_and_saveexec_b32 s6, s0
	s_cbranch_execnz .LBB415_48
.LBB415_23:                             ;   in Loop: Header=BB415_9 Depth=1
	s_or_b32 exec_lo, exec_lo, s6
	s_and_saveexec_b32 s6, s0
	s_cbranch_execz .LBB415_25
.LBB415_24:                             ;   in Loop: Header=BB415_9 Depth=1
	ds_store_b32 v37, v39
.LBB415_25:                             ;   in Loop: Header=BB415_9 Depth=1
	s_or_b32 exec_lo, exec_lo, s6
	ds_bpermute_b32 v42, v32, v41
	s_waitcnt lgkmcnt(0)
	s_barrier
	buffer_gl0_inv
	v_add_f32_e32 v41, v41, v42
	ds_bpermute_b32 v42, v33, v41
	s_waitcnt lgkmcnt(0)
	v_add_f32_e32 v41, v41, v42
	ds_bpermute_b32 v42, v34, v41
	s_waitcnt lgkmcnt(0)
	;; [unrolled: 3-line block ×3, first 2 shown]
	v_add_f32_e32 v41, v41, v42
	ds_bpermute_b32 v42, v36, v41
	s_and_saveexec_b32 s6, s4
	s_cbranch_execz .LBB415_27
; %bb.26:                               ;   in Loop: Header=BB415_9 Depth=1
	s_waitcnt lgkmcnt(0)
	v_add_f32_e32 v41, v41, v42
	ds_store_b32 v38, v41
.LBB415_27:                             ;   in Loop: Header=BB415_9 Depth=1
	s_or_b32 exec_lo, exec_lo, s6
	v_mov_b32_e32 v41, 0
	s_waitcnt lgkmcnt(0)
	s_barrier
	buffer_gl0_inv
	s_and_saveexec_b32 s6, s1
	s_cbranch_execnz .LBB415_49
; %bb.28:                               ;   in Loop: Header=BB415_9 Depth=1
	s_or_b32 exec_lo, exec_lo, s6
	s_and_saveexec_b32 s6, s0
	s_cbranch_execnz .LBB415_50
.LBB415_29:                             ;   in Loop: Header=BB415_9 Depth=1
	s_or_b32 exec_lo, exec_lo, s6
	s_and_saveexec_b32 s6, s0
	s_cbranch_execz .LBB415_31
.LBB415_30:                             ;   in Loop: Header=BB415_9 Depth=1
	ds_store_b32 v37, v39
.LBB415_31:                             ;   in Loop: Header=BB415_9 Depth=1
	s_or_b32 exec_lo, exec_lo, s6
	ds_bpermute_b32 v42, v32, v40
	s_waitcnt lgkmcnt(0)
	s_barrier
	buffer_gl0_inv
	v_add_f32_e32 v40, v40, v42
	ds_bpermute_b32 v42, v33, v40
	s_waitcnt lgkmcnt(0)
	v_add_f32_e32 v40, v40, v42
	ds_bpermute_b32 v42, v34, v40
	s_waitcnt lgkmcnt(0)
	;; [unrolled: 3-line block ×3, first 2 shown]
	v_add_f32_e32 v40, v40, v42
	ds_bpermute_b32 v42, v36, v40
	s_and_saveexec_b32 s6, s4
	s_cbranch_execz .LBB415_33
; %bb.32:                               ;   in Loop: Header=BB415_9 Depth=1
	s_waitcnt lgkmcnt(0)
	v_add_f32_e32 v40, v40, v42
	ds_store_b32 v38, v40
.LBB415_33:                             ;   in Loop: Header=BB415_9 Depth=1
	s_or_b32 exec_lo, exec_lo, s6
	v_mov_b32_e32 v40, 0
	s_waitcnt lgkmcnt(0)
	s_barrier
	buffer_gl0_inv
	s_and_saveexec_b32 s6, s1
	s_cbranch_execnz .LBB415_51
; %bb.34:                               ;   in Loop: Header=BB415_9 Depth=1
	s_or_b32 exec_lo, exec_lo, s6
	s_and_saveexec_b32 s6, s0
	s_cbranch_execnz .LBB415_52
.LBB415_35:                             ;   in Loop: Header=BB415_9 Depth=1
	s_or_b32 exec_lo, exec_lo, s6
	s_and_saveexec_b32 s6, s5
	s_cbranch_execz .LBB415_8
	s_branch .LBB415_53
.LBB415_36:                             ;   in Loop: Header=BB415_9 Depth=1
	s_mul_i32 s7, s15, s23
	s_mul_hi_u32 s40, s15, s22
	s_delay_alu instid0(SALU_CYCLE_1)
	s_add_i32 s41, s40, s7
	s_mul_i32 s40, s15, s22
	s_or_b32 s7, s15, 1
	s_lshl_b64 s[40:41], s[40:41], 1
	s_mul_i32 s52, s7, s23
	s_mul_hi_u32 s53, s7, s22
	v_add_co_u32 v1, vcc_lo, v5, s40
	v_add_co_ci_u32_e32 v2, vcc_lo, s41, v6, vcc_lo
	s_add_i32 s41, s53, s52
	s_mul_i32 s40, s7, s22
	s_or_b32 s7, s15, 2
	s_lshl_b64 s[40:41], s[40:41], 1
	s_mul_i32 s52, s7, s23
	s_mul_hi_u32 s53, s7, s22
	v_add_co_u32 v3, vcc_lo, v5, s40
	v_add_co_ci_u32_e32 v4, vcc_lo, s41, v6, vcc_lo
	s_add_i32 s41, s53, s52
	s_or_b32 s52, s15, 3
	s_mul_i32 s40, s7, s22
	s_mul_i32 s7, s52, s23
	s_mul_hi_u32 s53, s52, s22
	s_lshl_b64 s[40:41], s[40:41], 1
	s_add_i32 s53, s53, s7
	s_mul_i32 s52, s52, s22
	v_add_co_u32 v22, vcc_lo, v5, s40
	v_add_co_ci_u32_e32 v23, vcc_lo, s41, v6, vcc_lo
	s_lshl_b64 s[40:41], s[52:53], 1
	s_waitcnt lgkmcnt(0)
	v_add_co_u32 v40, vcc_lo, v5, s40
	v_add_co_ci_u32_e32 v41, vcc_lo, s41, v6, vcc_lo
	global_load_u16 v48, v[10:11], off
	s_clause 0x3
	global_load_b64 v[42:43], v[1:2], off
	global_load_b64 v[44:45], v[3:4], off
	;; [unrolled: 1-line block ×4, first 2 shown]
	s_clause 0x2
	global_load_u16 v3, v[12:13], off
	global_load_u16 v4, v[14:15], off
	;; [unrolled: 1-line block ×3, first 2 shown]
	s_waitcnt vmcnt(7)
	v_cvt_f32_f16_e32 v1, v48
	s_waitcnt vmcnt(6)
	v_fma_mix_f32 v41, v48, v42, 0 op_sel_hi:[1,1,0]
	s_waitcnt vmcnt(5)
	v_fma_mix_f32 v49, v48, v44, 0 op_sel_hi:[1,1,0]
	;; [unrolled: 2-line block ×4, first 2 shown]
	s_waitcnt vmcnt(2)
	v_cvt_f32_f16_e32 v2, v3
	v_fma_mix_f32 v41, v3, v42, v41 op_sel:[0,1,0] op_sel_hi:[1,1,0]
	v_fma_mix_f32 v42, v3, v44, v49 op_sel:[0,1,0] op_sel_hi:[1,1,0]
	v_fma_mix_f32 v22, v3, v22, v50 op_sel:[0,1,0] op_sel_hi:[1,1,0]
	v_fma_mix_f32 v44, v3, v46, v48 op_sel:[0,1,0] op_sel_hi:[1,1,0]
	s_waitcnt vmcnt(1)
	v_cvt_f32_f16_e32 v3, v4
	v_fma_mix_f32 v41, v4, v43, v41 op_sel_hi:[1,1,0]
	v_fma_mix_f32 v42, v4, v45, v42 op_sel_hi:[1,1,0]
	;; [unrolled: 1-line block ×4, first 2 shown]
	s_waitcnt vmcnt(0)
	v_cvt_f32_f16_e32 v4, v40
	v_fma_mix_f32 v43, v40, v43, v41 op_sel:[0,1,0] op_sel_hi:[1,1,0]
	v_fma_mix_f32 v42, v40, v45, v42 op_sel:[0,1,0] op_sel_hi:[1,1,0]
	;; [unrolled: 1-line block ×4, first 2 shown]
	s_and_not1_saveexec_b32 s52, s6
	s_cbranch_execz .LBB415_11
.LBB415_37:                             ;   in Loop: Header=BB415_9 Depth=1
	s_waitcnt lgkmcnt(0)
	v_dual_mov_b32 v40, 0 :: v_dual_mov_b32 v41, 0
	v_dual_mov_b32 v42, 0 :: v_dual_mov_b32 v43, 0
	s_and_saveexec_b32 s53, s3
	s_cbranch_execz .LBB415_44
; %bb.38:                               ;   in Loop: Header=BB415_9 Depth=1
	s_and_not1_b32 vcc_lo, exec_lo, s47
	s_cbranch_vccnz .LBB415_41
; %bb.39:                               ;   in Loop: Header=BB415_9 Depth=1
	v_dual_mov_b32 v23, v19 :: v_dual_mov_b32 v22, v18
	s_mov_b64 s[40:41], 0
	.p2align	6
.LBB415_40:                             ;   Parent Loop BB415_9 Depth=1
                                        ; =>  This Inner Loop Header: Depth=2
	global_load_u16 v40, v[22:23], off
	v_add_co_u32 v22, vcc_lo, v22, s30
	s_cmp_eq_u32 s40, 3
	v_add_co_ci_u32_e32 v23, vcc_lo, s31, v23, vcc_lo
	s_cselect_b32 vcc_lo, -1, 0
	s_cmp_eq_u32 s40, 2
	s_cselect_b32 s6, -1, 0
	s_cmp_eq_u32 s40, 1
	s_cselect_b32 s7, -1, 0
	s_cmp_eq_u32 s40, 0
	s_waitcnt vmcnt(0)
	v_cvt_f32_f16_e32 v40, v40
	s_delay_alu instid0(VALU_DEP_1)
	v_cndmask_b32_e32 v4, v4, v40, vcc_lo
	s_cselect_b32 vcc_lo, -1, 0
	v_cndmask_b32_e64 v3, v3, v40, s6
	v_cndmask_b32_e64 v2, v2, v40, s7
	v_cndmask_b32_e32 v1, v1, v40, vcc_lo
	s_add_u32 s40, s40, 1
	s_addc_u32 s41, s41, 0
	s_cmp_eq_u32 s21, s40
	s_cbranch_scc0 .LBB415_40
.LBB415_41:                             ;   in Loop: Header=BB415_9 Depth=1
	v_dual_mov_b32 v40, 0 :: v_dual_mov_b32 v41, 0
	v_dual_mov_b32 v42, 0 :: v_dual_mov_b32 v43, 0
	s_and_not1_b32 vcc_lo, exec_lo, s47
	s_cbranch_vccnz .LBB415_44
; %bb.42:                               ;   in Loop: Header=BB415_9 Depth=1
	v_dual_mov_b32 v23, v21 :: v_dual_mov_b32 v42, 0
	v_dual_mov_b32 v43, 0 :: v_dual_mov_b32 v22, v20
	;; [unrolled: 1-line block ×3, first 2 shown]
	s_mov_b64 s[40:41], 0
	s_set_inst_prefetch_distance 0x1
	.p2align	6
.LBB415_43:                             ;   Parent Loop BB415_9 Depth=1
                                        ; =>  This Inner Loop Header: Depth=2
	s_delay_alu instid0(VALU_DEP_2)
	v_add_co_u32 v44, vcc_lo, v22, s36
	v_add_co_ci_u32_e32 v45, vcc_lo, s37, v23, vcc_lo
	v_add_co_u32 v46, vcc_lo, v22, s38
	v_add_co_ci_u32_e32 v47, vcc_lo, s39, v23, vcc_lo
	;; [unrolled: 2-line block ×3, first 2 shown]
	s_clause 0x3
	global_load_u16 v50, v[22:23], off
	global_load_u16 v44, v[44:45], off
	global_load_u16 v45, v[46:47], off
	global_load_u16 v46, v[48:49], off
	s_cmp_eq_u32 s40, 1
	v_add_co_u32 v22, s6, v22, 2
	s_cselect_b32 vcc_lo, -1, 0
	s_cmp_eq_u32 s40, 2
	v_cndmask_b32_e32 v47, v1, v2, vcc_lo
	s_cselect_b32 vcc_lo, -1, 0
	s_cmp_eq_u32 s40, 3
	v_add_co_ci_u32_e64 v23, s6, 0, v23, s6
	s_delay_alu instid0(VALU_DEP_2)
	v_cndmask_b32_e32 v47, v47, v3, vcc_lo
	s_cselect_b32 vcc_lo, -1, 0
	s_add_u32 s40, s40, 1
	s_addc_u32 s41, s41, 0
	s_cmp_lg_u32 s21, s40
	v_cndmask_b32_e32 v47, v47, v4, vcc_lo
	s_waitcnt vmcnt(3)
	s_delay_alu instid0(VALU_DEP_1)
	v_fma_mix_f32 v43, v47, v50, v43 op_sel_hi:[0,1,0]
	s_waitcnt vmcnt(2)
	v_fma_mix_f32 v42, v47, v44, v42 op_sel_hi:[0,1,0]
	s_waitcnt vmcnt(1)
	;; [unrolled: 2-line block ×3, first 2 shown]
	v_fma_mix_f32 v40, v47, v46, v40 op_sel_hi:[0,1,0]
	s_cbranch_scc1 .LBB415_43
.LBB415_44:                             ;   in Loop: Header=BB415_9 Depth=1
	s_set_inst_prefetch_distance 0x2
	s_or_b32 exec_lo, exec_lo, s53
	s_delay_alu instid0(SALU_CYCLE_1)
	s_or_b32 exec_lo, exec_lo, s52
	s_and_saveexec_b32 s6, s0
	s_cbranch_execnz .LBB415_12
	s_branch .LBB415_13
.LBB415_45:                             ;   in Loop: Header=BB415_9 Depth=1
	ds_load_b32 v22, v37
	s_or_b32 exec_lo, exec_lo, s6
	s_and_saveexec_b32 s6, s0
	s_cbranch_execz .LBB415_17
.LBB415_46:                             ;   in Loop: Header=BB415_9 Depth=1
	s_waitcnt lgkmcnt(0)
	ds_bpermute_b32 v23, v34, v22
	s_waitcnt lgkmcnt(0)
	v_add_f32_e32 v22, v22, v23
	ds_bpermute_b32 v23, v35, v22
	s_waitcnt lgkmcnt(0)
	v_add_f32_e32 v22, v22, v23
	ds_bpermute_b32 v23, v36, v22
	s_waitcnt lgkmcnt(0)
	v_add_f32_e32 v22, v22, v23
	s_or_b32 exec_lo, exec_lo, s6
	s_and_saveexec_b32 s6, s0
	s_cbranch_execnz .LBB415_18
	s_branch .LBB415_19
.LBB415_47:                             ;   in Loop: Header=BB415_9 Depth=1
	ds_load_b32 v23, v37
	s_or_b32 exec_lo, exec_lo, s6
	s_and_saveexec_b32 s6, s0
	s_cbranch_execz .LBB415_23
.LBB415_48:                             ;   in Loop: Header=BB415_9 Depth=1
	s_waitcnt lgkmcnt(0)
	ds_bpermute_b32 v42, v34, v23
	s_waitcnt lgkmcnt(0)
	v_add_f32_e32 v23, v23, v42
	ds_bpermute_b32 v42, v35, v23
	s_waitcnt lgkmcnt(0)
	v_add_f32_e32 v23, v23, v42
	;; [unrolled: 3-line block ×3, first 2 shown]
	s_or_b32 exec_lo, exec_lo, s6
	s_and_saveexec_b32 s6, s0
	s_cbranch_execnz .LBB415_24
	s_branch .LBB415_25
.LBB415_49:                             ;   in Loop: Header=BB415_9 Depth=1
	ds_load_b32 v41, v37
	s_or_b32 exec_lo, exec_lo, s6
	s_and_saveexec_b32 s6, s0
	s_cbranch_execz .LBB415_29
.LBB415_50:                             ;   in Loop: Header=BB415_9 Depth=1
	s_waitcnt lgkmcnt(0)
	ds_bpermute_b32 v42, v34, v41
	s_waitcnt lgkmcnt(0)
	v_add_f32_e32 v41, v41, v42
	ds_bpermute_b32 v42, v35, v41
	s_waitcnt lgkmcnt(0)
	v_add_f32_e32 v41, v41, v42
	;; [unrolled: 3-line block ×3, first 2 shown]
	s_or_b32 exec_lo, exec_lo, s6
	s_and_saveexec_b32 s6, s0
	s_cbranch_execnz .LBB415_30
	s_branch .LBB415_31
.LBB415_51:                             ;   in Loop: Header=BB415_9 Depth=1
	ds_load_b32 v40, v37
	s_or_b32 exec_lo, exec_lo, s6
	s_and_saveexec_b32 s6, s0
	s_cbranch_execz .LBB415_35
.LBB415_52:                             ;   in Loop: Header=BB415_9 Depth=1
	s_waitcnt lgkmcnt(0)
	ds_bpermute_b32 v42, v34, v40
	s_waitcnt lgkmcnt(0)
	v_add_f32_e32 v40, v40, v42
	ds_bpermute_b32 v42, v35, v40
	s_waitcnt lgkmcnt(0)
	v_add_f32_e32 v40, v40, v42
	;; [unrolled: 3-line block ×3, first 2 shown]
	s_or_b32 exec_lo, exec_lo, s6
	s_and_saveexec_b32 s6, s5
	s_cbranch_execz .LBB415_8
.LBB415_53:                             ;   in Loop: Header=BB415_9 Depth=1
	s_mul_hi_u32 s41, s15, s20
	s_mul_i32 s40, s15, s20
	v_dual_mul_f32 v22, s33, v22 :: v_dual_mul_f32 v23, s33, v23
	s_lshl_b64 s[40:41], s[40:41], 2
	s_waitcnt lgkmcnt(0)
	v_mul_f32_e32 v40, s33, v40
	s_add_u32 s40, s48, s40
	s_addc_u32 s41, s49, s41
	s_or_b32 s7, s15, 1
	global_store_b32 v39, v22, s[40:41]
	s_mul_hi_u32 s53, s7, s20
	s_mul_i32 s52, s7, s20
	v_mul_f32_e32 v22, s33, v41
	s_lshl_b64 s[52:53], s[52:53], 2
	s_delay_alu instid0(SALU_CYCLE_1)
	s_add_u32 s52, s48, s52
	s_addc_u32 s53, s49, s53
	s_or_b32 s7, s15, 2
	global_store_b32 v39, v23, s[52:53]
	s_mul_hi_u32 s55, s7, s20
	s_mul_i32 s54, s7, s20
	s_delay_alu instid0(SALU_CYCLE_1) | instskip(NEXT) | instid1(SALU_CYCLE_1)
	s_lshl_b64 s[54:55], s[54:55], 2
	s_add_u32 s40, s48, s54
	s_addc_u32 s41, s49, s55
	s_or_b32 s7, s15, 3
	s_delay_alu instid0(SALU_CYCLE_1) | instskip(SKIP_1) | instid1(SALU_CYCLE_1)
	s_mul_hi_u32 s55, s7, s20
	s_mul_i32 s54, s7, s20
	s_lshl_b64 s[54:55], s[54:55], 2
	s_delay_alu instid0(SALU_CYCLE_1)
	s_add_u32 s52, s48, s54
	s_addc_u32 s53, s49, s55
	s_clause 0x1
	global_store_b32 v39, v22, s[40:41]
	global_store_b32 v39, v40, s[52:53]
	s_branch .LBB415_8
.LBB415_54:
	s_mov_b32 s15, 0
                                        ; implicit-def: $vgpr1_vgpr2_vgpr3_vgpr4
.LBB415_55:
	s_delay_alu instid0(SALU_CYCLE_1)
	s_cmp_ge_i32 s15, s13
	s_cbranch_scc1 .LBB415_79
; %bb.56:
	v_cmp_gt_u32_e32 vcc_lo, 16, v27
	v_cmp_ge_i32_e64 s0, s12, v30
	v_cmp_ge_i32_e64 s1, s12, v31
	v_mad_i64_i32 v[19:20], null, s24, v25, 0
	v_cndmask_b32_e64 v10, 0, 1, vcc_lo
	v_cmp_gt_u32_e32 vcc_lo, 24, v27
	s_cmp_gt_i32 s21, 0
	s_mov_b32 s31, 0
	s_mov_b32 s30, s14
	v_lshlrev_b32_e32 v10, 4, v10
	v_cndmask_b32_e64 v11, 0, 1, vcc_lo
	v_cmp_gt_u32_e32 vcc_lo, 28, v27
	s_cselect_b32 s12, -1, 0
	s_lshl_b64 s[6:7], s[30:31], 2
	v_add_lshl_u32 v22, v10, v27, 2
	v_lshlrev_b32_e32 v11, 3, v11
	v_cndmask_b32_e64 v12, 0, 1, vcc_lo
	v_cmp_gt_u32_e32 vcc_lo, 30, v27
	s_add_u32 s14, s42, s6
	s_addc_u32 s30, s43, s7
	v_add_lshl_u32 v23, v11, v27, 2
	v_lshlrev_b32_e32 v12, 2, v12
	v_cndmask_b32_e64 v13, 0, 1, vcc_lo
	v_cmp_ne_u32_e32 vcc_lo, 31, v27
	v_mad_i64_i32 v[10:11], null, s24, v9, 0
	s_delay_alu instid0(VALU_DEP_4) | instskip(NEXT) | instid1(VALU_DEP_4)
	v_add_lshl_u32 v30, v12, v27, 2
	v_lshlrev_b32_e32 v13, 1, v13
	v_add_co_ci_u32_e32 v14, vcc_lo, 0, v27, vcc_lo
	s_add_u32 s6, s18, s28
	s_addc_u32 s7, s19, s29
	s_delay_alu instid0(VALU_DEP_2)
	v_add_lshl_u32 v27, v13, v27, 2
	v_mad_i64_i32 v[12:13], null, s24, v28, 0
	v_lshlrev_b32_e32 v31, 2, v14
	v_mad_i64_i32 v[14:15], null, s24, v26, 0
	v_lshlrev_b64 v[17:18], 1, v[10:11]
	s_add_u32 s18, s6, s26
	s_mul_i32 s6, s23, s15
	s_delay_alu instid0(VALU_DEP_4)
	v_lshlrev_b64 v[11:12], 1, v[12:13]
	s_mul_hi_u32 s19, s22, s15
	s_addc_u32 s26, s7, s27
	v_add_co_u32 v9, vcc_lo, s44, v17
	v_lshlrev_b64 v[13:14], 1, v[14:15]
	v_add_co_ci_u32_e32 v10, vcc_lo, s45, v18, vcc_lo
	v_add_co_u32 v11, vcc_lo, s44, v11
	v_lshlrev_b64 v[15:16], 1, v[19:20]
	v_add_co_ci_u32_e32 v12, vcc_lo, s45, v12, vcc_lo
	v_add_co_u32 v13, vcc_lo, s44, v13
	v_add_co_ci_u32_e32 v14, vcc_lo, s45, v14, vcc_lo
	s_delay_alu instid0(VALU_DEP_4)
	v_add_co_u32 v15, vcc_lo, s44, v15
	s_add_i32 s7, s19, s6
	s_mul_i32 s6, s22, s15
	v_add_co_ci_u32_e32 v16, vcc_lo, s45, v16, vcc_lo
	s_lshl_b64 s[6:7], s[6:7], 1
	v_add_co_u32 v17, vcc_lo, s18, v17
	s_lshl_b64 s[18:19], s[24:25], 1
	s_add_u32 s6, s16, s6
	s_addc_u32 s7, s17, s7
	s_add_u32 s6, s6, s10
	s_addc_u32 s7, s7, s11
	s_add_u32 s6, s8, s6
	v_add_co_ci_u32_e32 v18, vcc_lo, s26, v18, vcc_lo
	s_addc_u32 s7, s9, s7
	v_add_co_u32 v7, vcc_lo, s6, v7
	v_cmp_gt_u32_e64 s2, 32, v0
	v_lshlrev_b32_e32 v21, 2, v24
	v_cmp_eq_u32_e64 s3, 0, v24
	v_and_b32_e32 v24, 28, v29
	v_cmp_gt_u32_e64 s4, 8, v0
	v_cmp_eq_u32_e64 s5, 0, v0
	v_mov_b32_e32 v0, 0
	v_add_co_ci_u32_e32 v8, vcc_lo, s7, v8, vcc_lo
	s_lshl_b64 s[8:9], s[22:23], 1
	s_branch .LBB415_58
.LBB415_57:                             ;   in Loop: Header=BB415_58 Depth=1
	s_or_b32 exec_lo, exec_lo, s6
	v_add_co_u32 v7, vcc_lo, v7, s8
	v_add_co_ci_u32_e32 v8, vcc_lo, s9, v8, vcc_lo
	s_add_i32 s15, s15, 1
	s_delay_alu instid0(SALU_CYCLE_1)
	s_cmp_ge_i32 s15, s13
	s_cbranch_scc1 .LBB415_79
.LBB415_58:                             ; =>This Loop Header: Depth=1
                                        ;     Child Loop BB415_71 Depth 2
                                        ;     Child Loop BB415_74 Depth 2
	v_mov_b32_e32 v25, s31
	s_and_saveexec_b32 s6, s0
	s_delay_alu instid0(SALU_CYCLE_1)
	s_xor_b32 s6, exec_lo, s6
	s_cbranch_execnz .LBB415_67
; %bb.59:                               ;   in Loop: Header=BB415_58 Depth=1
	s_and_not1_saveexec_b32 s16, s6
	s_cbranch_execnz .LBB415_68
.LBB415_60:                             ;   in Loop: Header=BB415_58 Depth=1
	s_or_b32 exec_lo, exec_lo, s16
	s_and_saveexec_b32 s6, s2
	s_cbranch_execz .LBB415_62
.LBB415_61:                             ;   in Loop: Header=BB415_58 Depth=1
	ds_store_b32 v21, v0
.LBB415_62:                             ;   in Loop: Header=BB415_58 Depth=1
	s_or_b32 exec_lo, exec_lo, s6
	s_waitcnt lgkmcnt(0)
	ds_bpermute_b32 v19, v22, v25
	s_waitcnt lgkmcnt(0)
	s_waitcnt_vscnt null, 0x0
	s_barrier
	buffer_gl0_inv
	v_add_f32_e32 v19, v25, v19
	ds_bpermute_b32 v20, v23, v19
	s_waitcnt lgkmcnt(0)
	v_add_f32_e32 v19, v19, v20
	ds_bpermute_b32 v20, v30, v19
	s_waitcnt lgkmcnt(0)
	;; [unrolled: 3-line block ×3, first 2 shown]
	v_add_f32_e32 v19, v19, v20
	ds_bpermute_b32 v20, v31, v19
	s_and_saveexec_b32 s6, s3
	s_cbranch_execz .LBB415_64
; %bb.63:                               ;   in Loop: Header=BB415_58 Depth=1
	s_waitcnt lgkmcnt(0)
	v_add_f32_e32 v19, v19, v20
	ds_store_b32 v24, v19
.LBB415_64:                             ;   in Loop: Header=BB415_58 Depth=1
	s_or_b32 exec_lo, exec_lo, s6
	v_mov_b32_e32 v19, 0
	s_waitcnt lgkmcnt(0)
	s_barrier
	buffer_gl0_inv
	s_and_saveexec_b32 s6, s4
	s_cbranch_execnz .LBB415_76
; %bb.65:                               ;   in Loop: Header=BB415_58 Depth=1
	s_or_b32 exec_lo, exec_lo, s6
	s_and_saveexec_b32 s6, s2
	s_cbranch_execnz .LBB415_77
.LBB415_66:                             ;   in Loop: Header=BB415_58 Depth=1
	s_or_b32 exec_lo, exec_lo, s6
	s_and_saveexec_b32 s6, s5
	s_cbranch_execz .LBB415_57
	s_branch .LBB415_78
.LBB415_67:                             ;   in Loop: Header=BB415_58 Depth=1
	s_mul_i32 s7, s15, s23
	s_mul_hi_u32 s11, s15, s22
	s_mul_i32 s10, s15, s22
	s_add_i32 s11, s11, s7
	s_delay_alu instid0(SALU_CYCLE_1) | instskip(NEXT) | instid1(SALU_CYCLE_1)
	s_lshl_b64 s[10:11], s[10:11], 1
	v_add_co_u32 v1, vcc_lo, v5, s10
	v_add_co_ci_u32_e32 v2, vcc_lo, s11, v6, vcc_lo
	s_waitcnt lgkmcnt(0)
	global_load_b64 v[19:20], v[1:2], off
	s_clause 0x3
	global_load_u16 v1, v[9:10], off
	global_load_u16 v2, v[11:12], off
	;; [unrolled: 1-line block ×4, first 2 shown]
	s_waitcnt vmcnt(3)
	v_fma_mix_f32 v4, v1, v19, 0 op_sel_hi:[1,1,0]
	v_cvt_f32_f16_e32 v1, v1
	s_waitcnt vmcnt(2)
	s_delay_alu instid0(VALU_DEP_2) | instskip(SKIP_2) | instid1(VALU_DEP_2)
	v_fma_mix_f32 v4, v2, v19, v4 op_sel:[0,1,0] op_sel_hi:[1,1,0]
	v_cvt_f32_f16_e32 v2, v2
	s_waitcnt vmcnt(1)
	v_fma_mix_f32 v19, v3, v20, v4 op_sel_hi:[1,1,0]
	v_cvt_f32_f16_e32 v3, v3
	s_waitcnt vmcnt(0)
	v_cvt_f32_f16_e32 v4, v25
	s_delay_alu instid0(VALU_DEP_3)
	v_fma_mix_f32 v25, v25, v20, v19 op_sel:[0,1,0] op_sel_hi:[1,1,0]
	s_and_not1_saveexec_b32 s16, s6
	s_cbranch_execz .LBB415_60
.LBB415_68:                             ;   in Loop: Header=BB415_58 Depth=1
	s_and_saveexec_b32 s17, s1
	s_cbranch_execz .LBB415_75
; %bb.69:                               ;   in Loop: Header=BB415_58 Depth=1
	s_and_not1_b32 vcc_lo, exec_lo, s12
	s_cbranch_vccnz .LBB415_72
; %bb.70:                               ;   in Loop: Header=BB415_58 Depth=1
	s_waitcnt lgkmcnt(0)
	v_dual_mov_b32 v20, v18 :: v_dual_mov_b32 v19, v17
	s_mov_b64 s[10:11], 0
	.p2align	6
.LBB415_71:                             ;   Parent Loop BB415_58 Depth=1
                                        ; =>  This Inner Loop Header: Depth=2
	global_load_u16 v26, v[19:20], off
	v_add_co_u32 v19, vcc_lo, v19, s18
	s_cmp_eq_u32 s10, 3
	v_add_co_ci_u32_e32 v20, vcc_lo, s19, v20, vcc_lo
	s_cselect_b32 vcc_lo, -1, 0
	s_cmp_eq_u32 s10, 2
	s_cselect_b32 s6, -1, 0
	s_cmp_eq_u32 s10, 1
	s_cselect_b32 s7, -1, 0
	s_cmp_eq_u32 s10, 0
	s_waitcnt vmcnt(0)
	v_cvt_f32_f16_e32 v26, v26
	s_delay_alu instid0(VALU_DEP_1)
	v_cndmask_b32_e32 v4, v4, v26, vcc_lo
	s_cselect_b32 vcc_lo, -1, 0
	v_cndmask_b32_e64 v3, v3, v26, s6
	v_cndmask_b32_e64 v2, v2, v26, s7
	v_cndmask_b32_e32 v1, v1, v26, vcc_lo
	s_add_u32 s10, s10, 1
	s_addc_u32 s11, s11, 0
	s_cmp_eq_u32 s21, s10
	s_cbranch_scc0 .LBB415_71
.LBB415_72:                             ;   in Loop: Header=BB415_58 Depth=1
	s_and_not1_b32 vcc_lo, exec_lo, s12
	s_cbranch_vccnz .LBB415_75
; %bb.73:                               ;   in Loop: Header=BB415_58 Depth=1
	s_waitcnt lgkmcnt(0)
	v_dual_mov_b32 v20, v8 :: v_dual_mov_b32 v19, v7
	s_mov_b64 s[6:7], 0
	.p2align	6
.LBB415_74:                             ;   Parent Loop BB415_58 Depth=1
                                        ; =>  This Inner Loop Header: Depth=2
	global_load_u16 v26, v[19:20], off
	s_cmp_eq_u32 s6, 1
	s_cselect_b32 vcc_lo, -1, 0
	s_cmp_eq_u32 s6, 2
	v_cndmask_b32_e32 v28, v1, v2, vcc_lo
	s_cselect_b32 vcc_lo, -1, 0
	s_cmp_eq_u32 s6, 3
	s_delay_alu instid0(VALU_DEP_1)
	v_cndmask_b32_e32 v28, v28, v3, vcc_lo
	s_cselect_b32 vcc_lo, -1, 0
	s_add_u32 s6, s6, 1
	s_addc_u32 s7, s7, 0
	s_cmp_lg_u32 s21, s6
	v_cndmask_b32_e32 v28, v28, v4, vcc_lo
	v_add_co_u32 v19, vcc_lo, v19, 2
	v_add_co_ci_u32_e32 v20, vcc_lo, 0, v20, vcc_lo
	s_waitcnt vmcnt(0)
	s_delay_alu instid0(VALU_DEP_3)
	v_fma_mix_f32 v25, v28, v26, v25 op_sel_hi:[0,1,0]
	s_cbranch_scc1 .LBB415_74
.LBB415_75:                             ;   in Loop: Header=BB415_58 Depth=1
	s_or_b32 exec_lo, exec_lo, s17
	s_delay_alu instid0(SALU_CYCLE_1)
	s_or_b32 exec_lo, exec_lo, s16
	s_and_saveexec_b32 s6, s2
	s_cbranch_execnz .LBB415_61
	s_branch .LBB415_62
.LBB415_76:                             ;   in Loop: Header=BB415_58 Depth=1
	ds_load_b32 v19, v21
	s_or_b32 exec_lo, exec_lo, s6
	s_and_saveexec_b32 s6, s2
	s_cbranch_execz .LBB415_66
.LBB415_77:                             ;   in Loop: Header=BB415_58 Depth=1
	s_waitcnt lgkmcnt(0)
	ds_bpermute_b32 v20, v30, v19
	s_waitcnt lgkmcnt(0)
	v_add_f32_e32 v19, v19, v20
	ds_bpermute_b32 v20, v27, v19
	s_waitcnt lgkmcnt(0)
	v_add_f32_e32 v19, v19, v20
	ds_bpermute_b32 v20, v31, v19
	s_waitcnt lgkmcnt(0)
	v_add_f32_e32 v19, v19, v20
	s_or_b32 exec_lo, exec_lo, s6
	s_and_saveexec_b32 s6, s5
	s_cbranch_execz .LBB415_57
.LBB415_78:                             ;   in Loop: Header=BB415_58 Depth=1
	s_mul_hi_u32 s11, s15, s20
	s_mul_i32 s10, s15, s20
	s_waitcnt lgkmcnt(0)
	v_mul_f32_e32 v19, s33, v19
	s_lshl_b64 s[10:11], s[10:11], 2
	s_delay_alu instid0(SALU_CYCLE_1)
	s_add_u32 s10, s14, s10
	s_addc_u32 s11, s30, s11
	global_store_b32 v0, v19, s[10:11]
	s_branch .LBB415_57
.LBB415_79:
	s_nop 0
	s_sendmsg sendmsg(MSG_DEALLOC_VGPRS)
	s_endpgm
	.section	.rodata,"a",@progbits
	.p2align	6, 0x0
	.amdhsa_kernel _ZL23rocblas_gemvt_sn_kernelILb1ELi256ELi4ElDF16_PKffEviiT4_lPKT3_lilS5_lilPT5_i
		.amdhsa_group_segment_fixed_size 128
		.amdhsa_private_segment_fixed_size 0
		.amdhsa_kernarg_size 360
		.amdhsa_user_sgpr_count 14
		.amdhsa_user_sgpr_dispatch_ptr 0
		.amdhsa_user_sgpr_queue_ptr 0
		.amdhsa_user_sgpr_kernarg_segment_ptr 1
		.amdhsa_user_sgpr_dispatch_id 0
		.amdhsa_user_sgpr_private_segment_size 0
		.amdhsa_wavefront_size32 1
		.amdhsa_uses_dynamic_stack 0
		.amdhsa_enable_private_segment 0
		.amdhsa_system_sgpr_workgroup_id_x 1
		.amdhsa_system_sgpr_workgroup_id_y 0
		.amdhsa_system_sgpr_workgroup_id_z 1
		.amdhsa_system_sgpr_workgroup_info 0
		.amdhsa_system_vgpr_workitem_id 0
		.amdhsa_next_free_vgpr 51
		.amdhsa_next_free_sgpr 56
		.amdhsa_reserve_vcc 1
		.amdhsa_float_round_mode_32 0
		.amdhsa_float_round_mode_16_64 0
		.amdhsa_float_denorm_mode_32 3
		.amdhsa_float_denorm_mode_16_64 3
		.amdhsa_dx10_clamp 1
		.amdhsa_ieee_mode 1
		.amdhsa_fp16_overflow 0
		.amdhsa_workgroup_processor_mode 1
		.amdhsa_memory_ordered 1
		.amdhsa_forward_progress 0
		.amdhsa_shared_vgpr_count 0
		.amdhsa_exception_fp_ieee_invalid_op 0
		.amdhsa_exception_fp_denorm_src 0
		.amdhsa_exception_fp_ieee_div_zero 0
		.amdhsa_exception_fp_ieee_overflow 0
		.amdhsa_exception_fp_ieee_underflow 0
		.amdhsa_exception_fp_ieee_inexact 0
		.amdhsa_exception_int_div_zero 0
	.end_amdhsa_kernel
	.section	.text._ZL23rocblas_gemvt_sn_kernelILb1ELi256ELi4ElDF16_PKffEviiT4_lPKT3_lilS5_lilPT5_i,"axG",@progbits,_ZL23rocblas_gemvt_sn_kernelILb1ELi256ELi4ElDF16_PKffEviiT4_lPKT3_lilS5_lilPT5_i,comdat
.Lfunc_end415:
	.size	_ZL23rocblas_gemvt_sn_kernelILb1ELi256ELi4ElDF16_PKffEviiT4_lPKT3_lilS5_lilPT5_i, .Lfunc_end415-_ZL23rocblas_gemvt_sn_kernelILb1ELi256ELi4ElDF16_PKffEviiT4_lPKT3_lilS5_lilPT5_i
                                        ; -- End function
	.section	.AMDGPU.csdata,"",@progbits
; Kernel info:
; codeLenInByte = 4320
; NumSgprs: 58
; NumVgprs: 51
; ScratchSize: 0
; MemoryBound: 0
; FloatMode: 240
; IeeeMode: 1
; LDSByteSize: 128 bytes/workgroup (compile time only)
; SGPRBlocks: 7
; VGPRBlocks: 6
; NumSGPRsForWavesPerEU: 58
; NumVGPRsForWavesPerEU: 51
; Occupancy: 16
; WaveLimiterHint : 1
; COMPUTE_PGM_RSRC2:SCRATCH_EN: 0
; COMPUTE_PGM_RSRC2:USER_SGPR: 14
; COMPUTE_PGM_RSRC2:TRAP_HANDLER: 0
; COMPUTE_PGM_RSRC2:TGID_X_EN: 1
; COMPUTE_PGM_RSRC2:TGID_Y_EN: 0
; COMPUTE_PGM_RSRC2:TGID_Z_EN: 1
; COMPUTE_PGM_RSRC2:TIDIG_COMP_CNT: 0
	.section	.text._ZL23rocblas_gemvt_sn_kernelILb1ELi256ELi4EiDF16_ffEviiT4_lPKT3_lilS3_lilPT5_i,"axG",@progbits,_ZL23rocblas_gemvt_sn_kernelILb1ELi256ELi4EiDF16_ffEviiT4_lPKT3_lilS3_lilPT5_i,comdat
	.globl	_ZL23rocblas_gemvt_sn_kernelILb1ELi256ELi4EiDF16_ffEviiT4_lPKT3_lilS3_lilPT5_i ; -- Begin function _ZL23rocblas_gemvt_sn_kernelILb1ELi256ELi4EiDF16_ffEviiT4_lPKT3_lilS3_lilPT5_i
	.p2align	8
	.type	_ZL23rocblas_gemvt_sn_kernelILb1ELi256ELi4EiDF16_ffEviiT4_lPKT3_lilS3_lilPT5_i,@function
_ZL23rocblas_gemvt_sn_kernelILb1ELi256ELi4EiDF16_ffEviiT4_lPKT3_lilS3_lilPT5_i: ; @_ZL23rocblas_gemvt_sn_kernelILb1ELi256ELi4EiDF16_ffEviiT4_lPKT3_lilS3_lilPT5_i
; %bb.0:
	s_clause 0x2
	s_load_b128 s[8:11], s[0:1], 0x0
	s_load_b32 s12, s[0:1], 0x68
	s_load_b128 s[4:7], s[0:1], 0x50
	s_waitcnt lgkmcnt(0)
	s_ashr_i32 s21, s9, 31
	s_mul_hi_u32 s2, s9, s15
	s_mul_i32 s3, s21, s15
	s_mul_i32 s11, s9, s15
	s_add_i32 s2, s2, s3
	s_mul_hi_u32 s3, s11, s12
	s_mul_i32 s13, s2, s12
	s_mul_i32 s2, s11, s12
	s_add_i32 s3, s3, s13
	v_cmp_neq_f32_e64 s11, s10, 0
	s_lshl_b64 s[2:3], s[2:3], 2
	s_mov_b32 s13, 0
	s_add_u32 s38, s6, s2
	v_cmp_eq_u32_e64 s2, 0, v0
	s_addc_u32 s37, s7, s3
	s_and_b32 vcc_lo, exec_lo, s11
	s_cbranch_vccnz .LBB416_5
; %bb.1:
	s_cmp_gt_i32 s9, 0
	s_cselect_b32 s3, -1, 0
	s_delay_alu instid0(SALU_CYCLE_1) | instskip(NEXT) | instid1(SALU_CYCLE_1)
	s_and_b32 s2, s2, s3
	s_and_saveexec_b32 s11, s2
	s_cbranch_execz .LBB416_4
; %bb.2:
	s_mov_b32 s2, s15
	s_mov_b32 s15, 0
	v_mov_b32_e32 v1, 0
	s_lshl_b64 s[6:7], s[14:15], 2
	s_mov_b32 s15, s2
	s_add_u32 s2, s38, s6
	s_addc_u32 s3, s37, s7
	s_lshl_b64 s[6:7], s[12:13], 2
	s_mov_b32 s13, s9
.LBB416_3:                              ; =>This Inner Loop Header: Depth=1
	s_delay_alu instid0(SALU_CYCLE_1)
	s_add_i32 s13, s13, -1
	global_store_b32 v1, v1, s[2:3]
	s_add_u32 s2, s2, s6
	s_addc_u32 s3, s3, s7
	s_cmp_eq_u32 s13, 0
	s_cbranch_scc0 .LBB416_3
.LBB416_4:
	s_or_b32 exec_lo, exec_lo, s11
	s_cbranch_execz .LBB416_6
	s_branch .LBB416_79
.LBB416_5:
.LBB416_6:
	s_clause 0x2
	s_load_b128 s[24:27], s[0:1], 0x30
	s_load_b64 s[2:3], s[0:1], 0x40
	s_load_b128 s[16:19], s[0:1], 0x18
	s_mul_i32 s5, s15, s5
	s_mul_hi_u32 s6, s15, s4
	s_mul_i32 s4, s15, s4
	s_add_i32 s5, s6, s5
	s_clause 0x1
	s_load_b32 s20, s[0:1], 0x28
	s_load_b32 s33, s[0:1], 0x48
	s_lshl_b64 s[4:5], s[4:5], 1
	v_and_b32_e32 v6, 31, v0
	v_cmp_gt_u32_e64 s0, 32, v0
	v_mbcnt_lo_u32_b32 v22, -1, 0
	v_lshrrev_b32_e32 v23, 3, v0
	s_waitcnt lgkmcnt(0)
	s_add_u32 s6, s26, s4
	s_addc_u32 s5, s27, s5
	s_lshl_b64 s[2:3], s[2:3], 1
	s_mul_i32 s7, s15, s25
	s_mul_hi_u32 s22, s15, s24
	s_add_u32 s11, s6, s2
	s_mul_i32 s4, s15, s24
	s_addc_u32 s13, s5, s3
	s_add_i32 s5, s22, s7
	s_delay_alu instid0(SALU_CYCLE_1) | instskip(NEXT) | instid1(SALU_CYCLE_1)
	s_lshl_b64 s[22:23], s[4:5], 1
	s_add_u32 s1, s16, s22
	s_addc_u32 s2, s17, s23
	s_lshl_b64 s[18:19], s[18:19], 1
	s_delay_alu instid0(SALU_CYCLE_1)
	s_add_u32 s3, s1, s18
	s_addc_u32 s2, s2, s19
	s_lshl_b32 s1, s14, 10
	s_ashr_i32 s4, s8, 31
	v_lshl_or_b32 v1, v0, 2, s1
	s_lshr_b32 s4, s4, 30
	s_lshr_b32 s5, s21, 30
	s_add_i32 s4, s8, s4
	s_add_i32 s5, s9, s5
	v_ashrrev_i32_e32 v2, 31, v1
	s_and_b32 s4, s4, -4
	v_mul_lo_u32 v5, v1, s33
	s_sub_i32 s36, s8, s4
	v_cmp_gt_u32_e64 s1, 8, v0
	v_lshlrev_b64 v[7:8], 1, v[1:2]
	v_add_nc_u32_e32 v24, 4, v1
	v_add_nc_u32_e32 v25, s36, v1
	s_and_b32 s15, s5, -4
	s_delay_alu instid0(SALU_CYCLE_1) | instskip(NEXT) | instid1(VALU_DEP_3)
	s_cmp_lt_i32 s15, 1
	v_add_co_u32 v20, vcc_lo, s3, v7
	v_add_co_ci_u32_e32 v21, vcc_lo, s2, v8, vcc_lo
	s_cbranch_scc1 .LBB416_54
; %bb.7:
	v_cmp_gt_u32_e32 vcc_lo, 16, v22
	v_mul_lo_u32 v9, v1, s33
	s_cmp_gt_i32 s36, 0
	s_mov_b32 s25, 0
	s_cselect_b32 s39, -1, 0
	v_cndmask_b32_e64 v2, 0, 1, vcc_lo
	v_cmp_gt_u32_e32 vcc_lo, 24, v22
	s_lshl_b32 s40, s20, 2
	s_lshl_b32 s24, s20, 1
	s_add_u32 s6, s22, s18
	v_dual_mov_b32 v35, 0 :: v_dual_lshlrev_b32 v2, 4, v2
	v_cndmask_b32_e64 v3, 0, 1, vcc_lo
	v_cmp_gt_u32_e32 vcc_lo, 28, v22
	s_addc_u32 s7, s23, s19
	s_delay_alu instid0(VALU_DEP_3)
	v_add_lshl_u32 v26, v2, v22, 2
	s_add_u32 s6, s16, s6
	v_lshlrev_b32_e32 v2, 3, v3
	v_cndmask_b32_e64 v4, 0, 1, vcc_lo
	v_cmp_gt_u32_e32 vcc_lo, 30, v22
	s_addc_u32 s7, s17, s7
	v_cmp_ge_i32_e64 s2, s8, v24
	v_add_lshl_u32 v27, v2, v22, 2
	v_lshlrev_b32_e32 v3, 2, v4
	v_cndmask_b32_e64 v10, 0, 1, vcc_lo
	v_cmp_ne_u32_e32 vcc_lo, 31, v22
	v_cmp_ge_i32_e64 s3, s8, v25
	v_cmp_eq_u32_e64 s4, 0, v6
	v_add_lshl_u32 v28, v3, v22, 2
	v_lshlrev_b32_e32 v1, 1, v10
	v_ashrrev_i32_e32 v10, 31, v9
	v_add_co_ci_u32_e32 v4, vcc_lo, 0, v22, vcc_lo
	v_lshlrev_b32_e32 v31, 2, v6
	s_delay_alu instid0(VALU_DEP_4)
	v_add_lshl_u32 v29, v1, v22, 2
	v_add_nc_u32_e32 v1, s33, v9
	v_lshlrev_b64 v[10:11], 1, v[9:10]
	v_lshlrev_b32_e32 v30, 2, v4
	v_and_b32_e32 v32, 28, v23
	v_cmp_eq_u32_e64 s5, 0, v0
	v_add_nc_u32_e32 v3, s33, v1
	v_ashrrev_i32_e32 v2, 31, v1
	v_add_co_u32 v10, vcc_lo, s11, v10
	v_add_co_ci_u32_e32 v11, vcc_lo, s13, v11, vcc_lo
	s_delay_alu instid0(VALU_DEP_4) | instskip(NEXT) | instid1(VALU_DEP_4)
	v_add_nc_u32_e32 v14, s33, v3
	v_lshlrev_b64 v[1:2], 1, v[1:2]
	v_ashrrev_i32_e32 v4, 31, v3
	s_mov_b32 s21, s25
	s_mul_i32 s41, s20, 3
	v_ashrrev_i32_e32 v15, 31, v14
	s_mov_b32 s42, s25
	v_lshlrev_b64 v[3:4], 1, v[3:4]
	v_add_co_u32 v12, vcc_lo, s11, v1
	v_add_co_ci_u32_e32 v13, vcc_lo, s13, v2, vcc_lo
	v_lshlrev_b64 v[1:2], 1, v[14:15]
	s_delay_alu instid0(VALU_DEP_4) | instskip(SKIP_2) | instid1(VALU_DEP_3)
	v_add_co_u32 v14, vcc_lo, s11, v3
	v_add_co_ci_u32_e32 v15, vcc_lo, s13, v4, vcc_lo
	s_mov_b32 s26, s25
	v_add_co_u32 v16, vcc_lo, s11, v1
	s_delay_alu instid0(VALU_DEP_4)
	v_add_co_ci_u32_e32 v17, vcc_lo, s13, v2, vcc_lo
	v_add_co_u32 v33, vcc_lo, s6, v7
	v_add_co_ci_u32_e32 v34, vcc_lo, s7, v8, vcc_lo
	s_mov_b64 s[28:29], s[24:25]
	s_mov_b64 s[30:31], s[20:21]
	s_mov_b32 s21, 0
                                        ; implicit-def: $vgpr1_vgpr2_vgpr3_vgpr4
	s_branch .LBB416_9
.LBB416_8:                              ;   in Loop: Header=BB416_9 Depth=1
	s_or_b32 exec_lo, exec_lo, s6
	s_add_i32 s21, s21, 4
	s_add_u32 s30, s30, s40
	s_addc_u32 s31, s31, 0
	s_add_u32 s28, s28, s40
	s_addc_u32 s29, s29, 0
	;; [unrolled: 2-line block ×3, first 2 shown]
	s_add_i32 s26, s26, s40
	s_cmp_ge_i32 s21, s15
	s_cbranch_scc1 .LBB416_55
.LBB416_9:                              ; =>This Loop Header: Depth=1
                                        ;     Child Loop BB416_40 Depth 2
                                        ;     Child Loop BB416_43 Depth 2
                                        ; implicit-def: $vgpr36
                                        ; implicit-def: $vgpr37
                                        ; implicit-def: $vgpr38
                                        ; implicit-def: $vgpr39
	s_and_saveexec_b32 s6, s2
	s_delay_alu instid0(SALU_CYCLE_1)
	s_xor_b32 s6, exec_lo, s6
	s_cbranch_execnz .LBB416_36
; %bb.10:                               ;   in Loop: Header=BB416_9 Depth=1
	s_and_not1_saveexec_b32 s24, s6
	s_cbranch_execnz .LBB416_37
.LBB416_11:                             ;   in Loop: Header=BB416_9 Depth=1
	s_or_b32 exec_lo, exec_lo, s24
	s_and_saveexec_b32 s6, s0
	s_cbranch_execz .LBB416_13
.LBB416_12:                             ;   in Loop: Header=BB416_9 Depth=1
	ds_store_b32 v31, v35
.LBB416_13:                             ;   in Loop: Header=BB416_9 Depth=1
	s_or_b32 exec_lo, exec_lo, s6
	ds_bpermute_b32 v18, v26, v39
	s_waitcnt lgkmcnt(0)
	s_waitcnt_vscnt null, 0x0
	s_barrier
	buffer_gl0_inv
	v_add_f32_e32 v18, v39, v18
	ds_bpermute_b32 v19, v27, v18
	s_waitcnt lgkmcnt(0)
	v_add_f32_e32 v18, v18, v19
	ds_bpermute_b32 v19, v28, v18
	s_waitcnt lgkmcnt(0)
	;; [unrolled: 3-line block ×3, first 2 shown]
	v_add_f32_e32 v18, v18, v19
	ds_bpermute_b32 v19, v30, v18
	s_and_saveexec_b32 s6, s4
	s_cbranch_execz .LBB416_15
; %bb.14:                               ;   in Loop: Header=BB416_9 Depth=1
	s_waitcnt lgkmcnt(0)
	v_add_f32_e32 v18, v18, v19
	ds_store_b32 v32, v18
.LBB416_15:                             ;   in Loop: Header=BB416_9 Depth=1
	s_or_b32 exec_lo, exec_lo, s6
	v_mov_b32_e32 v18, 0
	s_waitcnt lgkmcnt(0)
	s_barrier
	buffer_gl0_inv
	s_and_saveexec_b32 s6, s1
	s_cbranch_execnz .LBB416_45
; %bb.16:                               ;   in Loop: Header=BB416_9 Depth=1
	s_or_b32 exec_lo, exec_lo, s6
	s_and_saveexec_b32 s6, s0
	s_cbranch_execnz .LBB416_46
.LBB416_17:                             ;   in Loop: Header=BB416_9 Depth=1
	s_or_b32 exec_lo, exec_lo, s6
	s_and_saveexec_b32 s6, s0
	s_cbranch_execz .LBB416_19
.LBB416_18:                             ;   in Loop: Header=BB416_9 Depth=1
	ds_store_b32 v31, v35
.LBB416_19:                             ;   in Loop: Header=BB416_9 Depth=1
	s_or_b32 exec_lo, exec_lo, s6
	ds_bpermute_b32 v19, v26, v38
	s_waitcnt lgkmcnt(0)
	s_barrier
	buffer_gl0_inv
	v_add_f32_e32 v19, v38, v19
	ds_bpermute_b32 v38, v27, v19
	s_waitcnt lgkmcnt(0)
	v_add_f32_e32 v19, v19, v38
	ds_bpermute_b32 v38, v28, v19
	s_waitcnt lgkmcnt(0)
	;; [unrolled: 3-line block ×3, first 2 shown]
	v_add_f32_e32 v19, v19, v38
	ds_bpermute_b32 v38, v30, v19
	s_and_saveexec_b32 s6, s4
	s_cbranch_execz .LBB416_21
; %bb.20:                               ;   in Loop: Header=BB416_9 Depth=1
	s_waitcnt lgkmcnt(0)
	v_add_f32_e32 v19, v19, v38
	ds_store_b32 v32, v19
.LBB416_21:                             ;   in Loop: Header=BB416_9 Depth=1
	s_or_b32 exec_lo, exec_lo, s6
	v_mov_b32_e32 v19, 0
	s_waitcnt lgkmcnt(0)
	s_barrier
	buffer_gl0_inv
	s_and_saveexec_b32 s6, s1
	s_cbranch_execnz .LBB416_47
; %bb.22:                               ;   in Loop: Header=BB416_9 Depth=1
	s_or_b32 exec_lo, exec_lo, s6
	s_and_saveexec_b32 s6, s0
	s_cbranch_execnz .LBB416_48
.LBB416_23:                             ;   in Loop: Header=BB416_9 Depth=1
	s_or_b32 exec_lo, exec_lo, s6
	s_and_saveexec_b32 s6, s0
	s_cbranch_execz .LBB416_25
.LBB416_24:                             ;   in Loop: Header=BB416_9 Depth=1
	ds_store_b32 v31, v35
.LBB416_25:                             ;   in Loop: Header=BB416_9 Depth=1
	s_or_b32 exec_lo, exec_lo, s6
	ds_bpermute_b32 v38, v26, v37
	s_waitcnt lgkmcnt(0)
	s_barrier
	buffer_gl0_inv
	v_add_f32_e32 v37, v37, v38
	ds_bpermute_b32 v38, v27, v37
	s_waitcnt lgkmcnt(0)
	v_add_f32_e32 v37, v37, v38
	ds_bpermute_b32 v38, v28, v37
	s_waitcnt lgkmcnt(0)
	;; [unrolled: 3-line block ×3, first 2 shown]
	v_add_f32_e32 v37, v37, v38
	ds_bpermute_b32 v38, v30, v37
	s_and_saveexec_b32 s6, s4
	s_cbranch_execz .LBB416_27
; %bb.26:                               ;   in Loop: Header=BB416_9 Depth=1
	s_waitcnt lgkmcnt(0)
	v_add_f32_e32 v37, v37, v38
	ds_store_b32 v32, v37
.LBB416_27:                             ;   in Loop: Header=BB416_9 Depth=1
	s_or_b32 exec_lo, exec_lo, s6
	v_mov_b32_e32 v37, 0
	s_waitcnt lgkmcnt(0)
	s_barrier
	buffer_gl0_inv
	s_and_saveexec_b32 s6, s1
	s_cbranch_execnz .LBB416_49
; %bb.28:                               ;   in Loop: Header=BB416_9 Depth=1
	s_or_b32 exec_lo, exec_lo, s6
	s_and_saveexec_b32 s6, s0
	s_cbranch_execnz .LBB416_50
.LBB416_29:                             ;   in Loop: Header=BB416_9 Depth=1
	s_or_b32 exec_lo, exec_lo, s6
	s_and_saveexec_b32 s6, s0
	s_cbranch_execz .LBB416_31
.LBB416_30:                             ;   in Loop: Header=BB416_9 Depth=1
	ds_store_b32 v31, v35
.LBB416_31:                             ;   in Loop: Header=BB416_9 Depth=1
	s_or_b32 exec_lo, exec_lo, s6
	ds_bpermute_b32 v38, v26, v36
	s_waitcnt lgkmcnt(0)
	s_barrier
	buffer_gl0_inv
	v_add_f32_e32 v36, v36, v38
	ds_bpermute_b32 v38, v27, v36
	s_waitcnt lgkmcnt(0)
	v_add_f32_e32 v36, v36, v38
	ds_bpermute_b32 v38, v28, v36
	s_waitcnt lgkmcnt(0)
	;; [unrolled: 3-line block ×3, first 2 shown]
	v_add_f32_e32 v36, v36, v38
	ds_bpermute_b32 v38, v30, v36
	s_and_saveexec_b32 s6, s4
	s_cbranch_execz .LBB416_33
; %bb.32:                               ;   in Loop: Header=BB416_9 Depth=1
	s_waitcnt lgkmcnt(0)
	v_add_f32_e32 v36, v36, v38
	ds_store_b32 v32, v36
.LBB416_33:                             ;   in Loop: Header=BB416_9 Depth=1
	s_or_b32 exec_lo, exec_lo, s6
	v_mov_b32_e32 v36, 0
	s_waitcnt lgkmcnt(0)
	s_barrier
	buffer_gl0_inv
	s_and_saveexec_b32 s6, s1
	s_cbranch_execnz .LBB416_51
; %bb.34:                               ;   in Loop: Header=BB416_9 Depth=1
	s_or_b32 exec_lo, exec_lo, s6
	s_and_saveexec_b32 s6, s0
	s_cbranch_execnz .LBB416_52
.LBB416_35:                             ;   in Loop: Header=BB416_9 Depth=1
	s_or_b32 exec_lo, exec_lo, s6
	s_and_saveexec_b32 s6, s5
	s_cbranch_execz .LBB416_8
	s_branch .LBB416_53
.LBB416_36:                             ;   in Loop: Header=BB416_9 Depth=1
	s_mul_i32 s34, s21, s20
	s_delay_alu instid0(SALU_CYCLE_1)
	s_ashr_i32 s35, s34, 31
	s_add_i32 s44, s34, s20
	s_lshl_b64 s[34:35], s[34:35], 1
	s_ashr_i32 s45, s44, 31
	v_add_co_u32 v1, vcc_lo, v20, s34
	v_add_co_ci_u32_e32 v2, vcc_lo, s35, v21, vcc_lo
	s_lshl_b64 s[34:35], s[44:45], 1
	s_add_i32 s44, s44, s20
	v_add_co_u32 v3, vcc_lo, v20, s34
	s_ashr_i32 s45, s44, 31
	s_add_i32 s34, s44, s20
	s_lshl_b64 s[44:45], s[44:45], 1
	v_add_co_ci_u32_e32 v4, vcc_lo, s35, v21, vcc_lo
	s_ashr_i32 s35, s34, 31
	v_add_co_u32 v18, vcc_lo, v20, s44
	s_lshl_b64 s[34:35], s[34:35], 1
	v_add_co_ci_u32_e32 v19, vcc_lo, s45, v21, vcc_lo
	s_waitcnt lgkmcnt(0)
	v_add_co_u32 v36, vcc_lo, v20, s34
	v_add_co_ci_u32_e32 v37, vcc_lo, s35, v21, vcc_lo
	global_load_u16 v44, v[10:11], off
	s_clause 0x3
	global_load_b64 v[38:39], v[1:2], off
	global_load_b64 v[40:41], v[3:4], off
	;; [unrolled: 1-line block ×4, first 2 shown]
	s_clause 0x2
	global_load_u16 v3, v[12:13], off
	global_load_u16 v4, v[14:15], off
	;; [unrolled: 1-line block ×3, first 2 shown]
	s_waitcnt vmcnt(7)
	v_cvt_f32_f16_e32 v1, v44
	s_waitcnt vmcnt(6)
	v_fma_mix_f32 v37, v44, v38, 0 op_sel_hi:[1,1,0]
	s_waitcnt vmcnt(5)
	v_fma_mix_f32 v45, v44, v40, 0 op_sel_hi:[1,1,0]
	;; [unrolled: 2-line block ×4, first 2 shown]
	s_waitcnt vmcnt(2)
	v_cvt_f32_f16_e32 v2, v3
	v_fma_mix_f32 v37, v3, v38, v37 op_sel:[0,1,0] op_sel_hi:[1,1,0]
	v_fma_mix_f32 v38, v3, v40, v45 op_sel:[0,1,0] op_sel_hi:[1,1,0]
	v_fma_mix_f32 v18, v3, v18, v46 op_sel:[0,1,0] op_sel_hi:[1,1,0]
	v_fma_mix_f32 v40, v3, v42, v44 op_sel:[0,1,0] op_sel_hi:[1,1,0]
	s_waitcnt vmcnt(1)
	v_cvt_f32_f16_e32 v3, v4
	v_fma_mix_f32 v37, v4, v39, v37 op_sel_hi:[1,1,0]
	v_fma_mix_f32 v38, v4, v41, v38 op_sel_hi:[1,1,0]
	;; [unrolled: 1-line block ×4, first 2 shown]
	s_waitcnt vmcnt(0)
	v_cvt_f32_f16_e32 v4, v36
	v_fma_mix_f32 v39, v36, v39, v37 op_sel:[0,1,0] op_sel_hi:[1,1,0]
	v_fma_mix_f32 v38, v36, v41, v38 op_sel:[0,1,0] op_sel_hi:[1,1,0]
	;; [unrolled: 1-line block ×4, first 2 shown]
	s_and_not1_saveexec_b32 s24, s6
	s_cbranch_execz .LBB416_11
.LBB416_37:                             ;   in Loop: Header=BB416_9 Depth=1
	s_waitcnt lgkmcnt(0)
	v_dual_mov_b32 v36, 0 :: v_dual_mov_b32 v37, 0
	v_dual_mov_b32 v38, 0 :: v_dual_mov_b32 v39, 0
	s_and_saveexec_b32 s43, s3
	s_cbranch_execz .LBB416_44
; %bb.38:                               ;   in Loop: Header=BB416_9 Depth=1
	s_and_not1_b32 vcc_lo, exec_lo, s39
	s_cbranch_vccnz .LBB416_41
; %bb.39:                               ;   in Loop: Header=BB416_9 Depth=1
	v_mov_b32_e32 v18, v9
	s_mov_b64 s[34:35], 0
	.p2align	6
.LBB416_40:                             ;   Parent Loop BB416_9 Depth=1
                                        ; =>  This Inner Loop Header: Depth=2
	s_delay_alu instid0(VALU_DEP_1) | instskip(SKIP_1) | instid1(VALU_DEP_1)
	v_ashrrev_i32_e32 v19, 31, v18
	s_cmp_eq_u32 s34, 3
	v_lshlrev_b64 v[36:37], 1, v[18:19]
	s_delay_alu instid0(VALU_DEP_1) | instskip(NEXT) | instid1(VALU_DEP_2)
	v_add_co_u32 v36, vcc_lo, s11, v36
	v_add_co_ci_u32_e32 v37, vcc_lo, s13, v37, vcc_lo
	s_cselect_b32 vcc_lo, -1, 0
	s_cmp_eq_u32 s34, 2
	s_cselect_b32 s6, -1, 0
	global_load_u16 v19, v[36:37], off
	s_cmp_eq_u32 s34, 1
	s_cselect_b32 s7, -1, 0
	s_cmp_eq_u32 s34, 0
	s_waitcnt vmcnt(0)
	v_cvt_f32_f16_e32 v19, v19
	s_delay_alu instid0(VALU_DEP_1)
	v_cndmask_b32_e32 v4, v4, v19, vcc_lo
	s_cselect_b32 vcc_lo, -1, 0
	v_dual_cndmask_b32 v1, v1, v19 :: v_dual_add_nc_u32 v18, s33, v18
	v_cndmask_b32_e64 v3, v3, v19, s6
	v_cndmask_b32_e64 v2, v2, v19, s7
	s_add_u32 s34, s34, 1
	s_addc_u32 s35, s35, 0
	s_cmp_eq_u32 s36, s34
	s_cbranch_scc0 .LBB416_40
.LBB416_41:                             ;   in Loop: Header=BB416_9 Depth=1
	v_dual_mov_b32 v36, 0 :: v_dual_mov_b32 v37, 0
	v_dual_mov_b32 v38, 0 :: v_dual_mov_b32 v39, 0
	s_and_not1_b32 vcc_lo, exec_lo, s39
	s_cbranch_vccnz .LBB416_44
; %bb.42:                               ;   in Loop: Header=BB416_9 Depth=1
	s_ashr_i32 s27, s26, 31
	v_dual_mov_b32 v39, 0 :: v_dual_mov_b32 v38, 0
	s_lshl_b64 s[6:7], s[26:27], 1
	v_dual_mov_b32 v37, 0 :: v_dual_mov_b32 v36, 0
	v_add_co_u32 v18, vcc_lo, v33, s6
	v_add_co_ci_u32_e32 v19, vcc_lo, s7, v34, vcc_lo
	s_mov_b64 s[34:35], 0
.LBB416_43:                             ;   Parent Loop BB416_9 Depth=1
                                        ; =>  This Inner Loop Header: Depth=2
	s_delay_alu instid0(SALU_CYCLE_1)
	s_cmp_eq_u32 s34, 1
	s_cselect_b32 vcc_lo, -1, 0
	s_cmp_eq_u32 s34, 2
	v_cndmask_b32_e32 v40, v1, v2, vcc_lo
	s_cselect_b32 vcc_lo, -1, 0
	s_cmp_eq_u32 s34, 3
	s_delay_alu instid0(VALU_DEP_1)
	v_cndmask_b32_e32 v46, v40, v3, vcc_lo
	s_cselect_b32 vcc_lo, -1, 0
	s_add_i32 s6, s30, s34
	s_add_i32 s44, s28, s34
	s_ashr_i32 s7, s6, 31
	s_ashr_i32 s45, s44, 31
	s_lshl_b64 s[6:7], s[6:7], 1
	s_add_i32 s46, s41, s34
	v_add_co_u32 v40, s6, v20, s6
	s_lshl_b64 s[44:45], s[44:45], 1
	s_ashr_i32 s47, s46, 31
	v_add_co_ci_u32_e64 v41, s6, s7, v21, s6
	v_add_co_u32 v42, s6, v20, s44
	s_lshl_b64 s[46:47], s[46:47], 1
	v_add_co_ci_u32_e64 v43, s6, s45, v21, s6
	v_add_co_u32 v44, s6, v20, s46
	s_delay_alu instid0(VALU_DEP_1)
	v_add_co_ci_u32_e64 v45, s6, s47, v21, s6
	global_load_u16 v47, v[18:19], off
	s_clause 0x2
	global_load_u16 v40, v[40:41], off
	global_load_u16 v41, v[42:43], off
	;; [unrolled: 1-line block ×3, first 2 shown]
	v_cndmask_b32_e32 v43, v46, v4, vcc_lo
	v_add_co_u32 v18, s6, v18, 2
	s_delay_alu instid0(VALU_DEP_1)
	v_add_co_ci_u32_e64 v19, s6, 0, v19, s6
	s_add_u32 s34, s34, 1
	s_addc_u32 s35, s35, 0
	s_cmp_lg_u32 s36, s34
	s_waitcnt vmcnt(3)
	v_fma_mix_f32 v39, v43, v47, v39 op_sel_hi:[0,1,0]
	s_waitcnt vmcnt(2)
	v_fma_mix_f32 v38, v43, v40, v38 op_sel_hi:[0,1,0]
	;; [unrolled: 2-line block ×4, first 2 shown]
	s_cbranch_scc1 .LBB416_43
.LBB416_44:                             ;   in Loop: Header=BB416_9 Depth=1
	s_or_b32 exec_lo, exec_lo, s43
	s_delay_alu instid0(SALU_CYCLE_1)
	s_or_b32 exec_lo, exec_lo, s24
	s_and_saveexec_b32 s6, s0
	s_cbranch_execnz .LBB416_12
	s_branch .LBB416_13
.LBB416_45:                             ;   in Loop: Header=BB416_9 Depth=1
	ds_load_b32 v18, v31
	s_or_b32 exec_lo, exec_lo, s6
	s_and_saveexec_b32 s6, s0
	s_cbranch_execz .LBB416_17
.LBB416_46:                             ;   in Loop: Header=BB416_9 Depth=1
	s_waitcnt lgkmcnt(0)
	ds_bpermute_b32 v19, v28, v18
	s_waitcnt lgkmcnt(0)
	v_add_f32_e32 v18, v18, v19
	ds_bpermute_b32 v19, v29, v18
	s_waitcnt lgkmcnt(0)
	v_add_f32_e32 v18, v18, v19
	;; [unrolled: 3-line block ×3, first 2 shown]
	s_or_b32 exec_lo, exec_lo, s6
	s_and_saveexec_b32 s6, s0
	s_cbranch_execnz .LBB416_18
	s_branch .LBB416_19
.LBB416_47:                             ;   in Loop: Header=BB416_9 Depth=1
	ds_load_b32 v19, v31
	s_or_b32 exec_lo, exec_lo, s6
	s_and_saveexec_b32 s6, s0
	s_cbranch_execz .LBB416_23
.LBB416_48:                             ;   in Loop: Header=BB416_9 Depth=1
	s_waitcnt lgkmcnt(0)
	ds_bpermute_b32 v38, v28, v19
	s_waitcnt lgkmcnt(0)
	v_add_f32_e32 v19, v19, v38
	ds_bpermute_b32 v38, v29, v19
	s_waitcnt lgkmcnt(0)
	v_add_f32_e32 v19, v19, v38
	;; [unrolled: 3-line block ×3, first 2 shown]
	s_or_b32 exec_lo, exec_lo, s6
	s_and_saveexec_b32 s6, s0
	s_cbranch_execnz .LBB416_24
	s_branch .LBB416_25
.LBB416_49:                             ;   in Loop: Header=BB416_9 Depth=1
	ds_load_b32 v37, v31
	s_or_b32 exec_lo, exec_lo, s6
	s_and_saveexec_b32 s6, s0
	s_cbranch_execz .LBB416_29
.LBB416_50:                             ;   in Loop: Header=BB416_9 Depth=1
	s_waitcnt lgkmcnt(0)
	ds_bpermute_b32 v38, v28, v37
	s_waitcnt lgkmcnt(0)
	v_add_f32_e32 v37, v37, v38
	ds_bpermute_b32 v38, v29, v37
	s_waitcnt lgkmcnt(0)
	v_add_f32_e32 v37, v37, v38
	;; [unrolled: 3-line block ×3, first 2 shown]
	s_or_b32 exec_lo, exec_lo, s6
	s_and_saveexec_b32 s6, s0
	s_cbranch_execnz .LBB416_30
	s_branch .LBB416_31
.LBB416_51:                             ;   in Loop: Header=BB416_9 Depth=1
	ds_load_b32 v36, v31
	s_or_b32 exec_lo, exec_lo, s6
	s_and_saveexec_b32 s6, s0
	s_cbranch_execz .LBB416_35
.LBB416_52:                             ;   in Loop: Header=BB416_9 Depth=1
	s_waitcnt lgkmcnt(0)
	ds_bpermute_b32 v38, v28, v36
	s_waitcnt lgkmcnt(0)
	v_add_f32_e32 v36, v36, v38
	ds_bpermute_b32 v38, v29, v36
	s_waitcnt lgkmcnt(0)
	v_add_f32_e32 v36, v36, v38
	;; [unrolled: 3-line block ×3, first 2 shown]
	s_or_b32 exec_lo, exec_lo, s6
	s_and_saveexec_b32 s6, s5
	s_cbranch_execz .LBB416_8
.LBB416_53:                             ;   in Loop: Header=BB416_9 Depth=1
	s_mul_i32 s7, s21, s12
	v_dual_mul_f32 v18, s10, v18 :: v_dual_mul_f32 v19, s10, v19
	s_add_i32 s24, s7, s14
	v_mul_f32_e32 v37, s10, v37
	s_lshl_b64 s[34:35], s[24:25], 2
	s_delay_alu instid0(SALU_CYCLE_1)
	s_add_u32 s34, s38, s34
	s_addc_u32 s35, s37, s35
	s_add_i32 s24, s24, s12
	global_store_b32 v35, v18, s[34:35]
	s_waitcnt lgkmcnt(0)
	v_mul_f32_e32 v18, s10, v36
	s_lshl_b64 s[44:45], s[24:25], 2
	s_delay_alu instid0(SALU_CYCLE_1) | instskip(SKIP_4) | instid1(SALU_CYCLE_1)
	s_add_u32 s44, s38, s44
	s_addc_u32 s45, s37, s45
	s_add_i32 s24, s24, s12
	global_store_b32 v35, v19, s[44:45]
	s_lshl_b64 s[46:47], s[24:25], 2
	s_add_u32 s34, s38, s46
	s_addc_u32 s35, s37, s47
	s_add_i32 s24, s24, s12
	s_delay_alu instid0(SALU_CYCLE_1) | instskip(NEXT) | instid1(SALU_CYCLE_1)
	s_lshl_b64 s[46:47], s[24:25], 2
	s_add_u32 s44, s38, s46
	s_addc_u32 s45, s37, s47
	s_clause 0x1
	global_store_b32 v35, v37, s[34:35]
	global_store_b32 v35, v18, s[44:45]
	s_branch .LBB416_8
.LBB416_54:
	s_mov_b32 s21, 0
                                        ; implicit-def: $vgpr1_vgpr2_vgpr3_vgpr4
.LBB416_55:
	s_delay_alu instid0(SALU_CYCLE_1)
	s_cmp_ge_i32 s21, s9
	s_cbranch_scc1 .LBB416_79
; %bb.56:
	v_cmp_gt_u32_e32 vcc_lo, 16, v22
	v_lshlrev_b32_e32 v17, 2, v6
	v_cmp_eq_u32_e64 s3, 0, v6
	v_ashrrev_i32_e32 v6, 31, v5
	v_cmp_ge_i32_e64 s0, s8, v24
	v_cndmask_b32_e64 v9, 0, 1, vcc_lo
	v_cmp_gt_u32_e32 vcc_lo, 24, v22
	v_cmp_ge_i32_e64 s1, s8, v25
	s_cmp_gt_i32 s36, 0
	s_mov_b32 s15, 0
	v_lshlrev_b32_e32 v9, 4, v9
	v_cndmask_b32_e64 v10, 0, 1, vcc_lo
	v_cmp_gt_u32_e32 vcc_lo, 28, v22
	s_cselect_b32 s8, -1, 0
	s_lshl_b64 s[6:7], s[14:15], 2
	v_add_lshl_u32 v18, v9, v22, 2
	v_add_nc_u32_e32 v9, s33, v5
	v_cndmask_b32_e64 v11, 0, 1, vcc_lo
	v_cmp_gt_u32_e32 vcc_lo, 30, v22
	v_lshlrev_b32_e32 v10, 3, v10
	s_add_u32 s14, s38, s6
	s_addc_u32 s24, s37, s7
	v_lshlrev_b32_e32 v11, 2, v11
	v_cndmask_b32_e64 v12, 0, 1, vcc_lo
	v_cmp_ne_u32_e32 vcc_lo, 31, v22
	v_add_lshl_u32 v19, v10, v22, 2
	v_ashrrev_i32_e32 v10, 31, v9
	v_add_lshl_u32 v24, v11, v22, 2
	v_add_nc_u32_e32 v11, s33, v9
	v_add_co_ci_u32_e32 v13, vcc_lo, 0, v22, vcc_lo
	v_lshlrev_b32_e32 v12, 1, v12
	v_lshlrev_b64 v[15:16], 1, v[9:10]
	s_delay_alu instid0(VALU_DEP_4) | instskip(NEXT) | instid1(VALU_DEP_4)
	v_add_nc_u32_e32 v26, s33, v11
	v_lshlrev_b32_e32 v25, 2, v13
	v_lshlrev_b64 v[13:14], 1, v[5:6]
	v_add_lshl_u32 v22, v12, v22, 2
	v_ashrrev_i32_e32 v12, 31, v11
	v_ashrrev_i32_e32 v27, 31, v26
	s_add_u32 s6, s22, s18
	s_addc_u32 s7, s23, s19
	v_add_co_u32 v9, vcc_lo, s11, v13
	v_add_co_ci_u32_e32 v10, vcc_lo, s13, v14, vcc_lo
	v_lshlrev_b64 v[13:14], 1, v[11:12]
	v_add_co_u32 v11, vcc_lo, s11, v15
	v_add_co_ci_u32_e32 v12, vcc_lo, s13, v16, vcc_lo
	v_lshlrev_b64 v[15:16], 1, v[26:27]
	v_mov_b32_e32 v26, 0
	v_add_co_u32 v13, vcc_lo, s11, v13
	v_add_co_ci_u32_e32 v14, vcc_lo, s13, v14, vcc_lo
	s_delay_alu instid0(VALU_DEP_4)
	v_add_co_u32 v15, vcc_lo, s11, v15
	s_add_u32 s6, s16, s6
	v_add_co_ci_u32_e32 v16, vcc_lo, s13, v16, vcc_lo
	v_cmp_gt_u32_e64 s2, 32, v0
	v_cmp_gt_u32_e64 s4, 8, v0
	v_cmp_eq_u32_e64 s5, 0, v0
	s_addc_u32 s7, s17, s7
	v_add_co_u32 v0, vcc_lo, s6, v7
	v_and_b32_e32 v23, 28, v23
	v_add_co_ci_u32_e32 v8, vcc_lo, s7, v8, vcc_lo
	s_mul_i32 s16, s21, s20
	s_branch .LBB416_58
.LBB416_57:                             ;   in Loop: Header=BB416_58 Depth=1
	s_or_b32 exec_lo, exec_lo, s6
	s_add_i32 s21, s21, 1
	s_add_i32 s16, s16, s20
	s_cmp_ge_i32 s21, s9
	s_cbranch_scc1 .LBB416_79
.LBB416_58:                             ; =>This Loop Header: Depth=1
                                        ;     Child Loop BB416_71 Depth 2
                                        ;     Child Loop BB416_74 Depth 2
	v_mov_b32_e32 v27, s15
	s_and_saveexec_b32 s6, s0
	s_delay_alu instid0(SALU_CYCLE_1)
	s_xor_b32 s6, exec_lo, s6
	s_cbranch_execnz .LBB416_67
; %bb.59:                               ;   in Loop: Header=BB416_58 Depth=1
	s_and_not1_saveexec_b32 s22, s6
	s_cbranch_execnz .LBB416_68
.LBB416_60:                             ;   in Loop: Header=BB416_58 Depth=1
	s_or_b32 exec_lo, exec_lo, s22
	s_and_saveexec_b32 s6, s2
	s_cbranch_execz .LBB416_62
.LBB416_61:                             ;   in Loop: Header=BB416_58 Depth=1
	ds_store_b32 v17, v26
.LBB416_62:                             ;   in Loop: Header=BB416_58 Depth=1
	s_or_b32 exec_lo, exec_lo, s6
	s_waitcnt lgkmcnt(0)
	ds_bpermute_b32 v6, v18, v27
	s_waitcnt lgkmcnt(0)
	s_waitcnt_vscnt null, 0x0
	s_barrier
	buffer_gl0_inv
	v_add_f32_e32 v6, v27, v6
	ds_bpermute_b32 v7, v19, v6
	s_waitcnt lgkmcnt(0)
	v_add_f32_e32 v6, v6, v7
	ds_bpermute_b32 v7, v24, v6
	s_waitcnt lgkmcnt(0)
	;; [unrolled: 3-line block ×3, first 2 shown]
	v_add_f32_e32 v6, v6, v7
	ds_bpermute_b32 v7, v25, v6
	s_and_saveexec_b32 s6, s3
	s_cbranch_execz .LBB416_64
; %bb.63:                               ;   in Loop: Header=BB416_58 Depth=1
	s_waitcnt lgkmcnt(0)
	v_add_f32_e32 v6, v6, v7
	ds_store_b32 v23, v6
.LBB416_64:                             ;   in Loop: Header=BB416_58 Depth=1
	s_or_b32 exec_lo, exec_lo, s6
	v_mov_b32_e32 v6, 0
	s_waitcnt lgkmcnt(0)
	s_barrier
	buffer_gl0_inv
	s_and_saveexec_b32 s6, s4
	s_cbranch_execnz .LBB416_76
; %bb.65:                               ;   in Loop: Header=BB416_58 Depth=1
	s_or_b32 exec_lo, exec_lo, s6
	s_and_saveexec_b32 s6, s2
	s_cbranch_execnz .LBB416_77
.LBB416_66:                             ;   in Loop: Header=BB416_58 Depth=1
	s_or_b32 exec_lo, exec_lo, s6
	s_and_saveexec_b32 s6, s5
	s_cbranch_execz .LBB416_57
	s_branch .LBB416_78
.LBB416_67:                             ;   in Loop: Header=BB416_58 Depth=1
	s_mul_i32 s18, s21, s20
	s_delay_alu instid0(SALU_CYCLE_1) | instskip(NEXT) | instid1(SALU_CYCLE_1)
	s_ashr_i32 s19, s18, 31
	s_lshl_b64 s[18:19], s[18:19], 1
	s_delay_alu instid0(SALU_CYCLE_1)
	v_add_co_u32 v1, vcc_lo, v20, s18
	v_add_co_ci_u32_e32 v2, vcc_lo, s19, v21, vcc_lo
	s_waitcnt lgkmcnt(0)
	global_load_b64 v[6:7], v[1:2], off
	s_clause 0x3
	global_load_u16 v1, v[9:10], off
	global_load_u16 v2, v[11:12], off
	;; [unrolled: 1-line block ×4, first 2 shown]
	s_waitcnt vmcnt(3)
	v_fma_mix_f32 v4, v1, v6, 0 op_sel_hi:[1,1,0]
	v_cvt_f32_f16_e32 v1, v1
	s_waitcnt vmcnt(2)
	s_delay_alu instid0(VALU_DEP_2) | instskip(SKIP_2) | instid1(VALU_DEP_2)
	v_fma_mix_f32 v4, v2, v6, v4 op_sel:[0,1,0] op_sel_hi:[1,1,0]
	v_cvt_f32_f16_e32 v2, v2
	s_waitcnt vmcnt(1)
	v_fma_mix_f32 v6, v3, v7, v4 op_sel_hi:[1,1,0]
	v_cvt_f32_f16_e32 v3, v3
	s_waitcnt vmcnt(0)
	v_cvt_f32_f16_e32 v4, v27
	s_delay_alu instid0(VALU_DEP_3)
	v_fma_mix_f32 v27, v27, v7, v6 op_sel:[0,1,0] op_sel_hi:[1,1,0]
	s_and_not1_saveexec_b32 s22, s6
	s_cbranch_execz .LBB416_60
.LBB416_68:                             ;   in Loop: Header=BB416_58 Depth=1
	s_and_saveexec_b32 s23, s1
	s_cbranch_execz .LBB416_75
; %bb.69:                               ;   in Loop: Header=BB416_58 Depth=1
	s_and_not1_b32 vcc_lo, exec_lo, s8
	s_cbranch_vccnz .LBB416_72
; %bb.70:                               ;   in Loop: Header=BB416_58 Depth=1
	s_waitcnt lgkmcnt(0)
	v_mov_b32_e32 v6, v5
	s_mov_b64 s[18:19], 0
	.p2align	6
.LBB416_71:                             ;   Parent Loop BB416_58 Depth=1
                                        ; =>  This Inner Loop Header: Depth=2
	s_delay_alu instid0(VALU_DEP_1) | instskip(SKIP_1) | instid1(VALU_DEP_1)
	v_ashrrev_i32_e32 v7, 31, v6
	s_cmp_eq_u32 s18, 3
	v_lshlrev_b64 v[28:29], 1, v[6:7]
	s_delay_alu instid0(VALU_DEP_1) | instskip(NEXT) | instid1(VALU_DEP_2)
	v_add_co_u32 v28, vcc_lo, s11, v28
	v_add_co_ci_u32_e32 v29, vcc_lo, s13, v29, vcc_lo
	s_cselect_b32 vcc_lo, -1, 0
	s_cmp_eq_u32 s18, 2
	s_cselect_b32 s6, -1, 0
	global_load_u16 v7, v[28:29], off
	s_cmp_eq_u32 s18, 1
	s_cselect_b32 s7, -1, 0
	s_cmp_eq_u32 s18, 0
	s_waitcnt vmcnt(0)
	v_cvt_f32_f16_e32 v7, v7
	s_delay_alu instid0(VALU_DEP_1)
	v_cndmask_b32_e32 v4, v4, v7, vcc_lo
	s_cselect_b32 vcc_lo, -1, 0
	v_dual_cndmask_b32 v1, v1, v7 :: v_dual_add_nc_u32 v6, s33, v6
	v_cndmask_b32_e64 v3, v3, v7, s6
	v_cndmask_b32_e64 v2, v2, v7, s7
	s_add_u32 s18, s18, 1
	s_addc_u32 s19, s19, 0
	s_cmp_eq_u32 s36, s18
	s_cbranch_scc0 .LBB416_71
.LBB416_72:                             ;   in Loop: Header=BB416_58 Depth=1
	s_and_not1_b32 vcc_lo, exec_lo, s8
	s_cbranch_vccnz .LBB416_75
; %bb.73:                               ;   in Loop: Header=BB416_58 Depth=1
	s_ashr_i32 s17, s16, 31
	s_delay_alu instid0(SALU_CYCLE_1)
	s_lshl_b64 s[6:7], s[16:17], 1
	s_waitcnt lgkmcnt(0)
	v_add_co_u32 v6, vcc_lo, v0, s6
	v_add_co_ci_u32_e32 v7, vcc_lo, s7, v8, vcc_lo
	s_mov_b64 s[6:7], 0
	.p2align	6
.LBB416_74:                             ;   Parent Loop BB416_58 Depth=1
                                        ; =>  This Inner Loop Header: Depth=2
	global_load_u16 v28, v[6:7], off
	s_cmp_eq_u32 s6, 1
	s_cselect_b32 vcc_lo, -1, 0
	s_cmp_eq_u32 s6, 2
	v_cndmask_b32_e32 v29, v1, v2, vcc_lo
	s_cselect_b32 vcc_lo, -1, 0
	s_cmp_eq_u32 s6, 3
	s_delay_alu instid0(VALU_DEP_1)
	v_cndmask_b32_e32 v29, v29, v3, vcc_lo
	s_cselect_b32 vcc_lo, -1, 0
	s_add_u32 s6, s6, 1
	s_addc_u32 s7, s7, 0
	s_cmp_lg_u32 s36, s6
	v_cndmask_b32_e32 v29, v29, v4, vcc_lo
	v_add_co_u32 v6, vcc_lo, v6, 2
	v_add_co_ci_u32_e32 v7, vcc_lo, 0, v7, vcc_lo
	s_waitcnt vmcnt(0)
	s_delay_alu instid0(VALU_DEP_3)
	v_fma_mix_f32 v27, v29, v28, v27 op_sel_hi:[0,1,0]
	s_cbranch_scc1 .LBB416_74
.LBB416_75:                             ;   in Loop: Header=BB416_58 Depth=1
	s_or_b32 exec_lo, exec_lo, s23
	s_delay_alu instid0(SALU_CYCLE_1)
	s_or_b32 exec_lo, exec_lo, s22
	s_and_saveexec_b32 s6, s2
	s_cbranch_execnz .LBB416_61
	s_branch .LBB416_62
.LBB416_76:                             ;   in Loop: Header=BB416_58 Depth=1
	ds_load_b32 v6, v17
	s_or_b32 exec_lo, exec_lo, s6
	s_and_saveexec_b32 s6, s2
	s_cbranch_execz .LBB416_66
.LBB416_77:                             ;   in Loop: Header=BB416_58 Depth=1
	s_waitcnt lgkmcnt(0)
	ds_bpermute_b32 v7, v24, v6
	s_waitcnt lgkmcnt(0)
	v_add_f32_e32 v6, v6, v7
	ds_bpermute_b32 v7, v22, v6
	s_waitcnt lgkmcnt(0)
	v_add_f32_e32 v6, v6, v7
	;; [unrolled: 3-line block ×3, first 2 shown]
	s_or_b32 exec_lo, exec_lo, s6
	s_and_saveexec_b32 s6, s5
	s_cbranch_execz .LBB416_57
.LBB416_78:                             ;   in Loop: Header=BB416_58 Depth=1
	s_mul_hi_u32 s19, s21, s12
	s_mul_i32 s18, s21, s12
	s_waitcnt lgkmcnt(0)
	v_mul_f32_e32 v6, s10, v6
	s_lshl_b64 s[18:19], s[18:19], 2
	s_delay_alu instid0(SALU_CYCLE_1)
	s_add_u32 s18, s14, s18
	s_addc_u32 s19, s24, s19
	global_store_b32 v26, v6, s[18:19]
	s_branch .LBB416_57
.LBB416_79:
	s_nop 0
	s_sendmsg sendmsg(MSG_DEALLOC_VGPRS)
	s_endpgm
	.section	.rodata,"a",@progbits
	.p2align	6, 0x0
	.amdhsa_kernel _ZL23rocblas_gemvt_sn_kernelILb1ELi256ELi4EiDF16_ffEviiT4_lPKT3_lilS3_lilPT5_i
		.amdhsa_group_segment_fixed_size 128
		.amdhsa_private_segment_fixed_size 0
		.amdhsa_kernarg_size 360
		.amdhsa_user_sgpr_count 14
		.amdhsa_user_sgpr_dispatch_ptr 0
		.amdhsa_user_sgpr_queue_ptr 0
		.amdhsa_user_sgpr_kernarg_segment_ptr 1
		.amdhsa_user_sgpr_dispatch_id 0
		.amdhsa_user_sgpr_private_segment_size 0
		.amdhsa_wavefront_size32 1
		.amdhsa_uses_dynamic_stack 0
		.amdhsa_enable_private_segment 0
		.amdhsa_system_sgpr_workgroup_id_x 1
		.amdhsa_system_sgpr_workgroup_id_y 0
		.amdhsa_system_sgpr_workgroup_id_z 1
		.amdhsa_system_sgpr_workgroup_info 0
		.amdhsa_system_vgpr_workitem_id 0
		.amdhsa_next_free_vgpr 48
		.amdhsa_next_free_sgpr 48
		.amdhsa_reserve_vcc 1
		.amdhsa_float_round_mode_32 0
		.amdhsa_float_round_mode_16_64 0
		.amdhsa_float_denorm_mode_32 3
		.amdhsa_float_denorm_mode_16_64 3
		.amdhsa_dx10_clamp 1
		.amdhsa_ieee_mode 1
		.amdhsa_fp16_overflow 0
		.amdhsa_workgroup_processor_mode 1
		.amdhsa_memory_ordered 1
		.amdhsa_forward_progress 0
		.amdhsa_shared_vgpr_count 0
		.amdhsa_exception_fp_ieee_invalid_op 0
		.amdhsa_exception_fp_denorm_src 0
		.amdhsa_exception_fp_ieee_div_zero 0
		.amdhsa_exception_fp_ieee_overflow 0
		.amdhsa_exception_fp_ieee_underflow 0
		.amdhsa_exception_fp_ieee_inexact 0
		.amdhsa_exception_int_div_zero 0
	.end_amdhsa_kernel
	.section	.text._ZL23rocblas_gemvt_sn_kernelILb1ELi256ELi4EiDF16_ffEviiT4_lPKT3_lilS3_lilPT5_i,"axG",@progbits,_ZL23rocblas_gemvt_sn_kernelILb1ELi256ELi4EiDF16_ffEviiT4_lPKT3_lilS3_lilPT5_i,comdat
.Lfunc_end416:
	.size	_ZL23rocblas_gemvt_sn_kernelILb1ELi256ELi4EiDF16_ffEviiT4_lPKT3_lilS3_lilPT5_i, .Lfunc_end416-_ZL23rocblas_gemvt_sn_kernelILb1ELi256ELi4EiDF16_ffEviiT4_lPKT3_lilS3_lilPT5_i
                                        ; -- End function
	.section	.AMDGPU.csdata,"",@progbits
; Kernel info:
; codeLenInByte = 4220
; NumSgprs: 50
; NumVgprs: 48
; ScratchSize: 0
; MemoryBound: 0
; FloatMode: 240
; IeeeMode: 1
; LDSByteSize: 128 bytes/workgroup (compile time only)
; SGPRBlocks: 6
; VGPRBlocks: 5
; NumSGPRsForWavesPerEU: 50
; NumVGPRsForWavesPerEU: 48
; Occupancy: 16
; WaveLimiterHint : 1
; COMPUTE_PGM_RSRC2:SCRATCH_EN: 0
; COMPUTE_PGM_RSRC2:USER_SGPR: 14
; COMPUTE_PGM_RSRC2:TRAP_HANDLER: 0
; COMPUTE_PGM_RSRC2:TGID_X_EN: 1
; COMPUTE_PGM_RSRC2:TGID_Y_EN: 0
; COMPUTE_PGM_RSRC2:TGID_Z_EN: 1
; COMPUTE_PGM_RSRC2:TIDIG_COMP_CNT: 0
	.section	.text._ZL23rocblas_gemvt_sn_kernelILb1ELi256ELi4ElDF16_ffEviiT4_lPKT3_lilS3_lilPT5_i,"axG",@progbits,_ZL23rocblas_gemvt_sn_kernelILb1ELi256ELi4ElDF16_ffEviiT4_lPKT3_lilS3_lilPT5_i,comdat
	.globl	_ZL23rocblas_gemvt_sn_kernelILb1ELi256ELi4ElDF16_ffEviiT4_lPKT3_lilS3_lilPT5_i ; -- Begin function _ZL23rocblas_gemvt_sn_kernelILb1ELi256ELi4ElDF16_ffEviiT4_lPKT3_lilS3_lilPT5_i
	.p2align	8
	.type	_ZL23rocblas_gemvt_sn_kernelILb1ELi256ELi4ElDF16_ffEviiT4_lPKT3_lilS3_lilPT5_i,@function
_ZL23rocblas_gemvt_sn_kernelILb1ELi256ELi4ElDF16_ffEviiT4_lPKT3_lilS3_lilPT5_i: ; @_ZL23rocblas_gemvt_sn_kernelILb1ELi256ELi4ElDF16_ffEviiT4_lPKT3_lilS3_lilPT5_i
; %bb.0:
	s_clause 0x2
	s_load_b128 s[8:11], s[0:1], 0x0
	s_load_b32 s12, s[0:1], 0x68
	s_load_b128 s[4:7], s[0:1], 0x50
	s_waitcnt lgkmcnt(0)
	s_ashr_i32 s11, s9, 31
	s_mul_hi_u32 s2, s9, s15
	s_mul_i32 s3, s11, s15
	s_mul_i32 s13, s9, s15
	s_add_i32 s2, s2, s3
	s_mul_hi_u32 s3, s13, s12
	s_mul_i32 s16, s2, s12
	s_mul_i32 s2, s13, s12
	s_add_i32 s3, s3, s16
	v_cmp_neq_f32_e64 s13, s10, 0
	s_lshl_b64 s[2:3], s[2:3], 2
	s_delay_alu instid0(SALU_CYCLE_1)
	s_add_u32 s33, s6, s2
	v_cmp_eq_u32_e64 s2, 0, v0
	s_addc_u32 s44, s7, s3
	s_and_b32 vcc_lo, exec_lo, s13
	s_mov_b32 s13, 0
	s_cbranch_vccnz .LBB417_5
; %bb.1:
	s_cmp_gt_i32 s9, 0
	s_cselect_b32 s3, -1, 0
	s_delay_alu instid0(SALU_CYCLE_1) | instskip(NEXT) | instid1(SALU_CYCLE_1)
	s_and_b32 s2, s2, s3
	s_and_saveexec_b32 s16, s2
	s_cbranch_execz .LBB417_4
; %bb.2:
	s_mov_b32 s2, s15
	s_mov_b32 s15, 0
	v_mov_b32_e32 v1, 0
	s_lshl_b64 s[6:7], s[14:15], 2
	s_mov_b32 s15, s2
	s_add_u32 s2, s33, s6
	s_addc_u32 s3, s44, s7
	s_lshl_b64 s[6:7], s[12:13], 2
	s_mov_b32 s13, s9
.LBB417_3:                              ; =>This Inner Loop Header: Depth=1
	s_delay_alu instid0(SALU_CYCLE_1)
	s_add_i32 s13, s13, -1
	global_store_b32 v1, v1, s[2:3]
	s_add_u32 s2, s2, s6
	s_addc_u32 s3, s3, s7
	s_cmp_eq_u32 s13, 0
	s_cbranch_scc0 .LBB417_3
.LBB417_4:
	s_or_b32 exec_lo, exec_lo, s16
	s_cbranch_execz .LBB417_6
	s_branch .LBB417_79
.LBB417_5:
.LBB417_6:
	s_clause 0x4
	s_load_b32 s24, s[0:1], 0x28
	s_load_b32 s26, s[0:1], 0x48
	s_load_b128 s[20:23], s[0:1], 0x30
	s_load_b64 s[2:3], s[0:1], 0x40
	s_load_b128 s[16:19], s[0:1], 0x18
	s_mul_i32 s1, s15, s5
	s_mul_hi_u32 s5, s15, s4
	s_mul_i32 s0, s15, s4
	s_add_i32 s1, s5, s1
	v_and_b32_e32 v24, 31, v0
	s_lshl_b64 s[28:29], s[0:1], 1
	v_mbcnt_lo_u32_b32 v27, -1, 0
	v_lshrrev_b32_e32 v29, 3, v0
	s_waitcnt lgkmcnt(0)
	s_ashr_i32 s25, s24, 31
	s_ashr_i32 s27, s26, 31
	s_add_u32 s4, s22, s28
	s_addc_u32 s5, s23, s29
	s_lshl_b64 s[30:31], s[2:3], 1
	s_mul_i32 s0, s15, s21
	s_mul_hi_u32 s1, s15, s20
	s_add_u32 s13, s4, s30
	s_mul_i32 s2, s15, s20
	s_addc_u32 s45, s5, s31
	s_add_i32 s3, s1, s0
	v_cmp_gt_u32_e64 s0, 32, v0
	s_lshl_b64 s[20:21], s[2:3], 1
	v_cmp_gt_u32_e64 s1, 8, v0
	s_add_u32 s2, s16, s20
	s_addc_u32 s3, s17, s21
	s_lshl_b64 s[18:19], s[18:19], 1
	s_delay_alu instid0(SALU_CYCLE_1)
	s_add_u32 s2, s2, s18
	s_addc_u32 s3, s3, s19
	s_lshl_b32 s4, s14, 10
	s_ashr_i32 s5, s8, 31
	v_lshl_or_b32 v9, v0, 2, s4
	s_lshr_b32 s4, s11, 30
	s_lshr_b32 s5, s5, 30
	s_add_i32 s4, s9, s4
	s_add_i32 s5, s8, s5
	v_ashrrev_i32_e32 v10, 31, v9
	s_and_b32 s46, s4, -4
	s_and_b32 s4, s5, -4
	v_add_nc_u32_e32 v30, 4, v9
	s_sub_i32 s11, s8, s4
	v_lshlrev_b64 v[7:8], 1, v[9:10]
	v_or_b32_e32 v28, 1, v9
	v_or_b32_e32 v26, 2, v9
	v_add_nc_u32_e32 v31, s11, v9
	v_or_b32_e32 v25, 3, v9
	s_cmp_lt_i32 s46, 1
	v_add_co_u32 v5, vcc_lo, s2, v7
	v_add_co_ci_u32_e32 v6, vcc_lo, s3, v8, vcc_lo
	s_cbranch_scc1 .LBB417_54
; %bb.7:
	v_cmp_gt_u32_e32 vcc_lo, 16, v27
	v_mad_i64_i32 v[12:13], null, s26, v26, 0
	v_mad_i64_i32 v[14:15], null, s26, v25, 0
	v_cndmask_b32_e64 v1, 0, 1, vcc_lo
	v_cmp_gt_u32_e32 vcc_lo, 24, v27
	s_mov_b32 s15, 0
	s_cmp_gt_i32 s11, 0
	s_delay_alu instid0(VALU_DEP_4)
	v_lshlrev_b64 v[16:17], 1, v[12:13]
	v_lshlrev_b32_e32 v1, 4, v1
	v_cndmask_b32_e64 v2, 0, 1, vcc_lo
	v_cmp_gt_u32_e32 vcc_lo, 28, v27
	s_cselect_b32 s47, -1, 0
	s_lshl_b64 s[6:7], s[14:15], 2
	s_delay_alu instid0(VALU_DEP_2)
	v_dual_mov_b32 v39, 0 :: v_dual_lshlrev_b32 v2, 3, v2
	v_cndmask_b32_e64 v3, 0, 1, vcc_lo
	v_cmp_gt_u32_e32 vcc_lo, 30, v27
	s_add_u32 s48, s33, s6
	s_addc_u32 s49, s44, s7
	v_add_lshl_u32 v33, v2, v27, 2
	v_lshlrev_b32_e32 v3, 2, v3
	v_cndmask_b32_e64 v4, 0, 1, vcc_lo
	v_cmp_ne_u32_e32 vcc_lo, 31, v27
	v_dual_mov_b32 v21, v6 :: v_dual_mov_b32 v20, v5
	v_add_lshl_u32 v32, v1, v27, 2
	s_delay_alu instid0(VALU_DEP_4) | instskip(SKIP_3) | instid1(VALU_DEP_4)
	v_lshlrev_b32_e32 v4, 1, v4
	v_mad_i64_i32 v[1:2], null, s26, v9, 0
	v_add_lshl_u32 v34, v3, v27, 2
	v_add_co_ci_u32_e32 v10, vcc_lo, 0, v27, vcc_lo
	v_add_lshl_u32 v35, v4, v27, 2
	v_mad_i64_i32 v[3:4], null, s26, v28, 0
	v_lshlrev_b64 v[1:2], 1, v[1:2]
	s_delay_alu instid0(VALU_DEP_4) | instskip(SKIP_4) | instid1(VALU_DEP_3)
	v_lshlrev_b32_e32 v36, 2, v10
	s_add_u32 s6, s22, s30
	s_addc_u32 s7, s23, s31
	s_add_u32 s6, s6, s28
	s_addc_u32 s7, s7, s29
	v_lshlrev_b64 v[3:4], 1, v[3:4]
	v_add_co_u32 v10, vcc_lo, s13, v1
	v_add_co_ci_u32_e32 v11, vcc_lo, s45, v2, vcc_lo
	v_cmp_ge_i32_e64 s2, s8, v30
	s_delay_alu instid0(VALU_DEP_4)
	v_add_co_u32 v12, vcc_lo, s13, v3
	v_add_co_ci_u32_e32 v13, vcc_lo, s45, v4, vcc_lo
	v_lshlrev_b64 v[3:4], 1, v[14:15]
	v_add_co_u32 v14, vcc_lo, s13, v16
	v_add_co_ci_u32_e32 v15, vcc_lo, s45, v17, vcc_lo
	v_cmp_ge_i32_e64 s3, s8, v31
	s_delay_alu instid0(VALU_DEP_4)
	v_add_co_u32 v16, vcc_lo, s13, v3
	v_add_co_ci_u32_e32 v17, vcc_lo, s45, v4, vcc_lo
	v_add_co_u32 v18, vcc_lo, s6, v1
	v_cmp_eq_u32_e64 s4, 0, v24
	v_lshlrev_b32_e32 v37, 2, v24
	v_and_b32_e32 v38, 28, v29
	v_cmp_eq_u32_e64 s5, 0, v0
	v_add_co_ci_u32_e32 v19, vcc_lo, s7, v2, vcc_lo
	s_lshl_b64 s[34:35], s[26:27], 1
	s_lshl_b64 s[36:37], s[24:25], 3
	;; [unrolled: 1-line block ×4, first 2 shown]
	s_mul_hi_i32 s50, s24, 6
	s_mul_i32 s51, s24, 6
                                        ; implicit-def: $vgpr1_vgpr2_vgpr3_vgpr4
	s_branch .LBB417_9
.LBB417_8:                              ;   in Loop: Header=BB417_9 Depth=1
	s_or_b32 exec_lo, exec_lo, s6
	v_add_co_u32 v20, vcc_lo, v20, s36
	v_add_co_ci_u32_e32 v21, vcc_lo, s37, v21, vcc_lo
	s_add_i32 s15, s15, 4
	s_delay_alu instid0(SALU_CYCLE_1)
	s_cmp_ge_i32 s15, s46
	s_cbranch_scc1 .LBB417_55
.LBB417_9:                              ; =>This Loop Header: Depth=1
                                        ;     Child Loop BB417_40 Depth 2
                                        ;     Child Loop BB417_43 Depth 2
                                        ; implicit-def: $vgpr40
                                        ; implicit-def: $vgpr41
                                        ; implicit-def: $vgpr42
                                        ; implicit-def: $vgpr43
	s_and_saveexec_b32 s6, s2
	s_delay_alu instid0(SALU_CYCLE_1)
	s_xor_b32 s6, exec_lo, s6
	s_cbranch_execnz .LBB417_36
; %bb.10:                               ;   in Loop: Header=BB417_9 Depth=1
	s_and_not1_saveexec_b32 s52, s6
	s_cbranch_execnz .LBB417_37
.LBB417_11:                             ;   in Loop: Header=BB417_9 Depth=1
	s_or_b32 exec_lo, exec_lo, s52
	s_and_saveexec_b32 s6, s0
	s_cbranch_execz .LBB417_13
.LBB417_12:                             ;   in Loop: Header=BB417_9 Depth=1
	ds_store_b32 v37, v39
.LBB417_13:                             ;   in Loop: Header=BB417_9 Depth=1
	s_or_b32 exec_lo, exec_lo, s6
	ds_bpermute_b32 v22, v32, v43
	s_waitcnt lgkmcnt(0)
	s_waitcnt_vscnt null, 0x0
	s_barrier
	buffer_gl0_inv
	v_add_f32_e32 v22, v43, v22
	ds_bpermute_b32 v23, v33, v22
	s_waitcnt lgkmcnt(0)
	v_add_f32_e32 v22, v22, v23
	ds_bpermute_b32 v23, v34, v22
	s_waitcnt lgkmcnt(0)
	;; [unrolled: 3-line block ×3, first 2 shown]
	v_add_f32_e32 v22, v22, v23
	ds_bpermute_b32 v23, v36, v22
	s_and_saveexec_b32 s6, s4
	s_cbranch_execz .LBB417_15
; %bb.14:                               ;   in Loop: Header=BB417_9 Depth=1
	s_waitcnt lgkmcnt(0)
	v_add_f32_e32 v22, v22, v23
	ds_store_b32 v38, v22
.LBB417_15:                             ;   in Loop: Header=BB417_9 Depth=1
	s_or_b32 exec_lo, exec_lo, s6
	v_mov_b32_e32 v22, 0
	s_waitcnt lgkmcnt(0)
	s_barrier
	buffer_gl0_inv
	s_and_saveexec_b32 s6, s1
	s_cbranch_execnz .LBB417_45
; %bb.16:                               ;   in Loop: Header=BB417_9 Depth=1
	s_or_b32 exec_lo, exec_lo, s6
	s_and_saveexec_b32 s6, s0
	s_cbranch_execnz .LBB417_46
.LBB417_17:                             ;   in Loop: Header=BB417_9 Depth=1
	s_or_b32 exec_lo, exec_lo, s6
	s_and_saveexec_b32 s6, s0
	s_cbranch_execz .LBB417_19
.LBB417_18:                             ;   in Loop: Header=BB417_9 Depth=1
	ds_store_b32 v37, v39
.LBB417_19:                             ;   in Loop: Header=BB417_9 Depth=1
	s_or_b32 exec_lo, exec_lo, s6
	ds_bpermute_b32 v23, v32, v42
	s_waitcnt lgkmcnt(0)
	s_barrier
	buffer_gl0_inv
	v_add_f32_e32 v23, v42, v23
	ds_bpermute_b32 v42, v33, v23
	s_waitcnt lgkmcnt(0)
	v_add_f32_e32 v23, v23, v42
	ds_bpermute_b32 v42, v34, v23
	s_waitcnt lgkmcnt(0)
	v_add_f32_e32 v23, v23, v42
	ds_bpermute_b32 v42, v35, v23
	s_waitcnt lgkmcnt(0)
	v_add_f32_e32 v23, v23, v42
	ds_bpermute_b32 v42, v36, v23
	s_and_saveexec_b32 s6, s4
	s_cbranch_execz .LBB417_21
; %bb.20:                               ;   in Loop: Header=BB417_9 Depth=1
	s_waitcnt lgkmcnt(0)
	v_add_f32_e32 v23, v23, v42
	ds_store_b32 v38, v23
.LBB417_21:                             ;   in Loop: Header=BB417_9 Depth=1
	s_or_b32 exec_lo, exec_lo, s6
	v_mov_b32_e32 v23, 0
	s_waitcnt lgkmcnt(0)
	s_barrier
	buffer_gl0_inv
	s_and_saveexec_b32 s6, s1
	s_cbranch_execnz .LBB417_47
; %bb.22:                               ;   in Loop: Header=BB417_9 Depth=1
	s_or_b32 exec_lo, exec_lo, s6
	s_and_saveexec_b32 s6, s0
	s_cbranch_execnz .LBB417_48
.LBB417_23:                             ;   in Loop: Header=BB417_9 Depth=1
	s_or_b32 exec_lo, exec_lo, s6
	s_and_saveexec_b32 s6, s0
	s_cbranch_execz .LBB417_25
.LBB417_24:                             ;   in Loop: Header=BB417_9 Depth=1
	ds_store_b32 v37, v39
.LBB417_25:                             ;   in Loop: Header=BB417_9 Depth=1
	s_or_b32 exec_lo, exec_lo, s6
	ds_bpermute_b32 v42, v32, v41
	s_waitcnt lgkmcnt(0)
	s_barrier
	buffer_gl0_inv
	v_add_f32_e32 v41, v41, v42
	ds_bpermute_b32 v42, v33, v41
	s_waitcnt lgkmcnt(0)
	v_add_f32_e32 v41, v41, v42
	ds_bpermute_b32 v42, v34, v41
	s_waitcnt lgkmcnt(0)
	;; [unrolled: 3-line block ×3, first 2 shown]
	v_add_f32_e32 v41, v41, v42
	ds_bpermute_b32 v42, v36, v41
	s_and_saveexec_b32 s6, s4
	s_cbranch_execz .LBB417_27
; %bb.26:                               ;   in Loop: Header=BB417_9 Depth=1
	s_waitcnt lgkmcnt(0)
	v_add_f32_e32 v41, v41, v42
	ds_store_b32 v38, v41
.LBB417_27:                             ;   in Loop: Header=BB417_9 Depth=1
	s_or_b32 exec_lo, exec_lo, s6
	v_mov_b32_e32 v41, 0
	s_waitcnt lgkmcnt(0)
	s_barrier
	buffer_gl0_inv
	s_and_saveexec_b32 s6, s1
	s_cbranch_execnz .LBB417_49
; %bb.28:                               ;   in Loop: Header=BB417_9 Depth=1
	s_or_b32 exec_lo, exec_lo, s6
	s_and_saveexec_b32 s6, s0
	s_cbranch_execnz .LBB417_50
.LBB417_29:                             ;   in Loop: Header=BB417_9 Depth=1
	s_or_b32 exec_lo, exec_lo, s6
	s_and_saveexec_b32 s6, s0
	s_cbranch_execz .LBB417_31
.LBB417_30:                             ;   in Loop: Header=BB417_9 Depth=1
	ds_store_b32 v37, v39
.LBB417_31:                             ;   in Loop: Header=BB417_9 Depth=1
	s_or_b32 exec_lo, exec_lo, s6
	ds_bpermute_b32 v42, v32, v40
	s_waitcnt lgkmcnt(0)
	s_barrier
	buffer_gl0_inv
	v_add_f32_e32 v40, v40, v42
	ds_bpermute_b32 v42, v33, v40
	s_waitcnt lgkmcnt(0)
	v_add_f32_e32 v40, v40, v42
	ds_bpermute_b32 v42, v34, v40
	s_waitcnt lgkmcnt(0)
	;; [unrolled: 3-line block ×3, first 2 shown]
	v_add_f32_e32 v40, v40, v42
	ds_bpermute_b32 v42, v36, v40
	s_and_saveexec_b32 s6, s4
	s_cbranch_execz .LBB417_33
; %bb.32:                               ;   in Loop: Header=BB417_9 Depth=1
	s_waitcnt lgkmcnt(0)
	v_add_f32_e32 v40, v40, v42
	ds_store_b32 v38, v40
.LBB417_33:                             ;   in Loop: Header=BB417_9 Depth=1
	s_or_b32 exec_lo, exec_lo, s6
	v_mov_b32_e32 v40, 0
	s_waitcnt lgkmcnt(0)
	s_barrier
	buffer_gl0_inv
	s_and_saveexec_b32 s6, s1
	s_cbranch_execnz .LBB417_51
; %bb.34:                               ;   in Loop: Header=BB417_9 Depth=1
	s_or_b32 exec_lo, exec_lo, s6
	s_and_saveexec_b32 s6, s0
	s_cbranch_execnz .LBB417_52
.LBB417_35:                             ;   in Loop: Header=BB417_9 Depth=1
	s_or_b32 exec_lo, exec_lo, s6
	s_and_saveexec_b32 s6, s5
	s_cbranch_execz .LBB417_8
	s_branch .LBB417_53
.LBB417_36:                             ;   in Loop: Header=BB417_9 Depth=1
	s_mul_i32 s7, s15, s25
	s_mul_hi_u32 s42, s15, s24
	s_delay_alu instid0(SALU_CYCLE_1)
	s_add_i32 s43, s42, s7
	s_mul_i32 s42, s15, s24
	s_or_b32 s7, s15, 1
	s_lshl_b64 s[42:43], s[42:43], 1
	s_mul_i32 s52, s7, s25
	s_mul_hi_u32 s53, s7, s24
	v_add_co_u32 v1, vcc_lo, v5, s42
	v_add_co_ci_u32_e32 v2, vcc_lo, s43, v6, vcc_lo
	s_add_i32 s43, s53, s52
	s_mul_i32 s42, s7, s24
	s_or_b32 s7, s15, 2
	s_lshl_b64 s[42:43], s[42:43], 1
	s_mul_i32 s52, s7, s25
	s_mul_hi_u32 s53, s7, s24
	v_add_co_u32 v3, vcc_lo, v5, s42
	v_add_co_ci_u32_e32 v4, vcc_lo, s43, v6, vcc_lo
	s_add_i32 s43, s53, s52
	s_or_b32 s52, s15, 3
	s_mul_i32 s42, s7, s24
	s_mul_i32 s7, s52, s25
	s_mul_hi_u32 s53, s52, s24
	s_lshl_b64 s[42:43], s[42:43], 1
	s_add_i32 s53, s53, s7
	s_mul_i32 s52, s52, s24
	v_add_co_u32 v22, vcc_lo, v5, s42
	v_add_co_ci_u32_e32 v23, vcc_lo, s43, v6, vcc_lo
	s_lshl_b64 s[42:43], s[52:53], 1
	s_waitcnt lgkmcnt(0)
	v_add_co_u32 v40, vcc_lo, v5, s42
	v_add_co_ci_u32_e32 v41, vcc_lo, s43, v6, vcc_lo
	global_load_u16 v48, v[10:11], off
	s_clause 0x3
	global_load_b64 v[42:43], v[1:2], off
	global_load_b64 v[44:45], v[3:4], off
	;; [unrolled: 1-line block ×4, first 2 shown]
	s_clause 0x2
	global_load_u16 v3, v[12:13], off
	global_load_u16 v4, v[14:15], off
	;; [unrolled: 1-line block ×3, first 2 shown]
	s_waitcnt vmcnt(7)
	v_cvt_f32_f16_e32 v1, v48
	s_waitcnt vmcnt(6)
	v_fma_mix_f32 v41, v48, v42, 0 op_sel_hi:[1,1,0]
	s_waitcnt vmcnt(5)
	v_fma_mix_f32 v49, v48, v44, 0 op_sel_hi:[1,1,0]
	;; [unrolled: 2-line block ×4, first 2 shown]
	s_waitcnt vmcnt(2)
	v_cvt_f32_f16_e32 v2, v3
	v_fma_mix_f32 v41, v3, v42, v41 op_sel:[0,1,0] op_sel_hi:[1,1,0]
	v_fma_mix_f32 v42, v3, v44, v49 op_sel:[0,1,0] op_sel_hi:[1,1,0]
	;; [unrolled: 1-line block ×4, first 2 shown]
	s_waitcnt vmcnt(1)
	v_cvt_f32_f16_e32 v3, v4
	v_fma_mix_f32 v41, v4, v43, v41 op_sel_hi:[1,1,0]
	v_fma_mix_f32 v42, v4, v45, v42 op_sel_hi:[1,1,0]
	;; [unrolled: 1-line block ×4, first 2 shown]
	s_waitcnt vmcnt(0)
	v_cvt_f32_f16_e32 v4, v40
	v_fma_mix_f32 v43, v40, v43, v41 op_sel:[0,1,0] op_sel_hi:[1,1,0]
	v_fma_mix_f32 v42, v40, v45, v42 op_sel:[0,1,0] op_sel_hi:[1,1,0]
	;; [unrolled: 1-line block ×4, first 2 shown]
	s_and_not1_saveexec_b32 s52, s6
	s_cbranch_execz .LBB417_11
.LBB417_37:                             ;   in Loop: Header=BB417_9 Depth=1
	s_waitcnt lgkmcnt(0)
	v_dual_mov_b32 v40, 0 :: v_dual_mov_b32 v41, 0
	v_dual_mov_b32 v42, 0 :: v_dual_mov_b32 v43, 0
	s_and_saveexec_b32 s53, s3
	s_cbranch_execz .LBB417_44
; %bb.38:                               ;   in Loop: Header=BB417_9 Depth=1
	s_and_not1_b32 vcc_lo, exec_lo, s47
	s_cbranch_vccnz .LBB417_41
; %bb.39:                               ;   in Loop: Header=BB417_9 Depth=1
	v_dual_mov_b32 v23, v19 :: v_dual_mov_b32 v22, v18
	s_mov_b64 s[42:43], 0
	.p2align	6
.LBB417_40:                             ;   Parent Loop BB417_9 Depth=1
                                        ; =>  This Inner Loop Header: Depth=2
	global_load_u16 v40, v[22:23], off
	v_add_co_u32 v22, vcc_lo, v22, s34
	s_cmp_eq_u32 s42, 3
	v_add_co_ci_u32_e32 v23, vcc_lo, s35, v23, vcc_lo
	s_cselect_b32 vcc_lo, -1, 0
	s_cmp_eq_u32 s42, 2
	s_cselect_b32 s6, -1, 0
	s_cmp_eq_u32 s42, 1
	s_cselect_b32 s7, -1, 0
	s_cmp_eq_u32 s42, 0
	s_waitcnt vmcnt(0)
	v_cvt_f32_f16_e32 v40, v40
	s_delay_alu instid0(VALU_DEP_1)
	v_cndmask_b32_e32 v4, v4, v40, vcc_lo
	s_cselect_b32 vcc_lo, -1, 0
	v_cndmask_b32_e64 v3, v3, v40, s6
	v_cndmask_b32_e64 v2, v2, v40, s7
	v_cndmask_b32_e32 v1, v1, v40, vcc_lo
	s_add_u32 s42, s42, 1
	s_addc_u32 s43, s43, 0
	s_cmp_eq_u32 s11, s42
	s_cbranch_scc0 .LBB417_40
.LBB417_41:                             ;   in Loop: Header=BB417_9 Depth=1
	v_dual_mov_b32 v40, 0 :: v_dual_mov_b32 v41, 0
	v_dual_mov_b32 v42, 0 :: v_dual_mov_b32 v43, 0
	s_and_not1_b32 vcc_lo, exec_lo, s47
	s_cbranch_vccnz .LBB417_44
; %bb.42:                               ;   in Loop: Header=BB417_9 Depth=1
	v_dual_mov_b32 v23, v21 :: v_dual_mov_b32 v42, 0
	v_dual_mov_b32 v43, 0 :: v_dual_mov_b32 v22, v20
	v_dual_mov_b32 v41, 0 :: v_dual_mov_b32 v40, 0
	s_mov_b64 s[42:43], 0
	s_set_inst_prefetch_distance 0x1
	.p2align	6
.LBB417_43:                             ;   Parent Loop BB417_9 Depth=1
                                        ; =>  This Inner Loop Header: Depth=2
	s_delay_alu instid0(VALU_DEP_2)
	v_add_co_u32 v44, vcc_lo, v22, s38
	v_add_co_ci_u32_e32 v45, vcc_lo, s39, v23, vcc_lo
	v_add_co_u32 v46, vcc_lo, v22, s40
	v_add_co_ci_u32_e32 v47, vcc_lo, s41, v23, vcc_lo
	;; [unrolled: 2-line block ×3, first 2 shown]
	s_clause 0x3
	global_load_u16 v50, v[22:23], off
	global_load_u16 v44, v[44:45], off
	;; [unrolled: 1-line block ×4, first 2 shown]
	s_cmp_eq_u32 s42, 1
	v_add_co_u32 v22, s6, v22, 2
	s_cselect_b32 vcc_lo, -1, 0
	s_cmp_eq_u32 s42, 2
	v_cndmask_b32_e32 v47, v1, v2, vcc_lo
	s_cselect_b32 vcc_lo, -1, 0
	s_cmp_eq_u32 s42, 3
	v_add_co_ci_u32_e64 v23, s6, 0, v23, s6
	s_delay_alu instid0(VALU_DEP_2)
	v_cndmask_b32_e32 v47, v47, v3, vcc_lo
	s_cselect_b32 vcc_lo, -1, 0
	s_add_u32 s42, s42, 1
	s_addc_u32 s43, s43, 0
	s_cmp_lg_u32 s11, s42
	v_cndmask_b32_e32 v47, v47, v4, vcc_lo
	s_waitcnt vmcnt(3)
	s_delay_alu instid0(VALU_DEP_1)
	v_fma_mix_f32 v43, v47, v50, v43 op_sel_hi:[0,1,0]
	s_waitcnt vmcnt(2)
	v_fma_mix_f32 v42, v47, v44, v42 op_sel_hi:[0,1,0]
	s_waitcnt vmcnt(1)
	;; [unrolled: 2-line block ×3, first 2 shown]
	v_fma_mix_f32 v40, v47, v46, v40 op_sel_hi:[0,1,0]
	s_cbranch_scc1 .LBB417_43
.LBB417_44:                             ;   in Loop: Header=BB417_9 Depth=1
	s_set_inst_prefetch_distance 0x2
	s_or_b32 exec_lo, exec_lo, s53
	s_delay_alu instid0(SALU_CYCLE_1)
	s_or_b32 exec_lo, exec_lo, s52
	s_and_saveexec_b32 s6, s0
	s_cbranch_execnz .LBB417_12
	s_branch .LBB417_13
.LBB417_45:                             ;   in Loop: Header=BB417_9 Depth=1
	ds_load_b32 v22, v37
	s_or_b32 exec_lo, exec_lo, s6
	s_and_saveexec_b32 s6, s0
	s_cbranch_execz .LBB417_17
.LBB417_46:                             ;   in Loop: Header=BB417_9 Depth=1
	s_waitcnt lgkmcnt(0)
	ds_bpermute_b32 v23, v34, v22
	s_waitcnt lgkmcnt(0)
	v_add_f32_e32 v22, v22, v23
	ds_bpermute_b32 v23, v35, v22
	s_waitcnt lgkmcnt(0)
	v_add_f32_e32 v22, v22, v23
	;; [unrolled: 3-line block ×3, first 2 shown]
	s_or_b32 exec_lo, exec_lo, s6
	s_and_saveexec_b32 s6, s0
	s_cbranch_execnz .LBB417_18
	s_branch .LBB417_19
.LBB417_47:                             ;   in Loop: Header=BB417_9 Depth=1
	ds_load_b32 v23, v37
	s_or_b32 exec_lo, exec_lo, s6
	s_and_saveexec_b32 s6, s0
	s_cbranch_execz .LBB417_23
.LBB417_48:                             ;   in Loop: Header=BB417_9 Depth=1
	s_waitcnt lgkmcnt(0)
	ds_bpermute_b32 v42, v34, v23
	s_waitcnt lgkmcnt(0)
	v_add_f32_e32 v23, v23, v42
	ds_bpermute_b32 v42, v35, v23
	s_waitcnt lgkmcnt(0)
	v_add_f32_e32 v23, v23, v42
	;; [unrolled: 3-line block ×3, first 2 shown]
	s_or_b32 exec_lo, exec_lo, s6
	s_and_saveexec_b32 s6, s0
	s_cbranch_execnz .LBB417_24
	s_branch .LBB417_25
.LBB417_49:                             ;   in Loop: Header=BB417_9 Depth=1
	ds_load_b32 v41, v37
	s_or_b32 exec_lo, exec_lo, s6
	s_and_saveexec_b32 s6, s0
	s_cbranch_execz .LBB417_29
.LBB417_50:                             ;   in Loop: Header=BB417_9 Depth=1
	s_waitcnt lgkmcnt(0)
	ds_bpermute_b32 v42, v34, v41
	s_waitcnt lgkmcnt(0)
	v_add_f32_e32 v41, v41, v42
	ds_bpermute_b32 v42, v35, v41
	s_waitcnt lgkmcnt(0)
	v_add_f32_e32 v41, v41, v42
	;; [unrolled: 3-line block ×3, first 2 shown]
	s_or_b32 exec_lo, exec_lo, s6
	s_and_saveexec_b32 s6, s0
	s_cbranch_execnz .LBB417_30
	s_branch .LBB417_31
.LBB417_51:                             ;   in Loop: Header=BB417_9 Depth=1
	ds_load_b32 v40, v37
	s_or_b32 exec_lo, exec_lo, s6
	s_and_saveexec_b32 s6, s0
	s_cbranch_execz .LBB417_35
.LBB417_52:                             ;   in Loop: Header=BB417_9 Depth=1
	s_waitcnt lgkmcnt(0)
	ds_bpermute_b32 v42, v34, v40
	s_waitcnt lgkmcnt(0)
	v_add_f32_e32 v40, v40, v42
	ds_bpermute_b32 v42, v35, v40
	s_waitcnt lgkmcnt(0)
	v_add_f32_e32 v40, v40, v42
	;; [unrolled: 3-line block ×3, first 2 shown]
	s_or_b32 exec_lo, exec_lo, s6
	s_and_saveexec_b32 s6, s5
	s_cbranch_execz .LBB417_8
.LBB417_53:                             ;   in Loop: Header=BB417_9 Depth=1
	s_mul_hi_u32 s43, s15, s12
	s_mul_i32 s42, s15, s12
	v_dual_mul_f32 v22, s10, v22 :: v_dual_mul_f32 v23, s10, v23
	s_lshl_b64 s[42:43], s[42:43], 2
	s_waitcnt lgkmcnt(0)
	v_mul_f32_e32 v40, s10, v40
	s_add_u32 s42, s48, s42
	s_addc_u32 s43, s49, s43
	s_or_b32 s7, s15, 1
	global_store_b32 v39, v22, s[42:43]
	s_mul_hi_u32 s53, s7, s12
	s_mul_i32 s52, s7, s12
	v_mul_f32_e32 v22, s10, v41
	s_lshl_b64 s[52:53], s[52:53], 2
	s_delay_alu instid0(SALU_CYCLE_1)
	s_add_u32 s52, s48, s52
	s_addc_u32 s53, s49, s53
	s_or_b32 s7, s15, 2
	global_store_b32 v39, v23, s[52:53]
	s_mul_hi_u32 s55, s7, s12
	s_mul_i32 s54, s7, s12
	s_delay_alu instid0(SALU_CYCLE_1) | instskip(NEXT) | instid1(SALU_CYCLE_1)
	s_lshl_b64 s[54:55], s[54:55], 2
	s_add_u32 s42, s48, s54
	s_addc_u32 s43, s49, s55
	s_or_b32 s7, s15, 3
	s_delay_alu instid0(SALU_CYCLE_1) | instskip(SKIP_1) | instid1(SALU_CYCLE_1)
	s_mul_hi_u32 s55, s7, s12
	s_mul_i32 s54, s7, s12
	s_lshl_b64 s[54:55], s[54:55], 2
	s_delay_alu instid0(SALU_CYCLE_1)
	s_add_u32 s52, s48, s54
	s_addc_u32 s53, s49, s55
	s_clause 0x1
	global_store_b32 v39, v22, s[42:43]
	global_store_b32 v39, v40, s[52:53]
	s_branch .LBB417_8
.LBB417_54:
	s_mov_b32 s15, 0
                                        ; implicit-def: $vgpr1_vgpr2_vgpr3_vgpr4
.LBB417_55:
	s_delay_alu instid0(SALU_CYCLE_1)
	s_cmp_ge_i32 s15, s9
	s_cbranch_scc1 .LBB417_79
; %bb.56:
	v_cmp_gt_u32_e32 vcc_lo, 16, v27
	v_cmp_ge_i32_e64 s0, s8, v30
	v_cmp_ge_i32_e64 s1, s8, v31
	v_mad_i64_i32 v[19:20], null, s26, v25, 0
	v_cndmask_b32_e64 v10, 0, 1, vcc_lo
	v_cmp_gt_u32_e32 vcc_lo, 24, v27
	s_cmp_gt_i32 s11, 0
	s_mov_b32 s35, 0
	s_mov_b32 s34, s14
	v_lshlrev_b32_e32 v10, 4, v10
	v_cndmask_b32_e64 v11, 0, 1, vcc_lo
	v_cmp_gt_u32_e32 vcc_lo, 28, v27
	s_cselect_b32 s8, -1, 0
	s_lshl_b64 s[6:7], s[34:35], 2
	v_add_lshl_u32 v22, v10, v27, 2
	v_lshlrev_b32_e32 v11, 3, v11
	v_cndmask_b32_e64 v12, 0, 1, vcc_lo
	v_cmp_gt_u32_e32 vcc_lo, 30, v27
	s_add_u32 s14, s33, s6
	s_addc_u32 s33, s44, s7
	v_add_lshl_u32 v23, v11, v27, 2
	v_lshlrev_b32_e32 v12, 2, v12
	v_cndmask_b32_e64 v13, 0, 1, vcc_lo
	v_cmp_ne_u32_e32 vcc_lo, 31, v27
	v_mad_i64_i32 v[10:11], null, s26, v9, 0
	s_delay_alu instid0(VALU_DEP_4) | instskip(NEXT) | instid1(VALU_DEP_4)
	v_add_lshl_u32 v30, v12, v27, 2
	v_lshlrev_b32_e32 v13, 1, v13
	v_add_co_ci_u32_e32 v14, vcc_lo, 0, v27, vcc_lo
	s_add_u32 s6, s22, s30
	s_addc_u32 s7, s23, s31
	s_delay_alu instid0(VALU_DEP_2)
	v_add_lshl_u32 v27, v13, v27, 2
	v_mad_i64_i32 v[12:13], null, s26, v28, 0
	v_lshlrev_b32_e32 v31, 2, v14
	v_mad_i64_i32 v[14:15], null, s26, v26, 0
	v_lshlrev_b64 v[17:18], 1, v[10:11]
	s_mul_hi_u32 s22, s24, s15
	v_cmp_gt_u32_e64 s2, 32, v0
	v_lshlrev_b64 v[11:12], 1, v[12:13]
	v_lshlrev_b32_e32 v21, 2, v24
	v_cmp_eq_u32_e64 s3, 0, v24
	v_add_co_u32 v9, vcc_lo, s13, v17
	v_lshlrev_b64 v[13:14], 1, v[14:15]
	v_add_co_ci_u32_e32 v10, vcc_lo, s45, v18, vcc_lo
	v_add_co_u32 v11, vcc_lo, s13, v11
	v_lshlrev_b64 v[15:16], 1, v[19:20]
	v_add_co_ci_u32_e32 v12, vcc_lo, s45, v12, vcc_lo
	v_add_co_u32 v13, vcc_lo, s13, v13
	v_add_co_ci_u32_e32 v14, vcc_lo, s45, v14, vcc_lo
	s_delay_alu instid0(VALU_DEP_4)
	v_add_co_u32 v15, vcc_lo, s13, v15
	s_add_u32 s13, s6, s28
	s_mul_i32 s6, s25, s15
	v_add_co_ci_u32_e32 v16, vcc_lo, s45, v16, vcc_lo
	s_addc_u32 s23, s7, s29
	s_add_i32 s7, s22, s6
	s_mul_i32 s6, s24, s15
	v_add_co_u32 v17, vcc_lo, s13, v17
	s_lshl_b64 s[6:7], s[6:7], 1
	v_add_co_ci_u32_e32 v18, vcc_lo, s23, v18, vcc_lo
	s_lshl_b64 s[22:23], s[26:27], 1
	s_add_u32 s6, s20, s6
	s_addc_u32 s7, s21, s7
	s_add_u32 s6, s6, s18
	s_addc_u32 s7, s7, s19
	;; [unrolled: 2-line block ×3, first 2 shown]
	v_add_co_u32 v7, vcc_lo, s6, v7
	v_and_b32_e32 v24, 28, v29
	v_cmp_gt_u32_e64 s4, 8, v0
	v_cmp_eq_u32_e64 s5, 0, v0
	v_mov_b32_e32 v0, 0
	v_add_co_ci_u32_e32 v8, vcc_lo, s7, v8, vcc_lo
	s_lshl_b64 s[16:17], s[24:25], 1
	s_branch .LBB417_58
.LBB417_57:                             ;   in Loop: Header=BB417_58 Depth=1
	s_or_b32 exec_lo, exec_lo, s6
	v_add_co_u32 v7, vcc_lo, v7, s16
	v_add_co_ci_u32_e32 v8, vcc_lo, s17, v8, vcc_lo
	s_add_i32 s15, s15, 1
	s_delay_alu instid0(SALU_CYCLE_1)
	s_cmp_ge_i32 s15, s9
	s_cbranch_scc1 .LBB417_79
.LBB417_58:                             ; =>This Loop Header: Depth=1
                                        ;     Child Loop BB417_71 Depth 2
                                        ;     Child Loop BB417_74 Depth 2
	v_mov_b32_e32 v25, s35
	s_and_saveexec_b32 s6, s0
	s_delay_alu instid0(SALU_CYCLE_1)
	s_xor_b32 s6, exec_lo, s6
	s_cbranch_execnz .LBB417_67
; %bb.59:                               ;   in Loop: Header=BB417_58 Depth=1
	s_and_not1_saveexec_b32 s13, s6
	s_cbranch_execnz .LBB417_68
.LBB417_60:                             ;   in Loop: Header=BB417_58 Depth=1
	s_or_b32 exec_lo, exec_lo, s13
	s_and_saveexec_b32 s6, s2
	s_cbranch_execz .LBB417_62
.LBB417_61:                             ;   in Loop: Header=BB417_58 Depth=1
	ds_store_b32 v21, v0
.LBB417_62:                             ;   in Loop: Header=BB417_58 Depth=1
	s_or_b32 exec_lo, exec_lo, s6
	s_waitcnt lgkmcnt(0)
	ds_bpermute_b32 v19, v22, v25
	s_waitcnt lgkmcnt(0)
	s_waitcnt_vscnt null, 0x0
	s_barrier
	buffer_gl0_inv
	v_add_f32_e32 v19, v25, v19
	ds_bpermute_b32 v20, v23, v19
	s_waitcnt lgkmcnt(0)
	v_add_f32_e32 v19, v19, v20
	ds_bpermute_b32 v20, v30, v19
	s_waitcnt lgkmcnt(0)
	;; [unrolled: 3-line block ×3, first 2 shown]
	v_add_f32_e32 v19, v19, v20
	ds_bpermute_b32 v20, v31, v19
	s_and_saveexec_b32 s6, s3
	s_cbranch_execz .LBB417_64
; %bb.63:                               ;   in Loop: Header=BB417_58 Depth=1
	s_waitcnt lgkmcnt(0)
	v_add_f32_e32 v19, v19, v20
	ds_store_b32 v24, v19
.LBB417_64:                             ;   in Loop: Header=BB417_58 Depth=1
	s_or_b32 exec_lo, exec_lo, s6
	v_mov_b32_e32 v19, 0
	s_waitcnt lgkmcnt(0)
	s_barrier
	buffer_gl0_inv
	s_and_saveexec_b32 s6, s4
	s_cbranch_execnz .LBB417_76
; %bb.65:                               ;   in Loop: Header=BB417_58 Depth=1
	s_or_b32 exec_lo, exec_lo, s6
	s_and_saveexec_b32 s6, s2
	s_cbranch_execnz .LBB417_77
.LBB417_66:                             ;   in Loop: Header=BB417_58 Depth=1
	s_or_b32 exec_lo, exec_lo, s6
	s_and_saveexec_b32 s6, s5
	s_cbranch_execz .LBB417_57
	s_branch .LBB417_78
.LBB417_67:                             ;   in Loop: Header=BB417_58 Depth=1
	s_mul_i32 s7, s15, s25
	s_mul_hi_u32 s13, s15, s24
	s_mul_i32 s18, s15, s24
	s_add_i32 s19, s13, s7
	s_delay_alu instid0(SALU_CYCLE_1) | instskip(NEXT) | instid1(SALU_CYCLE_1)
	s_lshl_b64 s[18:19], s[18:19], 1
	v_add_co_u32 v1, vcc_lo, v5, s18
	v_add_co_ci_u32_e32 v2, vcc_lo, s19, v6, vcc_lo
	s_waitcnt lgkmcnt(0)
	global_load_b64 v[19:20], v[1:2], off
	s_clause 0x3
	global_load_u16 v1, v[9:10], off
	global_load_u16 v2, v[11:12], off
	;; [unrolled: 1-line block ×4, first 2 shown]
	s_waitcnt vmcnt(3)
	v_fma_mix_f32 v4, v1, v19, 0 op_sel_hi:[1,1,0]
	v_cvt_f32_f16_e32 v1, v1
	s_waitcnt vmcnt(2)
	s_delay_alu instid0(VALU_DEP_2) | instskip(SKIP_2) | instid1(VALU_DEP_2)
	v_fma_mix_f32 v4, v2, v19, v4 op_sel:[0,1,0] op_sel_hi:[1,1,0]
	v_cvt_f32_f16_e32 v2, v2
	s_waitcnt vmcnt(1)
	v_fma_mix_f32 v19, v3, v20, v4 op_sel_hi:[1,1,0]
	v_cvt_f32_f16_e32 v3, v3
	s_waitcnt vmcnt(0)
	v_cvt_f32_f16_e32 v4, v25
	s_delay_alu instid0(VALU_DEP_3)
	v_fma_mix_f32 v25, v25, v20, v19 op_sel:[0,1,0] op_sel_hi:[1,1,0]
	s_and_not1_saveexec_b32 s13, s6
	s_cbranch_execz .LBB417_60
.LBB417_68:                             ;   in Loop: Header=BB417_58 Depth=1
	s_and_saveexec_b32 s20, s1
	s_cbranch_execz .LBB417_75
; %bb.69:                               ;   in Loop: Header=BB417_58 Depth=1
	s_and_not1_b32 vcc_lo, exec_lo, s8
	s_cbranch_vccnz .LBB417_72
; %bb.70:                               ;   in Loop: Header=BB417_58 Depth=1
	s_waitcnt lgkmcnt(0)
	v_dual_mov_b32 v20, v18 :: v_dual_mov_b32 v19, v17
	s_mov_b64 s[18:19], 0
	.p2align	6
.LBB417_71:                             ;   Parent Loop BB417_58 Depth=1
                                        ; =>  This Inner Loop Header: Depth=2
	global_load_u16 v26, v[19:20], off
	v_add_co_u32 v19, vcc_lo, v19, s22
	s_cmp_eq_u32 s18, 3
	v_add_co_ci_u32_e32 v20, vcc_lo, s23, v20, vcc_lo
	s_cselect_b32 vcc_lo, -1, 0
	s_cmp_eq_u32 s18, 2
	s_cselect_b32 s6, -1, 0
	s_cmp_eq_u32 s18, 1
	s_cselect_b32 s7, -1, 0
	s_cmp_eq_u32 s18, 0
	s_waitcnt vmcnt(0)
	v_cvt_f32_f16_e32 v26, v26
	s_delay_alu instid0(VALU_DEP_1)
	v_cndmask_b32_e32 v4, v4, v26, vcc_lo
	s_cselect_b32 vcc_lo, -1, 0
	v_cndmask_b32_e64 v3, v3, v26, s6
	v_cndmask_b32_e64 v2, v2, v26, s7
	v_cndmask_b32_e32 v1, v1, v26, vcc_lo
	s_add_u32 s18, s18, 1
	s_addc_u32 s19, s19, 0
	s_cmp_eq_u32 s11, s18
	s_cbranch_scc0 .LBB417_71
.LBB417_72:                             ;   in Loop: Header=BB417_58 Depth=1
	s_and_not1_b32 vcc_lo, exec_lo, s8
	s_cbranch_vccnz .LBB417_75
; %bb.73:                               ;   in Loop: Header=BB417_58 Depth=1
	s_waitcnt lgkmcnt(0)
	v_dual_mov_b32 v20, v8 :: v_dual_mov_b32 v19, v7
	s_mov_b64 s[6:7], 0
	.p2align	6
.LBB417_74:                             ;   Parent Loop BB417_58 Depth=1
                                        ; =>  This Inner Loop Header: Depth=2
	global_load_u16 v26, v[19:20], off
	s_cmp_eq_u32 s6, 1
	s_cselect_b32 vcc_lo, -1, 0
	s_cmp_eq_u32 s6, 2
	v_cndmask_b32_e32 v28, v1, v2, vcc_lo
	s_cselect_b32 vcc_lo, -1, 0
	s_cmp_eq_u32 s6, 3
	s_delay_alu instid0(VALU_DEP_1)
	v_cndmask_b32_e32 v28, v28, v3, vcc_lo
	s_cselect_b32 vcc_lo, -1, 0
	s_add_u32 s6, s6, 1
	s_addc_u32 s7, s7, 0
	s_cmp_lg_u32 s11, s6
	v_cndmask_b32_e32 v28, v28, v4, vcc_lo
	v_add_co_u32 v19, vcc_lo, v19, 2
	v_add_co_ci_u32_e32 v20, vcc_lo, 0, v20, vcc_lo
	s_waitcnt vmcnt(0)
	s_delay_alu instid0(VALU_DEP_3)
	v_fma_mix_f32 v25, v28, v26, v25 op_sel_hi:[0,1,0]
	s_cbranch_scc1 .LBB417_74
.LBB417_75:                             ;   in Loop: Header=BB417_58 Depth=1
	s_or_b32 exec_lo, exec_lo, s20
	s_delay_alu instid0(SALU_CYCLE_1)
	s_or_b32 exec_lo, exec_lo, s13
	s_and_saveexec_b32 s6, s2
	s_cbranch_execnz .LBB417_61
	s_branch .LBB417_62
.LBB417_76:                             ;   in Loop: Header=BB417_58 Depth=1
	ds_load_b32 v19, v21
	s_or_b32 exec_lo, exec_lo, s6
	s_and_saveexec_b32 s6, s2
	s_cbranch_execz .LBB417_66
.LBB417_77:                             ;   in Loop: Header=BB417_58 Depth=1
	s_waitcnt lgkmcnt(0)
	ds_bpermute_b32 v20, v30, v19
	s_waitcnt lgkmcnt(0)
	v_add_f32_e32 v19, v19, v20
	ds_bpermute_b32 v20, v27, v19
	s_waitcnt lgkmcnt(0)
	v_add_f32_e32 v19, v19, v20
	;; [unrolled: 3-line block ×3, first 2 shown]
	s_or_b32 exec_lo, exec_lo, s6
	s_and_saveexec_b32 s6, s5
	s_cbranch_execz .LBB417_57
.LBB417_78:                             ;   in Loop: Header=BB417_58 Depth=1
	s_mul_hi_u32 s19, s15, s12
	s_mul_i32 s18, s15, s12
	s_waitcnt lgkmcnt(0)
	v_mul_f32_e32 v19, s10, v19
	s_lshl_b64 s[18:19], s[18:19], 2
	s_delay_alu instid0(SALU_CYCLE_1)
	s_add_u32 s18, s14, s18
	s_addc_u32 s19, s33, s19
	global_store_b32 v0, v19, s[18:19]
	s_branch .LBB417_57
.LBB417_79:
	s_nop 0
	s_sendmsg sendmsg(MSG_DEALLOC_VGPRS)
	s_endpgm
	.section	.rodata,"a",@progbits
	.p2align	6, 0x0
	.amdhsa_kernel _ZL23rocblas_gemvt_sn_kernelILb1ELi256ELi4ElDF16_ffEviiT4_lPKT3_lilS3_lilPT5_i
		.amdhsa_group_segment_fixed_size 128
		.amdhsa_private_segment_fixed_size 0
		.amdhsa_kernarg_size 360
		.amdhsa_user_sgpr_count 14
		.amdhsa_user_sgpr_dispatch_ptr 0
		.amdhsa_user_sgpr_queue_ptr 0
		.amdhsa_user_sgpr_kernarg_segment_ptr 1
		.amdhsa_user_sgpr_dispatch_id 0
		.amdhsa_user_sgpr_private_segment_size 0
		.amdhsa_wavefront_size32 1
		.amdhsa_uses_dynamic_stack 0
		.amdhsa_enable_private_segment 0
		.amdhsa_system_sgpr_workgroup_id_x 1
		.amdhsa_system_sgpr_workgroup_id_y 0
		.amdhsa_system_sgpr_workgroup_id_z 1
		.amdhsa_system_sgpr_workgroup_info 0
		.amdhsa_system_vgpr_workitem_id 0
		.amdhsa_next_free_vgpr 51
		.amdhsa_next_free_sgpr 56
		.amdhsa_reserve_vcc 1
		.amdhsa_float_round_mode_32 0
		.amdhsa_float_round_mode_16_64 0
		.amdhsa_float_denorm_mode_32 3
		.amdhsa_float_denorm_mode_16_64 3
		.amdhsa_dx10_clamp 1
		.amdhsa_ieee_mode 1
		.amdhsa_fp16_overflow 0
		.amdhsa_workgroup_processor_mode 1
		.amdhsa_memory_ordered 1
		.amdhsa_forward_progress 0
		.amdhsa_shared_vgpr_count 0
		.amdhsa_exception_fp_ieee_invalid_op 0
		.amdhsa_exception_fp_denorm_src 0
		.amdhsa_exception_fp_ieee_div_zero 0
		.amdhsa_exception_fp_ieee_overflow 0
		.amdhsa_exception_fp_ieee_underflow 0
		.amdhsa_exception_fp_ieee_inexact 0
		.amdhsa_exception_int_div_zero 0
	.end_amdhsa_kernel
	.section	.text._ZL23rocblas_gemvt_sn_kernelILb1ELi256ELi4ElDF16_ffEviiT4_lPKT3_lilS3_lilPT5_i,"axG",@progbits,_ZL23rocblas_gemvt_sn_kernelILb1ELi256ELi4ElDF16_ffEviiT4_lPKT3_lilS3_lilPT5_i,comdat
.Lfunc_end417:
	.size	_ZL23rocblas_gemvt_sn_kernelILb1ELi256ELi4ElDF16_ffEviiT4_lPKT3_lilS3_lilPT5_i, .Lfunc_end417-_ZL23rocblas_gemvt_sn_kernelILb1ELi256ELi4ElDF16_ffEviiT4_lPKT3_lilS3_lilPT5_i
                                        ; -- End function
	.section	.AMDGPU.csdata,"",@progbits
; Kernel info:
; codeLenInByte = 4268
; NumSgprs: 58
; NumVgprs: 51
; ScratchSize: 0
; MemoryBound: 0
; FloatMode: 240
; IeeeMode: 1
; LDSByteSize: 128 bytes/workgroup (compile time only)
; SGPRBlocks: 7
; VGPRBlocks: 6
; NumSGPRsForWavesPerEU: 58
; NumVGPRsForWavesPerEU: 51
; Occupancy: 16
; WaveLimiterHint : 1
; COMPUTE_PGM_RSRC2:SCRATCH_EN: 0
; COMPUTE_PGM_RSRC2:USER_SGPR: 14
; COMPUTE_PGM_RSRC2:TRAP_HANDLER: 0
; COMPUTE_PGM_RSRC2:TGID_X_EN: 1
; COMPUTE_PGM_RSRC2:TGID_Y_EN: 0
; COMPUTE_PGM_RSRC2:TGID_Z_EN: 1
; COMPUTE_PGM_RSRC2:TIDIG_COMP_CNT: 0
	.section	.text._ZL20rocblas_gemvt_kernelILb1ELi256EDF16_PKfDF16_EviiT2_lPKT1_lilS5_lilS2_lPT3_lili,"axG",@progbits,_ZL20rocblas_gemvt_kernelILb1ELi256EDF16_PKfDF16_EviiT2_lPKT1_lilS5_lilS2_lPT3_lili,comdat
	.globl	_ZL20rocblas_gemvt_kernelILb1ELi256EDF16_PKfDF16_EviiT2_lPKT1_lilS5_lilS2_lPT3_lili ; -- Begin function _ZL20rocblas_gemvt_kernelILb1ELi256EDF16_PKfDF16_EviiT2_lPKT1_lilS5_lilS2_lPT3_lili
	.p2align	8
	.type	_ZL20rocblas_gemvt_kernelILb1ELi256EDF16_PKfDF16_EviiT2_lPKT1_lilS5_lilS2_lPT3_lili,@function
_ZL20rocblas_gemvt_kernelILb1ELi256EDF16_PKfDF16_EviiT2_lPKT1_lilS5_lilS2_lPT3_lili: ; @_ZL20rocblas_gemvt_kernelILb1ELi256EDF16_PKfDF16_EviiT2_lPKT1_lilS5_lilS2_lPT3_lili
; %bb.0:
	s_clause 0x1
	s_load_b256 s[16:23], s[0:1], 0x8
	s_load_b256 s[4:11], s[0:1], 0x50
	s_waitcnt lgkmcnt(0)
	s_mul_i32 s3, s15, s19
	s_mul_hi_u32 s12, s15, s18
	s_mul_i32 s2, s15, s18
	s_add_i32 s3, s12, s3
	s_mul_i32 s9, s15, s9
	s_lshl_b64 s[2:3], s[2:3], 2
	s_mul_hi_u32 s12, s15, s8
	s_add_u32 s2, s16, s2
	s_addc_u32 s3, s17, s3
	s_add_i32 s9, s12, s9
	s_mul_i32 s8, s15, s8
	s_mov_b32 s17, 0
	s_lshl_b64 s[8:9], s[8:9], 2
	s_delay_alu instid0(SALU_CYCLE_1)
	s_add_u32 s6, s6, s8
	s_addc_u32 s7, s7, s9
	s_load_b32 s18, s[2:3], 0x0
	s_load_b32 s16, s[6:7], 0x0
	s_waitcnt lgkmcnt(0)
	v_cmp_eq_f32_e64 s2, s18, 0
	v_cmp_eq_f32_e64 s3, s16, 1.0
	s_delay_alu instid0(VALU_DEP_1) | instskip(NEXT) | instid1(SALU_CYCLE_1)
	s_and_b32 s2, s2, s3
	s_and_b32 vcc_lo, exec_lo, s2
	s_cbranch_vccnz .LBB418_37
; %bb.1:
	s_clause 0x2
	s_load_b64 s[2:3], s[0:1], 0x80
	s_load_b64 s[6:7], s[0:1], 0x70
	s_load_b32 s19, s[0:1], 0x78
	s_waitcnt lgkmcnt(0)
	s_mul_i32 s3, s15, s3
	s_mul_hi_u32 s8, s15, s2
	s_mul_i32 s2, s15, s2
	s_add_i32 s3, s8, s3
	v_cmp_neq_f32_e64 s8, s18, 0
	s_lshl_b64 s[2:3], s[2:3], 1
	s_delay_alu instid0(SALU_CYCLE_1) | instskip(SKIP_2) | instid1(SALU_CYCLE_1)
	s_add_u32 s9, s10, s2
	s_addc_u32 s10, s11, s3
	s_lshl_b64 s[2:3], s[6:7], 1
	s_add_u32 s12, s9, s2
	v_cmp_eq_u32_e64 s2, 0, v0
	s_addc_u32 s13, s10, s3
	s_and_b32 vcc_lo, exec_lo, s8
	s_cbranch_vccnz .LBB418_5
; %bb.2:
	s_mov_b32 s3, 0
                                        ; implicit-def: $vgpr1
                                        ; implicit-def: $sgpr6_sgpr7
	s_and_saveexec_b32 s8, s2
	s_cbranch_execz .LBB418_6
; %bb.3:
	v_cmp_eq_f32_e64 s2, s16, 0
	s_mul_hi_i32 s7, s19, s14
	s_mul_i32 s6, s19, s14
	s_delay_alu instid0(VALU_DEP_1)
	s_and_b32 vcc_lo, exec_lo, s2
	s_cbranch_vccnz .LBB418_7
; %bb.4:
	s_lshl_b64 s[10:11], s[6:7], 1
	v_mov_b32_e32 v1, 0
	s_add_u32 s10, s12, s10
	s_addc_u32 s11, s13, s11
	global_load_u16 v1, v1, s[10:11]
	s_waitcnt vmcnt(0)
	v_fma_mixlo_f16 v1, s16, v1, 0 op_sel_hi:[0,1,0]
	s_branch .LBB418_8
.LBB418_5:
                                        ; implicit-def: $vgpr1
                                        ; implicit-def: $sgpr6_sgpr7
	s_cbranch_execnz .LBB418_9
	s_branch .LBB418_35
.LBB418_6:
	s_or_b32 exec_lo, exec_lo, s8
	s_delay_alu instid0(SALU_CYCLE_1)
	s_and_b32 vcc_lo, exec_lo, s3
	s_cbranch_vccnz .LBB418_9
	s_branch .LBB418_35
.LBB418_7:
	v_mov_b32_e32 v1, 0
.LBB418_8:
	s_mov_b32 s17, exec_lo
	s_or_b32 exec_lo, exec_lo, s8
	s_delay_alu instid0(SALU_CYCLE_1)
	s_and_b32 vcc_lo, exec_lo, s3
	s_cbranch_vccz .LBB418_35
.LBB418_9:
	s_clause 0x4
	s_load_b128 s[8:11], s[0:1], 0x30
	s_load_b32 s7, s[0:1], 0x0
	s_load_b32 s6, s[0:1], 0x28
	s_load_b64 s[2:3], s[0:1], 0x40
	s_load_b32 s0, s[0:1], 0x48
	s_mul_i32 s5, s15, s5
	s_mul_hi_u32 s24, s15, s4
	v_mov_b32_e32 v7, 0
	s_add_i32 s5, s24, s5
	s_mul_i32 s4, s15, s4
	s_waitcnt lgkmcnt(0)
	s_mul_i32 s1, s15, s9
	s_mul_hi_u32 s9, s15, s8
	v_cmp_gt_i32_e32 vcc_lo, s7, v0
	s_mul_i32 s8, s15, s8
	s_add_i32 s9, s9, s1
	s_mul_hi_i32 s25, s6, s14
	s_lshl_b64 s[8:9], s[8:9], 1
	v_cndmask_b32_e32 v1, 0, v0, vcc_lo
	s_add_u32 s1, s20, s8
	s_addc_u32 s20, s21, s9
	s_lshl_b64 s[8:9], s[22:23], 1
	s_mul_i32 s24, s6, s14
	s_add_u32 s1, s1, s8
	s_addc_u32 s6, s20, s9
	s_lshl_b64 s[8:9], s[24:25], 1
	v_lshlrev_b32_e32 v1, 1, v1
	s_add_u32 s1, s8, s1
	s_addc_u32 s6, s9, s6
	s_ashr_i32 s8, s7, 31
	s_mov_b32 s15, 0
	s_lshr_b32 s8, s8, 24
	v_add_co_u32 v1, s1, s1, v1
	s_add_i32 s8, s7, s8
	v_add_co_ci_u32_e64 v2, null, s6, 0, s1
	s_and_b32 s6, s8, 0xffffff00
	s_cmpk_lt_i32 s7, 0x100
	s_cbranch_scc1 .LBB418_12
; %bb.10:
	v_mad_i64_i32 v[3:4], null, s0, v0, 0
	s_lshl_b64 s[20:21], s[2:3], 1
	s_ashr_i32 s1, s0, 31
	s_lshl_b64 s[8:9], s[4:5], 1
	s_add_u32 s20, s10, s20
	s_addc_u32 s21, s11, s21
	s_add_u32 s8, s20, s8
	s_delay_alu instid0(VALU_DEP_1) | instskip(SKIP_3) | instid1(VALU_DEP_3)
	v_lshlrev_b64 v[3:4], 1, v[3:4]
	s_addc_u32 s9, s21, s9
	v_dual_mov_b32 v7, 0 :: v_dual_mov_b32 v6, v2
	v_mov_b32_e32 v5, v1
	v_add_co_u32 v3, vcc_lo, s8, v3
	s_delay_alu instid0(VALU_DEP_4)
	v_add_co_ci_u32_e32 v4, vcc_lo, s9, v4, vcc_lo
	s_lshl_b64 s[8:9], s[0:1], 9
	.p2align	6
.LBB418_11:                             ; =>This Inner Loop Header: Depth=1
	global_load_u16 v8, v[5:6], off
	global_load_u16 v9, v[3:4], off
	v_add_co_u32 v3, vcc_lo, v3, s8
	v_add_co_ci_u32_e32 v4, vcc_lo, s9, v4, vcc_lo
	v_add_co_u32 v5, vcc_lo, 0x200, v5
	v_add_co_ci_u32_e32 v6, vcc_lo, 0, v6, vcc_lo
	s_addk_i32 s15, 0x100
	s_delay_alu instid0(SALU_CYCLE_1) | instskip(SKIP_2) | instid1(VALU_DEP_1)
	s_cmp_ge_i32 s15, s6
	s_waitcnt vmcnt(0)
	v_mul_f16_e32 v8, v8, v9
	v_cvt_f32_f16_e32 v8, v8
	s_delay_alu instid0(VALU_DEP_1)
	v_add_f32_e32 v7, v7, v8
	s_cbranch_scc0 .LBB418_11
.LBB418_12:
	v_add_nc_u32_e32 v3, s6, v0
	s_mov_b32 s1, exec_lo
	s_delay_alu instid0(VALU_DEP_1)
	v_cmpx_gt_i32_e64 s7, v3
	s_cbranch_execz .LBB418_14
; %bb.13:
	v_mad_i64_i32 v[4:5], null, s0, v3, 0
	s_lshl_b64 s[4:5], s[4:5], 1
	s_delay_alu instid0(SALU_CYCLE_1) | instskip(SKIP_2) | instid1(SALU_CYCLE_1)
	s_add_u32 s4, s10, s4
	s_addc_u32 s5, s11, s5
	s_lshl_b64 s[2:3], s[2:3], 1
	s_add_u32 s0, s4, s2
	s_addc_u32 s4, s5, s3
	s_ashr_i32 s7, s6, 31
	v_lshlrev_b64 v[3:4], 1, v[4:5]
	s_lshl_b64 s[2:3], s[6:7], 1
	s_delay_alu instid0(SALU_CYCLE_1) | instskip(SKIP_1) | instid1(VALU_DEP_3)
	v_add_co_u32 v1, vcc_lo, v1, s2
	v_add_co_ci_u32_e32 v2, vcc_lo, s3, v2, vcc_lo
	v_add_co_u32 v3, vcc_lo, s0, v3
	s_delay_alu instid0(VALU_DEP_4) | instskip(SKIP_4) | instid1(VALU_DEP_1)
	v_add_co_ci_u32_e32 v4, vcc_lo, s4, v4, vcc_lo
	global_load_u16 v1, v[1:2], off
	global_load_u16 v2, v[3:4], off
	s_waitcnt vmcnt(0)
	v_mul_f16_e32 v1, v1, v2
	v_cvt_f32_f16_e32 v1, v1
	s_delay_alu instid0(VALU_DEP_1)
	v_add_f32_e32 v7, v7, v1
.LBB418_14:
	s_or_b32 exec_lo, exec_lo, s1
	v_lshlrev_b32_e32 v1, 2, v0
	s_mov_b32 s0, exec_lo
	ds_store_b32 v1, v7
	s_waitcnt lgkmcnt(0)
	s_barrier
	buffer_gl0_inv
	v_cmpx_gt_u32_e32 0x80, v0
	s_cbranch_execz .LBB418_16
; %bb.15:
	ds_load_2addr_stride64_b32 v[2:3], v1 offset1:2
	s_waitcnt lgkmcnt(0)
	v_add_f32_e32 v2, v3, v2
	ds_store_b32 v1, v2
.LBB418_16:
	s_or_b32 exec_lo, exec_lo, s0
	s_delay_alu instid0(SALU_CYCLE_1)
	s_mov_b32 s0, exec_lo
	s_waitcnt lgkmcnt(0)
	s_barrier
	buffer_gl0_inv
	v_cmpx_gt_u32_e32 64, v0
	s_cbranch_execz .LBB418_18
; %bb.17:
	ds_load_2addr_stride64_b32 v[2:3], v1 offset1:1
	s_waitcnt lgkmcnt(0)
	v_add_f32_e32 v2, v3, v2
	ds_store_b32 v1, v2
.LBB418_18:
	s_or_b32 exec_lo, exec_lo, s0
	s_delay_alu instid0(SALU_CYCLE_1)
	s_mov_b32 s0, exec_lo
	s_waitcnt lgkmcnt(0)
	s_barrier
	buffer_gl0_inv
	v_cmpx_gt_u32_e32 32, v0
	s_cbranch_execz .LBB418_20
; %bb.19:
	ds_load_2addr_b32 v[2:3], v1 offset1:32
	s_waitcnt lgkmcnt(0)
	v_add_f32_e32 v2, v3, v2
	ds_store_b32 v1, v2
.LBB418_20:
	s_or_b32 exec_lo, exec_lo, s0
	s_delay_alu instid0(SALU_CYCLE_1)
	s_mov_b32 s0, exec_lo
	s_waitcnt lgkmcnt(0)
	s_barrier
	buffer_gl0_inv
	v_cmpx_gt_u32_e32 16, v0
	s_cbranch_execz .LBB418_22
; %bb.21:
	ds_load_2addr_b32 v[2:3], v1 offset1:16
	s_waitcnt lgkmcnt(0)
	v_add_f32_e32 v2, v3, v2
	ds_store_b32 v1, v2
.LBB418_22:
	;; [unrolled: 14-line block ×5, first 2 shown]
	s_or_b32 exec_lo, exec_lo, s0
	v_cmp_eq_u32_e32 vcc_lo, 0, v0
	s_waitcnt lgkmcnt(0)
	s_barrier
	buffer_gl0_inv
	s_and_saveexec_b32 s0, vcc_lo
	s_cbranch_execz .LBB418_30
; %bb.29:
	v_mov_b32_e32 v2, 0
	ds_load_b64 v[0:1], v2
	s_waitcnt lgkmcnt(0)
	v_add_f32_e32 v0, v1, v0
	ds_store_b32 v2, v0
.LBB418_30:
	s_or_b32 exec_lo, exec_lo, s0
	s_waitcnt lgkmcnt(0)
	s_barrier
	buffer_gl0_inv
                                        ; implicit-def: $vgpr1
                                        ; implicit-def: $sgpr6_sgpr7
	s_and_saveexec_b32 s0, vcc_lo
	s_cbranch_execz .LBB418_34
; %bb.31:
	v_mov_b32_e32 v1, 0
	v_cmp_eq_f32_e64 s1, s16, 0
	s_mul_hi_i32 s7, s19, s14
	s_mul_i32 s6, s19, s14
	ds_load_b32 v0, v1
	s_and_b32 vcc_lo, exec_lo, s1
	s_waitcnt lgkmcnt(0)
	v_mul_f32_e32 v0, s18, v0
	s_cbranch_vccnz .LBB418_33
; %bb.32:
	s_lshl_b64 s[2:3], s[6:7], 1
	s_delay_alu instid0(SALU_CYCLE_1)
	s_add_u32 s2, s12, s2
	s_addc_u32 s3, s13, s3
	global_load_u16 v1, v1, s[2:3]
	s_waitcnt vmcnt(0)
	v_fma_mix_f32 v0, s16, v1, v0 op_sel_hi:[0,1,0]
.LBB418_33:
	s_delay_alu instid0(VALU_DEP_1)
	v_cvt_f16_f32_e32 v1, v0
	s_or_b32 s17, s17, exec_lo
.LBB418_34:
	s_or_b32 exec_lo, exec_lo, s0
.LBB418_35:
	s_and_saveexec_b32 s0, s17
	s_cbranch_execz .LBB418_37
; %bb.36:
	s_lshl_b64 s[0:1], s[6:7], 1
	v_mov_b32_e32 v0, 0
	s_add_u32 s0, s12, s0
	s_addc_u32 s1, s13, s1
	global_store_b16 v0, v1, s[0:1]
.LBB418_37:
	s_nop 0
	s_sendmsg sendmsg(MSG_DEALLOC_VGPRS)
	s_endpgm
	.section	.rodata,"a",@progbits
	.p2align	6, 0x0
	.amdhsa_kernel _ZL20rocblas_gemvt_kernelILb1ELi256EDF16_PKfDF16_EviiT2_lPKT1_lilS5_lilS2_lPT3_lili
		.amdhsa_group_segment_fixed_size 1024
		.amdhsa_private_segment_fixed_size 0
		.amdhsa_kernarg_size 140
		.amdhsa_user_sgpr_count 14
		.amdhsa_user_sgpr_dispatch_ptr 0
		.amdhsa_user_sgpr_queue_ptr 0
		.amdhsa_user_sgpr_kernarg_segment_ptr 1
		.amdhsa_user_sgpr_dispatch_id 0
		.amdhsa_user_sgpr_private_segment_size 0
		.amdhsa_wavefront_size32 1
		.amdhsa_uses_dynamic_stack 0
		.amdhsa_enable_private_segment 0
		.amdhsa_system_sgpr_workgroup_id_x 1
		.amdhsa_system_sgpr_workgroup_id_y 0
		.amdhsa_system_sgpr_workgroup_id_z 1
		.amdhsa_system_sgpr_workgroup_info 0
		.amdhsa_system_vgpr_workitem_id 0
		.amdhsa_next_free_vgpr 10
		.amdhsa_next_free_sgpr 26
		.amdhsa_reserve_vcc 1
		.amdhsa_float_round_mode_32 0
		.amdhsa_float_round_mode_16_64 0
		.amdhsa_float_denorm_mode_32 3
		.amdhsa_float_denorm_mode_16_64 3
		.amdhsa_dx10_clamp 1
		.amdhsa_ieee_mode 1
		.amdhsa_fp16_overflow 0
		.amdhsa_workgroup_processor_mode 1
		.amdhsa_memory_ordered 1
		.amdhsa_forward_progress 0
		.amdhsa_shared_vgpr_count 0
		.amdhsa_exception_fp_ieee_invalid_op 0
		.amdhsa_exception_fp_denorm_src 0
		.amdhsa_exception_fp_ieee_div_zero 0
		.amdhsa_exception_fp_ieee_overflow 0
		.amdhsa_exception_fp_ieee_underflow 0
		.amdhsa_exception_fp_ieee_inexact 0
		.amdhsa_exception_int_div_zero 0
	.end_amdhsa_kernel
	.section	.text._ZL20rocblas_gemvt_kernelILb1ELi256EDF16_PKfDF16_EviiT2_lPKT1_lilS5_lilS2_lPT3_lili,"axG",@progbits,_ZL20rocblas_gemvt_kernelILb1ELi256EDF16_PKfDF16_EviiT2_lPKT1_lilS5_lilS2_lPT3_lili,comdat
.Lfunc_end418:
	.size	_ZL20rocblas_gemvt_kernelILb1ELi256EDF16_PKfDF16_EviiT2_lPKT1_lilS5_lilS2_lPT3_lili, .Lfunc_end418-_ZL20rocblas_gemvt_kernelILb1ELi256EDF16_PKfDF16_EviiT2_lPKT1_lilS5_lilS2_lPT3_lili
                                        ; -- End function
	.section	.AMDGPU.csdata,"",@progbits
; Kernel info:
; codeLenInByte = 1524
; NumSgprs: 28
; NumVgprs: 10
; ScratchSize: 0
; MemoryBound: 0
; FloatMode: 240
; IeeeMode: 1
; LDSByteSize: 1024 bytes/workgroup (compile time only)
; SGPRBlocks: 3
; VGPRBlocks: 1
; NumSGPRsForWavesPerEU: 28
; NumVGPRsForWavesPerEU: 10
; Occupancy: 16
; WaveLimiterHint : 1
; COMPUTE_PGM_RSRC2:SCRATCH_EN: 0
; COMPUTE_PGM_RSRC2:USER_SGPR: 14
; COMPUTE_PGM_RSRC2:TRAP_HANDLER: 0
; COMPUTE_PGM_RSRC2:TGID_X_EN: 1
; COMPUTE_PGM_RSRC2:TGID_Y_EN: 0
; COMPUTE_PGM_RSRC2:TGID_Z_EN: 1
; COMPUTE_PGM_RSRC2:TIDIG_COMP_CNT: 0
	.section	.text._ZL20rocblas_gemvt_kernelILb1ELi256EDF16_fDF16_EviiT2_lPKT1_lilS3_lilS0_lPT3_lili,"axG",@progbits,_ZL20rocblas_gemvt_kernelILb1ELi256EDF16_fDF16_EviiT2_lPKT1_lilS3_lilS0_lPT3_lili,comdat
	.globl	_ZL20rocblas_gemvt_kernelILb1ELi256EDF16_fDF16_EviiT2_lPKT1_lilS3_lilS0_lPT3_lili ; -- Begin function _ZL20rocblas_gemvt_kernelILb1ELi256EDF16_fDF16_EviiT2_lPKT1_lilS3_lilS0_lPT3_lili
	.p2align	8
	.type	_ZL20rocblas_gemvt_kernelILb1ELi256EDF16_fDF16_EviiT2_lPKT1_lilS3_lilS0_lPT3_lili,@function
_ZL20rocblas_gemvt_kernelILb1ELi256EDF16_fDF16_EviiT2_lPKT1_lilS3_lilS0_lPT3_lili: ; @_ZL20rocblas_gemvt_kernelILb1ELi256EDF16_fDF16_EviiT2_lPKT1_lilS3_lilS0_lPT3_lili
; %bb.0:
	s_clause 0x1
	s_load_b32 s18, s[0:1], 0x8
	s_load_b32 s16, s[0:1], 0x58
	s_mov_b32 s17, 0
	s_waitcnt lgkmcnt(0)
	v_cmp_eq_f32_e64 s2, s18, 0
	v_cmp_eq_f32_e64 s3, s16, 1.0
	s_delay_alu instid0(VALU_DEP_1) | instskip(NEXT) | instid1(SALU_CYCLE_1)
	s_and_b32 s2, s2, s3
	s_and_b32 vcc_lo, exec_lo, s2
	s_cbranch_vccnz .LBB419_37
; %bb.1:
	s_clause 0x2
	s_load_b64 s[2:3], s[0:1], 0x80
	s_load_b128 s[4:7], s[0:1], 0x68
	s_load_b32 s19, s[0:1], 0x78
	s_waitcnt lgkmcnt(0)
	s_mul_i32 s3, s15, s3
	s_mul_hi_u32 s8, s15, s2
	s_mul_i32 s2, s15, s2
	s_add_i32 s3, s8, s3
	v_cmp_neq_f32_e64 s8, s18, 0
	s_lshl_b64 s[2:3], s[2:3], 1
	s_delay_alu instid0(SALU_CYCLE_1) | instskip(SKIP_2) | instid1(SALU_CYCLE_1)
	s_add_u32 s4, s4, s2
	s_addc_u32 s5, s5, s3
	s_lshl_b64 s[2:3], s[6:7], 1
	s_add_u32 s12, s4, s2
	v_cmp_eq_u32_e64 s2, 0, v0
	s_addc_u32 s13, s5, s3
	s_and_b32 vcc_lo, exec_lo, s8
	s_cbranch_vccnz .LBB419_5
; %bb.2:
	s_mov_b32 s3, 0
                                        ; implicit-def: $vgpr1
                                        ; implicit-def: $sgpr4_sgpr5
	s_and_saveexec_b32 s6, s2
	s_cbranch_execz .LBB419_6
; %bb.3:
	v_cmp_eq_f32_e64 s2, s16, 0
	s_mul_hi_i32 s5, s19, s14
	s_mul_i32 s4, s19, s14
	s_delay_alu instid0(VALU_DEP_1)
	s_and_b32 vcc_lo, exec_lo, s2
	s_cbranch_vccnz .LBB419_7
; %bb.4:
	s_lshl_b64 s[8:9], s[4:5], 1
	v_mov_b32_e32 v1, 0
	s_add_u32 s8, s12, s8
	s_addc_u32 s9, s13, s9
	global_load_u16 v1, v1, s[8:9]
	s_waitcnt vmcnt(0)
	v_fma_mixlo_f16 v1, v1, s16, 0 op_sel_hi:[1,0,0]
	s_branch .LBB419_8
.LBB419_5:
                                        ; implicit-def: $vgpr1
                                        ; implicit-def: $sgpr4_sgpr5
	s_cbranch_execnz .LBB419_9
	s_branch .LBB419_35
.LBB419_6:
	s_or_b32 exec_lo, exec_lo, s6
	s_delay_alu instid0(SALU_CYCLE_1)
	s_and_b32 vcc_lo, exec_lo, s3
	s_cbranch_vccnz .LBB419_9
	s_branch .LBB419_35
.LBB419_7:
	v_mov_b32_e32 v1, 0
.LBB419_8:
	s_mov_b32 s17, exec_lo
	s_or_b32 exec_lo, exec_lo, s6
	s_delay_alu instid0(SALU_CYCLE_1)
	s_and_b32 vcc_lo, exec_lo, s3
	s_cbranch_vccz .LBB419_35
.LBB419_9:
	s_clause 0x6
	s_load_b64 s[10:11], s[0:1], 0x50
	s_load_b128 s[4:7], s[0:1], 0x30
	s_load_b32 s9, s[0:1], 0x0
	s_load_b32 s8, s[0:1], 0x28
	s_load_b128 s[20:23], s[0:1], 0x18
	s_load_b64 s[2:3], s[0:1], 0x40
	s_load_b32 s0, s[0:1], 0x48
	v_mov_b32_e32 v7, 0
	s_waitcnt lgkmcnt(0)
	s_mul_i32 s1, s15, s11
	s_mul_i32 s5, s15, s5
	s_mul_hi_u32 s24, s15, s4
	v_cmp_gt_i32_e32 vcc_lo, s9, v0
	s_mul_i32 s4, s15, s4
	s_add_i32 s5, s24, s5
	s_mul_hi_u32 s11, s15, s10
	s_lshl_b64 s[26:27], s[4:5], 1
	v_cndmask_b32_e32 v1, 0, v0, vcc_lo
	s_add_i32 s5, s11, s1
	s_add_u32 s1, s20, s26
	s_addc_u32 s4, s21, s27
	s_lshl_b64 s[20:21], s[22:23], 1
	s_mul_hi_i32 s25, s8, s14
	s_mul_i32 s24, s8, s14
	s_add_u32 s1, s1, s20
	s_addc_u32 s4, s4, s21
	s_lshl_b64 s[20:21], s[24:25], 1
	v_lshlrev_b32_e32 v1, 1, v1
	s_add_u32 s1, s20, s1
	s_addc_u32 s8, s21, s4
	s_ashr_i32 s4, s9, 31
	s_delay_alu instid0(SALU_CYCLE_1)
	s_lshr_b32 s11, s4, 24
	v_add_co_u32 v1, s1, s1, v1
	s_mul_i32 s4, s15, s10
	s_add_i32 s10, s9, s11
	v_add_co_ci_u32_e64 v2, null, s8, 0, s1
	s_and_b32 s8, s10, 0xffffff00
	s_cmpk_lt_i32 s9, 0x100
	s_mov_b32 s15, 0
	s_cbranch_scc1 .LBB419_12
; %bb.10:
	v_mad_i64_i32 v[3:4], null, s0, v0, 0
	s_lshl_b64 s[20:21], s[2:3], 1
	s_ashr_i32 s1, s0, 31
	s_lshl_b64 s[10:11], s[4:5], 1
	s_add_u32 s20, s6, s20
	s_addc_u32 s21, s7, s21
	s_add_u32 s10, s20, s10
	s_delay_alu instid0(VALU_DEP_1) | instskip(SKIP_3) | instid1(VALU_DEP_3)
	v_lshlrev_b64 v[3:4], 1, v[3:4]
	s_addc_u32 s11, s21, s11
	v_dual_mov_b32 v7, 0 :: v_dual_mov_b32 v6, v2
	v_mov_b32_e32 v5, v1
	v_add_co_u32 v3, vcc_lo, s10, v3
	s_delay_alu instid0(VALU_DEP_4)
	v_add_co_ci_u32_e32 v4, vcc_lo, s11, v4, vcc_lo
	s_lshl_b64 s[10:11], s[0:1], 9
	.p2align	6
.LBB419_11:                             ; =>This Inner Loop Header: Depth=1
	global_load_u16 v8, v[5:6], off
	global_load_u16 v9, v[3:4], off
	v_add_co_u32 v3, vcc_lo, v3, s10
	v_add_co_ci_u32_e32 v4, vcc_lo, s11, v4, vcc_lo
	v_add_co_u32 v5, vcc_lo, 0x200, v5
	v_add_co_ci_u32_e32 v6, vcc_lo, 0, v6, vcc_lo
	s_addk_i32 s15, 0x100
	s_delay_alu instid0(SALU_CYCLE_1) | instskip(SKIP_2) | instid1(VALU_DEP_1)
	s_cmp_ge_i32 s15, s8
	s_waitcnt vmcnt(0)
	v_mul_f16_e32 v8, v8, v9
	v_cvt_f32_f16_e32 v8, v8
	s_delay_alu instid0(VALU_DEP_1)
	v_add_f32_e32 v7, v7, v8
	s_cbranch_scc0 .LBB419_11
.LBB419_12:
	v_add_nc_u32_e32 v3, s8, v0
	s_mov_b32 s1, exec_lo
	s_delay_alu instid0(VALU_DEP_1)
	v_cmpx_gt_i32_e64 s9, v3
	s_cbranch_execz .LBB419_14
; %bb.13:
	v_mad_i64_i32 v[4:5], null, s0, v3, 0
	s_lshl_b64 s[4:5], s[4:5], 1
	s_delay_alu instid0(SALU_CYCLE_1) | instskip(SKIP_2) | instid1(SALU_CYCLE_1)
	s_add_u32 s4, s6, s4
	s_addc_u32 s5, s7, s5
	s_lshl_b64 s[2:3], s[2:3], 1
	s_add_u32 s0, s4, s2
	s_addc_u32 s4, s5, s3
	s_ashr_i32 s9, s8, 31
	v_lshlrev_b64 v[3:4], 1, v[4:5]
	s_lshl_b64 s[2:3], s[8:9], 1
	s_delay_alu instid0(SALU_CYCLE_1) | instskip(SKIP_1) | instid1(VALU_DEP_3)
	v_add_co_u32 v1, vcc_lo, v1, s2
	v_add_co_ci_u32_e32 v2, vcc_lo, s3, v2, vcc_lo
	v_add_co_u32 v3, vcc_lo, s0, v3
	s_delay_alu instid0(VALU_DEP_4) | instskip(SKIP_4) | instid1(VALU_DEP_1)
	v_add_co_ci_u32_e32 v4, vcc_lo, s4, v4, vcc_lo
	global_load_u16 v1, v[1:2], off
	global_load_u16 v2, v[3:4], off
	s_waitcnt vmcnt(0)
	v_mul_f16_e32 v1, v1, v2
	v_cvt_f32_f16_e32 v1, v1
	s_delay_alu instid0(VALU_DEP_1)
	v_add_f32_e32 v7, v7, v1
.LBB419_14:
	s_or_b32 exec_lo, exec_lo, s1
	v_lshlrev_b32_e32 v1, 2, v0
	s_mov_b32 s0, exec_lo
	ds_store_b32 v1, v7
	s_waitcnt lgkmcnt(0)
	s_barrier
	buffer_gl0_inv
	v_cmpx_gt_u32_e32 0x80, v0
	s_cbranch_execz .LBB419_16
; %bb.15:
	ds_load_2addr_stride64_b32 v[2:3], v1 offset1:2
	s_waitcnt lgkmcnt(0)
	v_add_f32_e32 v2, v3, v2
	ds_store_b32 v1, v2
.LBB419_16:
	s_or_b32 exec_lo, exec_lo, s0
	s_delay_alu instid0(SALU_CYCLE_1)
	s_mov_b32 s0, exec_lo
	s_waitcnt lgkmcnt(0)
	s_barrier
	buffer_gl0_inv
	v_cmpx_gt_u32_e32 64, v0
	s_cbranch_execz .LBB419_18
; %bb.17:
	ds_load_2addr_stride64_b32 v[2:3], v1 offset1:1
	s_waitcnt lgkmcnt(0)
	v_add_f32_e32 v2, v3, v2
	ds_store_b32 v1, v2
.LBB419_18:
	s_or_b32 exec_lo, exec_lo, s0
	s_delay_alu instid0(SALU_CYCLE_1)
	s_mov_b32 s0, exec_lo
	s_waitcnt lgkmcnt(0)
	s_barrier
	buffer_gl0_inv
	v_cmpx_gt_u32_e32 32, v0
	s_cbranch_execz .LBB419_20
; %bb.19:
	ds_load_2addr_b32 v[2:3], v1 offset1:32
	s_waitcnt lgkmcnt(0)
	v_add_f32_e32 v2, v3, v2
	ds_store_b32 v1, v2
.LBB419_20:
	s_or_b32 exec_lo, exec_lo, s0
	s_delay_alu instid0(SALU_CYCLE_1)
	s_mov_b32 s0, exec_lo
	s_waitcnt lgkmcnt(0)
	s_barrier
	buffer_gl0_inv
	v_cmpx_gt_u32_e32 16, v0
	s_cbranch_execz .LBB419_22
; %bb.21:
	ds_load_2addr_b32 v[2:3], v1 offset1:16
	s_waitcnt lgkmcnt(0)
	v_add_f32_e32 v2, v3, v2
	ds_store_b32 v1, v2
.LBB419_22:
	;; [unrolled: 14-line block ×5, first 2 shown]
	s_or_b32 exec_lo, exec_lo, s0
	v_cmp_eq_u32_e32 vcc_lo, 0, v0
	s_waitcnt lgkmcnt(0)
	s_barrier
	buffer_gl0_inv
	s_and_saveexec_b32 s0, vcc_lo
	s_cbranch_execz .LBB419_30
; %bb.29:
	v_mov_b32_e32 v2, 0
	ds_load_b64 v[0:1], v2
	s_waitcnt lgkmcnt(0)
	v_add_f32_e32 v0, v1, v0
	ds_store_b32 v2, v0
.LBB419_30:
	s_or_b32 exec_lo, exec_lo, s0
	s_waitcnt lgkmcnt(0)
	s_barrier
	buffer_gl0_inv
                                        ; implicit-def: $vgpr1
                                        ; implicit-def: $sgpr4_sgpr5
	s_and_saveexec_b32 s0, vcc_lo
	s_cbranch_execz .LBB419_34
; %bb.31:
	v_mov_b32_e32 v1, 0
	v_cmp_eq_f32_e64 s1, s16, 0
	s_mul_hi_i32 s5, s19, s14
	s_mul_i32 s4, s19, s14
	ds_load_b32 v0, v1
	s_and_b32 vcc_lo, exec_lo, s1
	s_waitcnt lgkmcnt(0)
	v_mul_f32_e32 v0, s18, v0
	s_cbranch_vccnz .LBB419_33
; %bb.32:
	s_lshl_b64 s[2:3], s[4:5], 1
	s_delay_alu instid0(SALU_CYCLE_1)
	s_add_u32 s2, s12, s2
	s_addc_u32 s3, s13, s3
	global_load_u16 v1, v1, s[2:3]
	s_waitcnt vmcnt(0)
	v_fma_mix_f32 v0, v1, s16, v0 op_sel_hi:[1,0,0]
.LBB419_33:
	s_delay_alu instid0(VALU_DEP_1)
	v_cvt_f16_f32_e32 v1, v0
	s_or_b32 s17, s17, exec_lo
.LBB419_34:
	s_or_b32 exec_lo, exec_lo, s0
.LBB419_35:
	s_and_saveexec_b32 s0, s17
	s_cbranch_execz .LBB419_37
; %bb.36:
	s_lshl_b64 s[0:1], s[4:5], 1
	v_mov_b32_e32 v0, 0
	s_add_u32 s0, s12, s0
	s_addc_u32 s1, s13, s1
	global_store_b16 v0, v1, s[0:1]
.LBB419_37:
	s_nop 0
	s_sendmsg sendmsg(MSG_DEALLOC_VGPRS)
	s_endpgm
	.section	.rodata,"a",@progbits
	.p2align	6, 0x0
	.amdhsa_kernel _ZL20rocblas_gemvt_kernelILb1ELi256EDF16_fDF16_EviiT2_lPKT1_lilS3_lilS0_lPT3_lili
		.amdhsa_group_segment_fixed_size 1024
		.amdhsa_private_segment_fixed_size 0
		.amdhsa_kernarg_size 140
		.amdhsa_user_sgpr_count 14
		.amdhsa_user_sgpr_dispatch_ptr 0
		.amdhsa_user_sgpr_queue_ptr 0
		.amdhsa_user_sgpr_kernarg_segment_ptr 1
		.amdhsa_user_sgpr_dispatch_id 0
		.amdhsa_user_sgpr_private_segment_size 0
		.amdhsa_wavefront_size32 1
		.amdhsa_uses_dynamic_stack 0
		.amdhsa_enable_private_segment 0
		.amdhsa_system_sgpr_workgroup_id_x 1
		.amdhsa_system_sgpr_workgroup_id_y 0
		.amdhsa_system_sgpr_workgroup_id_z 1
		.amdhsa_system_sgpr_workgroup_info 0
		.amdhsa_system_vgpr_workitem_id 0
		.amdhsa_next_free_vgpr 10
		.amdhsa_next_free_sgpr 28
		.amdhsa_reserve_vcc 1
		.amdhsa_float_round_mode_32 0
		.amdhsa_float_round_mode_16_64 0
		.amdhsa_float_denorm_mode_32 3
		.amdhsa_float_denorm_mode_16_64 3
		.amdhsa_dx10_clamp 1
		.amdhsa_ieee_mode 1
		.amdhsa_fp16_overflow 0
		.amdhsa_workgroup_processor_mode 1
		.amdhsa_memory_ordered 1
		.amdhsa_forward_progress 0
		.amdhsa_shared_vgpr_count 0
		.amdhsa_exception_fp_ieee_invalid_op 0
		.amdhsa_exception_fp_denorm_src 0
		.amdhsa_exception_fp_ieee_div_zero 0
		.amdhsa_exception_fp_ieee_overflow 0
		.amdhsa_exception_fp_ieee_underflow 0
		.amdhsa_exception_fp_ieee_inexact 0
		.amdhsa_exception_int_div_zero 0
	.end_amdhsa_kernel
	.section	.text._ZL20rocblas_gemvt_kernelILb1ELi256EDF16_fDF16_EviiT2_lPKT1_lilS3_lilS0_lPT3_lili,"axG",@progbits,_ZL20rocblas_gemvt_kernelILb1ELi256EDF16_fDF16_EviiT2_lPKT1_lilS3_lilS0_lPT3_lili,comdat
.Lfunc_end419:
	.size	_ZL20rocblas_gemvt_kernelILb1ELi256EDF16_fDF16_EviiT2_lPKT1_lilS3_lilS0_lPT3_lili, .Lfunc_end419-_ZL20rocblas_gemvt_kernelILb1ELi256EDF16_fDF16_EviiT2_lPKT1_lilS3_lilS0_lPT3_lili
                                        ; -- End function
	.section	.AMDGPU.csdata,"",@progbits
; Kernel info:
; codeLenInByte = 1464
; NumSgprs: 30
; NumVgprs: 10
; ScratchSize: 0
; MemoryBound: 0
; FloatMode: 240
; IeeeMode: 1
; LDSByteSize: 1024 bytes/workgroup (compile time only)
; SGPRBlocks: 3
; VGPRBlocks: 1
; NumSGPRsForWavesPerEU: 30
; NumVGPRsForWavesPerEU: 10
; Occupancy: 16
; WaveLimiterHint : 1
; COMPUTE_PGM_RSRC2:SCRATCH_EN: 0
; COMPUTE_PGM_RSRC2:USER_SGPR: 14
; COMPUTE_PGM_RSRC2:TRAP_HANDLER: 0
; COMPUTE_PGM_RSRC2:TGID_X_EN: 1
; COMPUTE_PGM_RSRC2:TGID_Y_EN: 0
; COMPUTE_PGM_RSRC2:TGID_Z_EN: 1
; COMPUTE_PGM_RSRC2:TIDIG_COMP_CNT: 0
	.section	.text._ZL32rocblas_gemvt_warp_reduce_kernelILb1ELi1024EiDF16_PKfDF16_EviiT3_lPKT2_lT1_lS5_lS6_lS2_lPT4_lS6_li,"axG",@progbits,_ZL32rocblas_gemvt_warp_reduce_kernelILb1ELi1024EiDF16_PKfDF16_EviiT3_lPKT2_lT1_lS5_lS6_lS2_lPT4_lS6_li,comdat
	.globl	_ZL32rocblas_gemvt_warp_reduce_kernelILb1ELi1024EiDF16_PKfDF16_EviiT3_lPKT2_lT1_lS5_lS6_lS2_lPT4_lS6_li ; -- Begin function _ZL32rocblas_gemvt_warp_reduce_kernelILb1ELi1024EiDF16_PKfDF16_EviiT3_lPKT2_lT1_lS5_lS6_lS2_lPT4_lS6_li
	.p2align	8
	.type	_ZL32rocblas_gemvt_warp_reduce_kernelILb1ELi1024EiDF16_PKfDF16_EviiT3_lPKT2_lT1_lS5_lS6_lS2_lPT4_lS6_li,@function
_ZL32rocblas_gemvt_warp_reduce_kernelILb1ELi1024EiDF16_PKfDF16_EviiT3_lPKT2_lT1_lS5_lS6_lS2_lPT4_lS6_li: ; @_ZL32rocblas_gemvt_warp_reduce_kernelILb1ELi1024EiDF16_PKfDF16_EviiT3_lPKT2_lT1_lS5_lS6_lS2_lPT4_lS6_li
; %bb.0:
	s_clause 0x1
	s_load_b256 s[4:11], s[0:1], 0x8
	s_load_b256 s[16:23], s[0:1], 0x50
	s_mov_b32 s13, 0
	s_waitcnt lgkmcnt(0)
	s_mul_i32 s3, s15, s7
	s_mul_hi_u32 s7, s15, s6
	s_mul_i32 s2, s15, s6
	s_add_i32 s3, s7, s3
	s_mul_i32 s6, s15, s21
	s_lshl_b64 s[2:3], s[2:3], 2
	s_mul_hi_u32 s7, s15, s20
	s_add_u32 s2, s4, s2
	s_addc_u32 s3, s5, s3
	s_add_i32 s5, s7, s6
	s_mul_i32 s4, s15, s20
	s_delay_alu instid0(SALU_CYCLE_1) | instskip(NEXT) | instid1(SALU_CYCLE_1)
	s_lshl_b64 s[4:5], s[4:5], 2
	s_add_u32 s4, s18, s4
	s_addc_u32 s5, s19, s5
	s_load_b32 s18, s[2:3], 0x0
	s_load_b32 s12, s[4:5], 0x0
	s_waitcnt lgkmcnt(0)
	v_cmp_eq_f32_e64 s2, s18, 0
	v_cmp_eq_f32_e64 s3, s12, 1.0
	s_delay_alu instid0(VALU_DEP_1) | instskip(NEXT) | instid1(SALU_CYCLE_1)
	s_and_b32 s2, s2, s3
	s_and_b32 vcc_lo, exec_lo, s2
	s_cbranch_vccnz .LBB420_30
; %bb.1:
	s_clause 0x2
	s_load_b64 s[2:3], s[0:1], 0x80
	s_load_b64 s[4:5], s[0:1], 0x70
	s_load_b32 s19, s[0:1], 0x78
	v_cmp_neq_f32_e64 s20, s18, 0
	s_waitcnt lgkmcnt(0)
	s_mul_i32 s3, s15, s3
	s_mul_hi_u32 s6, s15, s2
	s_mul_i32 s2, s15, s2
	s_add_i32 s3, s6, s3
	s_delay_alu instid0(SALU_CYCLE_1) | instskip(NEXT) | instid1(SALU_CYCLE_1)
	s_lshl_b64 s[2:3], s[2:3], 1
	s_add_u32 s6, s22, s2
	s_addc_u32 s7, s23, s3
	s_lshl_b64 s[2:3], s[4:5], 1
	s_delay_alu instid0(SALU_CYCLE_1)
	s_add_u32 s6, s6, s2
	v_cmp_eq_u32_e64 s2, 0, v0
	s_addc_u32 s7, s7, s3
	s_and_b32 vcc_lo, exec_lo, s20
	s_cbranch_vccnz .LBB420_5
; %bb.2:
	s_mov_b32 s3, 0
                                        ; implicit-def: $vgpr1
                                        ; implicit-def: $sgpr4_sgpr5
	s_and_saveexec_b32 s20, s2
	s_cbranch_execz .LBB420_6
; %bb.3:
	v_cmp_eq_f32_e64 s2, s12, 0
	s_mul_i32 s4, s14, s19
	s_delay_alu instid0(SALU_CYCLE_1) | instskip(NEXT) | instid1(VALU_DEP_1)
	s_ashr_i32 s5, s4, 31
	s_and_b32 vcc_lo, exec_lo, s2
	s_cbranch_vccnz .LBB420_7
; %bb.4:
	s_lshl_b64 s[22:23], s[4:5], 1
	v_mov_b32_e32 v1, 0
	s_add_u32 s22, s6, s22
	s_addc_u32 s23, s7, s23
	global_load_u16 v1, v1, s[22:23]
	s_waitcnt vmcnt(0)
	v_fma_mixlo_f16 v1, s12, v1, 0 op_sel_hi:[0,1,0]
	s_branch .LBB420_8
.LBB420_5:
                                        ; implicit-def: $vgpr1
                                        ; implicit-def: $sgpr4_sgpr5
	s_cbranch_execnz .LBB420_9
	s_branch .LBB420_28
.LBB420_6:
	s_or_b32 exec_lo, exec_lo, s20
	s_delay_alu instid0(SALU_CYCLE_1)
	s_and_b32 vcc_lo, exec_lo, s3
	s_cbranch_vccnz .LBB420_9
	s_branch .LBB420_28
.LBB420_7:
	v_mov_b32_e32 v1, 0
.LBB420_8:
	s_mov_b32 s13, exec_lo
	s_or_b32 exec_lo, exec_lo, s20
	s_delay_alu instid0(SALU_CYCLE_1)
	s_and_b32 vcc_lo, exec_lo, s3
	s_cbranch_vccz .LBB420_28
.LBB420_9:
	s_mul_i32 s3, s15, s17
	s_mul_hi_u32 s17, s15, s16
	s_mul_i32 s2, s15, s16
	s_add_i32 s3, s17, s3
	s_clause 0x2
	s_load_b128 s[20:23], s[0:1], 0x30
	s_load_b64 s[4:5], s[0:1], 0x40
	s_load_b32 s24, s[0:1], 0x28
	s_lshl_b64 s[16:17], s[2:3], 1
	s_clause 0x1
	s_load_b32 s3, s[0:1], 0x0
	s_load_b32 s1, s[0:1], 0x48
	v_mov_b32_e32 v7, 0
	s_waitcnt lgkmcnt(0)
	s_add_u32 s2, s22, s16
	s_addc_u32 s17, s23, s17
	s_lshl_b64 s[4:5], s[4:5], 1
	s_mul_i32 s21, s15, s21
	s_mul_hi_u32 s22, s15, s20
	s_add_u32 s4, s2, s4
	v_cmp_gt_i32_e32 vcc_lo, s3, v0
	s_mul_i32 s16, s15, s20
	s_addc_u32 s5, s17, s5
	s_add_i32 s17, s22, s21
	s_delay_alu instid0(SALU_CYCLE_1)
	s_lshl_b64 s[16:17], s[16:17], 1
	v_cndmask_b32_e32 v1, 0, v0, vcc_lo
	s_add_u32 s2, s8, s16
	s_addc_u32 s15, s9, s17
	s_lshl_b64 s[8:9], s[10:11], 1
	s_mul_i32 s10, s14, s24
	s_add_u32 s2, s2, s8
	s_addc_u32 s15, s15, s9
	s_ashr_i32 s11, s10, 31
	v_lshlrev_b32_e32 v1, 1, v1
	s_lshl_b64 s[8:9], s[10:11], 1
	s_delay_alu instid0(SALU_CYCLE_1)
	s_add_u32 s0, s8, s2
	s_addc_u32 s8, s9, s15
	s_ashr_i32 s2, s3, 31
	v_add_co_u32 v1, s0, s0, v1
	s_lshr_b32 s2, s2, 22
	v_add_co_ci_u32_e64 v2, null, s8, 0, s0
	s_add_i32 s2, s3, s2
	s_mov_b32 s9, 0
	s_and_b32 s2, s2, 0xfffffc00
	s_mov_b32 s8, exec_lo
	v_cmpx_gt_i32_e64 s2, v0
	s_cbranch_execz .LBB420_13
; %bb.10:
	v_mul_lo_u32 v3, v0, s1
	v_dual_mov_b32 v7, 0 :: v_dual_mov_b32 v6, v2
	v_dual_mov_b32 v5, v1 :: v_dual_mov_b32 v8, v0
	s_lshl_b32 s10, s1, 10
	.p2align	6
.LBB420_11:                             ; =>This Inner Loop Header: Depth=1
	s_delay_alu instid0(VALU_DEP_3) | instskip(NEXT) | instid1(VALU_DEP_2)
	v_ashrrev_i32_e32 v4, 31, v3
	v_add_nc_u32_e32 v8, 0x400, v8
	s_delay_alu instid0(VALU_DEP_2) | instskip(NEXT) | instid1(VALU_DEP_2)
	v_lshlrev_b64 v[9:10], 1, v[3:4]
	v_cmp_le_i32_e64 s0, s2, v8
	v_add_nc_u32_e32 v3, s10, v3
	s_delay_alu instid0(VALU_DEP_2) | instskip(NEXT) | instid1(VALU_DEP_3)
	s_or_b32 s9, s0, s9
	v_add_co_u32 v9, vcc_lo, s4, v9
	s_delay_alu instid0(VALU_DEP_4)
	v_add_co_ci_u32_e32 v10, vcc_lo, s5, v10, vcc_lo
	global_load_u16 v4, v[5:6], off
	global_load_u16 v9, v[9:10], off
	v_add_co_u32 v5, vcc_lo, 0x800, v5
	v_add_co_ci_u32_e32 v6, vcc_lo, 0, v6, vcc_lo
	s_waitcnt vmcnt(0)
	v_mul_f16_e32 v4, v4, v9
	s_delay_alu instid0(VALU_DEP_1) | instskip(NEXT) | instid1(VALU_DEP_1)
	v_cvt_f32_f16_e32 v4, v4
	v_add_f32_e32 v7, v7, v4
	s_and_not1_b32 exec_lo, exec_lo, s9
	s_cbranch_execnz .LBB420_11
; %bb.12:
	s_or_b32 exec_lo, exec_lo, s9
.LBB420_13:
	s_delay_alu instid0(SALU_CYCLE_1) | instskip(SKIP_2) | instid1(VALU_DEP_1)
	s_or_b32 exec_lo, exec_lo, s8
	v_or_b32_e32 v3, s2, v0
	s_mov_b32 s0, exec_lo
	v_cmpx_gt_i32_e64 s3, v3
	s_cbranch_execz .LBB420_15
; %bb.14:
	v_mul_lo_u32 v3, v3, s1
	s_ashr_i32 s3, s2, 31
	s_delay_alu instid0(SALU_CYCLE_1) | instskip(NEXT) | instid1(SALU_CYCLE_1)
	s_lshl_b64 s[2:3], s[2:3], 1
	v_add_co_u32 v1, vcc_lo, v1, s2
	v_add_co_ci_u32_e32 v2, vcc_lo, s3, v2, vcc_lo
	s_delay_alu instid0(VALU_DEP_3) | instskip(NEXT) | instid1(VALU_DEP_1)
	v_ashrrev_i32_e32 v4, 31, v3
	v_lshlrev_b64 v[3:4], 1, v[3:4]
	s_delay_alu instid0(VALU_DEP_1) | instskip(NEXT) | instid1(VALU_DEP_2)
	v_add_co_u32 v3, vcc_lo, s4, v3
	v_add_co_ci_u32_e32 v4, vcc_lo, s5, v4, vcc_lo
	global_load_u16 v1, v[1:2], off
	global_load_u16 v2, v[3:4], off
	s_waitcnt vmcnt(0)
	v_mul_f16_e32 v1, v1, v2
	s_delay_alu instid0(VALU_DEP_1) | instskip(NEXT) | instid1(VALU_DEP_1)
	v_cvt_f32_f16_e32 v1, v1
	v_add_f32_e32 v7, v7, v1
.LBB420_15:
	s_or_b32 exec_lo, exec_lo, s0
	v_and_b32_e32 v6, 31, v0
	v_cmp_gt_u32_e32 vcc_lo, 32, v0
	s_delay_alu instid0(VALU_DEP_2)
	v_lshlrev_b32_e32 v1, 2, v6
	s_and_saveexec_b32 s0, vcc_lo
	s_cbranch_execz .LBB420_17
; %bb.16:
	v_mov_b32_e32 v2, 0
	ds_store_b32 v1, v2
.LBB420_17:
	s_or_b32 exec_lo, exec_lo, s0
	v_mbcnt_lo_u32_b32 v8, -1, 0
	s_mov_b32 s1, exec_lo
	s_waitcnt lgkmcnt(0)
	s_barrier
	buffer_gl0_inv
	v_cmp_gt_u32_e64 s0, 16, v8
	s_delay_alu instid0(VALU_DEP_1) | instskip(SKIP_1) | instid1(VALU_DEP_2)
	v_cndmask_b32_e64 v2, 0, 1, s0
	v_cmp_gt_u32_e64 s0, 24, v8
	v_lshlrev_b32_e32 v2, 4, v2
	s_delay_alu instid0(VALU_DEP_2) | instskip(SKIP_1) | instid1(VALU_DEP_3)
	v_cndmask_b32_e64 v3, 0, 1, s0
	v_cmp_gt_u32_e64 s0, 28, v8
	v_add_lshl_u32 v2, v2, v8, 2
	s_delay_alu instid0(VALU_DEP_3)
	v_lshlrev_b32_e32 v3, 3, v3
	ds_bpermute_b32 v4, v2, v7
	v_add_lshl_u32 v3, v3, v8, 2
	s_waitcnt lgkmcnt(0)
	v_add_f32_e32 v5, v7, v4
	v_cndmask_b32_e64 v4, 0, 1, s0
	v_cmp_gt_u32_e64 s0, 30, v8
	ds_bpermute_b32 v7, v3, v5
	s_waitcnt lgkmcnt(0)
	v_dual_add_f32 v7, v5, v7 :: v_dual_lshlrev_b32 v4, 2, v4
	s_delay_alu instid0(VALU_DEP_1)
	v_add_lshl_u32 v4, v4, v8, 2
	v_cndmask_b32_e64 v5, 0, 1, s0
	v_cmp_ne_u32_e64 s0, 31, v8
	ds_bpermute_b32 v9, v4, v7
	v_lshlrev_b32_e32 v5, 1, v5
	v_add_co_ci_u32_e64 v10, s0, 0, v8, s0
	s_delay_alu instid0(VALU_DEP_2)
	v_add_lshl_u32 v5, v5, v8, 2
	s_waitcnt lgkmcnt(0)
	v_add_f32_e32 v7, v7, v9
	ds_bpermute_b32 v9, v5, v7
	s_waitcnt lgkmcnt(0)
	v_dual_add_f32 v8, v7, v9 :: v_dual_lshlrev_b32 v7, 2, v10
	ds_bpermute_b32 v9, v7, v8
	v_cmpx_eq_u32_e32 0, v6
	s_cbranch_execz .LBB420_19
; %bb.18:
	v_lshrrev_b32_e32 v6, 3, v0
	s_waitcnt lgkmcnt(0)
	v_add_f32_e32 v8, v8, v9
	s_delay_alu instid0(VALU_DEP_2)
	v_and_b32_e32 v6, 0x7c, v6
	ds_store_b32 v6, v8
.LBB420_19:
	s_or_b32 exec_lo, exec_lo, s1
	v_mov_b32_e32 v6, 0
	s_waitcnt lgkmcnt(0)
	s_barrier
	buffer_gl0_inv
	s_and_saveexec_b32 s0, vcc_lo
	s_cbranch_execz .LBB420_21
; %bb.20:
	ds_load_b32 v6, v1
.LBB420_21:
	s_or_b32 exec_lo, exec_lo, s0
	s_and_saveexec_b32 s0, vcc_lo
	s_cbranch_execz .LBB420_23
; %bb.22:
	s_waitcnt lgkmcnt(0)
	ds_bpermute_b32 v1, v2, v6
	s_waitcnt lgkmcnt(0)
	v_add_f32_e32 v1, v6, v1
	ds_bpermute_b32 v2, v3, v1
	s_waitcnt lgkmcnt(0)
	v_add_f32_e32 v1, v1, v2
	;; [unrolled: 3-line block ×5, first 2 shown]
.LBB420_23:
	s_or_b32 exec_lo, exec_lo, s0
	s_delay_alu instid0(SALU_CYCLE_1)
	s_mov_b32 s0, exec_lo
                                        ; implicit-def: $vgpr1
                                        ; implicit-def: $sgpr4_sgpr5
	v_cmpx_eq_u32_e32 0, v0
	s_cbranch_execz .LBB420_27
; %bb.24:
	v_cmp_eq_f32_e64 s1, s12, 0
	s_waitcnt lgkmcnt(0)
	v_mul_f32_e32 v0, s18, v6
	s_mul_i32 s4, s14, s19
	s_delay_alu instid0(SALU_CYCLE_1)
	s_ashr_i32 s5, s4, 31
	s_and_b32 vcc_lo, exec_lo, s1
	s_cbranch_vccnz .LBB420_26
; %bb.25:
	s_lshl_b64 s[2:3], s[4:5], 1
	v_mov_b32_e32 v1, 0
	s_add_u32 s2, s6, s2
	s_addc_u32 s3, s7, s3
	global_load_u16 v1, v1, s[2:3]
	s_waitcnt vmcnt(0)
	v_fma_mix_f32 v0, s12, v1, v0 op_sel_hi:[0,1,0]
.LBB420_26:
	s_delay_alu instid0(VALU_DEP_1)
	v_cvt_f16_f32_e32 v1, v0
	s_or_b32 s13, s13, exec_lo
.LBB420_27:
	s_or_b32 exec_lo, exec_lo, s0
.LBB420_28:
	s_and_saveexec_b32 s0, s13
	s_cbranch_execz .LBB420_30
; %bb.29:
	s_lshl_b64 s[0:1], s[4:5], 1
	v_mov_b32_e32 v0, 0
	s_add_u32 s0, s6, s0
	s_addc_u32 s1, s7, s1
	global_store_b16 v0, v1, s[0:1]
.LBB420_30:
	s_nop 0
	s_sendmsg sendmsg(MSG_DEALLOC_VGPRS)
	s_endpgm
	.section	.rodata,"a",@progbits
	.p2align	6, 0x0
	.amdhsa_kernel _ZL32rocblas_gemvt_warp_reduce_kernelILb1ELi1024EiDF16_PKfDF16_EviiT3_lPKT2_lT1_lS5_lS6_lS2_lPT4_lS6_li
		.amdhsa_group_segment_fixed_size 128
		.amdhsa_private_segment_fixed_size 0
		.amdhsa_kernarg_size 140
		.amdhsa_user_sgpr_count 14
		.amdhsa_user_sgpr_dispatch_ptr 0
		.amdhsa_user_sgpr_queue_ptr 0
		.amdhsa_user_sgpr_kernarg_segment_ptr 1
		.amdhsa_user_sgpr_dispatch_id 0
		.amdhsa_user_sgpr_private_segment_size 0
		.amdhsa_wavefront_size32 1
		.amdhsa_uses_dynamic_stack 0
		.amdhsa_enable_private_segment 0
		.amdhsa_system_sgpr_workgroup_id_x 1
		.amdhsa_system_sgpr_workgroup_id_y 0
		.amdhsa_system_sgpr_workgroup_id_z 1
		.amdhsa_system_sgpr_workgroup_info 0
		.amdhsa_system_vgpr_workitem_id 0
		.amdhsa_next_free_vgpr 11
		.amdhsa_next_free_sgpr 25
		.amdhsa_reserve_vcc 1
		.amdhsa_float_round_mode_32 0
		.amdhsa_float_round_mode_16_64 0
		.amdhsa_float_denorm_mode_32 3
		.amdhsa_float_denorm_mode_16_64 3
		.amdhsa_dx10_clamp 1
		.amdhsa_ieee_mode 1
		.amdhsa_fp16_overflow 0
		.amdhsa_workgroup_processor_mode 1
		.amdhsa_memory_ordered 1
		.amdhsa_forward_progress 0
		.amdhsa_shared_vgpr_count 0
		.amdhsa_exception_fp_ieee_invalid_op 0
		.amdhsa_exception_fp_denorm_src 0
		.amdhsa_exception_fp_ieee_div_zero 0
		.amdhsa_exception_fp_ieee_overflow 0
		.amdhsa_exception_fp_ieee_underflow 0
		.amdhsa_exception_fp_ieee_inexact 0
		.amdhsa_exception_int_div_zero 0
	.end_amdhsa_kernel
	.section	.text._ZL32rocblas_gemvt_warp_reduce_kernelILb1ELi1024EiDF16_PKfDF16_EviiT3_lPKT2_lT1_lS5_lS6_lS2_lPT4_lS6_li,"axG",@progbits,_ZL32rocblas_gemvt_warp_reduce_kernelILb1ELi1024EiDF16_PKfDF16_EviiT3_lPKT2_lT1_lS5_lS6_lS2_lPT4_lS6_li,comdat
.Lfunc_end420:
	.size	_ZL32rocblas_gemvt_warp_reduce_kernelILb1ELi1024EiDF16_PKfDF16_EviiT3_lPKT2_lT1_lS5_lS6_lS2_lPT4_lS6_li, .Lfunc_end420-_ZL32rocblas_gemvt_warp_reduce_kernelILb1ELi1024EiDF16_PKfDF16_EviiT3_lPKT2_lT1_lS5_lS6_lS2_lPT4_lS6_li
                                        ; -- End function
	.section	.AMDGPU.csdata,"",@progbits
; Kernel info:
; codeLenInByte = 1516
; NumSgprs: 27
; NumVgprs: 11
; ScratchSize: 0
; MemoryBound: 0
; FloatMode: 240
; IeeeMode: 1
; LDSByteSize: 128 bytes/workgroup (compile time only)
; SGPRBlocks: 3
; VGPRBlocks: 1
; NumSGPRsForWavesPerEU: 27
; NumVGPRsForWavesPerEU: 11
; Occupancy: 16
; WaveLimiterHint : 1
; COMPUTE_PGM_RSRC2:SCRATCH_EN: 0
; COMPUTE_PGM_RSRC2:USER_SGPR: 14
; COMPUTE_PGM_RSRC2:TRAP_HANDLER: 0
; COMPUTE_PGM_RSRC2:TGID_X_EN: 1
; COMPUTE_PGM_RSRC2:TGID_Y_EN: 0
; COMPUTE_PGM_RSRC2:TGID_Z_EN: 1
; COMPUTE_PGM_RSRC2:TIDIG_COMP_CNT: 0
	.section	.text._ZL32rocblas_gemvt_warp_reduce_kernelILb1ELi1024ElDF16_PKfDF16_EviiT3_lPKT2_lT1_lS5_lS6_lS2_lPT4_lS6_li,"axG",@progbits,_ZL32rocblas_gemvt_warp_reduce_kernelILb1ELi1024ElDF16_PKfDF16_EviiT3_lPKT2_lT1_lS5_lS6_lS2_lPT4_lS6_li,comdat
	.globl	_ZL32rocblas_gemvt_warp_reduce_kernelILb1ELi1024ElDF16_PKfDF16_EviiT3_lPKT2_lT1_lS5_lS6_lS2_lPT4_lS6_li ; -- Begin function _ZL32rocblas_gemvt_warp_reduce_kernelILb1ELi1024ElDF16_PKfDF16_EviiT3_lPKT2_lT1_lS5_lS6_lS2_lPT4_lS6_li
	.p2align	8
	.type	_ZL32rocblas_gemvt_warp_reduce_kernelILb1ELi1024ElDF16_PKfDF16_EviiT3_lPKT2_lT1_lS5_lS6_lS2_lPT4_lS6_li,@function
_ZL32rocblas_gemvt_warp_reduce_kernelILb1ELi1024ElDF16_PKfDF16_EviiT3_lPKT2_lT1_lS5_lS6_lS2_lPT4_lS6_li: ; @_ZL32rocblas_gemvt_warp_reduce_kernelILb1ELi1024ElDF16_PKfDF16_EviiT3_lPKT2_lT1_lS5_lS6_lS2_lPT4_lS6_li
; %bb.0:
	s_clause 0x1
	s_load_b512 s[36:51], s[0:1], 0x8
	s_load_b512 s[16:31], s[0:1], 0x48
	s_mov_b32 s11, 0
	s_waitcnt lgkmcnt(0)
	s_mul_i32 s3, s15, s39
	s_mul_hi_u32 s4, s15, s38
	s_mul_i32 s2, s15, s38
	s_add_i32 s3, s4, s3
	s_mul_i32 s4, s15, s23
	s_lshl_b64 s[2:3], s[2:3], 2
	s_mul_hi_u32 s5, s15, s22
	s_add_u32 s2, s36, s2
	s_addc_u32 s3, s37, s3
	s_add_i32 s5, s5, s4
	s_mul_i32 s4, s15, s22
	s_delay_alu instid0(SALU_CYCLE_1) | instskip(NEXT) | instid1(SALU_CYCLE_1)
	s_lshl_b64 s[4:5], s[4:5], 2
	s_add_u32 s4, s20, s4
	s_addc_u32 s5, s21, s5
	s_load_b32 s12, s[2:3], 0x0
	s_load_b32 s10, s[4:5], 0x0
	s_waitcnt lgkmcnt(0)
	v_cmp_eq_f32_e64 s2, s12, 0
	v_cmp_eq_f32_e64 s3, s10, 1.0
	s_delay_alu instid0(VALU_DEP_1) | instskip(NEXT) | instid1(SALU_CYCLE_1)
	s_and_b32 s2, s2, s3
	s_and_b32 vcc_lo, exec_lo, s2
	s_cbranch_vccnz .LBB421_30
; %bb.1:
	s_mul_i32 s3, s15, s31
	s_mul_hi_u32 s4, s15, s30
	s_mul_i32 s2, s15, s30
	s_add_i32 s3, s4, s3
	v_cmp_neq_f32_e64 s4, s12, 0
	s_lshl_b64 s[2:3], s[2:3], 1
	s_delay_alu instid0(SALU_CYCLE_1) | instskip(SKIP_2) | instid1(SALU_CYCLE_1)
	s_add_u32 s5, s24, s2
	s_addc_u32 s6, s25, s3
	s_lshl_b64 s[2:3], s[26:27], 1
	s_add_u32 s8, s5, s2
	v_cmp_eq_u32_e64 s2, 0, v0
	s_addc_u32 s9, s6, s3
	s_and_b32 vcc_lo, exec_lo, s4
	s_cbranch_vccnz .LBB421_5
; %bb.2:
	s_mov_b32 s3, 0
                                        ; implicit-def: $vgpr1
                                        ; implicit-def: $sgpr4_sgpr5
	s_and_saveexec_b32 s6, s2
	s_cbranch_execz .LBB421_6
; %bb.3:
	v_cmp_eq_f32_e64 s2, s10, 0
	s_mul_i32 s4, s14, s29
	s_mul_hi_u32 s5, s14, s28
	s_ashr_i32 s7, s14, 31
	s_add_i32 s4, s5, s4
	s_mul_i32 s7, s7, s28
	s_and_b32 vcc_lo, exec_lo, s2
	s_add_i32 s5, s4, s7
	s_mul_i32 s4, s14, s28
	s_cbranch_vccnz .LBB421_7
; %bb.4:
	s_lshl_b64 s[20:21], s[4:5], 1
	v_mov_b32_e32 v1, 0
	s_add_u32 s20, s8, s20
	s_addc_u32 s21, s9, s21
	global_load_u16 v1, v1, s[20:21]
	s_waitcnt vmcnt(0)
	v_fma_mixlo_f16 v1, s10, v1, 0 op_sel_hi:[0,1,0]
	s_branch .LBB421_8
.LBB421_5:
                                        ; implicit-def: $vgpr1
                                        ; implicit-def: $sgpr4_sgpr5
	s_cbranch_execnz .LBB421_9
	s_branch .LBB421_28
.LBB421_6:
	s_or_b32 exec_lo, exec_lo, s6
	s_delay_alu instid0(SALU_CYCLE_1)
	s_and_b32 vcc_lo, exec_lo, s3
	s_cbranch_vccnz .LBB421_9
	s_branch .LBB421_28
.LBB421_7:
	v_mov_b32_e32 v1, 0
.LBB421_8:
	s_mov_b32 s11, exec_lo
	s_or_b32 exec_lo, exec_lo, s6
	s_delay_alu instid0(SALU_CYCLE_1)
	s_and_b32 vcc_lo, exec_lo, s3
	s_cbranch_vccz .LBB421_28
.LBB421_9:
	s_load_b32 s5, s[0:1], 0x0
	s_mul_i32 s3, s15, s47
	s_mul_hi_u32 s4, s15, s46
	s_mul_i32 s0, s15, s46
	s_add_i32 s1, s4, s3
	s_mul_i32 s2, s15, s19
	s_mul_hi_u32 s3, s15, s18
	s_lshl_b64 s[0:1], s[0:1], 1
	s_add_i32 s3, s3, s2
	s_add_u32 s2, s40, s0
	s_addc_u32 s4, s41, s1
	s_lshl_b64 s[0:1], s[42:43], 1
	s_mul_hi_u32 s6, s14, s44
	s_add_u32 s0, s2, s0
	s_addc_u32 s2, s4, s1
	s_mul_i32 s4, s14, s45
	s_ashr_i32 s1, s14, 31
	s_add_i32 s4, s6, s4
	s_mul_i32 s6, s1, s44
	v_mov_b32_e32 v7, 0
	s_waitcnt lgkmcnt(0)
	v_cmp_gt_i32_e32 vcc_lo, s5, v0
	s_add_i32 s7, s4, s6
	s_mul_i32 s6, s14, s44
	s_mov_b32 s13, exec_lo
	s_lshl_b64 s[6:7], s[6:7], 1
	v_cndmask_b32_e32 v1, 0, v0, vcc_lo
	s_add_u32 s0, s6, s0
	s_addc_u32 s2, s7, s2
	s_ashr_i32 s4, s5, 31
	s_delay_alu instid0(SALU_CYCLE_1) | instskip(SKIP_2) | instid1(SALU_CYCLE_1)
	s_lshr_b32 s4, s4, 22
	v_lshlrev_b32_e32 v1, 1, v1
	s_add_i32 s4, s5, s4
	s_and_b32 s4, s4, 0xfffffc00
	s_delay_alu instid0(VALU_DEP_1) | instskip(NEXT) | instid1(VALU_DEP_1)
	v_add_co_u32 v1, s0, s0, v1
	v_add_co_ci_u32_e64 v2, null, s2, 0, s0
	s_mul_i32 s2, s15, s18
	s_mov_b32 s15, 0
	v_cmpx_gt_i32_e64 s4, v0
	s_cbranch_execz .LBB421_13
; %bb.10:
	v_mad_u64_u32 v[5:6], null, s16, v0, 0
	s_lshl_b64 s[18:19], s[50:51], 1
	s_lshl_b64 s[6:7], s[2:3], 1
	s_add_u32 s0, s48, s18
	s_addc_u32 s18, s49, s19
	s_add_u32 s0, s0, s6
	s_addc_u32 s6, s18, s7
	s_delay_alu instid0(VALU_DEP_1) | instskip(NEXT) | instid1(VALU_DEP_1)
	v_dual_mov_b32 v3, v6 :: v_dual_mov_b32 v8, v0
	v_mad_u64_u32 v[6:7], null, s17, v0, v[3:4]
	v_dual_mov_b32 v7, 0 :: v_dual_mov_b32 v4, v2
	v_mov_b32_e32 v3, v1
	s_delay_alu instid0(VALU_DEP_3) | instskip(NEXT) | instid1(VALU_DEP_1)
	v_lshlrev_b64 v[5:6], 1, v[5:6]
	v_add_co_u32 v5, vcc_lo, s0, v5
	s_delay_alu instid0(VALU_DEP_2)
	v_add_co_ci_u32_e32 v6, vcc_lo, s6, v6, vcc_lo
	s_lshl_b64 s[6:7], s[16:17], 11
	.p2align	6
.LBB421_11:                             ; =>This Inner Loop Header: Depth=1
	global_load_u16 v9, v[3:4], off
	global_load_u16 v10, v[5:6], off
	v_add_co_u32 v3, vcc_lo, 0x800, v3
	v_add_co_ci_u32_e32 v4, vcc_lo, 0, v4, vcc_lo
	v_add_co_u32 v5, vcc_lo, v5, s6
	v_add_co_ci_u32_e32 v6, vcc_lo, s7, v6, vcc_lo
	s_waitcnt vmcnt(0)
	v_mul_f16_e32 v9, v9, v10
	s_delay_alu instid0(VALU_DEP_1) | instskip(NEXT) | instid1(VALU_DEP_1)
	v_cvt_f32_f16_e32 v9, v9
	v_dual_add_f32 v7, v7, v9 :: v_dual_add_nc_u32 v8, 0x400, v8
	s_delay_alu instid0(VALU_DEP_1) | instskip(NEXT) | instid1(VALU_DEP_1)
	v_cmp_le_i32_e64 s0, s4, v8
	s_or_b32 s15, s0, s15
	s_delay_alu instid0(SALU_CYCLE_1)
	s_and_not1_b32 exec_lo, exec_lo, s15
	s_cbranch_execnz .LBB421_11
; %bb.12:
	s_or_b32 exec_lo, exec_lo, s15
.LBB421_13:
	s_delay_alu instid0(SALU_CYCLE_1) | instskip(SKIP_2) | instid1(VALU_DEP_1)
	s_or_b32 exec_lo, exec_lo, s13
	v_or_b32_e32 v3, s4, v0
	s_mov_b32 s0, exec_lo
	v_cmpx_gt_i32_e64 s5, v3
	s_cbranch_execz .LBB421_15
; %bb.14:
	v_ashrrev_i32_e32 v6, 31, v3
	v_mul_lo_u32 v8, v3, s17
	v_mad_u64_u32 v[4:5], null, v3, s16, 0
	s_lshl_b64 s[2:3], s[2:3], 1
	s_delay_alu instid0(VALU_DEP_3) | instskip(SKIP_3) | instid1(SALU_CYCLE_1)
	v_mul_lo_u32 v3, v6, s16
	s_add_u32 s5, s48, s2
	s_addc_u32 s6, s49, s3
	s_lshl_b64 s[2:3], s[50:51], 1
	s_add_u32 s7, s5, s2
	s_addc_u32 s6, s6, s3
	s_ashr_i32 s5, s4, 31
	s_delay_alu instid0(VALU_DEP_1) | instskip(SKIP_1) | instid1(SALU_CYCLE_1)
	v_add3_u32 v5, v5, v8, v3
	s_lshl_b64 s[2:3], s[4:5], 1
	v_add_co_u32 v1, vcc_lo, v1, s2
	s_delay_alu instid0(VALU_DEP_2) | instskip(SKIP_1) | instid1(VALU_DEP_2)
	v_lshlrev_b64 v[3:4], 1, v[4:5]
	v_add_co_ci_u32_e32 v2, vcc_lo, s3, v2, vcc_lo
	v_add_co_u32 v3, vcc_lo, s7, v3
	s_delay_alu instid0(VALU_DEP_3) | instskip(SKIP_4) | instid1(VALU_DEP_1)
	v_add_co_ci_u32_e32 v4, vcc_lo, s6, v4, vcc_lo
	global_load_u16 v1, v[1:2], off
	global_load_u16 v2, v[3:4], off
	s_waitcnt vmcnt(0)
	v_mul_f16_e32 v1, v1, v2
	v_cvt_f32_f16_e32 v1, v1
	s_delay_alu instid0(VALU_DEP_1)
	v_add_f32_e32 v7, v7, v1
.LBB421_15:
	s_or_b32 exec_lo, exec_lo, s0
	v_and_b32_e32 v6, 31, v0
	v_cmp_gt_u32_e32 vcc_lo, 32, v0
	s_delay_alu instid0(VALU_DEP_2)
	v_lshlrev_b32_e32 v1, 2, v6
	s_and_saveexec_b32 s0, vcc_lo
	s_cbranch_execz .LBB421_17
; %bb.16:
	v_mov_b32_e32 v2, 0
	ds_store_b32 v1, v2
.LBB421_17:
	s_or_b32 exec_lo, exec_lo, s0
	v_mbcnt_lo_u32_b32 v8, -1, 0
	s_mov_b32 s2, exec_lo
	s_waitcnt lgkmcnt(0)
	s_barrier
	buffer_gl0_inv
	v_cmp_gt_u32_e64 s0, 16, v8
	s_delay_alu instid0(VALU_DEP_1) | instskip(SKIP_1) | instid1(VALU_DEP_2)
	v_cndmask_b32_e64 v2, 0, 1, s0
	v_cmp_gt_u32_e64 s0, 24, v8
	v_lshlrev_b32_e32 v2, 4, v2
	s_delay_alu instid0(VALU_DEP_2) | instskip(SKIP_1) | instid1(VALU_DEP_3)
	v_cndmask_b32_e64 v3, 0, 1, s0
	v_cmp_gt_u32_e64 s0, 28, v8
	v_add_lshl_u32 v2, v2, v8, 2
	s_delay_alu instid0(VALU_DEP_3)
	v_lshlrev_b32_e32 v3, 3, v3
	ds_bpermute_b32 v4, v2, v7
	v_add_lshl_u32 v3, v3, v8, 2
	s_waitcnt lgkmcnt(0)
	v_add_f32_e32 v5, v7, v4
	v_cndmask_b32_e64 v4, 0, 1, s0
	v_cmp_gt_u32_e64 s0, 30, v8
	ds_bpermute_b32 v7, v3, v5
	s_waitcnt lgkmcnt(0)
	v_dual_add_f32 v7, v5, v7 :: v_dual_lshlrev_b32 v4, 2, v4
	s_delay_alu instid0(VALU_DEP_1)
	v_add_lshl_u32 v4, v4, v8, 2
	v_cndmask_b32_e64 v5, 0, 1, s0
	v_cmp_ne_u32_e64 s0, 31, v8
	ds_bpermute_b32 v9, v4, v7
	v_lshlrev_b32_e32 v5, 1, v5
	v_add_co_ci_u32_e64 v10, s0, 0, v8, s0
	s_delay_alu instid0(VALU_DEP_2)
	v_add_lshl_u32 v5, v5, v8, 2
	s_waitcnt lgkmcnt(0)
	v_add_f32_e32 v7, v7, v9
	ds_bpermute_b32 v9, v5, v7
	s_waitcnt lgkmcnt(0)
	v_dual_add_f32 v8, v7, v9 :: v_dual_lshlrev_b32 v7, 2, v10
	ds_bpermute_b32 v9, v7, v8
	v_cmpx_eq_u32_e32 0, v6
	s_cbranch_execz .LBB421_19
; %bb.18:
	v_lshrrev_b32_e32 v6, 3, v0
	s_waitcnt lgkmcnt(0)
	v_add_f32_e32 v8, v8, v9
	s_delay_alu instid0(VALU_DEP_2)
	v_and_b32_e32 v6, 0x7c, v6
	ds_store_b32 v6, v8
.LBB421_19:
	s_or_b32 exec_lo, exec_lo, s2
	v_mov_b32_e32 v6, 0
	s_waitcnt lgkmcnt(0)
	s_barrier
	buffer_gl0_inv
	s_and_saveexec_b32 s0, vcc_lo
	s_cbranch_execz .LBB421_21
; %bb.20:
	ds_load_b32 v6, v1
.LBB421_21:
	s_or_b32 exec_lo, exec_lo, s0
	s_and_saveexec_b32 s0, vcc_lo
	s_cbranch_execz .LBB421_23
; %bb.22:
	s_waitcnt lgkmcnt(0)
	ds_bpermute_b32 v1, v2, v6
	s_waitcnt lgkmcnt(0)
	v_add_f32_e32 v1, v6, v1
	ds_bpermute_b32 v2, v3, v1
	s_waitcnt lgkmcnt(0)
	v_add_f32_e32 v1, v1, v2
	;; [unrolled: 3-line block ×5, first 2 shown]
.LBB421_23:
	s_or_b32 exec_lo, exec_lo, s0
	s_delay_alu instid0(SALU_CYCLE_1)
	s_mov_b32 s0, exec_lo
                                        ; implicit-def: $vgpr1
                                        ; implicit-def: $sgpr4_sgpr5
	v_cmpx_eq_u32_e32 0, v0
	s_cbranch_execz .LBB421_27
; %bb.24:
	v_cmp_eq_f32_e64 s4, s10, 0
	s_mul_i32 s2, s14, s29
	s_mul_hi_u32 s3, s14, s28
	s_waitcnt lgkmcnt(0)
	v_mul_f32_e32 v0, s12, v6
	s_add_i32 s2, s3, s2
	s_mul_i32 s1, s1, s28
	s_and_b32 vcc_lo, exec_lo, s4
	s_add_i32 s5, s2, s1
	s_mul_i32 s4, s14, s28
	s_cbranch_vccnz .LBB421_26
; %bb.25:
	s_lshl_b64 s[2:3], s[4:5], 1
	v_mov_b32_e32 v1, 0
	s_add_u32 s2, s8, s2
	s_addc_u32 s3, s9, s3
	global_load_u16 v1, v1, s[2:3]
	s_waitcnt vmcnt(0)
	v_fma_mix_f32 v0, s10, v1, v0 op_sel_hi:[0,1,0]
.LBB421_26:
	s_delay_alu instid0(VALU_DEP_1)
	v_cvt_f16_f32_e32 v1, v0
	s_or_b32 s11, s11, exec_lo
.LBB421_27:
	s_or_b32 exec_lo, exec_lo, s0
.LBB421_28:
	s_and_saveexec_b32 s0, s11
	s_cbranch_execz .LBB421_30
; %bb.29:
	s_lshl_b64 s[0:1], s[4:5], 1
	v_mov_b32_e32 v0, 0
	s_add_u32 s0, s8, s0
	s_addc_u32 s1, s9, s1
	global_store_b16 v0, v1, s[0:1]
.LBB421_30:
	s_nop 0
	s_sendmsg sendmsg(MSG_DEALLOC_VGPRS)
	s_endpgm
	.section	.rodata,"a",@progbits
	.p2align	6, 0x0
	.amdhsa_kernel _ZL32rocblas_gemvt_warp_reduce_kernelILb1ELi1024ElDF16_PKfDF16_EviiT3_lPKT2_lT1_lS5_lS6_lS2_lPT4_lS6_li
		.amdhsa_group_segment_fixed_size 128
		.amdhsa_private_segment_fixed_size 0
		.amdhsa_kernarg_size 140
		.amdhsa_user_sgpr_count 14
		.amdhsa_user_sgpr_dispatch_ptr 0
		.amdhsa_user_sgpr_queue_ptr 0
		.amdhsa_user_sgpr_kernarg_segment_ptr 1
		.amdhsa_user_sgpr_dispatch_id 0
		.amdhsa_user_sgpr_private_segment_size 0
		.amdhsa_wavefront_size32 1
		.amdhsa_uses_dynamic_stack 0
		.amdhsa_enable_private_segment 0
		.amdhsa_system_sgpr_workgroup_id_x 1
		.amdhsa_system_sgpr_workgroup_id_y 0
		.amdhsa_system_sgpr_workgroup_id_z 1
		.amdhsa_system_sgpr_workgroup_info 0
		.amdhsa_system_vgpr_workitem_id 0
		.amdhsa_next_free_vgpr 11
		.amdhsa_next_free_sgpr 52
		.amdhsa_reserve_vcc 1
		.amdhsa_float_round_mode_32 0
		.amdhsa_float_round_mode_16_64 0
		.amdhsa_float_denorm_mode_32 3
		.amdhsa_float_denorm_mode_16_64 3
		.amdhsa_dx10_clamp 1
		.amdhsa_ieee_mode 1
		.amdhsa_fp16_overflow 0
		.amdhsa_workgroup_processor_mode 1
		.amdhsa_memory_ordered 1
		.amdhsa_forward_progress 0
		.amdhsa_shared_vgpr_count 0
		.amdhsa_exception_fp_ieee_invalid_op 0
		.amdhsa_exception_fp_denorm_src 0
		.amdhsa_exception_fp_ieee_div_zero 0
		.amdhsa_exception_fp_ieee_overflow 0
		.amdhsa_exception_fp_ieee_underflow 0
		.amdhsa_exception_fp_ieee_inexact 0
		.amdhsa_exception_int_div_zero 0
	.end_amdhsa_kernel
	.section	.text._ZL32rocblas_gemvt_warp_reduce_kernelILb1ELi1024ElDF16_PKfDF16_EviiT3_lPKT2_lT1_lS5_lS6_lS2_lPT4_lS6_li,"axG",@progbits,_ZL32rocblas_gemvt_warp_reduce_kernelILb1ELi1024ElDF16_PKfDF16_EviiT3_lPKT2_lT1_lS5_lS6_lS2_lPT4_lS6_li,comdat
.Lfunc_end421:
	.size	_ZL32rocblas_gemvt_warp_reduce_kernelILb1ELi1024ElDF16_PKfDF16_EviiT3_lPKT2_lT1_lS5_lS6_lS2_lPT4_lS6_li, .Lfunc_end421-_ZL32rocblas_gemvt_warp_reduce_kernelILb1ELi1024ElDF16_PKfDF16_EviiT3_lPKT2_lT1_lS5_lS6_lS2_lPT4_lS6_li
                                        ; -- End function
	.section	.AMDGPU.csdata,"",@progbits
; Kernel info:
; codeLenInByte = 1560
; NumSgprs: 54
; NumVgprs: 11
; ScratchSize: 0
; MemoryBound: 0
; FloatMode: 240
; IeeeMode: 1
; LDSByteSize: 128 bytes/workgroup (compile time only)
; SGPRBlocks: 6
; VGPRBlocks: 1
; NumSGPRsForWavesPerEU: 54
; NumVGPRsForWavesPerEU: 11
; Occupancy: 16
; WaveLimiterHint : 0
; COMPUTE_PGM_RSRC2:SCRATCH_EN: 0
; COMPUTE_PGM_RSRC2:USER_SGPR: 14
; COMPUTE_PGM_RSRC2:TRAP_HANDLER: 0
; COMPUTE_PGM_RSRC2:TGID_X_EN: 1
; COMPUTE_PGM_RSRC2:TGID_Y_EN: 0
; COMPUTE_PGM_RSRC2:TGID_Z_EN: 1
; COMPUTE_PGM_RSRC2:TIDIG_COMP_CNT: 0
	.section	.text._ZL32rocblas_gemvt_warp_reduce_kernelILb1ELi1024EiDF16_fDF16_EviiT3_lPKT2_lT1_lS3_lS4_lS0_lPT4_lS4_li,"axG",@progbits,_ZL32rocblas_gemvt_warp_reduce_kernelILb1ELi1024EiDF16_fDF16_EviiT3_lPKT2_lT1_lS3_lS4_lS0_lPT4_lS4_li,comdat
	.globl	_ZL32rocblas_gemvt_warp_reduce_kernelILb1ELi1024EiDF16_fDF16_EviiT3_lPKT2_lT1_lS3_lS4_lS0_lPT4_lS4_li ; -- Begin function _ZL32rocblas_gemvt_warp_reduce_kernelILb1ELi1024EiDF16_fDF16_EviiT3_lPKT2_lT1_lS3_lS4_lS0_lPT4_lS4_li
	.p2align	8
	.type	_ZL32rocblas_gemvt_warp_reduce_kernelILb1ELi1024EiDF16_fDF16_EviiT3_lPKT2_lT1_lS3_lS4_lS0_lPT4_lS4_li,@function
_ZL32rocblas_gemvt_warp_reduce_kernelILb1ELi1024EiDF16_fDF16_EviiT3_lPKT2_lT1_lS3_lS4_lS0_lPT4_lS4_li: ; @_ZL32rocblas_gemvt_warp_reduce_kernelILb1ELi1024EiDF16_fDF16_EviiT3_lPKT2_lT1_lS3_lS4_lS0_lPT4_lS4_li
; %bb.0:
	s_clause 0x1
	s_load_b32 s10, s[0:1], 0x8
	s_load_b32 s8, s[0:1], 0x58
	s_mov_b32 s9, 0
	s_waitcnt lgkmcnt(0)
	v_cmp_eq_f32_e64 s2, s10, 0
	v_cmp_eq_f32_e64 s3, s8, 1.0
	s_delay_alu instid0(VALU_DEP_1) | instskip(NEXT) | instid1(SALU_CYCLE_1)
	s_and_b32 s2, s2, s3
	s_and_b32 vcc_lo, exec_lo, s2
	s_cbranch_vccnz .LBB422_30
; %bb.1:
	s_clause 0x2
	s_load_b64 s[2:3], s[0:1], 0x80
	s_load_b128 s[4:7], s[0:1], 0x68
	s_load_b32 s11, s[0:1], 0x78
	s_waitcnt lgkmcnt(0)
	s_mul_i32 s3, s15, s3
	s_mul_hi_u32 s12, s15, s2
	s_mul_i32 s2, s15, s2
	s_add_i32 s3, s12, s3
	v_cmp_neq_f32_e64 s12, s10, 0
	s_lshl_b64 s[2:3], s[2:3], 1
	s_delay_alu instid0(SALU_CYCLE_1) | instskip(SKIP_2) | instid1(SALU_CYCLE_1)
	s_add_u32 s4, s4, s2
	s_addc_u32 s5, s5, s3
	s_lshl_b64 s[2:3], s[6:7], 1
	s_add_u32 s6, s4, s2
	v_cmp_eq_u32_e64 s2, 0, v0
	s_addc_u32 s7, s5, s3
	s_and_b32 vcc_lo, exec_lo, s12
	s_cbranch_vccnz .LBB422_5
; %bb.2:
	s_mov_b32 s3, 0
                                        ; implicit-def: $vgpr1
                                        ; implicit-def: $sgpr4_sgpr5
	s_and_saveexec_b32 s12, s2
	s_cbranch_execz .LBB422_6
; %bb.3:
	v_cmp_eq_f32_e64 s2, s8, 0
	s_mul_i32 s4, s14, s11
	s_delay_alu instid0(SALU_CYCLE_1) | instskip(NEXT) | instid1(VALU_DEP_1)
	s_ashr_i32 s5, s4, 31
	s_and_b32 vcc_lo, exec_lo, s2
	s_cbranch_vccnz .LBB422_7
; %bb.4:
	s_lshl_b64 s[16:17], s[4:5], 1
	v_mov_b32_e32 v1, 0
	s_add_u32 s16, s6, s16
	s_addc_u32 s17, s7, s17
	global_load_u16 v1, v1, s[16:17]
	s_waitcnt vmcnt(0)
	v_fma_mixlo_f16 v1, v1, s8, 0 op_sel_hi:[1,0,0]
	s_branch .LBB422_8
.LBB422_5:
                                        ; implicit-def: $vgpr1
                                        ; implicit-def: $sgpr4_sgpr5
	s_cbranch_execnz .LBB422_9
	s_branch .LBB422_28
.LBB422_6:
	s_or_b32 exec_lo, exec_lo, s12
	s_delay_alu instid0(SALU_CYCLE_1)
	s_and_b32 vcc_lo, exec_lo, s3
	s_cbranch_vccnz .LBB422_9
	s_branch .LBB422_28
.LBB422_7:
	v_mov_b32_e32 v1, 0
.LBB422_8:
	s_mov_b32 s9, exec_lo
	s_or_b32 exec_lo, exec_lo, s12
	s_delay_alu instid0(SALU_CYCLE_1)
	s_and_b32 vcc_lo, exec_lo, s3
	s_cbranch_vccz .LBB422_28
.LBB422_9:
	s_clause 0x6
	s_load_b64 s[4:5], s[0:1], 0x50
	s_load_b128 s[16:19], s[0:1], 0x30
	s_load_b64 s[12:13], s[0:1], 0x40
	s_load_b32 s3, s[0:1], 0x0
	s_load_b128 s[20:23], s[0:1], 0x18
	s_load_b32 s2, s[0:1], 0x28
	s_load_b32 s1, s[0:1], 0x48
	v_mov_b32_e32 v7, 0
	s_waitcnt lgkmcnt(0)
	s_mul_i32 s0, s15, s5
	s_mul_hi_u32 s5, s15, s4
	s_mul_i32 s4, s15, s4
	s_add_i32 s5, s5, s0
	s_mul_i32 s0, s15, s17
	s_lshl_b64 s[4:5], s[4:5], 1
	s_mul_hi_u32 s17, s15, s16
	s_add_u32 s18, s18, s4
	s_addc_u32 s19, s19, s5
	s_lshl_b64 s[4:5], s[12:13], 1
	v_cmp_gt_i32_e32 vcc_lo, s3, v0
	s_add_u32 s4, s18, s4
	s_mul_i32 s12, s15, s16
	s_addc_u32 s5, s19, s5
	s_add_i32 s13, s17, s0
	v_cndmask_b32_e32 v1, 0, v0, vcc_lo
	s_lshl_b64 s[12:13], s[12:13], 1
	s_mul_i32 s16, s14, s2
	s_add_u32 s0, s20, s12
	s_addc_u32 s15, s21, s13
	s_lshl_b64 s[12:13], s[22:23], 1
	v_lshlrev_b32_e32 v1, 1, v1
	s_add_u32 s0, s0, s12
	s_addc_u32 s2, s15, s13
	s_ashr_i32 s17, s16, 31
	s_delay_alu instid0(SALU_CYCLE_1) | instskip(NEXT) | instid1(SALU_CYCLE_1)
	s_lshl_b64 s[12:13], s[16:17], 1
	s_add_u32 s0, s12, s0
	s_addc_u32 s12, s13, s2
	s_ashr_i32 s2, s3, 31
	v_add_co_u32 v1, s0, s0, v1
	s_lshr_b32 s2, s2, 22
	v_add_co_ci_u32_e64 v2, null, s12, 0, s0
	s_add_i32 s2, s3, s2
	s_mov_b32 s13, 0
	s_and_b32 s2, s2, 0xfffffc00
	s_mov_b32 s12, exec_lo
	v_cmpx_gt_i32_e64 s2, v0
	s_cbranch_execz .LBB422_13
; %bb.10:
	v_mul_lo_u32 v3, v0, s1
	v_dual_mov_b32 v7, 0 :: v_dual_mov_b32 v6, v2
	v_dual_mov_b32 v5, v1 :: v_dual_mov_b32 v8, v0
	s_lshl_b32 s15, s1, 10
	.p2align	6
.LBB422_11:                             ; =>This Inner Loop Header: Depth=1
	s_delay_alu instid0(VALU_DEP_3) | instskip(NEXT) | instid1(VALU_DEP_2)
	v_ashrrev_i32_e32 v4, 31, v3
	v_add_nc_u32_e32 v8, 0x400, v8
	s_delay_alu instid0(VALU_DEP_2) | instskip(NEXT) | instid1(VALU_DEP_2)
	v_lshlrev_b64 v[9:10], 1, v[3:4]
	v_cmp_le_i32_e64 s0, s2, v8
	v_add_nc_u32_e32 v3, s15, v3
	s_delay_alu instid0(VALU_DEP_2) | instskip(NEXT) | instid1(VALU_DEP_3)
	s_or_b32 s13, s0, s13
	v_add_co_u32 v9, vcc_lo, s4, v9
	s_delay_alu instid0(VALU_DEP_4)
	v_add_co_ci_u32_e32 v10, vcc_lo, s5, v10, vcc_lo
	global_load_u16 v4, v[5:6], off
	global_load_u16 v9, v[9:10], off
	v_add_co_u32 v5, vcc_lo, 0x800, v5
	v_add_co_ci_u32_e32 v6, vcc_lo, 0, v6, vcc_lo
	s_waitcnt vmcnt(0)
	v_mul_f16_e32 v4, v4, v9
	s_delay_alu instid0(VALU_DEP_1) | instskip(NEXT) | instid1(VALU_DEP_1)
	v_cvt_f32_f16_e32 v4, v4
	v_add_f32_e32 v7, v7, v4
	s_and_not1_b32 exec_lo, exec_lo, s13
	s_cbranch_execnz .LBB422_11
; %bb.12:
	s_or_b32 exec_lo, exec_lo, s13
.LBB422_13:
	s_delay_alu instid0(SALU_CYCLE_1) | instskip(SKIP_2) | instid1(VALU_DEP_1)
	s_or_b32 exec_lo, exec_lo, s12
	v_or_b32_e32 v3, s2, v0
	s_mov_b32 s0, exec_lo
	v_cmpx_gt_i32_e64 s3, v3
	s_cbranch_execz .LBB422_15
; %bb.14:
	v_mul_lo_u32 v3, v3, s1
	s_ashr_i32 s3, s2, 31
	s_delay_alu instid0(SALU_CYCLE_1) | instskip(NEXT) | instid1(SALU_CYCLE_1)
	s_lshl_b64 s[2:3], s[2:3], 1
	v_add_co_u32 v1, vcc_lo, v1, s2
	v_add_co_ci_u32_e32 v2, vcc_lo, s3, v2, vcc_lo
	s_delay_alu instid0(VALU_DEP_3) | instskip(NEXT) | instid1(VALU_DEP_1)
	v_ashrrev_i32_e32 v4, 31, v3
	v_lshlrev_b64 v[3:4], 1, v[3:4]
	s_delay_alu instid0(VALU_DEP_1) | instskip(NEXT) | instid1(VALU_DEP_2)
	v_add_co_u32 v3, vcc_lo, s4, v3
	v_add_co_ci_u32_e32 v4, vcc_lo, s5, v4, vcc_lo
	global_load_u16 v1, v[1:2], off
	global_load_u16 v2, v[3:4], off
	s_waitcnt vmcnt(0)
	v_mul_f16_e32 v1, v1, v2
	s_delay_alu instid0(VALU_DEP_1) | instskip(NEXT) | instid1(VALU_DEP_1)
	v_cvt_f32_f16_e32 v1, v1
	v_add_f32_e32 v7, v7, v1
.LBB422_15:
	s_or_b32 exec_lo, exec_lo, s0
	v_and_b32_e32 v6, 31, v0
	v_cmp_gt_u32_e32 vcc_lo, 32, v0
	s_delay_alu instid0(VALU_DEP_2)
	v_lshlrev_b32_e32 v1, 2, v6
	s_and_saveexec_b32 s0, vcc_lo
	s_cbranch_execz .LBB422_17
; %bb.16:
	v_mov_b32_e32 v2, 0
	ds_store_b32 v1, v2
.LBB422_17:
	s_or_b32 exec_lo, exec_lo, s0
	v_mbcnt_lo_u32_b32 v8, -1, 0
	s_mov_b32 s1, exec_lo
	s_waitcnt lgkmcnt(0)
	s_barrier
	buffer_gl0_inv
	v_cmp_gt_u32_e64 s0, 16, v8
	s_delay_alu instid0(VALU_DEP_1) | instskip(SKIP_1) | instid1(VALU_DEP_2)
	v_cndmask_b32_e64 v2, 0, 1, s0
	v_cmp_gt_u32_e64 s0, 24, v8
	v_lshlrev_b32_e32 v2, 4, v2
	s_delay_alu instid0(VALU_DEP_2) | instskip(SKIP_1) | instid1(VALU_DEP_3)
	v_cndmask_b32_e64 v3, 0, 1, s0
	v_cmp_gt_u32_e64 s0, 28, v8
	v_add_lshl_u32 v2, v2, v8, 2
	s_delay_alu instid0(VALU_DEP_3)
	v_lshlrev_b32_e32 v3, 3, v3
	ds_bpermute_b32 v4, v2, v7
	v_add_lshl_u32 v3, v3, v8, 2
	s_waitcnt lgkmcnt(0)
	v_add_f32_e32 v5, v7, v4
	v_cndmask_b32_e64 v4, 0, 1, s0
	v_cmp_gt_u32_e64 s0, 30, v8
	ds_bpermute_b32 v7, v3, v5
	s_waitcnt lgkmcnt(0)
	v_dual_add_f32 v7, v5, v7 :: v_dual_lshlrev_b32 v4, 2, v4
	s_delay_alu instid0(VALU_DEP_1)
	v_add_lshl_u32 v4, v4, v8, 2
	v_cndmask_b32_e64 v5, 0, 1, s0
	v_cmp_ne_u32_e64 s0, 31, v8
	ds_bpermute_b32 v9, v4, v7
	v_lshlrev_b32_e32 v5, 1, v5
	v_add_co_ci_u32_e64 v10, s0, 0, v8, s0
	s_delay_alu instid0(VALU_DEP_2)
	v_add_lshl_u32 v5, v5, v8, 2
	s_waitcnt lgkmcnt(0)
	v_add_f32_e32 v7, v7, v9
	ds_bpermute_b32 v9, v5, v7
	s_waitcnt lgkmcnt(0)
	v_dual_add_f32 v8, v7, v9 :: v_dual_lshlrev_b32 v7, 2, v10
	ds_bpermute_b32 v9, v7, v8
	v_cmpx_eq_u32_e32 0, v6
	s_cbranch_execz .LBB422_19
; %bb.18:
	v_lshrrev_b32_e32 v6, 3, v0
	s_waitcnt lgkmcnt(0)
	v_add_f32_e32 v8, v8, v9
	s_delay_alu instid0(VALU_DEP_2)
	v_and_b32_e32 v6, 0x7c, v6
	ds_store_b32 v6, v8
.LBB422_19:
	s_or_b32 exec_lo, exec_lo, s1
	v_mov_b32_e32 v6, 0
	s_waitcnt lgkmcnt(0)
	s_barrier
	buffer_gl0_inv
	s_and_saveexec_b32 s0, vcc_lo
	s_cbranch_execz .LBB422_21
; %bb.20:
	ds_load_b32 v6, v1
.LBB422_21:
	s_or_b32 exec_lo, exec_lo, s0
	s_and_saveexec_b32 s0, vcc_lo
	s_cbranch_execz .LBB422_23
; %bb.22:
	s_waitcnt lgkmcnt(0)
	ds_bpermute_b32 v1, v2, v6
	s_waitcnt lgkmcnt(0)
	v_add_f32_e32 v1, v6, v1
	ds_bpermute_b32 v2, v3, v1
	s_waitcnt lgkmcnt(0)
	v_add_f32_e32 v1, v1, v2
	;; [unrolled: 3-line block ×5, first 2 shown]
.LBB422_23:
	s_or_b32 exec_lo, exec_lo, s0
	s_delay_alu instid0(SALU_CYCLE_1)
	s_mov_b32 s0, exec_lo
                                        ; implicit-def: $vgpr1
                                        ; implicit-def: $sgpr4_sgpr5
	v_cmpx_eq_u32_e32 0, v0
	s_cbranch_execz .LBB422_27
; %bb.24:
	v_cmp_eq_f32_e64 s1, s8, 0
	s_waitcnt lgkmcnt(0)
	v_mul_f32_e32 v0, s10, v6
	s_mul_i32 s4, s14, s11
	s_delay_alu instid0(SALU_CYCLE_1)
	s_ashr_i32 s5, s4, 31
	s_and_b32 vcc_lo, exec_lo, s1
	s_cbranch_vccnz .LBB422_26
; %bb.25:
	s_lshl_b64 s[2:3], s[4:5], 1
	v_mov_b32_e32 v1, 0
	s_add_u32 s2, s6, s2
	s_addc_u32 s3, s7, s3
	global_load_u16 v1, v1, s[2:3]
	s_waitcnt vmcnt(0)
	v_fma_mix_f32 v0, v1, s8, v0 op_sel_hi:[1,0,0]
.LBB422_26:
	s_delay_alu instid0(VALU_DEP_1)
	v_cvt_f16_f32_e32 v1, v0
	s_or_b32 s9, s9, exec_lo
.LBB422_27:
	s_or_b32 exec_lo, exec_lo, s0
.LBB422_28:
	s_and_saveexec_b32 s0, s9
	s_cbranch_execz .LBB422_30
; %bb.29:
	s_lshl_b64 s[0:1], s[4:5], 1
	v_mov_b32_e32 v0, 0
	s_add_u32 s0, s6, s0
	s_addc_u32 s1, s7, s1
	global_store_b16 v0, v1, s[0:1]
.LBB422_30:
	s_nop 0
	s_sendmsg sendmsg(MSG_DEALLOC_VGPRS)
	s_endpgm
	.section	.rodata,"a",@progbits
	.p2align	6, 0x0
	.amdhsa_kernel _ZL32rocblas_gemvt_warp_reduce_kernelILb1ELi1024EiDF16_fDF16_EviiT3_lPKT2_lT1_lS3_lS4_lS0_lPT4_lS4_li
		.amdhsa_group_segment_fixed_size 128
		.amdhsa_private_segment_fixed_size 0
		.amdhsa_kernarg_size 140
		.amdhsa_user_sgpr_count 14
		.amdhsa_user_sgpr_dispatch_ptr 0
		.amdhsa_user_sgpr_queue_ptr 0
		.amdhsa_user_sgpr_kernarg_segment_ptr 1
		.amdhsa_user_sgpr_dispatch_id 0
		.amdhsa_user_sgpr_private_segment_size 0
		.amdhsa_wavefront_size32 1
		.amdhsa_uses_dynamic_stack 0
		.amdhsa_enable_private_segment 0
		.amdhsa_system_sgpr_workgroup_id_x 1
		.amdhsa_system_sgpr_workgroup_id_y 0
		.amdhsa_system_sgpr_workgroup_id_z 1
		.amdhsa_system_sgpr_workgroup_info 0
		.amdhsa_system_vgpr_workitem_id 0
		.amdhsa_next_free_vgpr 11
		.amdhsa_next_free_sgpr 24
		.amdhsa_reserve_vcc 1
		.amdhsa_float_round_mode_32 0
		.amdhsa_float_round_mode_16_64 0
		.amdhsa_float_denorm_mode_32 3
		.amdhsa_float_denorm_mode_16_64 3
		.amdhsa_dx10_clamp 1
		.amdhsa_ieee_mode 1
		.amdhsa_fp16_overflow 0
		.amdhsa_workgroup_processor_mode 1
		.amdhsa_memory_ordered 1
		.amdhsa_forward_progress 0
		.amdhsa_shared_vgpr_count 0
		.amdhsa_exception_fp_ieee_invalid_op 0
		.amdhsa_exception_fp_denorm_src 0
		.amdhsa_exception_fp_ieee_div_zero 0
		.amdhsa_exception_fp_ieee_overflow 0
		.amdhsa_exception_fp_ieee_underflow 0
		.amdhsa_exception_fp_ieee_inexact 0
		.amdhsa_exception_int_div_zero 0
	.end_amdhsa_kernel
	.section	.text._ZL32rocblas_gemvt_warp_reduce_kernelILb1ELi1024EiDF16_fDF16_EviiT3_lPKT2_lT1_lS3_lS4_lS0_lPT4_lS4_li,"axG",@progbits,_ZL32rocblas_gemvt_warp_reduce_kernelILb1ELi1024EiDF16_fDF16_EviiT3_lPKT2_lT1_lS3_lS4_lS0_lPT4_lS4_li,comdat
.Lfunc_end422:
	.size	_ZL32rocblas_gemvt_warp_reduce_kernelILb1ELi1024EiDF16_fDF16_EviiT3_lPKT2_lT1_lS3_lS4_lS0_lPT4_lS4_li, .Lfunc_end422-_ZL32rocblas_gemvt_warp_reduce_kernelILb1ELi1024EiDF16_fDF16_EviiT3_lPKT2_lT1_lS3_lS4_lS0_lPT4_lS4_li
                                        ; -- End function
	.section	.AMDGPU.csdata,"",@progbits
; Kernel info:
; codeLenInByte = 1440
; NumSgprs: 26
; NumVgprs: 11
; ScratchSize: 0
; MemoryBound: 0
; FloatMode: 240
; IeeeMode: 1
; LDSByteSize: 128 bytes/workgroup (compile time only)
; SGPRBlocks: 3
; VGPRBlocks: 1
; NumSGPRsForWavesPerEU: 26
; NumVGPRsForWavesPerEU: 11
; Occupancy: 16
; WaveLimiterHint : 1
; COMPUTE_PGM_RSRC2:SCRATCH_EN: 0
; COMPUTE_PGM_RSRC2:USER_SGPR: 14
; COMPUTE_PGM_RSRC2:TRAP_HANDLER: 0
; COMPUTE_PGM_RSRC2:TGID_X_EN: 1
; COMPUTE_PGM_RSRC2:TGID_Y_EN: 0
; COMPUTE_PGM_RSRC2:TGID_Z_EN: 1
; COMPUTE_PGM_RSRC2:TIDIG_COMP_CNT: 0
	.section	.text._ZL32rocblas_gemvt_warp_reduce_kernelILb1ELi1024ElDF16_fDF16_EviiT3_lPKT2_lT1_lS3_lS4_lS0_lPT4_lS4_li,"axG",@progbits,_ZL32rocblas_gemvt_warp_reduce_kernelILb1ELi1024ElDF16_fDF16_EviiT3_lPKT2_lT1_lS3_lS4_lS0_lPT4_lS4_li,comdat
	.globl	_ZL32rocblas_gemvt_warp_reduce_kernelILb1ELi1024ElDF16_fDF16_EviiT3_lPKT2_lT1_lS3_lS4_lS0_lPT4_lS4_li ; -- Begin function _ZL32rocblas_gemvt_warp_reduce_kernelILb1ELi1024ElDF16_fDF16_EviiT3_lPKT2_lT1_lS3_lS4_lS0_lPT4_lS4_li
	.p2align	8
	.type	_ZL32rocblas_gemvt_warp_reduce_kernelILb1ELi1024ElDF16_fDF16_EviiT3_lPKT2_lT1_lS3_lS4_lS0_lPT4_lS4_li,@function
_ZL32rocblas_gemvt_warp_reduce_kernelILb1ELi1024ElDF16_fDF16_EviiT3_lPKT2_lT1_lS3_lS4_lS0_lPT4_lS4_li: ; @_ZL32rocblas_gemvt_warp_reduce_kernelILb1ELi1024ElDF16_fDF16_EviiT3_lPKT2_lT1_lS3_lS4_lS0_lPT4_lS4_li
; %bb.0:
	s_clause 0x1
	s_load_b32 s33, s[0:1], 0x8
	s_load_b32 s12, s[0:1], 0x58
	s_mov_b32 s13, 0
	s_waitcnt lgkmcnt(0)
	v_cmp_eq_f32_e64 s2, s33, 0
	v_cmp_eq_f32_e64 s3, s12, 1.0
	s_delay_alu instid0(VALU_DEP_1) | instskip(NEXT) | instid1(SALU_CYCLE_1)
	s_and_b32 s2, s2, s3
	s_and_b32 vcc_lo, exec_lo, s2
	s_cbranch_vccnz .LBB423_30
; %bb.1:
	s_load_b256 s[4:11], s[0:1], 0x68
	v_cmp_neq_f32_e64 s16, s33, 0
	s_waitcnt lgkmcnt(0)
	s_mul_i32 s3, s15, s11
	s_mul_hi_u32 s11, s15, s10
	s_mul_i32 s2, s15, s10
	s_add_i32 s3, s11, s3
	s_delay_alu instid0(SALU_CYCLE_1) | instskip(NEXT) | instid1(SALU_CYCLE_1)
	s_lshl_b64 s[2:3], s[2:3], 1
	s_add_u32 s4, s4, s2
	s_addc_u32 s5, s5, s3
	s_lshl_b64 s[2:3], s[6:7], 1
	s_delay_alu instid0(SALU_CYCLE_1)
	s_add_u32 s10, s4, s2
	v_cmp_eq_u32_e64 s2, 0, v0
	s_addc_u32 s11, s5, s3
	s_and_b32 vcc_lo, exec_lo, s16
	s_cbranch_vccnz .LBB423_5
; %bb.2:
	s_mov_b32 s3, 0
                                        ; implicit-def: $vgpr1
                                        ; implicit-def: $sgpr4_sgpr5
	s_and_saveexec_b32 s6, s2
	s_cbranch_execz .LBB423_6
; %bb.3:
	v_cmp_eq_f32_e64 s2, s12, 0
	s_mul_i32 s4, s14, s9
	s_mul_hi_u32 s5, s14, s8
	s_ashr_i32 s7, s14, 31
	s_add_i32 s4, s5, s4
	s_mul_i32 s7, s7, s8
	s_and_b32 vcc_lo, exec_lo, s2
	s_add_i32 s5, s4, s7
	s_mul_i32 s4, s14, s8
	s_cbranch_vccnz .LBB423_7
; %bb.4:
	s_lshl_b64 s[16:17], s[4:5], 1
	v_mov_b32_e32 v1, 0
	s_add_u32 s16, s10, s16
	s_addc_u32 s17, s11, s17
	global_load_u16 v1, v1, s[16:17]
	s_waitcnt vmcnt(0)
	v_fma_mixlo_f16 v1, v1, s12, 0 op_sel_hi:[1,0,0]
	s_branch .LBB423_8
.LBB423_5:
                                        ; implicit-def: $vgpr1
                                        ; implicit-def: $sgpr4_sgpr5
	s_cbranch_execnz .LBB423_9
	s_branch .LBB423_28
.LBB423_6:
	s_or_b32 exec_lo, exec_lo, s6
	s_delay_alu instid0(SALU_CYCLE_1)
	s_and_b32 vcc_lo, exec_lo, s3
	s_cbranch_vccnz .LBB423_9
	s_branch .LBB423_28
.LBB423_7:
	v_mov_b32_e32 v1, 0
.LBB423_8:
	s_mov_b32 s13, exec_lo
	s_or_b32 exec_lo, exec_lo, s6
	s_delay_alu instid0(SALU_CYCLE_1)
	s_and_b32 vcc_lo, exec_lo, s3
	s_cbranch_vccz .LBB423_28
.LBB423_9:
	s_clause 0x1
	s_load_b512 s[16:31], s[0:1], 0x18
	s_load_b32 s5, s[0:1], 0x0
	v_mov_b32_e32 v7, 0
	s_waitcnt lgkmcnt(0)
	s_mul_i32 s1, s15, s23
	s_mul_hi_u32 s4, s15, s22
	s_mul_i32 s0, s15, s22
	s_add_i32 s1, s4, s1
	s_mul_i32 s2, s15, s31
	s_mul_hi_u32 s3, s15, s30
	s_lshl_b64 s[0:1], s[0:1], 1
	s_add_i32 s3, s3, s2
	v_cmp_gt_i32_e32 vcc_lo, s5, v0
	s_add_u32 s2, s16, s0
	s_addc_u32 s6, s17, s1
	s_lshl_b64 s[0:1], s[18:19], 1
	s_mul_i32 s4, s14, s21
	s_add_u32 s0, s2, s0
	s_mul_hi_u32 s7, s14, s20
	s_addc_u32 s2, s6, s1
	s_ashr_i32 s1, s14, 31
	v_cndmask_b32_e32 v1, 0, v0, vcc_lo
	s_add_i32 s4, s7, s4
	s_mul_i32 s7, s1, s20
	s_mul_i32 s6, s14, s20
	s_add_i32 s7, s4, s7
	v_lshlrev_b32_e32 v1, 1, v1
	s_lshl_b64 s[6:7], s[6:7], 1
	s_mov_b32 s16, 0
	s_add_u32 s0, s6, s0
	s_addc_u32 s2, s7, s2
	s_ashr_i32 s4, s5, 31
	v_add_co_u32 v1, s0, s0, v1
	s_lshr_b32 s4, s4, 22
	v_add_co_ci_u32_e64 v2, null, s2, 0, s0
	s_add_i32 s4, s5, s4
	s_mul_i32 s2, s15, s30
	s_and_b32 s4, s4, 0xfffffc00
	s_mov_b32 s15, exec_lo
	v_cmpx_gt_i32_e64 s4, v0
	s_cbranch_execz .LBB423_13
; %bb.10:
	v_mad_u64_u32 v[5:6], null, s28, v0, 0
	s_lshl_b64 s[18:19], s[26:27], 1
	s_lshl_b64 s[6:7], s[2:3], 1
	s_add_u32 s0, s24, s18
	s_addc_u32 s17, s25, s19
	s_add_u32 s0, s0, s6
	s_addc_u32 s6, s17, s7
	s_delay_alu instid0(VALU_DEP_1) | instskip(NEXT) | instid1(VALU_DEP_1)
	v_dual_mov_b32 v3, v6 :: v_dual_mov_b32 v8, v0
	v_mad_u64_u32 v[6:7], null, s29, v0, v[3:4]
	v_dual_mov_b32 v7, 0 :: v_dual_mov_b32 v4, v2
	v_mov_b32_e32 v3, v1
	s_delay_alu instid0(VALU_DEP_3) | instskip(NEXT) | instid1(VALU_DEP_1)
	v_lshlrev_b64 v[5:6], 1, v[5:6]
	v_add_co_u32 v5, vcc_lo, s0, v5
	s_delay_alu instid0(VALU_DEP_2)
	v_add_co_ci_u32_e32 v6, vcc_lo, s6, v6, vcc_lo
	s_lshl_b64 s[6:7], s[28:29], 11
	.p2align	6
.LBB423_11:                             ; =>This Inner Loop Header: Depth=1
	global_load_u16 v9, v[3:4], off
	global_load_u16 v10, v[5:6], off
	v_add_co_u32 v3, vcc_lo, 0x800, v3
	v_add_co_ci_u32_e32 v4, vcc_lo, 0, v4, vcc_lo
	v_add_co_u32 v5, vcc_lo, v5, s6
	v_add_co_ci_u32_e32 v6, vcc_lo, s7, v6, vcc_lo
	s_waitcnt vmcnt(0)
	v_mul_f16_e32 v9, v9, v10
	s_delay_alu instid0(VALU_DEP_1) | instskip(NEXT) | instid1(VALU_DEP_1)
	v_cvt_f32_f16_e32 v9, v9
	v_dual_add_f32 v7, v7, v9 :: v_dual_add_nc_u32 v8, 0x400, v8
	s_delay_alu instid0(VALU_DEP_1) | instskip(NEXT) | instid1(VALU_DEP_1)
	v_cmp_le_i32_e64 s0, s4, v8
	s_or_b32 s16, s0, s16
	s_delay_alu instid0(SALU_CYCLE_1)
	s_and_not1_b32 exec_lo, exec_lo, s16
	s_cbranch_execnz .LBB423_11
; %bb.12:
	s_or_b32 exec_lo, exec_lo, s16
.LBB423_13:
	s_delay_alu instid0(SALU_CYCLE_1) | instskip(SKIP_2) | instid1(VALU_DEP_1)
	s_or_b32 exec_lo, exec_lo, s15
	v_or_b32_e32 v3, s4, v0
	s_mov_b32 s0, exec_lo
	v_cmpx_gt_i32_e64 s5, v3
	s_cbranch_execz .LBB423_15
; %bb.14:
	v_ashrrev_i32_e32 v6, 31, v3
	v_mul_lo_u32 v8, v3, s29
	v_mad_u64_u32 v[4:5], null, v3, s28, 0
	s_lshl_b64 s[2:3], s[2:3], 1
	s_delay_alu instid0(VALU_DEP_3) | instskip(SKIP_3) | instid1(SALU_CYCLE_1)
	v_mul_lo_u32 v3, v6, s28
	s_add_u32 s5, s24, s2
	s_addc_u32 s6, s25, s3
	s_lshl_b64 s[2:3], s[26:27], 1
	s_add_u32 s7, s5, s2
	s_addc_u32 s6, s6, s3
	s_ashr_i32 s5, s4, 31
	s_delay_alu instid0(VALU_DEP_1) | instskip(SKIP_1) | instid1(SALU_CYCLE_1)
	v_add3_u32 v5, v5, v8, v3
	s_lshl_b64 s[2:3], s[4:5], 1
	v_add_co_u32 v1, vcc_lo, v1, s2
	s_delay_alu instid0(VALU_DEP_2) | instskip(SKIP_1) | instid1(VALU_DEP_2)
	v_lshlrev_b64 v[3:4], 1, v[4:5]
	v_add_co_ci_u32_e32 v2, vcc_lo, s3, v2, vcc_lo
	v_add_co_u32 v3, vcc_lo, s7, v3
	s_delay_alu instid0(VALU_DEP_3) | instskip(SKIP_4) | instid1(VALU_DEP_1)
	v_add_co_ci_u32_e32 v4, vcc_lo, s6, v4, vcc_lo
	global_load_u16 v1, v[1:2], off
	global_load_u16 v2, v[3:4], off
	s_waitcnt vmcnt(0)
	v_mul_f16_e32 v1, v1, v2
	v_cvt_f32_f16_e32 v1, v1
	s_delay_alu instid0(VALU_DEP_1)
	v_add_f32_e32 v7, v7, v1
.LBB423_15:
	s_or_b32 exec_lo, exec_lo, s0
	v_and_b32_e32 v6, 31, v0
	v_cmp_gt_u32_e32 vcc_lo, 32, v0
	s_delay_alu instid0(VALU_DEP_2)
	v_lshlrev_b32_e32 v1, 2, v6
	s_and_saveexec_b32 s0, vcc_lo
	s_cbranch_execz .LBB423_17
; %bb.16:
	v_mov_b32_e32 v2, 0
	ds_store_b32 v1, v2
.LBB423_17:
	s_or_b32 exec_lo, exec_lo, s0
	v_mbcnt_lo_u32_b32 v8, -1, 0
	s_mov_b32 s2, exec_lo
	s_waitcnt lgkmcnt(0)
	s_barrier
	buffer_gl0_inv
	v_cmp_gt_u32_e64 s0, 16, v8
	s_delay_alu instid0(VALU_DEP_1) | instskip(SKIP_1) | instid1(VALU_DEP_2)
	v_cndmask_b32_e64 v2, 0, 1, s0
	v_cmp_gt_u32_e64 s0, 24, v8
	v_lshlrev_b32_e32 v2, 4, v2
	s_delay_alu instid0(VALU_DEP_2) | instskip(SKIP_1) | instid1(VALU_DEP_3)
	v_cndmask_b32_e64 v3, 0, 1, s0
	v_cmp_gt_u32_e64 s0, 28, v8
	v_add_lshl_u32 v2, v2, v8, 2
	s_delay_alu instid0(VALU_DEP_3)
	v_lshlrev_b32_e32 v3, 3, v3
	ds_bpermute_b32 v4, v2, v7
	v_add_lshl_u32 v3, v3, v8, 2
	s_waitcnt lgkmcnt(0)
	v_add_f32_e32 v5, v7, v4
	v_cndmask_b32_e64 v4, 0, 1, s0
	v_cmp_gt_u32_e64 s0, 30, v8
	ds_bpermute_b32 v7, v3, v5
	s_waitcnt lgkmcnt(0)
	v_dual_add_f32 v7, v5, v7 :: v_dual_lshlrev_b32 v4, 2, v4
	s_delay_alu instid0(VALU_DEP_1)
	v_add_lshl_u32 v4, v4, v8, 2
	v_cndmask_b32_e64 v5, 0, 1, s0
	v_cmp_ne_u32_e64 s0, 31, v8
	ds_bpermute_b32 v9, v4, v7
	v_lshlrev_b32_e32 v5, 1, v5
	v_add_co_ci_u32_e64 v10, s0, 0, v8, s0
	s_delay_alu instid0(VALU_DEP_2)
	v_add_lshl_u32 v5, v5, v8, 2
	s_waitcnt lgkmcnt(0)
	v_add_f32_e32 v7, v7, v9
	ds_bpermute_b32 v9, v5, v7
	s_waitcnt lgkmcnt(0)
	v_dual_add_f32 v8, v7, v9 :: v_dual_lshlrev_b32 v7, 2, v10
	ds_bpermute_b32 v9, v7, v8
	v_cmpx_eq_u32_e32 0, v6
	s_cbranch_execz .LBB423_19
; %bb.18:
	v_lshrrev_b32_e32 v6, 3, v0
	s_waitcnt lgkmcnt(0)
	v_add_f32_e32 v8, v8, v9
	s_delay_alu instid0(VALU_DEP_2)
	v_and_b32_e32 v6, 0x7c, v6
	ds_store_b32 v6, v8
.LBB423_19:
	s_or_b32 exec_lo, exec_lo, s2
	v_mov_b32_e32 v6, 0
	s_waitcnt lgkmcnt(0)
	s_barrier
	buffer_gl0_inv
	s_and_saveexec_b32 s0, vcc_lo
	s_cbranch_execz .LBB423_21
; %bb.20:
	ds_load_b32 v6, v1
.LBB423_21:
	s_or_b32 exec_lo, exec_lo, s0
	s_and_saveexec_b32 s0, vcc_lo
	s_cbranch_execz .LBB423_23
; %bb.22:
	s_waitcnt lgkmcnt(0)
	ds_bpermute_b32 v1, v2, v6
	s_waitcnt lgkmcnt(0)
	v_add_f32_e32 v1, v6, v1
	ds_bpermute_b32 v2, v3, v1
	s_waitcnt lgkmcnt(0)
	v_add_f32_e32 v1, v1, v2
	;; [unrolled: 3-line block ×5, first 2 shown]
.LBB423_23:
	s_or_b32 exec_lo, exec_lo, s0
	s_delay_alu instid0(SALU_CYCLE_1)
	s_mov_b32 s0, exec_lo
                                        ; implicit-def: $vgpr1
                                        ; implicit-def: $sgpr4_sgpr5
	v_cmpx_eq_u32_e32 0, v0
	s_cbranch_execz .LBB423_27
; %bb.24:
	v_cmp_eq_f32_e64 s4, s12, 0
	s_mul_i32 s2, s14, s9
	s_mul_hi_u32 s3, s14, s8
	s_waitcnt lgkmcnt(0)
	v_mul_f32_e32 v0, s33, v6
	s_add_i32 s2, s3, s2
	s_mul_i32 s1, s1, s8
	s_and_b32 vcc_lo, exec_lo, s4
	s_add_i32 s5, s2, s1
	s_mul_i32 s4, s14, s8
	s_cbranch_vccnz .LBB423_26
; %bb.25:
	s_lshl_b64 s[2:3], s[4:5], 1
	v_mov_b32_e32 v1, 0
	s_add_u32 s2, s10, s2
	s_addc_u32 s3, s11, s3
	global_load_u16 v1, v1, s[2:3]
	s_waitcnt vmcnt(0)
	v_fma_mix_f32 v0, v1, s12, v0 op_sel_hi:[1,0,0]
.LBB423_26:
	s_delay_alu instid0(VALU_DEP_1)
	v_cvt_f16_f32_e32 v1, v0
	s_or_b32 s13, s13, exec_lo
.LBB423_27:
	s_or_b32 exec_lo, exec_lo, s0
.LBB423_28:
	s_and_saveexec_b32 s0, s13
	s_cbranch_execz .LBB423_30
; %bb.29:
	s_lshl_b64 s[0:1], s[4:5], 1
	v_mov_b32_e32 v0, 0
	s_add_u32 s0, s10, s0
	s_addc_u32 s1, s11, s1
	global_store_b16 v0, v1, s[0:1]
.LBB423_30:
	s_nop 0
	s_sendmsg sendmsg(MSG_DEALLOC_VGPRS)
	s_endpgm
	.section	.rodata,"a",@progbits
	.p2align	6, 0x0
	.amdhsa_kernel _ZL32rocblas_gemvt_warp_reduce_kernelILb1ELi1024ElDF16_fDF16_EviiT3_lPKT2_lT1_lS3_lS4_lS0_lPT4_lS4_li
		.amdhsa_group_segment_fixed_size 128
		.amdhsa_private_segment_fixed_size 0
		.amdhsa_kernarg_size 140
		.amdhsa_user_sgpr_count 14
		.amdhsa_user_sgpr_dispatch_ptr 0
		.amdhsa_user_sgpr_queue_ptr 0
		.amdhsa_user_sgpr_kernarg_segment_ptr 1
		.amdhsa_user_sgpr_dispatch_id 0
		.amdhsa_user_sgpr_private_segment_size 0
		.amdhsa_wavefront_size32 1
		.amdhsa_uses_dynamic_stack 0
		.amdhsa_enable_private_segment 0
		.amdhsa_system_sgpr_workgroup_id_x 1
		.amdhsa_system_sgpr_workgroup_id_y 0
		.amdhsa_system_sgpr_workgroup_id_z 1
		.amdhsa_system_sgpr_workgroup_info 0
		.amdhsa_system_vgpr_workitem_id 0
		.amdhsa_next_free_vgpr 11
		.amdhsa_next_free_sgpr 34
		.amdhsa_reserve_vcc 1
		.amdhsa_float_round_mode_32 0
		.amdhsa_float_round_mode_16_64 0
		.amdhsa_float_denorm_mode_32 3
		.amdhsa_float_denorm_mode_16_64 3
		.amdhsa_dx10_clamp 1
		.amdhsa_ieee_mode 1
		.amdhsa_fp16_overflow 0
		.amdhsa_workgroup_processor_mode 1
		.amdhsa_memory_ordered 1
		.amdhsa_forward_progress 0
		.amdhsa_shared_vgpr_count 0
		.amdhsa_exception_fp_ieee_invalid_op 0
		.amdhsa_exception_fp_denorm_src 0
		.amdhsa_exception_fp_ieee_div_zero 0
		.amdhsa_exception_fp_ieee_overflow 0
		.amdhsa_exception_fp_ieee_underflow 0
		.amdhsa_exception_fp_ieee_inexact 0
		.amdhsa_exception_int_div_zero 0
	.end_amdhsa_kernel
	.section	.text._ZL32rocblas_gemvt_warp_reduce_kernelILb1ELi1024ElDF16_fDF16_EviiT3_lPKT2_lT1_lS3_lS4_lS0_lPT4_lS4_li,"axG",@progbits,_ZL32rocblas_gemvt_warp_reduce_kernelILb1ELi1024ElDF16_fDF16_EviiT3_lPKT2_lT1_lS3_lS4_lS0_lPT4_lS4_li,comdat
.Lfunc_end423:
	.size	_ZL32rocblas_gemvt_warp_reduce_kernelILb1ELi1024ElDF16_fDF16_EviiT3_lPKT2_lT1_lS3_lS4_lS0_lPT4_lS4_li, .Lfunc_end423-_ZL32rocblas_gemvt_warp_reduce_kernelILb1ELi1024ElDF16_fDF16_EviiT3_lPKT2_lT1_lS3_lS4_lS0_lPT4_lS4_li
                                        ; -- End function
	.section	.AMDGPU.csdata,"",@progbits
; Kernel info:
; codeLenInByte = 1500
; NumSgprs: 36
; NumVgprs: 11
; ScratchSize: 0
; MemoryBound: 0
; FloatMode: 240
; IeeeMode: 1
; LDSByteSize: 128 bytes/workgroup (compile time only)
; SGPRBlocks: 4
; VGPRBlocks: 1
; NumSGPRsForWavesPerEU: 36
; NumVGPRsForWavesPerEU: 11
; Occupancy: 16
; WaveLimiterHint : 1
; COMPUTE_PGM_RSRC2:SCRATCH_EN: 0
; COMPUTE_PGM_RSRC2:USER_SGPR: 14
; COMPUTE_PGM_RSRC2:TRAP_HANDLER: 0
; COMPUTE_PGM_RSRC2:TGID_X_EN: 1
; COMPUTE_PGM_RSRC2:TGID_Y_EN: 0
; COMPUTE_PGM_RSRC2:TGID_Z_EN: 1
; COMPUTE_PGM_RSRC2:TIDIG_COMP_CNT: 0
	.section	.text._ZL34rocblas_gemvn_sm_mn_batched_kernelILi32ELi24EPKDF16_PKfKPDF16_EviiT2_lPKT1_lilS9_lilS6_lPT3_lili,"axG",@progbits,_ZL34rocblas_gemvn_sm_mn_batched_kernelILi32ELi24EPKDF16_PKfKPDF16_EviiT2_lPKT1_lilS9_lilS6_lPT3_lili,comdat
	.globl	_ZL34rocblas_gemvn_sm_mn_batched_kernelILi32ELi24EPKDF16_PKfKPDF16_EviiT2_lPKT1_lilS9_lilS6_lPT3_lili ; -- Begin function _ZL34rocblas_gemvn_sm_mn_batched_kernelILi32ELi24EPKDF16_PKfKPDF16_EviiT2_lPKT1_lilS9_lilS6_lPT3_lili
	.p2align	8
	.type	_ZL34rocblas_gemvn_sm_mn_batched_kernelILi32ELi24EPKDF16_PKfKPDF16_EviiT2_lPKT1_lilS9_lilS6_lPT3_lili,@function
_ZL34rocblas_gemvn_sm_mn_batched_kernelILi32ELi24EPKDF16_PKfKPDF16_EviiT2_lPKT1_lilS9_lilS6_lPT3_lili: ; @_ZL34rocblas_gemvn_sm_mn_batched_kernelILi32ELi24EPKDF16_PKfKPDF16_EviiT2_lPKT1_lilS9_lilS6_lPT3_lili
; %bb.0:
	s_endpgm
	.section	.rodata,"a",@progbits
	.p2align	6, 0x0
	.amdhsa_kernel _ZL34rocblas_gemvn_sm_mn_batched_kernelILi32ELi24EPKDF16_PKfKPDF16_EviiT2_lPKT1_lilS9_lilS6_lPT3_lili
		.amdhsa_group_segment_fixed_size 0
		.amdhsa_private_segment_fixed_size 0
		.amdhsa_kernarg_size 140
		.amdhsa_user_sgpr_count 15
		.amdhsa_user_sgpr_dispatch_ptr 0
		.amdhsa_user_sgpr_queue_ptr 0
		.amdhsa_user_sgpr_kernarg_segment_ptr 1
		.amdhsa_user_sgpr_dispatch_id 0
		.amdhsa_user_sgpr_private_segment_size 0
		.amdhsa_wavefront_size32 1
		.amdhsa_uses_dynamic_stack 0
		.amdhsa_enable_private_segment 0
		.amdhsa_system_sgpr_workgroup_id_x 1
		.amdhsa_system_sgpr_workgroup_id_y 0
		.amdhsa_system_sgpr_workgroup_id_z 0
		.amdhsa_system_sgpr_workgroup_info 0
		.amdhsa_system_vgpr_workitem_id 0
		.amdhsa_next_free_vgpr 1
		.amdhsa_next_free_sgpr 1
		.amdhsa_reserve_vcc 0
		.amdhsa_float_round_mode_32 0
		.amdhsa_float_round_mode_16_64 0
		.amdhsa_float_denorm_mode_32 3
		.amdhsa_float_denorm_mode_16_64 3
		.amdhsa_dx10_clamp 1
		.amdhsa_ieee_mode 1
		.amdhsa_fp16_overflow 0
		.amdhsa_workgroup_processor_mode 1
		.amdhsa_memory_ordered 1
		.amdhsa_forward_progress 0
		.amdhsa_shared_vgpr_count 0
		.amdhsa_exception_fp_ieee_invalid_op 0
		.amdhsa_exception_fp_denorm_src 0
		.amdhsa_exception_fp_ieee_div_zero 0
		.amdhsa_exception_fp_ieee_overflow 0
		.amdhsa_exception_fp_ieee_underflow 0
		.amdhsa_exception_fp_ieee_inexact 0
		.amdhsa_exception_int_div_zero 0
	.end_amdhsa_kernel
	.section	.text._ZL34rocblas_gemvn_sm_mn_batched_kernelILi32ELi24EPKDF16_PKfKPDF16_EviiT2_lPKT1_lilS9_lilS6_lPT3_lili,"axG",@progbits,_ZL34rocblas_gemvn_sm_mn_batched_kernelILi32ELi24EPKDF16_PKfKPDF16_EviiT2_lPKT1_lilS9_lilS6_lPT3_lili,comdat
.Lfunc_end424:
	.size	_ZL34rocblas_gemvn_sm_mn_batched_kernelILi32ELi24EPKDF16_PKfKPDF16_EviiT2_lPKT1_lilS9_lilS6_lPT3_lili, .Lfunc_end424-_ZL34rocblas_gemvn_sm_mn_batched_kernelILi32ELi24EPKDF16_PKfKPDF16_EviiT2_lPKT1_lilS9_lilS6_lPT3_lili
                                        ; -- End function
	.section	.AMDGPU.csdata,"",@progbits
; Kernel info:
; codeLenInByte = 4
; NumSgprs: 0
; NumVgprs: 0
; ScratchSize: 0
; MemoryBound: 0
; FloatMode: 240
; IeeeMode: 1
; LDSByteSize: 0 bytes/workgroup (compile time only)
; SGPRBlocks: 0
; VGPRBlocks: 0
; NumSGPRsForWavesPerEU: 1
; NumVGPRsForWavesPerEU: 1
; Occupancy: 12
; WaveLimiterHint : 0
; COMPUTE_PGM_RSRC2:SCRATCH_EN: 0
; COMPUTE_PGM_RSRC2:USER_SGPR: 15
; COMPUTE_PGM_RSRC2:TRAP_HANDLER: 0
; COMPUTE_PGM_RSRC2:TGID_X_EN: 1
; COMPUTE_PGM_RSRC2:TGID_Y_EN: 0
; COMPUTE_PGM_RSRC2:TGID_Z_EN: 0
; COMPUTE_PGM_RSRC2:TIDIG_COMP_CNT: 0
	.section	.text._ZL34rocblas_gemvn_sm_mn_batched_kernelILi32ELi24EPKDF16_fKPDF16_EviiT2_lPKT1_lilS7_lilS4_lPT3_lili,"axG",@progbits,_ZL34rocblas_gemvn_sm_mn_batched_kernelILi32ELi24EPKDF16_fKPDF16_EviiT2_lPKT1_lilS7_lilS4_lPT3_lili,comdat
	.globl	_ZL34rocblas_gemvn_sm_mn_batched_kernelILi32ELi24EPKDF16_fKPDF16_EviiT2_lPKT1_lilS7_lilS4_lPT3_lili ; -- Begin function _ZL34rocblas_gemvn_sm_mn_batched_kernelILi32ELi24EPKDF16_fKPDF16_EviiT2_lPKT1_lilS7_lilS4_lPT3_lili
	.p2align	8
	.type	_ZL34rocblas_gemvn_sm_mn_batched_kernelILi32ELi24EPKDF16_fKPDF16_EviiT2_lPKT1_lilS7_lilS4_lPT3_lili,@function
_ZL34rocblas_gemvn_sm_mn_batched_kernelILi32ELi24EPKDF16_fKPDF16_EviiT2_lPKT1_lilS7_lilS4_lPT3_lili: ; @_ZL34rocblas_gemvn_sm_mn_batched_kernelILi32ELi24EPKDF16_fKPDF16_EviiT2_lPKT1_lilS7_lilS4_lPT3_lili
; %bb.0:
	s_endpgm
	.section	.rodata,"a",@progbits
	.p2align	6, 0x0
	.amdhsa_kernel _ZL34rocblas_gemvn_sm_mn_batched_kernelILi32ELi24EPKDF16_fKPDF16_EviiT2_lPKT1_lilS7_lilS4_lPT3_lili
		.amdhsa_group_segment_fixed_size 0
		.amdhsa_private_segment_fixed_size 0
		.amdhsa_kernarg_size 140
		.amdhsa_user_sgpr_count 15
		.amdhsa_user_sgpr_dispatch_ptr 0
		.amdhsa_user_sgpr_queue_ptr 0
		.amdhsa_user_sgpr_kernarg_segment_ptr 1
		.amdhsa_user_sgpr_dispatch_id 0
		.amdhsa_user_sgpr_private_segment_size 0
		.amdhsa_wavefront_size32 1
		.amdhsa_uses_dynamic_stack 0
		.amdhsa_enable_private_segment 0
		.amdhsa_system_sgpr_workgroup_id_x 1
		.amdhsa_system_sgpr_workgroup_id_y 0
		.amdhsa_system_sgpr_workgroup_id_z 0
		.amdhsa_system_sgpr_workgroup_info 0
		.amdhsa_system_vgpr_workitem_id 0
		.amdhsa_next_free_vgpr 1
		.amdhsa_next_free_sgpr 1
		.amdhsa_reserve_vcc 0
		.amdhsa_float_round_mode_32 0
		.amdhsa_float_round_mode_16_64 0
		.amdhsa_float_denorm_mode_32 3
		.amdhsa_float_denorm_mode_16_64 3
		.amdhsa_dx10_clamp 1
		.amdhsa_ieee_mode 1
		.amdhsa_fp16_overflow 0
		.amdhsa_workgroup_processor_mode 1
		.amdhsa_memory_ordered 1
		.amdhsa_forward_progress 0
		.amdhsa_shared_vgpr_count 0
		.amdhsa_exception_fp_ieee_invalid_op 0
		.amdhsa_exception_fp_denorm_src 0
		.amdhsa_exception_fp_ieee_div_zero 0
		.amdhsa_exception_fp_ieee_overflow 0
		.amdhsa_exception_fp_ieee_underflow 0
		.amdhsa_exception_fp_ieee_inexact 0
		.amdhsa_exception_int_div_zero 0
	.end_amdhsa_kernel
	.section	.text._ZL34rocblas_gemvn_sm_mn_batched_kernelILi32ELi24EPKDF16_fKPDF16_EviiT2_lPKT1_lilS7_lilS4_lPT3_lili,"axG",@progbits,_ZL34rocblas_gemvn_sm_mn_batched_kernelILi32ELi24EPKDF16_fKPDF16_EviiT2_lPKT1_lilS7_lilS4_lPT3_lili,comdat
.Lfunc_end425:
	.size	_ZL34rocblas_gemvn_sm_mn_batched_kernelILi32ELi24EPKDF16_fKPDF16_EviiT2_lPKT1_lilS7_lilS4_lPT3_lili, .Lfunc_end425-_ZL34rocblas_gemvn_sm_mn_batched_kernelILi32ELi24EPKDF16_fKPDF16_EviiT2_lPKT1_lilS7_lilS4_lPT3_lili
                                        ; -- End function
	.section	.AMDGPU.csdata,"",@progbits
; Kernel info:
; codeLenInByte = 4
; NumSgprs: 0
; NumVgprs: 0
; ScratchSize: 0
; MemoryBound: 0
; FloatMode: 240
; IeeeMode: 1
; LDSByteSize: 0 bytes/workgroup (compile time only)
; SGPRBlocks: 0
; VGPRBlocks: 0
; NumSGPRsForWavesPerEU: 1
; NumVGPRsForWavesPerEU: 1
; Occupancy: 12
; WaveLimiterHint : 0
; COMPUTE_PGM_RSRC2:SCRATCH_EN: 0
; COMPUTE_PGM_RSRC2:USER_SGPR: 15
; COMPUTE_PGM_RSRC2:TRAP_HANDLER: 0
; COMPUTE_PGM_RSRC2:TGID_X_EN: 1
; COMPUTE_PGM_RSRC2:TGID_Y_EN: 0
; COMPUTE_PGM_RSRC2:TGID_Z_EN: 0
; COMPUTE_PGM_RSRC2:TIDIG_COMP_CNT: 0
	.section	.text._ZL20rocblas_gemvn_kernelILi64ELi4EiPKDF16_PKfKPDF16_EviiT3_lPKT2_lT1_lS9_lSA_lS6_lPT4_lSA_li,"axG",@progbits,_ZL20rocblas_gemvn_kernelILi64ELi4EiPKDF16_PKfKPDF16_EviiT3_lPKT2_lT1_lS9_lSA_lS6_lPT4_lSA_li,comdat
	.globl	_ZL20rocblas_gemvn_kernelILi64ELi4EiPKDF16_PKfKPDF16_EviiT3_lPKT2_lT1_lS9_lSA_lS6_lPT4_lSA_li ; -- Begin function _ZL20rocblas_gemvn_kernelILi64ELi4EiPKDF16_PKfKPDF16_EviiT3_lPKT2_lT1_lS9_lSA_lS6_lPT4_lSA_li
	.p2align	8
	.type	_ZL20rocblas_gemvn_kernelILi64ELi4EiPKDF16_PKfKPDF16_EviiT3_lPKT2_lT1_lS9_lSA_lS6_lPT4_lSA_li,@function
_ZL20rocblas_gemvn_kernelILi64ELi4EiPKDF16_PKfKPDF16_EviiT3_lPKT2_lT1_lS9_lSA_lS6_lPT4_lSA_li: ; @_ZL20rocblas_gemvn_kernelILi64ELi4EiPKDF16_PKfKPDF16_EviiT3_lPKT2_lT1_lS9_lSA_lS6_lPT4_lSA_li
; %bb.0:
	s_load_b64 s[4:5], s[0:1], 0x9c
	s_waitcnt lgkmcnt(0)
	s_lshr_b32 s3, s4, 16
	s_and_b32 s4, s4, 0xffff
	s_and_b32 s5, s5, 0xffff
	s_mul_i32 s3, s3, s4
	s_delay_alu instid0(SALU_CYCLE_1) | instskip(NEXT) | instid1(SALU_CYCLE_1)
	s_mul_i32 s3, s3, s5
	s_cmpk_lg_i32 s3, 0x100
	s_cbranch_scc1 .LBB426_54
; %bb.1:
	s_clause 0x1
	s_load_b256 s[16:23], s[0:1], 0x8
	s_load_b256 s[4:11], s[0:1], 0x58
	s_mov_b32 s2, s15
	s_waitcnt lgkmcnt(0)
	s_mul_i32 s3, s15, s19
	s_mul_hi_u32 s13, s15, s18
	s_mul_i32 s12, s15, s18
	s_add_i32 s13, s13, s3
	s_mul_i32 s3, s15, s7
	s_lshl_b64 s[12:13], s[12:13], 2
	s_mul_hi_u32 s7, s15, s6
	s_add_u32 s12, s16, s12
	s_addc_u32 s13, s17, s13
	s_add_i32 s7, s7, s3
	s_mul_i32 s6, s15, s6
	s_delay_alu instid0(SALU_CYCLE_1) | instskip(NEXT) | instid1(SALU_CYCLE_1)
	s_lshl_b64 s[6:7], s[6:7], 2
	s_add_u32 s4, s4, s6
	s_addc_u32 s5, s5, s7
	s_load_b32 s16, s[12:13], 0x0
	s_load_b32 s15, s[4:5], 0x0
	s_waitcnt lgkmcnt(0)
	v_cmp_eq_f32_e64 s18, s16, 0
	v_cmp_eq_f32_e64 s3, s15, 1.0
	s_delay_alu instid0(VALU_DEP_1) | instskip(NEXT) | instid1(SALU_CYCLE_1)
	s_and_b32 s3, s18, s3
	s_and_b32 vcc_lo, exec_lo, s3
	s_mov_b32 s3, 0
	s_cbranch_vccnz .LBB426_54
; %bb.2:
	v_cmp_neq_f32_e64 s4, s16, 0
	s_mov_b64 s[12:13], 0
	s_and_b32 vcc_lo, exec_lo, s18
	s_mov_b64 s[6:7], 0
	s_cbranch_vccnz .LBB426_4
; %bb.3:
	s_lshl_b64 s[6:7], s[2:3], 3
	s_delay_alu instid0(SALU_CYCLE_1)
	s_add_u32 s6, s20, s6
	s_addc_u32 s7, s21, s7
	s_lshl_b64 s[20:21], s[22:23], 1
	s_load_b64 s[6:7], s[6:7], 0x0
	s_waitcnt lgkmcnt(0)
	s_add_u32 s6, s6, s20
	s_addc_u32 s7, s7, s21
.LBB426_4:
	s_and_not1_b32 vcc_lo, exec_lo, s4
	s_cbranch_vccnz .LBB426_6
; %bb.5:
	s_load_b128 s[20:23], s[0:1], 0x38
	s_lshl_b64 s[4:5], s[2:3], 3
	s_waitcnt lgkmcnt(0)
	s_add_u32 s4, s20, s4
	s_addc_u32 s5, s21, s5
	s_lshl_b64 s[12:13], s[22:23], 1
	s_load_b64 s[4:5], s[4:5], 0x0
	s_waitcnt lgkmcnt(0)
	s_add_u32 s12, s4, s12
	s_addc_u32 s13, s5, s13
.LBB426_6:
	s_lshl_b64 s[2:3], s[2:3], 3
	v_and_b32_e32 v1, 0x3ff, v0
	s_add_u32 s2, s8, s2
	s_addc_u32 s3, s9, s3
	v_bfe_u32 v13, v0, 10, 10
	s_load_b64 s[20:21], s[2:3], 0x0
	s_clause 0x1
	s_load_b64 s[4:5], s[0:1], 0x0
	s_load_b32 s17, s[0:1], 0x78
	s_lshl_b64 s[10:11], s[10:11], 1
	v_lshl_add_u32 v0, v13, 6, v1
	s_delay_alu instid0(VALU_DEP_1)
	v_cmp_gt_u32_e64 s2, 0x100, v0
	s_waitcnt lgkmcnt(0)
	s_add_u32 s9, s20, s10
	s_addc_u32 s10, s21, s11
	s_and_not1_b32 vcc_lo, exec_lo, s18
	s_cbranch_vccnz .LBB426_11
; %bb.7:
	s_mov_b32 s3, 0
	s_mov_b32 s11, 0
                                        ; implicit-def: $vgpr5
                                        ; implicit-def: $vgpr2_vgpr3
	s_and_saveexec_b32 s8, s2
	s_cbranch_execz .LBB426_12
; %bb.8:
	v_lshl_or_b32 v4, s14, 8, v0
	v_mov_b32_e32 v5, 0
	s_ashr_i32 s19, s4, 31
	s_mov_b32 s18, s4
                                        ; implicit-def: $vgpr2_vgpr3
	s_delay_alu instid0(VALU_DEP_1) | instid1(SALU_CYCLE_1)
	v_cmp_gt_i64_e32 vcc_lo, s[18:19], v[4:5]
                                        ; implicit-def: $vgpr5
	s_and_saveexec_b32 s2, vcc_lo
	s_cbranch_execz .LBB426_14
; %bb.9:
	v_mad_u64_u32 v[2:3], null, s17, v4, 0
	s_ashr_i32 s11, s17, 31
	s_delay_alu instid0(VALU_DEP_1) | instid1(SALU_CYCLE_1)
	v_mad_u64_u32 v[5:6], null, s11, v4, v[3:4]
	v_cmp_eq_f32_e64 s11, s15, 0
	s_delay_alu instid0(VALU_DEP_1) | instskip(NEXT) | instid1(VALU_DEP_2)
	s_and_b32 vcc_lo, exec_lo, s11
	v_mov_b32_e32 v3, v5
	s_cbranch_vccnz .LBB426_13
; %bb.10:
	s_delay_alu instid0(VALU_DEP_1) | instskip(SKIP_1) | instid1(VALU_DEP_1)
	v_lshlrev_b64 v[4:5], 1, v[2:3]
	s_mov_b32 s11, exec_lo
	v_add_co_u32 v4, vcc_lo, s9, v4
	s_delay_alu instid0(VALU_DEP_2)
	v_add_co_ci_u32_e32 v5, vcc_lo, s10, v5, vcc_lo
	global_load_u16 v4, v[4:5], off
	s_waitcnt vmcnt(0)
	v_fma_mixlo_f16 v5, s15, v4, 0 op_sel_hi:[0,1,0]
	s_branch .LBB426_14
.LBB426_11:
	s_mov_b32 s11, 0
                                        ; implicit-def: $vgpr5
                                        ; implicit-def: $vgpr2_vgpr3
	s_cbranch_execnz .LBB426_15
	s_branch .LBB426_52
.LBB426_12:
	s_or_b32 exec_lo, exec_lo, s8
	s_delay_alu instid0(SALU_CYCLE_1)
	s_and_b32 vcc_lo, exec_lo, s3
	s_cbranch_vccnz .LBB426_15
	s_branch .LBB426_52
.LBB426_13:
	v_mov_b32_e32 v5, 0
	s_mov_b32 s11, exec_lo
.LBB426_14:
	s_or_b32 exec_lo, exec_lo, s2
	s_delay_alu instid0(SALU_CYCLE_1) | instskip(SKIP_1) | instid1(SALU_CYCLE_1)
	s_and_b32 s11, s11, exec_lo
	s_or_b32 exec_lo, exec_lo, s8
	s_and_b32 vcc_lo, exec_lo, s3
	s_cbranch_vccz .LBB426_52
.LBB426_15:
	s_clause 0x1
	s_load_b32 s18, s[0:1], 0x28
	s_load_b32 s8, s[0:1], 0x48
	s_ashr_i32 s0, s5, 31
	s_lshl_b32 s14, s14, 8
	s_lshr_b32 s0, s0, 28
	v_dual_mov_b32 v18, 0 :: v_dual_lshlrev_b32 v19, 2, v13
	v_dual_mov_b32 v16, 0 :: v_dual_add_nc_u32 v15, s14, v1
	v_dual_mov_b32 v17, 0 :: v_dual_mov_b32 v14, 0
	s_add_i32 s0, s5, s0
	s_mov_b32 s20, exec_lo
	s_and_b32 s19, s0, -16
	s_delay_alu instid0(SALU_CYCLE_1)
	v_cmpx_gt_i32_e64 s19, v19
	s_cbranch_execz .LBB426_27
; %bb.16:
	s_waitcnt lgkmcnt(0)
	v_mul_lo_u32 v3, s18, v19
	v_dual_mov_b32 v17, 0 :: v_dual_add_nc_u32 v2, 64, v15
	v_add_nc_u32_e32 v6, 2, v19
	v_dual_mov_b32 v18, 0 :: v_dual_add_nc_u32 v5, 0xc0, v15
	s_delay_alu instid0(VALU_DEP_3)
	v_cmp_gt_i32_e64 s0, s4, v2
	v_add_nc_u32_e32 v4, 0x80, v15
	v_add3_u32 v20, v3, s18, v1
	v_mad_u64_u32 v[2:3], null, s18, v6, v[1:2]
	v_cmp_gt_i32_e64 s2, s4, v5
	v_mul_lo_u32 v5, v13, s18
	v_dual_mov_b32 v16, 0 :: v_dual_add_nc_u32 v7, 3, v19
	v_mul_lo_u32 v8, v13, s8
	v_cmp_gt_i32_e64 s1, s4, v4
	v_mul_lo_u32 v22, s8, v6
	s_delay_alu instid0(VALU_DEP_4)
	v_mad_u64_u32 v[3:4], null, s18, v7, v[1:2]
	v_lshl_add_u32 v21, v5, 2, v1
	v_mad_u64_u32 v[4:5], null, s8, v19, s[8:9]
	v_mul_lo_u32 v23, s8, v7
	v_cmp_gt_i32_e32 vcc_lo, s4, v15
	v_lshlrev_b32_e32 v24, 2, v8
	v_mov_b32_e32 v14, 0
	s_lshl_b32 s21, s18, 4
	s_lshl_b32 s23, s8, 4
	s_mov_b32 s22, 0
	s_mov_b32 s24, 0
	s_branch .LBB426_21
.LBB426_17:                             ;   in Loop: Header=BB426_21 Depth=1
	s_or_b32 exec_lo, exec_lo, s27
	s_waitcnt vmcnt(3) lgkmcnt(3)
	v_fma_mix_f32 v5, v37, v41, v16 op_sel_hi:[0,1,0]
	s_waitcnt vmcnt(2) lgkmcnt(2)
	s_delay_alu instid0(VALU_DEP_1) | instskip(SKIP_1) | instid1(VALU_DEP_1)
	v_fma_mix_f32 v5, v38, v42, v5 op_sel_hi:[0,1,0]
	s_waitcnt vmcnt(1) lgkmcnt(1)
	v_fma_mix_f32 v5, v39, v43, v5 op_sel_hi:[0,1,0]
	s_waitcnt vmcnt(0) lgkmcnt(0)
	s_delay_alu instid0(VALU_DEP_1)
	v_fma_mix_f32 v16, v40, v44, v5 op_sel_hi:[0,1,0]
.LBB426_18:                             ;   in Loop: Header=BB426_21 Depth=1
	s_or_b32 exec_lo, exec_lo, s26
	s_waitcnt vmcnt(3) lgkmcnt(3)
	v_fma_mix_f32 v5, v37, v33, v17 op_sel_hi:[0,1,0]
	s_waitcnt vmcnt(2) lgkmcnt(2)
	s_delay_alu instid0(VALU_DEP_1) | instskip(SKIP_1) | instid1(VALU_DEP_1)
	v_fma_mix_f32 v5, v38, v34, v5 op_sel_hi:[0,1,0]
	s_waitcnt vmcnt(1) lgkmcnt(1)
	v_fma_mix_f32 v5, v39, v35, v5 op_sel_hi:[0,1,0]
	s_waitcnt vmcnt(0) lgkmcnt(0)
	s_delay_alu instid0(VALU_DEP_1)
	v_fma_mix_f32 v17, v40, v36, v5 op_sel_hi:[0,1,0]
.LBB426_19:                             ;   in Loop: Header=BB426_21 Depth=1
	s_or_b32 exec_lo, exec_lo, s3
	s_waitcnt vmcnt(3) lgkmcnt(3)
	v_fma_mix_f32 v5, v25, v29, v18 op_sel_hi:[1,1,0]
	s_waitcnt vmcnt(2) lgkmcnt(2)
	s_delay_alu instid0(VALU_DEP_1) | instskip(SKIP_1) | instid1(VALU_DEP_1)
	v_fma_mix_f32 v5, v26, v30, v5 op_sel_hi:[1,1,0]
	s_waitcnt vmcnt(1) lgkmcnt(1)
	v_fma_mix_f32 v5, v27, v31, v5 op_sel_hi:[1,1,0]
	s_waitcnt vmcnt(0) lgkmcnt(0)
	s_delay_alu instid0(VALU_DEP_1)
	v_fma_mix_f32 v18, v28, v32, v5 op_sel_hi:[1,1,0]
.LBB426_20:                             ;   in Loop: Header=BB426_21 Depth=1
	s_or_b32 exec_lo, exec_lo, s25
	v_add_nc_u32_e32 v19, 16, v19
	v_add_nc_u32_e32 v20, s21, v20
	v_add_nc_u32_e32 v2, s21, v2
	v_add_nc_u32_e32 v3, s21, v3
	v_add_nc_u32_e32 v21, s21, v21
	v_cmp_le_i32_e64 s3, s19, v19
	s_add_i32 s24, s24, s23
	s_delay_alu instid0(VALU_DEP_1) | instskip(NEXT) | instid1(SALU_CYCLE_1)
	s_or_b32 s22, s3, s22
	s_and_not1_b32 exec_lo, exec_lo, s22
	s_cbranch_execz .LBB426_26
.LBB426_21:                             ; =>This Inner Loop Header: Depth=1
	s_and_saveexec_b32 s25, vcc_lo
	s_cbranch_execz .LBB426_20
; %bb.22:                               ;   in Loop: Header=BB426_21 Depth=1
	v_add_nc_u32_e32 v5, s24, v24
	v_add_nc_u32_e32 v7, s24, v4
	;; [unrolled: 1-line block ×5, first 2 shown]
	v_ashrrev_i32_e32 v6, 31, v5
	v_ashrrev_i32_e32 v8, 31, v7
	;; [unrolled: 1-line block ×5, first 2 shown]
	v_lshlrev_b64 v[5:6], 1, v[5:6]
	v_lshlrev_b64 v[7:8], 1, v[7:8]
	;; [unrolled: 1-line block ×3, first 2 shown]
	s_delay_alu instid0(VALU_DEP_3) | instskip(NEXT) | instid1(VALU_DEP_1)
	v_add_co_u32 v27, s3, s12, v5
	v_add_co_ci_u32_e64 v28, s3, s13, v6, s3
	s_delay_alu instid0(VALU_DEP_4)
	v_add_co_u32 v29, s3, s12, v7
	v_add_nc_u32_e32 v7, s14, v20
	v_add_co_ci_u32_e64 v30, s3, s13, v8, s3
	v_lshlrev_b64 v[5:6], 1, v[11:12]
	v_add_co_u32 v31, s3, s12, v9
	v_add_nc_u32_e32 v11, s14, v2
	v_add_co_ci_u32_e64 v32, s3, s13, v10, s3
	v_lshlrev_b64 v[9:10], 1, v[25:26]
	v_ashrrev_i32_e32 v8, 31, v7
	v_add_nc_u32_e32 v25, s14, v3
	v_add_co_u32 v33, s3, s12, v5
	v_ashrrev_i32_e32 v12, 31, v11
	v_add_co_ci_u32_e64 v34, s3, s13, v6, s3
	v_lshlrev_b64 v[7:8], 1, v[7:8]
	v_add_co_u32 v5, s3, s6, v9
	v_ashrrev_i32_e32 v26, 31, v25
	v_add_co_ci_u32_e64 v6, s3, s7, v10, s3
	v_lshlrev_b64 v[9:10], 1, v[11:12]
	v_add_co_u32 v7, s3, s6, v7
	s_delay_alu instid0(VALU_DEP_4) | instskip(SKIP_1) | instid1(VALU_DEP_4)
	v_lshlrev_b64 v[11:12], 1, v[25:26]
	v_add_co_ci_u32_e64 v8, s3, s7, v8, s3
	v_add_co_u32 v9, s3, s6, v9
	s_delay_alu instid0(VALU_DEP_1) | instskip(NEXT) | instid1(VALU_DEP_4)
	v_add_co_ci_u32_e64 v10, s3, s7, v10, s3
	v_add_co_u32 v11, s3, s6, v11
	s_delay_alu instid0(VALU_DEP_1)
	v_add_co_ci_u32_e64 v12, s3, s7, v12, s3
	s_clause 0x3
	flat_load_u16 v25, v[27:28]
	flat_load_u16 v26, v[29:30]
	;; [unrolled: 1-line block ×4, first 2 shown]
	s_clause 0x3
	flat_load_u16 v29, v[5:6]
	flat_load_u16 v30, v[7:8]
	;; [unrolled: 1-line block ×4, first 2 shown]
	s_and_saveexec_b32 s3, s0
	s_cbranch_execz .LBB426_19
; %bb.23:                               ;   in Loop: Header=BB426_21 Depth=1
	s_clause 0x3
	flat_load_u16 v33, v[5:6] offset:128
	flat_load_u16 v34, v[7:8] offset:128
	flat_load_u16 v35, v[9:10] offset:128
	flat_load_u16 v36, v[11:12] offset:128
	s_waitcnt vmcnt(11) lgkmcnt(11)
	v_cvt_f32_f16_e32 v37, v25
	s_waitcnt vmcnt(10) lgkmcnt(10)
	v_cvt_f32_f16_e32 v38, v26
	;; [unrolled: 2-line block ×4, first 2 shown]
	s_and_saveexec_b32 s26, s1
	s_cbranch_execz .LBB426_18
; %bb.24:                               ;   in Loop: Header=BB426_21 Depth=1
	s_clause 0x3
	flat_load_u16 v41, v[5:6] offset:256
	flat_load_u16 v42, v[7:8] offset:256
	flat_load_u16 v43, v[9:10] offset:256
	flat_load_u16 v44, v[11:12] offset:256
	s_and_saveexec_b32 s27, s2
	s_cbranch_execz .LBB426_17
; %bb.25:                               ;   in Loop: Header=BB426_21 Depth=1
	s_clause 0x3
	flat_load_u16 v5, v[5:6] offset:384
	flat_load_u16 v6, v[7:8] offset:384
	;; [unrolled: 1-line block ×4, first 2 shown]
	s_waitcnt vmcnt(3) lgkmcnt(3)
	v_fma_mix_f32 v5, v37, v5, v14 op_sel_hi:[0,1,0]
	s_waitcnt vmcnt(2) lgkmcnt(2)
	s_delay_alu instid0(VALU_DEP_1) | instskip(SKIP_1) | instid1(VALU_DEP_1)
	v_fma_mix_f32 v5, v38, v6, v5 op_sel_hi:[0,1,0]
	s_waitcnt vmcnt(1) lgkmcnt(1)
	v_fma_mix_f32 v5, v39, v7, v5 op_sel_hi:[0,1,0]
	s_waitcnt vmcnt(0) lgkmcnt(0)
	s_delay_alu instid0(VALU_DEP_1)
	v_fma_mix_f32 v14, v40, v8, v5 op_sel_hi:[0,1,0]
	s_branch .LBB426_17
.LBB426_26:
	s_or_b32 exec_lo, exec_lo, s22
.LBB426_27:
	s_delay_alu instid0(SALU_CYCLE_1) | instskip(SKIP_1) | instid1(SALU_CYCLE_1)
	s_or_b32 exec_lo, exec_lo, s20
	s_sub_i32 s0, s5, s19
	s_cmp_lt_i32 s0, 1
	s_cbranch_scc1 .LBB426_45
; %bb.28:
	v_cmp_gt_i32_e32 vcc_lo, s5, v19
	v_dual_mov_b32 v10, 0 :: v_dual_mov_b32 v11, 0
	v_or_b32_e32 v2, 1, v19
	v_mov_b32_e32 v12, 0
	v_mov_b32_e32 v20, 0
	s_and_saveexec_b32 s1, vcc_lo
	s_cbranch_execz .LBB426_36
; %bb.29:
	s_waitcnt lgkmcnt(0)
	v_mul_lo_u32 v3, v19, s8
	v_dual_mov_b32 v12, 0 :: v_dual_mov_b32 v11, 0
	v_mov_b32_e32 v10, 0
	s_mov_b32 s2, exec_lo
	s_delay_alu instid0(VALU_DEP_3) | instskip(NEXT) | instid1(VALU_DEP_1)
	v_ashrrev_i32_e32 v4, 31, v3
	v_lshlrev_b64 v[3:4], 1, v[3:4]
	s_delay_alu instid0(VALU_DEP_1) | instskip(NEXT) | instid1(VALU_DEP_1)
	v_add_co_u32 v3, s0, s12, v3
	v_add_co_ci_u32_e64 v4, s0, s13, v4, s0
	flat_load_u16 v3, v[3:4]
	v_cmpx_gt_i32_e64 s5, v2
	s_cbranch_execz .LBB426_35
; %bb.30:
	v_mul_lo_u32 v4, v2, s8
	v_dual_mov_b32 v11, 0 :: v_dual_mov_b32 v10, 0
	s_mov_b32 s3, exec_lo
	s_delay_alu instid0(VALU_DEP_2) | instskip(NEXT) | instid1(VALU_DEP_1)
	v_ashrrev_i32_e32 v5, 31, v4
	v_lshlrev_b64 v[4:5], 1, v[4:5]
	s_delay_alu instid0(VALU_DEP_1) | instskip(NEXT) | instid1(VALU_DEP_1)
	v_add_co_u32 v4, s0, s12, v4
	v_add_co_ci_u32_e64 v5, s0, s13, v5, s0
	flat_load_u16 v4, v[4:5]
	v_or_b32_e32 v5, 2, v19
	s_delay_alu instid0(VALU_DEP_1)
	v_cmpx_gt_i32_e64 s5, v5
	s_cbranch_execz .LBB426_34
; %bb.31:
	v_mul_lo_u32 v5, v5, s8
	v_mov_b32_e32 v10, 0
	s_mov_b32 s19, exec_lo
	s_delay_alu instid0(VALU_DEP_2) | instskip(NEXT) | instid1(VALU_DEP_1)
	v_ashrrev_i32_e32 v6, 31, v5
	v_lshlrev_b64 v[5:6], 1, v[5:6]
	s_delay_alu instid0(VALU_DEP_1) | instskip(NEXT) | instid1(VALU_DEP_1)
	v_add_co_u32 v5, s0, s12, v5
	v_add_co_ci_u32_e64 v6, s0, s13, v6, s0
	flat_load_u16 v5, v[5:6]
	v_or_b32_e32 v6, 3, v19
	s_delay_alu instid0(VALU_DEP_1)
	v_cmpx_gt_i32_e64 s5, v6
	s_cbranch_execz .LBB426_33
; %bb.32:
	v_mul_lo_u32 v6, v6, s8
	s_delay_alu instid0(VALU_DEP_1) | instskip(NEXT) | instid1(VALU_DEP_1)
	v_ashrrev_i32_e32 v7, 31, v6
	v_lshlrev_b64 v[6:7], 1, v[6:7]
	s_delay_alu instid0(VALU_DEP_1) | instskip(NEXT) | instid1(VALU_DEP_1)
	v_add_co_u32 v6, s0, s12, v6
	v_add_co_ci_u32_e64 v7, s0, s13, v7, s0
	flat_load_u16 v6, v[6:7]
	s_waitcnt vmcnt(0) lgkmcnt(0)
	v_cvt_f32_f16_e32 v10, v6
.LBB426_33:
	s_or_b32 exec_lo, exec_lo, s19
	s_waitcnt vmcnt(0) lgkmcnt(0)
	v_cvt_f32_f16_e32 v11, v5
.LBB426_34:
	s_or_b32 exec_lo, exec_lo, s3
	s_waitcnt vmcnt(0) lgkmcnt(0)
	v_cvt_f32_f16_e32 v12, v4
.LBB426_35:
	s_or_b32 exec_lo, exec_lo, s2
	s_waitcnt vmcnt(0) lgkmcnt(0)
	v_cvt_f32_f16_e32 v20, v3
.LBB426_36:
	s_or_b32 exec_lo, exec_lo, s1
	s_delay_alu instid0(SALU_CYCLE_1)
	s_mov_b32 s1, exec_lo
	v_cmpx_gt_i32_e64 s4, v15
	s_cbranch_execz .LBB426_44
; %bb.37:
	s_waitcnt lgkmcnt(0)
	v_mul_lo_u32 v3, v19, s18
	v_or_b32_e32 v6, 3, v19
	v_or_b32_e32 v4, 2, v19
	v_mul_lo_u32 v5, v2, s18
	s_mov_b32 s0, exec_lo
	s_delay_alu instid0(VALU_DEP_3) | instskip(NEXT) | instid1(VALU_DEP_3)
	v_mul_lo_u32 v8, v6, s18
	v_mul_lo_u32 v7, v4, s18
	v_cndmask_b32_e32 v3, 0, v3, vcc_lo
	v_cmp_gt_i32_e32 vcc_lo, s5, v2
	v_cndmask_b32_e32 v5, 0, v5, vcc_lo
	v_cmp_gt_i32_e32 vcc_lo, s5, v4
	;; [unrolled: 2-line block ×3, first 2 shown]
	s_delay_alu instid0(VALU_DEP_2) | instskip(SKIP_3) | instid1(VALU_DEP_4)
	v_add_nc_u32_e32 v6, v7, v15
	v_cndmask_b32_e32 v8, 0, v8, vcc_lo
	v_add_nc_u32_e32 v2, v3, v15
	v_add_nc_u32_e32 v4, v5, v15
	v_ashrrev_i32_e32 v7, 31, v6
	s_delay_alu instid0(VALU_DEP_4) | instskip(NEXT) | instid1(VALU_DEP_4)
	v_add_nc_u32_e32 v8, v8, v15
	v_ashrrev_i32_e32 v3, 31, v2
	s_delay_alu instid0(VALU_DEP_4) | instskip(NEXT) | instid1(VALU_DEP_4)
	v_ashrrev_i32_e32 v5, 31, v4
	v_lshlrev_b64 v[6:7], 1, v[6:7]
	s_delay_alu instid0(VALU_DEP_4) | instskip(NEXT) | instid1(VALU_DEP_4)
	v_ashrrev_i32_e32 v9, 31, v8
	v_lshlrev_b64 v[2:3], 1, v[2:3]
	s_delay_alu instid0(VALU_DEP_4) | instskip(NEXT) | instid1(VALU_DEP_3)
	v_lshlrev_b64 v[4:5], 1, v[4:5]
	v_lshlrev_b64 v[8:9], 1, v[8:9]
	s_delay_alu instid0(VALU_DEP_3) | instskip(NEXT) | instid1(VALU_DEP_4)
	v_add_co_u32 v2, vcc_lo, s6, v2
	v_add_co_ci_u32_e32 v3, vcc_lo, s7, v3, vcc_lo
	s_delay_alu instid0(VALU_DEP_4)
	v_add_co_u32 v4, vcc_lo, s6, v4
	v_add_co_ci_u32_e32 v5, vcc_lo, s7, v5, vcc_lo
	flat_load_u16 v21, v[2:3]
	v_add_co_u32 v6, vcc_lo, s6, v6
	v_add_co_ci_u32_e32 v7, vcc_lo, s7, v7, vcc_lo
	s_clause 0x1
	flat_load_u16 v22, v[4:5]
	flat_load_u16 v23, v[6:7]
	v_add_co_u32 v8, vcc_lo, s6, v8
	v_add_co_ci_u32_e32 v9, vcc_lo, s7, v9, vcc_lo
	flat_load_u16 v19, v[8:9]
	s_waitcnt vmcnt(3) lgkmcnt(3)
	v_fma_mix_f32 v18, v20, v21, v18 op_sel_hi:[0,1,0]
	v_add_nc_u32_e32 v21, 64, v15
	s_waitcnt vmcnt(2) lgkmcnt(2)
	s_delay_alu instid0(VALU_DEP_2) | instskip(SKIP_1) | instid1(VALU_DEP_1)
	v_fma_mix_f32 v18, v12, v22, v18 op_sel_hi:[0,1,0]
	s_waitcnt vmcnt(1) lgkmcnt(1)
	v_fma_mix_f32 v18, v11, v23, v18 op_sel_hi:[0,1,0]
	v_cmpx_gt_i32_e64 s4, v21
	s_cbranch_execz .LBB426_43
; %bb.38:
	s_clause 0x3
	flat_load_u16 v22, v[2:3] offset:128
	flat_load_u16 v23, v[4:5] offset:128
	;; [unrolled: 1-line block ×4, first 2 shown]
	s_mov_b32 s2, exec_lo
	s_waitcnt vmcnt(3) lgkmcnt(3)
	v_fma_mix_f32 v17, v20, v22, v17 op_sel_hi:[0,1,0]
	v_add_nc_u32_e32 v22, 0x80, v15
	s_waitcnt vmcnt(2) lgkmcnt(2)
	s_delay_alu instid0(VALU_DEP_2) | instskip(SKIP_1) | instid1(VALU_DEP_1)
	v_fma_mix_f32 v17, v12, v23, v17 op_sel_hi:[0,1,0]
	s_waitcnt vmcnt(1) lgkmcnt(1)
	v_fma_mix_f32 v17, v11, v24, v17 op_sel_hi:[0,1,0]
	v_cmpx_gt_i32_e64 s4, v22
	s_cbranch_execz .LBB426_42
; %bb.39:
	s_clause 0x3
	flat_load_u16 v23, v[2:3] offset:256
	flat_load_u16 v24, v[4:5] offset:256
	;; [unrolled: 1-line block ×4, first 2 shown]
	s_mov_b32 s3, exec_lo
	s_waitcnt vmcnt(3) lgkmcnt(3)
	v_fma_mix_f32 v16, v20, v23, v16 op_sel_hi:[0,1,0]
	v_add_nc_u32_e32 v23, 0xc0, v15
	s_waitcnt vmcnt(2) lgkmcnt(2)
	s_delay_alu instid0(VALU_DEP_2) | instskip(SKIP_1) | instid1(VALU_DEP_1)
	v_fma_mix_f32 v16, v12, v24, v16 op_sel_hi:[0,1,0]
	s_waitcnt vmcnt(1) lgkmcnt(1)
	v_fma_mix_f32 v15, v11, v25, v16 op_sel_hi:[0,1,0]
	v_cmpx_gt_i32_e64 s4, v23
	s_cbranch_execz .LBB426_41
; %bb.40:
	s_clause 0x3
	flat_load_u16 v2, v[2:3] offset:384
	flat_load_u16 v3, v[4:5] offset:384
	;; [unrolled: 1-line block ×4, first 2 shown]
	s_waitcnt vmcnt(3) lgkmcnt(3)
	v_fma_mix_f32 v2, v20, v2, v14 op_sel_hi:[0,1,0]
	s_waitcnt vmcnt(2) lgkmcnt(2)
	s_delay_alu instid0(VALU_DEP_1) | instskip(SKIP_1) | instid1(VALU_DEP_1)
	v_fma_mix_f32 v2, v12, v3, v2 op_sel_hi:[0,1,0]
	s_waitcnt vmcnt(1) lgkmcnt(1)
	v_fma_mix_f32 v2, v11, v4, v2 op_sel_hi:[0,1,0]
	s_waitcnt vmcnt(0) lgkmcnt(0)
	s_delay_alu instid0(VALU_DEP_1)
	v_fma_mix_f32 v14, v10, v5, v2 op_sel_hi:[0,1,0]
.LBB426_41:
	s_or_b32 exec_lo, exec_lo, s3
	s_waitcnt vmcnt(0) lgkmcnt(0)
	v_fma_mix_f32 v16, v10, v22, v15 op_sel_hi:[0,1,0]
.LBB426_42:
	s_or_b32 exec_lo, exec_lo, s2
	s_waitcnt vmcnt(0) lgkmcnt(0)
	v_fma_mix_f32 v17, v10, v21, v17 op_sel_hi:[0,1,0]
.LBB426_43:
	s_or_b32 exec_lo, exec_lo, s0
	s_waitcnt vmcnt(0) lgkmcnt(0)
	v_fma_mix_f32 v18, v10, v19, v18 op_sel_hi:[0,1,0]
.LBB426_44:
	s_or_b32 exec_lo, exec_lo, s1
.LBB426_45:
	v_lshlrev_b32_e32 v2, 8, v13
	s_mov_b32 s0, exec_lo
                                        ; implicit-def: $vgpr5
	s_delay_alu instid0(VALU_DEP_1)
	v_add_lshl_u32 v1, v2, v1, 2
                                        ; implicit-def: $vgpr2_vgpr3
	ds_store_2addr_stride64_b32 v1, v18, v17 offset1:1
	ds_store_2addr_stride64_b32 v1, v16, v14 offset0:2 offset1:3
	s_waitcnt lgkmcnt(0)
	s_barrier
	buffer_gl0_inv
	v_cmpx_gt_u32_e32 0x100, v0
	s_cbranch_execz .LBB426_51
; %bb.46:
	v_lshlrev_b32_e32 v5, 2, v0
	s_mov_b32 s2, s11
	s_mov_b32 s1, exec_lo
	ds_load_2addr_stride64_b32 v[1:2], v5 offset1:4
	ds_load_2addr_stride64_b32 v[3:4], v5 offset0:8 offset1:12
	s_waitcnt lgkmcnt(1)
	v_add_f32_e32 v1, v1, v2
	s_waitcnt lgkmcnt(0)
	s_delay_alu instid0(VALU_DEP_1) | instskip(SKIP_1) | instid1(VALU_DEP_2)
	v_add_f32_e32 v2, v3, v1
	v_or_b32_e32 v1, s14, v0
	v_add_f32_e32 v0, v4, v2
                                        ; implicit-def: $vgpr2_vgpr3
	ds_store_b32 v5, v0
                                        ; implicit-def: $vgpr5
	v_cmpx_gt_i32_e64 s4, v1
	s_cbranch_execz .LBB426_50
; %bb.47:
	v_mul_lo_u32 v2, v1, s17
	v_cmp_eq_f32_e64 s2, s15, 0
	v_mul_f32_e32 v0, s16, v0
	s_delay_alu instid0(VALU_DEP_2) | instskip(NEXT) | instid1(VALU_DEP_3)
	s_and_b32 vcc_lo, exec_lo, s2
	v_ashrrev_i32_e32 v3, 31, v2
	s_cbranch_vccnz .LBB426_49
; %bb.48:
	s_delay_alu instid0(VALU_DEP_1) | instskip(NEXT) | instid1(VALU_DEP_1)
	v_lshlrev_b64 v[4:5], 1, v[2:3]
	v_add_co_u32 v4, vcc_lo, s9, v4
	s_delay_alu instid0(VALU_DEP_2)
	v_add_co_ci_u32_e32 v5, vcc_lo, s10, v5, vcc_lo
	global_load_u16 v1, v[4:5], off
	s_waitcnt vmcnt(0)
	v_fma_mix_f32 v0, s15, v1, v0 op_sel_hi:[0,1,0]
.LBB426_49:
	s_delay_alu instid0(VALU_DEP_1)
	v_cvt_f16_f32_e32 v5, v0
	s_or_b32 s2, s11, exec_lo
.LBB426_50:
	s_or_b32 exec_lo, exec_lo, s1
	s_delay_alu instid0(SALU_CYCLE_1) | instskip(SKIP_1) | instid1(SALU_CYCLE_1)
	s_and_not1_b32 s1, s11, exec_lo
	s_and_b32 s2, s2, exec_lo
	s_or_b32 s11, s1, s2
.LBB426_51:
	s_or_b32 exec_lo, exec_lo, s0
.LBB426_52:
	s_and_saveexec_b32 s0, s11
	s_cbranch_execz .LBB426_54
; %bb.53:
	v_lshlrev_b64 v[0:1], 1, v[2:3]
	s_delay_alu instid0(VALU_DEP_1) | instskip(NEXT) | instid1(VALU_DEP_2)
	v_add_co_u32 v0, vcc_lo, s9, v0
	v_add_co_ci_u32_e32 v1, vcc_lo, s10, v1, vcc_lo
	global_store_b16 v[0:1], v5, off
.LBB426_54:
	s_nop 0
	s_sendmsg sendmsg(MSG_DEALLOC_VGPRS)
	s_endpgm
	.section	.rodata,"a",@progbits
	.p2align	6, 0x0
	.amdhsa_kernel _ZL20rocblas_gemvn_kernelILi64ELi4EiPKDF16_PKfKPDF16_EviiT3_lPKT2_lT1_lS9_lSA_lS6_lPT4_lSA_li
		.amdhsa_group_segment_fixed_size 4096
		.amdhsa_private_segment_fixed_size 0
		.amdhsa_kernarg_size 400
		.amdhsa_user_sgpr_count 14
		.amdhsa_user_sgpr_dispatch_ptr 0
		.amdhsa_user_sgpr_queue_ptr 0
		.amdhsa_user_sgpr_kernarg_segment_ptr 1
		.amdhsa_user_sgpr_dispatch_id 0
		.amdhsa_user_sgpr_private_segment_size 0
		.amdhsa_wavefront_size32 1
		.amdhsa_uses_dynamic_stack 0
		.amdhsa_enable_private_segment 0
		.amdhsa_system_sgpr_workgroup_id_x 1
		.amdhsa_system_sgpr_workgroup_id_y 0
		.amdhsa_system_sgpr_workgroup_id_z 1
		.amdhsa_system_sgpr_workgroup_info 0
		.amdhsa_system_vgpr_workitem_id 1
		.amdhsa_next_free_vgpr 45
		.amdhsa_next_free_sgpr 28
		.amdhsa_reserve_vcc 1
		.amdhsa_float_round_mode_32 0
		.amdhsa_float_round_mode_16_64 0
		.amdhsa_float_denorm_mode_32 3
		.amdhsa_float_denorm_mode_16_64 3
		.amdhsa_dx10_clamp 1
		.amdhsa_ieee_mode 1
		.amdhsa_fp16_overflow 0
		.amdhsa_workgroup_processor_mode 1
		.amdhsa_memory_ordered 1
		.amdhsa_forward_progress 0
		.amdhsa_shared_vgpr_count 0
		.amdhsa_exception_fp_ieee_invalid_op 0
		.amdhsa_exception_fp_denorm_src 0
		.amdhsa_exception_fp_ieee_div_zero 0
		.amdhsa_exception_fp_ieee_overflow 0
		.amdhsa_exception_fp_ieee_underflow 0
		.amdhsa_exception_fp_ieee_inexact 0
		.amdhsa_exception_int_div_zero 0
	.end_amdhsa_kernel
	.section	.text._ZL20rocblas_gemvn_kernelILi64ELi4EiPKDF16_PKfKPDF16_EviiT3_lPKT2_lT1_lS9_lSA_lS6_lPT4_lSA_li,"axG",@progbits,_ZL20rocblas_gemvn_kernelILi64ELi4EiPKDF16_PKfKPDF16_EviiT3_lPKT2_lT1_lS9_lSA_lS6_lPT4_lSA_li,comdat
.Lfunc_end426:
	.size	_ZL20rocblas_gemvn_kernelILi64ELi4EiPKDF16_PKfKPDF16_EviiT3_lPKT2_lT1_lS9_lSA_lS6_lPT4_lSA_li, .Lfunc_end426-_ZL20rocblas_gemvn_kernelILi64ELi4EiPKDF16_PKfKPDF16_EviiT3_lPKT2_lT1_lS9_lSA_lS6_lPT4_lSA_li
                                        ; -- End function
	.section	.AMDGPU.csdata,"",@progbits
; Kernel info:
; codeLenInByte = 3116
; NumSgprs: 30
; NumVgprs: 45
; ScratchSize: 0
; MemoryBound: 0
; FloatMode: 240
; IeeeMode: 1
; LDSByteSize: 4096 bytes/workgroup (compile time only)
; SGPRBlocks: 3
; VGPRBlocks: 5
; NumSGPRsForWavesPerEU: 30
; NumVGPRsForWavesPerEU: 45
; Occupancy: 16
; WaveLimiterHint : 1
; COMPUTE_PGM_RSRC2:SCRATCH_EN: 0
; COMPUTE_PGM_RSRC2:USER_SGPR: 14
; COMPUTE_PGM_RSRC2:TRAP_HANDLER: 0
; COMPUTE_PGM_RSRC2:TGID_X_EN: 1
; COMPUTE_PGM_RSRC2:TGID_Y_EN: 0
; COMPUTE_PGM_RSRC2:TGID_Z_EN: 1
; COMPUTE_PGM_RSRC2:TIDIG_COMP_CNT: 1
	.section	.text._ZL20rocblas_gemvn_kernelILi64ELi4ElPKDF16_PKfKPDF16_EviiT3_lPKT2_lT1_lS9_lSA_lS6_lPT4_lSA_li,"axG",@progbits,_ZL20rocblas_gemvn_kernelILi64ELi4ElPKDF16_PKfKPDF16_EviiT3_lPKT2_lT1_lS9_lSA_lS6_lPT4_lSA_li,comdat
	.globl	_ZL20rocblas_gemvn_kernelILi64ELi4ElPKDF16_PKfKPDF16_EviiT3_lPKT2_lT1_lS9_lSA_lS6_lPT4_lSA_li ; -- Begin function _ZL20rocblas_gemvn_kernelILi64ELi4ElPKDF16_PKfKPDF16_EviiT3_lPKT2_lT1_lS9_lSA_lS6_lPT4_lSA_li
	.p2align	8
	.type	_ZL20rocblas_gemvn_kernelILi64ELi4ElPKDF16_PKfKPDF16_EviiT3_lPKT2_lT1_lS9_lSA_lS6_lPT4_lSA_li,@function
_ZL20rocblas_gemvn_kernelILi64ELi4ElPKDF16_PKfKPDF16_EviiT3_lPKT2_lT1_lS9_lSA_lS6_lPT4_lSA_li: ; @_ZL20rocblas_gemvn_kernelILi64ELi4ElPKDF16_PKfKPDF16_EviiT3_lPKT2_lT1_lS9_lSA_lS6_lPT4_lSA_li
; %bb.0:
	s_load_b64 s[4:5], s[0:1], 0x9c
	s_waitcnt lgkmcnt(0)
	s_lshr_b32 s3, s4, 16
	s_and_b32 s4, s4, 0xffff
	s_and_b32 s5, s5, 0xffff
	s_mul_i32 s3, s3, s4
	s_delay_alu instid0(SALU_CYCLE_1) | instskip(NEXT) | instid1(SALU_CYCLE_1)
	s_mul_i32 s3, s3, s5
	s_cmpk_lg_i32 s3, 0x100
	s_cbranch_scc1 .LBB427_54
; %bb.1:
	s_clause 0x1
	s_load_b256 s[16:23], s[0:1], 0x8
	s_load_b256 s[4:11], s[0:1], 0x58
	s_mov_b32 s2, s15
	s_waitcnt lgkmcnt(0)
	s_mul_i32 s3, s15, s19
	s_mul_hi_u32 s13, s15, s18
	s_mul_i32 s12, s15, s18
	s_add_i32 s13, s13, s3
	s_mul_i32 s3, s15, s7
	s_lshl_b64 s[12:13], s[12:13], 2
	s_mul_hi_u32 s7, s15, s6
	s_add_u32 s12, s16, s12
	s_addc_u32 s13, s17, s13
	s_add_i32 s7, s7, s3
	s_mul_i32 s6, s15, s6
	s_delay_alu instid0(SALU_CYCLE_1) | instskip(NEXT) | instid1(SALU_CYCLE_1)
	s_lshl_b64 s[6:7], s[6:7], 2
	s_add_u32 s4, s4, s6
	s_addc_u32 s5, s5, s7
	s_load_b32 s27, s[12:13], 0x0
	s_load_b32 s26, s[4:5], 0x0
	s_waitcnt lgkmcnt(0)
	v_cmp_eq_f32_e64 s15, s27, 0
	v_cmp_eq_f32_e64 s3, s26, 1.0
	s_delay_alu instid0(VALU_DEP_1) | instskip(NEXT) | instid1(SALU_CYCLE_1)
	s_and_b32 s3, s15, s3
	s_and_b32 vcc_lo, exec_lo, s3
	s_mov_b32 s3, 0
	s_cbranch_vccnz .LBB427_54
; %bb.2:
	s_clause 0x1
	s_load_b64 s[16:17], s[0:1], 0x28
	s_load_b64 s[12:13], s[0:1], 0x78
	v_cmp_neq_f32_e64 s28, s27, 0
	s_mov_b64 s[24:25], 0
	s_and_b32 vcc_lo, exec_lo, s15
	s_mov_b64 s[18:19], 0
	s_cbranch_vccnz .LBB427_4
; %bb.3:
	s_lshl_b64 s[4:5], s[2:3], 3
	s_delay_alu instid0(SALU_CYCLE_1)
	s_add_u32 s4, s20, s4
	s_addc_u32 s5, s21, s5
	s_lshl_b64 s[6:7], s[22:23], 1
	s_load_b64 s[4:5], s[4:5], 0x0
	s_waitcnt lgkmcnt(0)
	s_add_u32 s18, s4, s6
	s_addc_u32 s19, s5, s7
.LBB427_4:
	s_clause 0x1
	s_load_b128 s[4:7], s[0:1], 0x38
	s_load_b64 s[20:21], s[0:1], 0x48
	s_and_not1_b32 vcc_lo, exec_lo, s28
	s_cbranch_vccnz .LBB427_6
; %bb.5:
	s_lshl_b64 s[22:23], s[2:3], 3
	s_waitcnt lgkmcnt(0)
	s_add_u32 s4, s4, s22
	s_addc_u32 s5, s5, s23
	s_lshl_b64 s[6:7], s[6:7], 1
	s_load_b64 s[4:5], s[4:5], 0x0
	s_waitcnt lgkmcnt(0)
	s_add_u32 s24, s4, s6
	s_addc_u32 s25, s5, s7
.LBB427_6:
	s_lshl_b64 s[2:3], s[2:3], 3
	v_and_b32_e32 v20, 0x3ff, v0
	s_add_u32 s2, s8, s2
	s_addc_u32 s3, s9, s3
	v_bfe_u32 v21, v0, 10, 10
	s_load_b64 s[2:3], s[2:3], 0x0
	s_waitcnt lgkmcnt(0)
	s_load_b64 s[6:7], s[0:1], 0x0
	s_lshl_b64 s[8:9], s[10:11], 1
	v_lshl_add_u32 v19, v21, 6, v20
	s_delay_alu instid0(VALU_DEP_1)
	v_cmp_gt_u32_e64 s0, 0x100, v19
	s_add_u32 s5, s2, s8
	s_addc_u32 s22, s3, s9
	s_and_not1_b32 vcc_lo, exec_lo, s15
	s_cbranch_vccnz .LBB427_11
; %bb.7:
	s_mov_b32 s1, 0
	s_mov_b32 s23, 0
                                        ; implicit-def: $vgpr3
                                        ; implicit-def: $vgpr0_vgpr1
	s_and_saveexec_b32 s2, s0
	s_cbranch_execz .LBB427_12
; %bb.8:
	v_lshl_or_b32 v2, s14, 8, v19
	v_mov_b32_e32 v3, 0
	s_waitcnt lgkmcnt(0)
	s_ashr_i32 s9, s6, 31
	s_mov_b32 s8, s6
	s_mov_b32 s3, 0
                                        ; implicit-def: $vgpr0_vgpr1
	v_cmp_gt_i64_e32 vcc_lo, s[8:9], v[2:3]
                                        ; implicit-def: $vgpr3
	s_and_saveexec_b32 s0, vcc_lo
	s_cbranch_execz .LBB427_14
; %bb.9:
	v_mad_u64_u32 v[0:1], null, v2, s12, 0
	v_cmp_eq_f32_e64 s3, s26, 0
	s_delay_alu instid0(VALU_DEP_1) | instskip(NEXT) | instid1(VALU_DEP_2)
	s_and_b32 vcc_lo, exec_lo, s3
	v_mad_u64_u32 v[3:4], null, v2, s13, v[1:2]
	s_delay_alu instid0(VALU_DEP_1)
	v_mov_b32_e32 v1, v3
	s_cbranch_vccnz .LBB427_13
; %bb.10:
	s_delay_alu instid0(VALU_DEP_1) | instskip(SKIP_1) | instid1(VALU_DEP_1)
	v_lshlrev_b64 v[2:3], 1, v[0:1]
	s_mov_b32 s3, exec_lo
	v_add_co_u32 v2, vcc_lo, s5, v2
	s_delay_alu instid0(VALU_DEP_2)
	v_add_co_ci_u32_e32 v3, vcc_lo, s22, v3, vcc_lo
	global_load_u16 v2, v[2:3], off
	s_waitcnt vmcnt(0)
	v_fma_mixlo_f16 v3, s26, v2, 0 op_sel_hi:[0,1,0]
	s_branch .LBB427_14
.LBB427_11:
	s_mov_b32 s23, 0
                                        ; implicit-def: $vgpr3
                                        ; implicit-def: $vgpr0_vgpr1
	s_cbranch_execnz .LBB427_15
	s_branch .LBB427_52
.LBB427_12:
	s_or_b32 exec_lo, exec_lo, s2
	s_delay_alu instid0(SALU_CYCLE_1)
	s_and_b32 vcc_lo, exec_lo, s1
	s_cbranch_vccnz .LBB427_15
	s_branch .LBB427_52
.LBB427_13:
	v_mov_b32_e32 v3, 0
	s_mov_b32 s3, exec_lo
.LBB427_14:
	s_or_b32 exec_lo, exec_lo, s0
	s_delay_alu instid0(SALU_CYCLE_1) | instskip(SKIP_1) | instid1(SALU_CYCLE_1)
	s_and_b32 s23, s3, exec_lo
	s_or_b32 exec_lo, exec_lo, s2
	s_and_b32 vcc_lo, exec_lo, s1
	s_cbranch_vccz .LBB427_52
.LBB427_15:
	s_waitcnt lgkmcnt(0)
	s_ashr_i32 s0, s7, 31
	s_lshl_b32 s28, s14, 8
	s_lshr_b32 s0, s0, 28
	v_dual_mov_b32 v26, 0 :: v_dual_lshlrev_b32 v23, 2, v21
	v_dual_mov_b32 v25, 0 :: v_dual_add_nc_u32 v0, s28, v20
	v_mov_b32_e32 v24, 0
	v_mov_b32_e32 v22, 0
	s_add_i32 s0, s7, s0
	s_mov_b32 s30, exec_lo
	s_and_b32 s29, s0, -16
	s_delay_alu instid0(SALU_CYCLE_1)
	v_cmpx_gt_i32_e64 s29, v23
	s_cbranch_execz .LBB427_27
; %bb.16:
	v_lshlrev_b32_e32 v22, 2, v21
	v_mad_u64_u32 v[5:6], null, s20, v21, 0
	v_add_nc_u32_e32 v10, 0xc0, v0
	v_mad_u64_u32 v[7:8], null, s16, v21, 0
	s_delay_alu instid0(VALU_DEP_4) | instskip(SKIP_1) | instid1(VALU_DEP_4)
	v_or_b32_e32 v29, 3, v22
	v_or_b32_e32 v31, 2, v22
	v_cmp_gt_i32_e64 s2, s6, v10
	v_ashrrev_i32_e32 v1, 31, v0
	v_cmp_gt_i32_e32 vcc_lo, s6, v0
	v_mad_u64_u32 v[3:4], null, s16, v29, 0
	v_mad_u64_u32 v[16:17], null, s20, v29, 0
	v_add_nc_u32_e32 v2, 64, v0
	v_add_nc_u32_e32 v9, 0x80, v0
	v_mad_u64_u32 v[14:15], null, s16, v31, 0
	v_mad_u64_u32 v[35:36], null, s20, v31, 0
	s_delay_alu instid0(VALU_DEP_4)
	v_cmp_gt_i32_e64 s0, s6, v2
	v_mov_b32_e32 v2, v4
	v_mov_b32_e32 v4, v6
	v_cmp_gt_i32_e64 s1, s6, v9
	v_mov_b32_e32 v6, v8
	s_lshl_b64 s[8:9], s[16:17], 5
	v_mad_u64_u32 v[9:10], null, s17, v29, v[2:3]
	v_mad_u64_u32 v[10:11], null, s21, v21, v[4:5]
	s_delay_alu instid0(VALU_DEP_3) | instskip(SKIP_2) | instid1(VALU_DEP_4)
	v_mad_u64_u32 v[11:12], null, s17, v21, v[6:7]
	v_lshlrev_b64 v[1:2], 1, v[0:1]
	s_lshl_b64 s[10:11], s[20:21], 5
	v_mov_b32_e32 v4, v9
	s_mov_b32 s31, 0
	s_delay_alu instid0(VALU_DEP_4) | instskip(SKIP_1) | instid1(VALU_DEP_4)
	v_mov_b32_e32 v6, v10
	s_mov_b64 s[14:15], s[24:25]
	v_mov_b32_e32 v8, v11
	v_lshlrev_b64 v[9:10], 1, v[3:4]
	s_delay_alu instid0(VALU_DEP_3) | instskip(SKIP_2) | instid1(VALU_DEP_4)
	v_lshlrev_b64 v[3:4], 3, v[5:6]
	v_mov_b32_e32 v5, v15
	v_mad_u64_u32 v[12:13], null, s20, v22, s[20:21]
	v_add_co_u32 v27, s3, s18, v9
	s_delay_alu instid0(VALU_DEP_1) | instskip(SKIP_1) | instid1(VALU_DEP_4)
	v_add_co_ci_u32_e64 v28, s3, s19, v10, s3
	v_mad_u64_u32 v[9:10], null, s16, v22, s[16:17]
	v_mov_b32_e32 v6, v13
	v_lshlrev_b64 v[7:8], 3, v[7:8]
	s_delay_alu instid0(VALU_DEP_2) | instskip(SKIP_1) | instid1(VALU_DEP_3)
	v_mad_u64_u32 v[24:25], null, s17, v31, v[5:6]
	v_mov_b32_e32 v5, v17
	v_mad_u64_u32 v[17:18], null, s21, v22, v[6:7]
	s_delay_alu instid0(VALU_DEP_2) | instskip(SKIP_2) | instid1(VALU_DEP_4)
	v_mad_u64_u32 v[25:26], null, s21, v29, v[5:6]
	v_mov_b32_e32 v5, v10
	v_mov_b32_e32 v15, v24
	;; [unrolled: 1-line block ×3, first 2 shown]
	v_add_co_u32 v29, s3, s18, v7
	s_delay_alu instid0(VALU_DEP_4) | instskip(SKIP_4) | instid1(VALU_DEP_4)
	v_mad_u64_u32 v[10:11], null, s17, v22, v[5:6]
	v_mov_b32_e32 v5, v36
	v_mov_b32_e32 v17, v25
	v_lshlrev_b64 v[14:15], 1, v[14:15]
	v_add_co_ci_u32_e64 v30, s3, s19, v8, s3
	v_mad_u64_u32 v[24:25], null, s21, v31, v[5:6]
	v_mov_b32_e32 v25, 0
	v_lshlrev_b64 v[9:10], 1, v[9:10]
	v_add_co_u32 v31, s3, s18, v14
	s_delay_alu instid0(VALU_DEP_1) | instskip(SKIP_1) | instid1(VALU_DEP_4)
	v_add_co_ci_u32_e64 v32, s3, s19, v15, s3
	v_mov_b32_e32 v36, v24
	v_add_co_u32 v33, s3, s18, v9
	v_lshlrev_b64 v[5:6], 1, v[12:13]
	v_lshlrev_b64 v[7:8], 1, v[16:17]
	v_add_co_ci_u32_e64 v34, s3, s19, v10, s3
	v_lshlrev_b64 v[9:10], 1, v[35:36]
	v_mov_b32_e32 v26, 0
	v_mov_b32_e32 v24, 0
	;; [unrolled: 1-line block ×3, first 2 shown]
	s_branch .LBB427_21
.LBB427_17:                             ;   in Loop: Header=BB427_21 Depth=1
	s_or_b32 exec_lo, exec_lo, s34
	s_waitcnt vmcnt(3) lgkmcnt(3)
	v_fma_mix_f32 v11, v47, v51, v24 op_sel_hi:[0,1,0]
	s_waitcnt vmcnt(2) lgkmcnt(2)
	s_delay_alu instid0(VALU_DEP_1) | instskip(SKIP_1) | instid1(VALU_DEP_1)
	v_fma_mix_f32 v11, v48, v52, v11 op_sel_hi:[0,1,0]
	s_waitcnt vmcnt(1) lgkmcnt(1)
	v_fma_mix_f32 v11, v49, v53, v11 op_sel_hi:[0,1,0]
	s_waitcnt vmcnt(0) lgkmcnt(0)
	s_delay_alu instid0(VALU_DEP_1)
	v_fma_mix_f32 v24, v50, v54, v11 op_sel_hi:[0,1,0]
.LBB427_18:                             ;   in Loop: Header=BB427_21 Depth=1
	s_or_b32 exec_lo, exec_lo, s33
	s_waitcnt vmcnt(3) lgkmcnt(3)
	v_fma_mix_f32 v11, v47, v43, v25 op_sel_hi:[0,1,0]
	s_waitcnt vmcnt(2) lgkmcnt(2)
	s_delay_alu instid0(VALU_DEP_1) | instskip(SKIP_1) | instid1(VALU_DEP_1)
	v_fma_mix_f32 v11, v48, v44, v11 op_sel_hi:[0,1,0]
	s_waitcnt vmcnt(1) lgkmcnt(1)
	v_fma_mix_f32 v11, v49, v45, v11 op_sel_hi:[0,1,0]
	s_waitcnt vmcnt(0) lgkmcnt(0)
	s_delay_alu instid0(VALU_DEP_1)
	v_fma_mix_f32 v25, v50, v46, v11 op_sel_hi:[0,1,0]
.LBB427_19:                             ;   in Loop: Header=BB427_21 Depth=1
	s_or_b32 exec_lo, exec_lo, s3
	s_waitcnt vmcnt(3) lgkmcnt(3)
	v_fma_mix_f32 v11, v35, v39, v26 op_sel_hi:[1,1,0]
	s_waitcnt vmcnt(2) lgkmcnt(2)
	s_delay_alu instid0(VALU_DEP_1) | instskip(SKIP_1) | instid1(VALU_DEP_1)
	v_fma_mix_f32 v11, v36, v40, v11 op_sel_hi:[1,1,0]
	s_waitcnt vmcnt(1) lgkmcnt(1)
	v_fma_mix_f32 v11, v37, v41, v11 op_sel_hi:[1,1,0]
	s_waitcnt vmcnt(0) lgkmcnt(0)
	s_delay_alu instid0(VALU_DEP_1)
	v_fma_mix_f32 v26, v38, v42, v11 op_sel_hi:[1,1,0]
.LBB427_20:                             ;   in Loop: Header=BB427_21 Depth=1
	s_or_b32 exec_lo, exec_lo, s4
	v_add_co_u32 v27, s3, v27, s8
	s_delay_alu instid0(VALU_DEP_1) | instskip(SKIP_4) | instid1(VALU_DEP_1)
	v_add_co_ci_u32_e64 v28, s3, s9, v28, s3
	v_add_co_u32 v29, s3, v29, s8
	v_add_nc_u32_e32 v23, 16, v23
	v_add_co_ci_u32_e64 v30, s3, s9, v30, s3
	v_add_co_u32 v31, s3, v31, s8
	v_add_co_ci_u32_e64 v32, s3, s9, v32, s3
	s_delay_alu instid0(VALU_DEP_4) | instskip(SKIP_1) | instid1(VALU_DEP_1)
	v_cmp_le_i32_e64 s3, s29, v23
	v_add_co_u32 v33, s4, v33, s8
	v_add_co_ci_u32_e64 v34, s4, s9, v34, s4
	s_add_u32 s14, s14, s10
	s_addc_u32 s15, s15, s11
	s_or_b32 s31, s3, s31
	s_delay_alu instid0(SALU_CYCLE_1)
	s_and_not1_b32 exec_lo, exec_lo, s31
	s_cbranch_execz .LBB427_26
.LBB427_21:                             ; =>This Inner Loop Header: Depth=1
	s_and_saveexec_b32 s4, vcc_lo
	s_cbranch_execz .LBB427_20
; %bb.22:                               ;   in Loop: Header=BB427_21 Depth=1
	v_add_co_u32 v35, s3, s14, v3
	s_delay_alu instid0(VALU_DEP_1) | instskip(SKIP_1) | instid1(VALU_DEP_1)
	v_add_co_ci_u32_e64 v36, s3, s15, v4, s3
	v_add_co_u32 v37, s3, s14, v5
	v_add_co_ci_u32_e64 v38, s3, s15, v6, s3
	v_add_co_u32 v39, s3, s14, v9
	s_delay_alu instid0(VALU_DEP_1) | instskip(SKIP_1) | instid1(VALU_DEP_1)
	v_add_co_ci_u32_e64 v40, s3, s15, v10, s3
	v_add_co_u32 v41, s3, s14, v7
	v_add_co_ci_u32_e64 v42, s3, s15, v8, s3
	;; [unrolled: 5-line block ×4, first 2 shown]
	s_clause 0x3
	flat_load_u16 v35, v[35:36]
	flat_load_u16 v36, v[37:38]
	;; [unrolled: 1-line block ×8, first 2 shown]
	s_and_saveexec_b32 s3, s0
	s_cbranch_execz .LBB427_19
; %bb.23:                               ;   in Loop: Header=BB427_21 Depth=1
	flat_load_u16 v43, v[11:12] offset:128
	flat_load_u16 v44, v[13:14] offset:128
	;; [unrolled: 1-line block ×4, first 2 shown]
	s_waitcnt vmcnt(11) lgkmcnt(11)
	v_cvt_f32_f16_e32 v47, v35
	s_waitcnt vmcnt(10) lgkmcnt(10)
	v_cvt_f32_f16_e32 v48, v36
	;; [unrolled: 2-line block ×4, first 2 shown]
	s_and_saveexec_b32 s33, s1
	s_cbranch_execz .LBB427_18
; %bb.24:                               ;   in Loop: Header=BB427_21 Depth=1
	flat_load_u16 v51, v[11:12] offset:256
	flat_load_u16 v52, v[13:14] offset:256
	;; [unrolled: 1-line block ×4, first 2 shown]
	s_and_saveexec_b32 s34, s2
	s_cbranch_execz .LBB427_17
; %bb.25:                               ;   in Loop: Header=BB427_21 Depth=1
	flat_load_u16 v11, v[11:12] offset:384
	flat_load_u16 v12, v[13:14] offset:384
	;; [unrolled: 1-line block ×4, first 2 shown]
	s_waitcnt vmcnt(3) lgkmcnt(3)
	v_fma_mix_f32 v11, v47, v11, v22 op_sel_hi:[0,1,0]
	s_waitcnt vmcnt(2) lgkmcnt(2)
	s_delay_alu instid0(VALU_DEP_1) | instskip(SKIP_1) | instid1(VALU_DEP_1)
	v_fma_mix_f32 v11, v48, v12, v11 op_sel_hi:[0,1,0]
	s_waitcnt vmcnt(1) lgkmcnt(1)
	v_fma_mix_f32 v11, v49, v13, v11 op_sel_hi:[0,1,0]
	s_waitcnt vmcnt(0) lgkmcnt(0)
	s_delay_alu instid0(VALU_DEP_1)
	v_fma_mix_f32 v22, v50, v14, v11 op_sel_hi:[0,1,0]
	s_branch .LBB427_17
.LBB427_26:
	s_or_b32 exec_lo, exec_lo, s31
.LBB427_27:
	s_delay_alu instid0(SALU_CYCLE_1) | instskip(SKIP_1) | instid1(SALU_CYCLE_1)
	s_or_b32 exec_lo, exec_lo, s30
	s_sub_i32 s0, s7, s29
	s_cmp_lt_i32 s0, 1
	s_cbranch_scc1 .LBB427_45
; %bb.28:
	v_cmp_gt_i32_e32 vcc_lo, s7, v23
	v_dual_mov_b32 v9, 0 :: v_dual_mov_b32 v10, 0
	v_or_b32_e32 v2, 1, v23
	v_dual_mov_b32 v11, 0 :: v_dual_mov_b32 v12, 0
	s_and_saveexec_b32 s1, vcc_lo
	s_cbranch_execz .LBB427_36
; %bb.29:
	v_mad_u64_u32 v[3:4], null, v23, s20, 0
	v_mov_b32_e32 v11, 0
	v_mov_b32_e32 v9, 0
	s_mov_b32 s2, exec_lo
	s_delay_alu instid0(VALU_DEP_3) | instskip(NEXT) | instid1(VALU_DEP_1)
	v_dual_mov_b32 v10, 0 :: v_dual_mov_b32 v1, v4
	v_mad_u64_u32 v[4:5], null, v23, s21, v[1:2]
	s_delay_alu instid0(VALU_DEP_1) | instskip(NEXT) | instid1(VALU_DEP_1)
	v_lshlrev_b64 v[3:4], 1, v[3:4]
	v_add_co_u32 v3, s0, s24, v3
	s_delay_alu instid0(VALU_DEP_1)
	v_add_co_ci_u32_e64 v4, s0, s25, v4, s0
	flat_load_u16 v1, v[3:4]
	v_cmpx_gt_i32_e64 s7, v2
	s_cbranch_execz .LBB427_35
; %bb.30:
	v_mad_u64_u32 v[3:4], null, v2, s20, 0
	v_mov_b32_e32 v10, 0
	s_mov_b32 s3, exec_lo
	v_mov_b32_e32 v9, 0
	s_delay_alu instid0(VALU_DEP_3) | instskip(NEXT) | instid1(VALU_DEP_1)
	v_mad_u64_u32 v[5:6], null, v2, s21, v[4:5]
	v_mov_b32_e32 v4, v5
	s_delay_alu instid0(VALU_DEP_1) | instskip(NEXT) | instid1(VALU_DEP_1)
	v_lshlrev_b64 v[3:4], 1, v[3:4]
	v_add_co_u32 v3, s0, s24, v3
	s_delay_alu instid0(VALU_DEP_1) | instskip(SKIP_2) | instid1(VALU_DEP_1)
	v_add_co_ci_u32_e64 v4, s0, s25, v4, s0
	flat_load_u16 v3, v[3:4]
	v_or_b32_e32 v4, 2, v23
	v_cmpx_gt_i32_e64 s7, v4
	s_cbranch_execz .LBB427_34
; %bb.31:
	v_mad_u64_u32 v[5:6], null, v4, s20, 0
	s_mov_b32 s4, exec_lo
	v_mov_b32_e32 v9, 0
	s_delay_alu instid0(VALU_DEP_2) | instskip(NEXT) | instid1(VALU_DEP_1)
	v_mad_u64_u32 v[7:8], null, v4, s21, v[6:7]
	v_mov_b32_e32 v6, v7
	s_delay_alu instid0(VALU_DEP_1) | instskip(NEXT) | instid1(VALU_DEP_1)
	v_lshlrev_b64 v[4:5], 1, v[5:6]
	v_add_co_u32 v4, s0, s24, v4
	s_delay_alu instid0(VALU_DEP_1) | instskip(SKIP_2) | instid1(VALU_DEP_1)
	v_add_co_ci_u32_e64 v5, s0, s25, v5, s0
	flat_load_u16 v4, v[4:5]
	v_or_b32_e32 v5, 3, v23
	v_cmpx_gt_i32_e64 s7, v5
	s_cbranch_execz .LBB427_33
; %bb.32:
	v_mad_u64_u32 v[6:7], null, v5, s20, 0
	s_delay_alu instid0(VALU_DEP_1) | instskip(NEXT) | instid1(VALU_DEP_1)
	v_mad_u64_u32 v[8:9], null, v5, s21, v[7:8]
	v_mov_b32_e32 v7, v8
	s_delay_alu instid0(VALU_DEP_1) | instskip(NEXT) | instid1(VALU_DEP_1)
	v_lshlrev_b64 v[5:6], 1, v[6:7]
	v_add_co_u32 v5, s0, s24, v5
	s_delay_alu instid0(VALU_DEP_1)
	v_add_co_ci_u32_e64 v6, s0, s25, v6, s0
	flat_load_u16 v5, v[5:6]
	s_waitcnt vmcnt(0) lgkmcnt(0)
	v_cvt_f32_f16_e32 v9, v5
.LBB427_33:
	s_or_b32 exec_lo, exec_lo, s4
	s_waitcnt vmcnt(0) lgkmcnt(0)
	v_cvt_f32_f16_e32 v10, v4
.LBB427_34:
	s_or_b32 exec_lo, exec_lo, s3
	s_waitcnt vmcnt(0) lgkmcnt(0)
	v_cvt_f32_f16_e32 v11, v3
.LBB427_35:
	s_or_b32 exec_lo, exec_lo, s2
	s_waitcnt vmcnt(0) lgkmcnt(0)
	v_cvt_f32_f16_e32 v12, v1
.LBB427_36:
	s_or_b32 exec_lo, exec_lo, s1
	s_delay_alu instid0(SALU_CYCLE_1)
	s_mov_b32 s1, exec_lo
	v_cmpx_gt_i32_e64 s6, v0
	s_cbranch_execz .LBB427_44
; %bb.37:
	v_mad_u64_u32 v[3:4], null, v23, s16, 0
	v_mad_u64_u32 v[5:6], null, v2, s16, 0
	v_or_b32_e32 v29, 2, v23
	v_ashrrev_i32_e32 v1, 31, v0
	v_or_b32_e32 v30, 3, v23
	v_cndmask_b32_e32 v3, 0, v3, vcc_lo
	s_delay_alu instid0(VALU_DEP_4)
	v_cmp_gt_i32_e64 s0, s7, v29
	v_mad_u64_u32 v[13:14], null, v23, s17, v[4:5]
	v_mad_u64_u32 v[14:15], null, v29, s16, 0
	v_lshlrev_b64 v[7:8], 1, v[0:1]
	v_mov_b32_e32 v1, v6
	v_mad_u64_u32 v[16:17], null, v30, s16, 0
	v_cndmask_b32_e32 v4, 0, v13, vcc_lo
	v_cmp_gt_i32_e32 vcc_lo, s7, v2
	s_delay_alu instid0(VALU_DEP_4)
	v_mad_u64_u32 v[27:28], null, v2, s17, v[1:2]
	v_mov_b32_e32 v1, v15
	v_cndmask_b32_e64 v13, 0, v14, s0
	v_mov_b32_e32 v6, v17
	v_cndmask_b32_e32 v2, 0, v5, vcc_lo
	v_lshlrev_b64 v[4:5], 1, v[3:4]
	s_delay_alu instid0(VALU_DEP_2) | instskip(NEXT) | instid1(VALU_DEP_1)
	v_mad_u64_u32 v[17:18], null, v29, s17, v[1:2]
	v_cndmask_b32_e64 v14, 0, v17, s0
	v_mad_u64_u32 v[17:18], null, v30, s17, v[6:7]
	v_cndmask_b32_e32 v3, 0, v27, vcc_lo
	v_add_co_u32 v1, vcc_lo, s18, v4
	v_add_co_ci_u32_e32 v5, vcc_lo, s19, v5, vcc_lo
	s_delay_alu instid0(VALU_DEP_3) | instskip(NEXT) | instid1(VALU_DEP_3)
	v_lshlrev_b64 v[3:4], 1, v[2:3]
	v_add_co_u32 v1, vcc_lo, v1, v7
	s_delay_alu instid0(VALU_DEP_3) | instskip(SKIP_1) | instid1(VALU_DEP_4)
	v_add_co_ci_u32_e32 v2, vcc_lo, v5, v8, vcc_lo
	v_lshlrev_b64 v[5:6], 1, v[13:14]
	v_add_co_u32 v3, vcc_lo, s18, v3
	v_add_co_ci_u32_e32 v4, vcc_lo, s19, v4, vcc_lo
	s_mov_b32 s0, exec_lo
	s_delay_alu instid0(VALU_DEP_2) | instskip(NEXT) | instid1(VALU_DEP_2)
	v_add_co_u32 v3, vcc_lo, v3, v7
	v_add_co_ci_u32_e32 v4, vcc_lo, v4, v8, vcc_lo
	v_cmp_gt_i32_e32 vcc_lo, s7, v30
	s_clause 0x1
	flat_load_u16 v15, v[1:2]
	flat_load_u16 v18, v[3:4]
	v_dual_cndmask_b32 v14, 0, v17 :: v_dual_cndmask_b32 v13, 0, v16
	v_add_co_u32 v5, vcc_lo, s18, v5
	v_add_co_ci_u32_e32 v6, vcc_lo, s19, v6, vcc_lo
	s_delay_alu instid0(VALU_DEP_3) | instskip(NEXT) | instid1(VALU_DEP_3)
	v_lshlrev_b64 v[13:14], 1, v[13:14]
	v_add_co_u32 v5, vcc_lo, v5, v7
	s_delay_alu instid0(VALU_DEP_3) | instskip(NEXT) | instid1(VALU_DEP_3)
	v_add_co_ci_u32_e32 v6, vcc_lo, v6, v8, vcc_lo
	v_add_co_u32 v13, vcc_lo, s18, v13
	s_delay_alu instid0(VALU_DEP_4)
	v_add_co_ci_u32_e32 v14, vcc_lo, s19, v14, vcc_lo
	flat_load_u16 v16, v[5:6]
	v_add_co_u32 v7, vcc_lo, v13, v7
	v_add_co_ci_u32_e32 v8, vcc_lo, v14, v8, vcc_lo
	flat_load_u16 v13, v[7:8]
	s_waitcnt vmcnt(3) lgkmcnt(3)
	v_fma_mix_f32 v14, v12, v15, v26 op_sel_hi:[0,1,0]
	v_add_nc_u32_e32 v15, 64, v0
	s_waitcnt vmcnt(2) lgkmcnt(2)
	s_delay_alu instid0(VALU_DEP_2) | instskip(SKIP_1) | instid1(VALU_DEP_1)
	v_fma_mix_f32 v14, v11, v18, v14 op_sel_hi:[0,1,0]
	s_waitcnt vmcnt(1) lgkmcnt(1)
	v_fma_mix_f32 v14, v10, v16, v14 op_sel_hi:[0,1,0]
	v_cmpx_gt_i32_e64 s6, v15
	s_cbranch_execz .LBB427_43
; %bb.38:
	s_clause 0x3
	flat_load_u16 v16, v[1:2] offset:128
	flat_load_u16 v17, v[3:4] offset:128
	flat_load_u16 v18, v[5:6] offset:128
	flat_load_u16 v15, v[7:8] offset:128
	s_mov_b32 s2, exec_lo
	s_waitcnt vmcnt(3) lgkmcnt(3)
	v_fma_mix_f32 v16, v12, v16, v25 op_sel_hi:[0,1,0]
	s_waitcnt vmcnt(2) lgkmcnt(2)
	s_delay_alu instid0(VALU_DEP_1) | instskip(SKIP_2) | instid1(VALU_DEP_2)
	v_fma_mix_f32 v16, v11, v17, v16 op_sel_hi:[0,1,0]
	v_add_nc_u32_e32 v17, 0x80, v0
	s_waitcnt vmcnt(1) lgkmcnt(1)
	v_fma_mix_f32 v16, v10, v18, v16 op_sel_hi:[0,1,0]
	s_delay_alu instid0(VALU_DEP_2)
	v_cmpx_gt_i32_e64 s6, v17
	s_cbranch_execz .LBB427_42
; %bb.39:
	s_clause 0x3
	flat_load_u16 v18, v[1:2] offset:256
	flat_load_u16 v23, v[3:4] offset:256
	;; [unrolled: 1-line block ×4, first 2 shown]
	s_mov_b32 s3, exec_lo
	s_waitcnt vmcnt(3) lgkmcnt(3)
	v_fma_mix_f32 v18, v12, v18, v24 op_sel_hi:[0,1,0]
	s_waitcnt vmcnt(2) lgkmcnt(2)
	s_delay_alu instid0(VALU_DEP_1) | instskip(SKIP_2) | instid1(VALU_DEP_2)
	v_fma_mix_f32 v18, v11, v23, v18 op_sel_hi:[0,1,0]
	v_add_nc_u32_e32 v23, 0xc0, v0
	s_waitcnt vmcnt(1) lgkmcnt(1)
	v_fma_mix_f32 v0, v10, v25, v18 op_sel_hi:[0,1,0]
	s_delay_alu instid0(VALU_DEP_2)
	v_cmpx_gt_i32_e64 s6, v23
	s_cbranch_execz .LBB427_41
; %bb.40:
	s_clause 0x3
	flat_load_u16 v1, v[1:2] offset:384
	flat_load_u16 v2, v[3:4] offset:384
	;; [unrolled: 1-line block ×4, first 2 shown]
	s_waitcnt vmcnt(3) lgkmcnt(3)
	v_fma_mix_f32 v1, v12, v1, v22 op_sel_hi:[0,1,0]
	s_waitcnt vmcnt(2) lgkmcnt(2)
	s_delay_alu instid0(VALU_DEP_1) | instskip(SKIP_1) | instid1(VALU_DEP_1)
	v_fma_mix_f32 v1, v11, v2, v1 op_sel_hi:[0,1,0]
	s_waitcnt vmcnt(1) lgkmcnt(1)
	v_fma_mix_f32 v1, v10, v3, v1 op_sel_hi:[0,1,0]
	s_waitcnt vmcnt(0) lgkmcnt(0)
	s_delay_alu instid0(VALU_DEP_1)
	v_fma_mix_f32 v22, v9, v4, v1 op_sel_hi:[0,1,0]
.LBB427_41:
	s_or_b32 exec_lo, exec_lo, s3
	s_waitcnt vmcnt(0) lgkmcnt(0)
	v_fma_mix_f32 v24, v9, v17, v0 op_sel_hi:[0,1,0]
.LBB427_42:
	s_or_b32 exec_lo, exec_lo, s2
	s_waitcnt vmcnt(0) lgkmcnt(0)
	v_fma_mix_f32 v25, v9, v15, v16 op_sel_hi:[0,1,0]
.LBB427_43:
	s_or_b32 exec_lo, exec_lo, s0
	s_waitcnt vmcnt(0) lgkmcnt(0)
	v_fma_mix_f32 v26, v9, v13, v14 op_sel_hi:[0,1,0]
.LBB427_44:
	s_or_b32 exec_lo, exec_lo, s1
.LBB427_45:
	v_lshlrev_b32_e32 v0, 8, v21
	s_mov_b32 s0, exec_lo
                                        ; implicit-def: $vgpr3
	s_delay_alu instid0(VALU_DEP_1)
	v_add_lshl_u32 v0, v0, v20, 2
	ds_store_2addr_stride64_b32 v0, v26, v25 offset1:1
	ds_store_2addr_stride64_b32 v0, v24, v22 offset0:2 offset1:3
	s_waitcnt lgkmcnt(0)
	s_barrier
	buffer_gl0_inv
                                        ; implicit-def: $vgpr0_vgpr1
	v_cmpx_gt_u32_e32 0x100, v19
	s_cbranch_execz .LBB427_51
; %bb.46:
	v_lshlrev_b32_e32 v5, 2, v19
	v_or_b32_e32 v4, s28, v19
	s_mov_b32 s2, s23
	s_mov_b32 s1, exec_lo
	ds_load_2addr_stride64_b32 v[0:1], v5 offset1:4
	ds_load_2addr_stride64_b32 v[2:3], v5 offset0:8 offset1:12
	s_waitcnt lgkmcnt(1)
	v_add_f32_e32 v0, v0, v1
	s_waitcnt lgkmcnt(0)
	s_delay_alu instid0(VALU_DEP_1) | instskip(NEXT) | instid1(VALU_DEP_1)
	v_add_f32_e32 v0, v2, v0
	v_add_f32_e32 v2, v3, v0
                                        ; implicit-def: $vgpr3
                                        ; implicit-def: $vgpr0_vgpr1
	ds_store_b32 v5, v2
	v_cmpx_gt_i32_e64 s6, v4
	s_cbranch_execz .LBB427_50
; %bb.47:
	v_ashrrev_i32_e32 v3, 31, v4
	v_mul_lo_u32 v5, v4, s13
	v_mad_u64_u32 v[0:1], null, v4, s12, 0
	v_cmp_eq_f32_e64 s2, s26, 0
	s_delay_alu instid0(VALU_DEP_4) | instskip(SKIP_1) | instid1(VALU_DEP_3)
	v_mul_lo_u32 v3, v3, s12
	v_mul_f32_e32 v2, s27, v2
	s_and_b32 vcc_lo, exec_lo, s2
	s_delay_alu instid0(VALU_DEP_2)
	v_add3_u32 v1, v1, v5, v3
	s_cbranch_vccnz .LBB427_49
; %bb.48:
	s_delay_alu instid0(VALU_DEP_1) | instskip(NEXT) | instid1(VALU_DEP_1)
	v_lshlrev_b64 v[3:4], 1, v[0:1]
	v_add_co_u32 v3, vcc_lo, s5, v3
	s_delay_alu instid0(VALU_DEP_2)
	v_add_co_ci_u32_e32 v4, vcc_lo, s22, v4, vcc_lo
	global_load_u16 v3, v[3:4], off
	s_waitcnt vmcnt(0)
	v_fma_mix_f32 v2, s26, v3, v2 op_sel_hi:[0,1,0]
.LBB427_49:
	s_delay_alu instid0(VALU_DEP_1)
	v_cvt_f16_f32_e32 v3, v2
	s_or_b32 s2, s23, exec_lo
.LBB427_50:
	s_or_b32 exec_lo, exec_lo, s1
	s_delay_alu instid0(SALU_CYCLE_1) | instskip(SKIP_1) | instid1(SALU_CYCLE_1)
	s_and_not1_b32 s1, s23, exec_lo
	s_and_b32 s2, s2, exec_lo
	s_or_b32 s23, s1, s2
.LBB427_51:
	s_or_b32 exec_lo, exec_lo, s0
.LBB427_52:
	s_and_saveexec_b32 s0, s23
	s_cbranch_execz .LBB427_54
; %bb.53:
	v_lshlrev_b64 v[0:1], 1, v[0:1]
	s_delay_alu instid0(VALU_DEP_1) | instskip(NEXT) | instid1(VALU_DEP_2)
	v_add_co_u32 v0, vcc_lo, s5, v0
	v_add_co_ci_u32_e32 v1, vcc_lo, s22, v1, vcc_lo
	global_store_b16 v[0:1], v3, off
.LBB427_54:
	s_nop 0
	s_sendmsg sendmsg(MSG_DEALLOC_VGPRS)
	s_endpgm
	.section	.rodata,"a",@progbits
	.p2align	6, 0x0
	.amdhsa_kernel _ZL20rocblas_gemvn_kernelILi64ELi4ElPKDF16_PKfKPDF16_EviiT3_lPKT2_lT1_lS9_lSA_lS6_lPT4_lSA_li
		.amdhsa_group_segment_fixed_size 4096
		.amdhsa_private_segment_fixed_size 0
		.amdhsa_kernarg_size 400
		.amdhsa_user_sgpr_count 14
		.amdhsa_user_sgpr_dispatch_ptr 0
		.amdhsa_user_sgpr_queue_ptr 0
		.amdhsa_user_sgpr_kernarg_segment_ptr 1
		.amdhsa_user_sgpr_dispatch_id 0
		.amdhsa_user_sgpr_private_segment_size 0
		.amdhsa_wavefront_size32 1
		.amdhsa_uses_dynamic_stack 0
		.amdhsa_enable_private_segment 0
		.amdhsa_system_sgpr_workgroup_id_x 1
		.amdhsa_system_sgpr_workgroup_id_y 0
		.amdhsa_system_sgpr_workgroup_id_z 1
		.amdhsa_system_sgpr_workgroup_info 0
		.amdhsa_system_vgpr_workitem_id 1
		.amdhsa_next_free_vgpr 55
		.amdhsa_next_free_sgpr 35
		.amdhsa_reserve_vcc 1
		.amdhsa_float_round_mode_32 0
		.amdhsa_float_round_mode_16_64 0
		.amdhsa_float_denorm_mode_32 3
		.amdhsa_float_denorm_mode_16_64 3
		.amdhsa_dx10_clamp 1
		.amdhsa_ieee_mode 1
		.amdhsa_fp16_overflow 0
		.amdhsa_workgroup_processor_mode 1
		.amdhsa_memory_ordered 1
		.amdhsa_forward_progress 0
		.amdhsa_shared_vgpr_count 0
		.amdhsa_exception_fp_ieee_invalid_op 0
		.amdhsa_exception_fp_denorm_src 0
		.amdhsa_exception_fp_ieee_div_zero 0
		.amdhsa_exception_fp_ieee_overflow 0
		.amdhsa_exception_fp_ieee_underflow 0
		.amdhsa_exception_fp_ieee_inexact 0
		.amdhsa_exception_int_div_zero 0
	.end_amdhsa_kernel
	.section	.text._ZL20rocblas_gemvn_kernelILi64ELi4ElPKDF16_PKfKPDF16_EviiT3_lPKT2_lT1_lS9_lSA_lS6_lPT4_lSA_li,"axG",@progbits,_ZL20rocblas_gemvn_kernelILi64ELi4ElPKDF16_PKfKPDF16_EviiT3_lPKT2_lT1_lS9_lSA_lS6_lPT4_lSA_li,comdat
.Lfunc_end427:
	.size	_ZL20rocblas_gemvn_kernelILi64ELi4ElPKDF16_PKfKPDF16_EviiT3_lPKT2_lT1_lS9_lSA_lS6_lPT4_lSA_li, .Lfunc_end427-_ZL20rocblas_gemvn_kernelILi64ELi4ElPKDF16_PKfKPDF16_EviiT3_lPKT2_lT1_lS9_lSA_lS6_lPT4_lSA_li
                                        ; -- End function
	.section	.AMDGPU.csdata,"",@progbits
; Kernel info:
; codeLenInByte = 3480
; NumSgprs: 37
; NumVgprs: 55
; ScratchSize: 0
; MemoryBound: 0
; FloatMode: 240
; IeeeMode: 1
; LDSByteSize: 4096 bytes/workgroup (compile time only)
; SGPRBlocks: 4
; VGPRBlocks: 6
; NumSGPRsForWavesPerEU: 37
; NumVGPRsForWavesPerEU: 55
; Occupancy: 16
; WaveLimiterHint : 1
; COMPUTE_PGM_RSRC2:SCRATCH_EN: 0
; COMPUTE_PGM_RSRC2:USER_SGPR: 14
; COMPUTE_PGM_RSRC2:TRAP_HANDLER: 0
; COMPUTE_PGM_RSRC2:TGID_X_EN: 1
; COMPUTE_PGM_RSRC2:TGID_Y_EN: 0
; COMPUTE_PGM_RSRC2:TGID_Z_EN: 1
; COMPUTE_PGM_RSRC2:TIDIG_COMP_CNT: 1
	.section	.text._ZL20rocblas_gemvn_kernelILi64ELi4EiPKDF16_fKPDF16_EviiT3_lPKT2_lT1_lS7_lS8_lS4_lPT4_lS8_li,"axG",@progbits,_ZL20rocblas_gemvn_kernelILi64ELi4EiPKDF16_fKPDF16_EviiT3_lPKT2_lT1_lS7_lS8_lS4_lPT4_lS8_li,comdat
	.globl	_ZL20rocblas_gemvn_kernelILi64ELi4EiPKDF16_fKPDF16_EviiT3_lPKT2_lT1_lS7_lS8_lS4_lPT4_lS8_li ; -- Begin function _ZL20rocblas_gemvn_kernelILi64ELi4EiPKDF16_fKPDF16_EviiT3_lPKT2_lT1_lS7_lS8_lS4_lPT4_lS8_li
	.p2align	8
	.type	_ZL20rocblas_gemvn_kernelILi64ELi4EiPKDF16_fKPDF16_EviiT3_lPKT2_lT1_lS7_lS8_lS4_lPT4_lS8_li,@function
_ZL20rocblas_gemvn_kernelILi64ELi4EiPKDF16_fKPDF16_EviiT3_lPKT2_lT1_lS7_lS8_lS4_lPT4_lS8_li: ; @_ZL20rocblas_gemvn_kernelILi64ELi4EiPKDF16_fKPDF16_EviiT3_lPKT2_lT1_lS7_lS8_lS4_lPT4_lS8_li
; %bb.0:
	s_load_b64 s[4:5], s[0:1], 0x9c
	s_waitcnt lgkmcnt(0)
	s_lshr_b32 s3, s4, 16
	s_and_b32 s4, s4, 0xffff
	s_and_b32 s5, s5, 0xffff
	s_mul_i32 s3, s3, s4
	s_delay_alu instid0(SALU_CYCLE_1) | instskip(NEXT) | instid1(SALU_CYCLE_1)
	s_mul_i32 s3, s3, s5
	s_cmpk_lg_i32 s3, 0x100
	s_cbranch_scc1 .LBB428_57
; %bb.1:
	s_load_b128 s[4:7], s[0:1], 0x0
	s_waitcnt lgkmcnt(0)
	s_load_b32 s7, s[0:1], 0x58
	v_cmp_eq_f32_e64 s12, s6, 0
	s_waitcnt lgkmcnt(0)
	v_cmp_eq_f32_e64 s3, s7, 1.0
	s_delay_alu instid0(VALU_DEP_1) | instskip(NEXT) | instid1(SALU_CYCLE_1)
	s_and_b32 s3, s12, s3
	s_and_b32 vcc_lo, exec_lo, s3
	s_cbranch_vccnz .LBB428_57
; %bb.2:
	v_cmp_neq_f32_e64 s10, s6, 0
	s_mov_b32 s2, s15
	s_delay_alu instid0(VALU_DEP_1)
	s_and_b32 vcc_lo, exec_lo, s10
	s_cbranch_vccnz .LBB428_4
; %bb.3:
	s_mov_b32 s3, 0
	s_mov_b64 s[8:9], 0
	s_cbranch_execz .LBB428_5
	s_branch .LBB428_6
.LBB428_4:
	s_mov_b32 s3, -1
                                        ; implicit-def: $sgpr8_sgpr9
.LBB428_5:
	s_load_b128 s[16:19], s[0:1], 0x18
	s_mov_b32 s3, 0
	s_delay_alu instid0(SALU_CYCLE_1)
	s_lshl_b64 s[8:9], s[2:3], 3
	s_waitcnt lgkmcnt(0)
	s_add_u32 s8, s16, s8
	s_addc_u32 s9, s17, s9
	s_lshl_b64 s[16:17], s[18:19], 1
	s_load_b64 s[8:9], s[8:9], 0x0
	s_waitcnt lgkmcnt(0)
	s_add_u32 s8, s8, s16
	s_addc_u32 s9, s9, s17
.LBB428_6:
	s_and_not1_b32 vcc_lo, exec_lo, s10
	s_cbranch_vccnz .LBB428_8
; %bb.7:
	s_load_b128 s[16:19], s[0:1], 0x38
	s_lshl_b64 s[10:11], s[2:3], 3
	s_waitcnt lgkmcnt(0)
	s_add_u32 s10, s16, s10
	s_addc_u32 s11, s17, s11
	s_lshl_b64 s[16:17], s[18:19], 1
	s_load_b64 s[10:11], s[10:11], 0x0
	s_waitcnt lgkmcnt(0)
	s_add_u32 s10, s10, s16
	s_addc_u32 s11, s11, s17
	s_branch .LBB428_9
.LBB428_8:
	s_mov_b64 s[10:11], 0
.LBB428_9:
	s_clause 0x1
	s_load_b128 s[20:23], s[0:1], 0x68
	s_load_b32 s16, s[0:1], 0x78
	s_lshl_b64 s[2:3], s[2:3], 3
	v_and_b32_e32 v1, 0x3ff, v0
	v_bfe_u32 v13, v0, 10, 10
	s_delay_alu instid0(VALU_DEP_1)
	v_lshl_add_u32 v0, v13, 6, v1
	s_waitcnt lgkmcnt(0)
	s_add_u32 s2, s20, s2
	s_addc_u32 s3, s21, s3
	s_lshl_b64 s[20:21], s[22:23], 1
	s_load_b64 s[18:19], s[2:3], 0x0
	v_cmp_gt_u32_e64 s2, 0x100, v0
	s_waitcnt lgkmcnt(0)
	s_add_u32 s13, s18, s20
	s_addc_u32 s15, s19, s21
	s_and_not1_b32 vcc_lo, exec_lo, s12
	s_cbranch_vccnz .LBB428_14
; %bb.10:
	s_mov_b32 s3, 0
	s_mov_b32 s17, 0
                                        ; implicit-def: $vgpr5
                                        ; implicit-def: $vgpr2_vgpr3
	s_and_saveexec_b32 s12, s2
	s_cbranch_execz .LBB428_15
; %bb.11:
	v_lshl_or_b32 v4, s14, 8, v0
	v_mov_b32_e32 v5, 0
	s_ashr_i32 s19, s4, 31
	s_mov_b32 s18, s4
                                        ; implicit-def: $vgpr2_vgpr3
	s_delay_alu instid0(VALU_DEP_1) | instid1(SALU_CYCLE_1)
	v_cmp_gt_i64_e32 vcc_lo, s[18:19], v[4:5]
                                        ; implicit-def: $vgpr5
	s_and_saveexec_b32 s2, vcc_lo
	s_cbranch_execz .LBB428_17
; %bb.12:
	v_mad_u64_u32 v[2:3], null, s16, v4, 0
	s_ashr_i32 s17, s16, 31
	s_delay_alu instid0(VALU_DEP_1) | instid1(SALU_CYCLE_1)
	v_mad_u64_u32 v[5:6], null, s17, v4, v[3:4]
	v_cmp_eq_f32_e64 s17, s7, 0
	s_delay_alu instid0(VALU_DEP_1) | instskip(NEXT) | instid1(VALU_DEP_2)
	s_and_b32 vcc_lo, exec_lo, s17
	v_mov_b32_e32 v3, v5
	s_cbranch_vccnz .LBB428_16
; %bb.13:
	s_delay_alu instid0(VALU_DEP_1) | instskip(SKIP_1) | instid1(VALU_DEP_1)
	v_lshlrev_b64 v[4:5], 1, v[2:3]
	s_mov_b32 s17, exec_lo
	v_add_co_u32 v4, vcc_lo, s13, v4
	s_delay_alu instid0(VALU_DEP_2)
	v_add_co_ci_u32_e32 v5, vcc_lo, s15, v5, vcc_lo
	global_load_u16 v4, v[4:5], off
	s_waitcnt vmcnt(0)
	v_fma_mixlo_f16 v5, v4, s7, 0 op_sel_hi:[1,0,0]
	s_branch .LBB428_17
.LBB428_14:
	s_mov_b32 s17, 0
                                        ; implicit-def: $vgpr5
                                        ; implicit-def: $vgpr2_vgpr3
	s_cbranch_execnz .LBB428_18
	s_branch .LBB428_55
.LBB428_15:
	s_or_b32 exec_lo, exec_lo, s12
	s_delay_alu instid0(SALU_CYCLE_1)
	s_and_b32 vcc_lo, exec_lo, s3
	s_cbranch_vccnz .LBB428_18
	s_branch .LBB428_55
.LBB428_16:
	v_mov_b32_e32 v5, 0
	s_mov_b32 s17, exec_lo
.LBB428_17:
	s_or_b32 exec_lo, exec_lo, s2
	s_delay_alu instid0(SALU_CYCLE_1) | instskip(SKIP_1) | instid1(SALU_CYCLE_1)
	s_and_b32 s17, s17, exec_lo
	s_or_b32 exec_lo, exec_lo, s12
	s_and_b32 vcc_lo, exec_lo, s3
	s_cbranch_vccz .LBB428_55
.LBB428_18:
	s_clause 0x1
	s_load_b32 s18, s[0:1], 0x28
	s_load_b32 s12, s[0:1], 0x48
	s_ashr_i32 s0, s5, 31
	s_lshl_b32 s14, s14, 8
	s_lshr_b32 s0, s0, 28
	v_dual_mov_b32 v18, 0 :: v_dual_lshlrev_b32 v19, 2, v13
	v_dual_mov_b32 v16, 0 :: v_dual_add_nc_u32 v15, s14, v1
	v_dual_mov_b32 v17, 0 :: v_dual_mov_b32 v14, 0
	s_add_i32 s0, s5, s0
	s_mov_b32 s20, exec_lo
	s_and_b32 s19, s0, -16
	s_delay_alu instid0(SALU_CYCLE_1)
	v_cmpx_gt_i32_e64 s19, v19
	s_cbranch_execz .LBB428_30
; %bb.19:
	s_waitcnt lgkmcnt(0)
	v_mul_lo_u32 v3, s18, v19
	v_dual_mov_b32 v17, 0 :: v_dual_add_nc_u32 v2, 64, v15
	v_add_nc_u32_e32 v6, 2, v19
	v_dual_mov_b32 v18, 0 :: v_dual_add_nc_u32 v5, 0xc0, v15
	s_delay_alu instid0(VALU_DEP_3)
	v_cmp_gt_i32_e64 s0, s4, v2
	v_add_nc_u32_e32 v4, 0x80, v15
	v_add3_u32 v20, v3, s18, v1
	v_mad_u64_u32 v[2:3], null, s18, v6, v[1:2]
	v_cmp_gt_i32_e64 s2, s4, v5
	v_mul_lo_u32 v5, v13, s18
	v_dual_mov_b32 v16, 0 :: v_dual_add_nc_u32 v7, 3, v19
	v_mul_lo_u32 v8, v13, s12
	v_cmp_gt_i32_e64 s1, s4, v4
	v_mul_lo_u32 v22, s12, v6
	s_delay_alu instid0(VALU_DEP_4)
	v_mad_u64_u32 v[3:4], null, s18, v7, v[1:2]
	v_lshl_add_u32 v21, v5, 2, v1
	v_mad_u64_u32 v[4:5], null, s12, v19, s[12:13]
	v_mul_lo_u32 v23, s12, v7
	v_cmp_gt_i32_e32 vcc_lo, s4, v15
	v_lshlrev_b32_e32 v24, 2, v8
	v_mov_b32_e32 v14, 0
	s_lshl_b32 s21, s18, 4
	s_lshl_b32 s23, s12, 4
	s_mov_b32 s22, 0
	s_mov_b32 s24, 0
	s_branch .LBB428_24
.LBB428_20:                             ;   in Loop: Header=BB428_24 Depth=1
	s_or_b32 exec_lo, exec_lo, s27
	s_waitcnt vmcnt(3) lgkmcnt(3)
	v_fma_mix_f32 v5, v37, v41, v16 op_sel_hi:[0,1,0]
	s_waitcnt vmcnt(2) lgkmcnt(2)
	s_delay_alu instid0(VALU_DEP_1) | instskip(SKIP_1) | instid1(VALU_DEP_1)
	v_fma_mix_f32 v5, v38, v42, v5 op_sel_hi:[0,1,0]
	s_waitcnt vmcnt(1) lgkmcnt(1)
	v_fma_mix_f32 v5, v39, v43, v5 op_sel_hi:[0,1,0]
	s_waitcnt vmcnt(0) lgkmcnt(0)
	s_delay_alu instid0(VALU_DEP_1)
	v_fma_mix_f32 v16, v40, v44, v5 op_sel_hi:[0,1,0]
.LBB428_21:                             ;   in Loop: Header=BB428_24 Depth=1
	s_or_b32 exec_lo, exec_lo, s26
	s_waitcnt vmcnt(3) lgkmcnt(3)
	v_fma_mix_f32 v5, v37, v33, v17 op_sel_hi:[0,1,0]
	s_waitcnt vmcnt(2) lgkmcnt(2)
	s_delay_alu instid0(VALU_DEP_1) | instskip(SKIP_1) | instid1(VALU_DEP_1)
	v_fma_mix_f32 v5, v38, v34, v5 op_sel_hi:[0,1,0]
	s_waitcnt vmcnt(1) lgkmcnt(1)
	v_fma_mix_f32 v5, v39, v35, v5 op_sel_hi:[0,1,0]
	s_waitcnt vmcnt(0) lgkmcnt(0)
	s_delay_alu instid0(VALU_DEP_1)
	v_fma_mix_f32 v17, v40, v36, v5 op_sel_hi:[0,1,0]
.LBB428_22:                             ;   in Loop: Header=BB428_24 Depth=1
	s_or_b32 exec_lo, exec_lo, s3
	s_waitcnt vmcnt(3) lgkmcnt(3)
	v_fma_mix_f32 v5, v25, v29, v18 op_sel_hi:[1,1,0]
	s_waitcnt vmcnt(2) lgkmcnt(2)
	s_delay_alu instid0(VALU_DEP_1) | instskip(SKIP_1) | instid1(VALU_DEP_1)
	v_fma_mix_f32 v5, v26, v30, v5 op_sel_hi:[1,1,0]
	s_waitcnt vmcnt(1) lgkmcnt(1)
	v_fma_mix_f32 v5, v27, v31, v5 op_sel_hi:[1,1,0]
	s_waitcnt vmcnt(0) lgkmcnt(0)
	s_delay_alu instid0(VALU_DEP_1)
	v_fma_mix_f32 v18, v28, v32, v5 op_sel_hi:[1,1,0]
.LBB428_23:                             ;   in Loop: Header=BB428_24 Depth=1
	s_or_b32 exec_lo, exec_lo, s25
	v_add_nc_u32_e32 v19, 16, v19
	v_add_nc_u32_e32 v20, s21, v20
	;; [unrolled: 1-line block ×5, first 2 shown]
	v_cmp_le_i32_e64 s3, s19, v19
	s_add_i32 s24, s24, s23
	s_delay_alu instid0(VALU_DEP_1) | instskip(NEXT) | instid1(SALU_CYCLE_1)
	s_or_b32 s22, s3, s22
	s_and_not1_b32 exec_lo, exec_lo, s22
	s_cbranch_execz .LBB428_29
.LBB428_24:                             ; =>This Inner Loop Header: Depth=1
	s_and_saveexec_b32 s25, vcc_lo
	s_cbranch_execz .LBB428_23
; %bb.25:                               ;   in Loop: Header=BB428_24 Depth=1
	v_add_nc_u32_e32 v5, s24, v24
	v_add_nc_u32_e32 v7, s24, v4
	;; [unrolled: 1-line block ×5, first 2 shown]
	v_ashrrev_i32_e32 v6, 31, v5
	v_ashrrev_i32_e32 v8, 31, v7
	;; [unrolled: 1-line block ×5, first 2 shown]
	v_lshlrev_b64 v[5:6], 1, v[5:6]
	v_lshlrev_b64 v[7:8], 1, v[7:8]
	;; [unrolled: 1-line block ×3, first 2 shown]
	s_delay_alu instid0(VALU_DEP_3) | instskip(NEXT) | instid1(VALU_DEP_1)
	v_add_co_u32 v27, s3, s10, v5
	v_add_co_ci_u32_e64 v28, s3, s11, v6, s3
	s_delay_alu instid0(VALU_DEP_4)
	v_add_co_u32 v29, s3, s10, v7
	v_add_nc_u32_e32 v7, s14, v20
	v_add_co_ci_u32_e64 v30, s3, s11, v8, s3
	v_lshlrev_b64 v[5:6], 1, v[11:12]
	v_add_co_u32 v31, s3, s10, v9
	v_add_nc_u32_e32 v11, s14, v2
	v_add_co_ci_u32_e64 v32, s3, s11, v10, s3
	v_lshlrev_b64 v[9:10], 1, v[25:26]
	v_ashrrev_i32_e32 v8, 31, v7
	v_add_nc_u32_e32 v25, s14, v3
	v_add_co_u32 v33, s3, s10, v5
	v_ashrrev_i32_e32 v12, 31, v11
	v_add_co_ci_u32_e64 v34, s3, s11, v6, s3
	v_lshlrev_b64 v[7:8], 1, v[7:8]
	v_add_co_u32 v5, s3, s8, v9
	v_ashrrev_i32_e32 v26, 31, v25
	v_add_co_ci_u32_e64 v6, s3, s9, v10, s3
	v_lshlrev_b64 v[9:10], 1, v[11:12]
	v_add_co_u32 v7, s3, s8, v7
	s_delay_alu instid0(VALU_DEP_4) | instskip(SKIP_1) | instid1(VALU_DEP_4)
	v_lshlrev_b64 v[11:12], 1, v[25:26]
	v_add_co_ci_u32_e64 v8, s3, s9, v8, s3
	v_add_co_u32 v9, s3, s8, v9
	s_delay_alu instid0(VALU_DEP_1) | instskip(NEXT) | instid1(VALU_DEP_4)
	v_add_co_ci_u32_e64 v10, s3, s9, v10, s3
	v_add_co_u32 v11, s3, s8, v11
	s_delay_alu instid0(VALU_DEP_1)
	v_add_co_ci_u32_e64 v12, s3, s9, v12, s3
	s_clause 0x3
	flat_load_u16 v25, v[27:28]
	flat_load_u16 v26, v[29:30]
	;; [unrolled: 1-line block ×4, first 2 shown]
	s_clause 0x3
	flat_load_u16 v29, v[5:6]
	flat_load_u16 v30, v[7:8]
	;; [unrolled: 1-line block ×4, first 2 shown]
	s_and_saveexec_b32 s3, s0
	s_cbranch_execz .LBB428_22
; %bb.26:                               ;   in Loop: Header=BB428_24 Depth=1
	s_clause 0x3
	flat_load_u16 v33, v[5:6] offset:128
	flat_load_u16 v34, v[7:8] offset:128
	;; [unrolled: 1-line block ×4, first 2 shown]
	s_waitcnt vmcnt(11) lgkmcnt(11)
	v_cvt_f32_f16_e32 v37, v25
	s_waitcnt vmcnt(10) lgkmcnt(10)
	v_cvt_f32_f16_e32 v38, v26
	;; [unrolled: 2-line block ×4, first 2 shown]
	s_and_saveexec_b32 s26, s1
	s_cbranch_execz .LBB428_21
; %bb.27:                               ;   in Loop: Header=BB428_24 Depth=1
	s_clause 0x3
	flat_load_u16 v41, v[5:6] offset:256
	flat_load_u16 v42, v[7:8] offset:256
	;; [unrolled: 1-line block ×4, first 2 shown]
	s_and_saveexec_b32 s27, s2
	s_cbranch_execz .LBB428_20
; %bb.28:                               ;   in Loop: Header=BB428_24 Depth=1
	s_clause 0x3
	flat_load_u16 v5, v[5:6] offset:384
	flat_load_u16 v6, v[7:8] offset:384
	;; [unrolled: 1-line block ×4, first 2 shown]
	s_waitcnt vmcnt(3) lgkmcnt(3)
	v_fma_mix_f32 v5, v37, v5, v14 op_sel_hi:[0,1,0]
	s_waitcnt vmcnt(2) lgkmcnt(2)
	s_delay_alu instid0(VALU_DEP_1) | instskip(SKIP_1) | instid1(VALU_DEP_1)
	v_fma_mix_f32 v5, v38, v6, v5 op_sel_hi:[0,1,0]
	s_waitcnt vmcnt(1) lgkmcnt(1)
	v_fma_mix_f32 v5, v39, v7, v5 op_sel_hi:[0,1,0]
	s_waitcnt vmcnt(0) lgkmcnt(0)
	s_delay_alu instid0(VALU_DEP_1)
	v_fma_mix_f32 v14, v40, v8, v5 op_sel_hi:[0,1,0]
	s_branch .LBB428_20
.LBB428_29:
	s_or_b32 exec_lo, exec_lo, s22
.LBB428_30:
	s_delay_alu instid0(SALU_CYCLE_1) | instskip(SKIP_1) | instid1(SALU_CYCLE_1)
	s_or_b32 exec_lo, exec_lo, s20
	s_sub_i32 s0, s5, s19
	s_cmp_lt_i32 s0, 1
	s_cbranch_scc1 .LBB428_48
; %bb.31:
	v_cmp_gt_i32_e32 vcc_lo, s5, v19
	v_dual_mov_b32 v10, 0 :: v_dual_mov_b32 v11, 0
	v_or_b32_e32 v2, 1, v19
	v_mov_b32_e32 v12, 0
	v_mov_b32_e32 v20, 0
	s_and_saveexec_b32 s1, vcc_lo
	s_cbranch_execz .LBB428_39
; %bb.32:
	s_waitcnt lgkmcnt(0)
	v_mul_lo_u32 v3, v19, s12
	v_dual_mov_b32 v12, 0 :: v_dual_mov_b32 v11, 0
	v_mov_b32_e32 v10, 0
	s_mov_b32 s2, exec_lo
	s_delay_alu instid0(VALU_DEP_3) | instskip(NEXT) | instid1(VALU_DEP_1)
	v_ashrrev_i32_e32 v4, 31, v3
	v_lshlrev_b64 v[3:4], 1, v[3:4]
	s_delay_alu instid0(VALU_DEP_1) | instskip(NEXT) | instid1(VALU_DEP_1)
	v_add_co_u32 v3, s0, s10, v3
	v_add_co_ci_u32_e64 v4, s0, s11, v4, s0
	flat_load_u16 v3, v[3:4]
	v_cmpx_gt_i32_e64 s5, v2
	s_cbranch_execz .LBB428_38
; %bb.33:
	v_mul_lo_u32 v4, v2, s12
	v_dual_mov_b32 v11, 0 :: v_dual_mov_b32 v10, 0
	s_mov_b32 s3, exec_lo
	s_delay_alu instid0(VALU_DEP_2) | instskip(NEXT) | instid1(VALU_DEP_1)
	v_ashrrev_i32_e32 v5, 31, v4
	v_lshlrev_b64 v[4:5], 1, v[4:5]
	s_delay_alu instid0(VALU_DEP_1) | instskip(NEXT) | instid1(VALU_DEP_1)
	v_add_co_u32 v4, s0, s10, v4
	v_add_co_ci_u32_e64 v5, s0, s11, v5, s0
	flat_load_u16 v4, v[4:5]
	v_or_b32_e32 v5, 2, v19
	s_delay_alu instid0(VALU_DEP_1)
	v_cmpx_gt_i32_e64 s5, v5
	s_cbranch_execz .LBB428_37
; %bb.34:
	v_mul_lo_u32 v5, v5, s12
	v_mov_b32_e32 v10, 0
	s_mov_b32 s19, exec_lo
	s_delay_alu instid0(VALU_DEP_2) | instskip(NEXT) | instid1(VALU_DEP_1)
	v_ashrrev_i32_e32 v6, 31, v5
	v_lshlrev_b64 v[5:6], 1, v[5:6]
	s_delay_alu instid0(VALU_DEP_1) | instskip(NEXT) | instid1(VALU_DEP_1)
	v_add_co_u32 v5, s0, s10, v5
	v_add_co_ci_u32_e64 v6, s0, s11, v6, s0
	flat_load_u16 v5, v[5:6]
	v_or_b32_e32 v6, 3, v19
	s_delay_alu instid0(VALU_DEP_1)
	v_cmpx_gt_i32_e64 s5, v6
	s_cbranch_execz .LBB428_36
; %bb.35:
	v_mul_lo_u32 v6, v6, s12
	s_delay_alu instid0(VALU_DEP_1) | instskip(NEXT) | instid1(VALU_DEP_1)
	v_ashrrev_i32_e32 v7, 31, v6
	v_lshlrev_b64 v[6:7], 1, v[6:7]
	s_delay_alu instid0(VALU_DEP_1) | instskip(NEXT) | instid1(VALU_DEP_1)
	v_add_co_u32 v6, s0, s10, v6
	v_add_co_ci_u32_e64 v7, s0, s11, v7, s0
	flat_load_u16 v6, v[6:7]
	s_waitcnt vmcnt(0) lgkmcnt(0)
	v_cvt_f32_f16_e32 v10, v6
.LBB428_36:
	s_or_b32 exec_lo, exec_lo, s19
	s_waitcnt vmcnt(0) lgkmcnt(0)
	v_cvt_f32_f16_e32 v11, v5
.LBB428_37:
	s_or_b32 exec_lo, exec_lo, s3
	s_waitcnt vmcnt(0) lgkmcnt(0)
	v_cvt_f32_f16_e32 v12, v4
.LBB428_38:
	s_or_b32 exec_lo, exec_lo, s2
	s_waitcnt vmcnt(0) lgkmcnt(0)
	v_cvt_f32_f16_e32 v20, v3
.LBB428_39:
	s_or_b32 exec_lo, exec_lo, s1
	s_delay_alu instid0(SALU_CYCLE_1)
	s_mov_b32 s1, exec_lo
	v_cmpx_gt_i32_e64 s4, v15
	s_cbranch_execz .LBB428_47
; %bb.40:
	s_waitcnt lgkmcnt(0)
	v_mul_lo_u32 v3, v19, s18
	v_or_b32_e32 v6, 3, v19
	v_or_b32_e32 v4, 2, v19
	v_mul_lo_u32 v5, v2, s18
	s_mov_b32 s0, exec_lo
	s_delay_alu instid0(VALU_DEP_3) | instskip(NEXT) | instid1(VALU_DEP_3)
	v_mul_lo_u32 v8, v6, s18
	v_mul_lo_u32 v7, v4, s18
	v_cndmask_b32_e32 v3, 0, v3, vcc_lo
	v_cmp_gt_i32_e32 vcc_lo, s5, v2
	v_cndmask_b32_e32 v5, 0, v5, vcc_lo
	v_cmp_gt_i32_e32 vcc_lo, s5, v4
	;; [unrolled: 2-line block ×3, first 2 shown]
	s_delay_alu instid0(VALU_DEP_2) | instskip(SKIP_3) | instid1(VALU_DEP_4)
	v_add_nc_u32_e32 v6, v7, v15
	v_cndmask_b32_e32 v8, 0, v8, vcc_lo
	v_add_nc_u32_e32 v2, v3, v15
	v_add_nc_u32_e32 v4, v5, v15
	v_ashrrev_i32_e32 v7, 31, v6
	s_delay_alu instid0(VALU_DEP_4) | instskip(NEXT) | instid1(VALU_DEP_4)
	v_add_nc_u32_e32 v8, v8, v15
	v_ashrrev_i32_e32 v3, 31, v2
	s_delay_alu instid0(VALU_DEP_4) | instskip(NEXT) | instid1(VALU_DEP_4)
	v_ashrrev_i32_e32 v5, 31, v4
	v_lshlrev_b64 v[6:7], 1, v[6:7]
	s_delay_alu instid0(VALU_DEP_4) | instskip(NEXT) | instid1(VALU_DEP_4)
	v_ashrrev_i32_e32 v9, 31, v8
	v_lshlrev_b64 v[2:3], 1, v[2:3]
	s_delay_alu instid0(VALU_DEP_4) | instskip(NEXT) | instid1(VALU_DEP_3)
	v_lshlrev_b64 v[4:5], 1, v[4:5]
	v_lshlrev_b64 v[8:9], 1, v[8:9]
	s_delay_alu instid0(VALU_DEP_3) | instskip(NEXT) | instid1(VALU_DEP_4)
	v_add_co_u32 v2, vcc_lo, s8, v2
	v_add_co_ci_u32_e32 v3, vcc_lo, s9, v3, vcc_lo
	s_delay_alu instid0(VALU_DEP_4)
	v_add_co_u32 v4, vcc_lo, s8, v4
	v_add_co_ci_u32_e32 v5, vcc_lo, s9, v5, vcc_lo
	flat_load_u16 v21, v[2:3]
	v_add_co_u32 v6, vcc_lo, s8, v6
	v_add_co_ci_u32_e32 v7, vcc_lo, s9, v7, vcc_lo
	s_clause 0x1
	flat_load_u16 v22, v[4:5]
	flat_load_u16 v23, v[6:7]
	v_add_co_u32 v8, vcc_lo, s8, v8
	v_add_co_ci_u32_e32 v9, vcc_lo, s9, v9, vcc_lo
	flat_load_u16 v19, v[8:9]
	s_waitcnt vmcnt(3) lgkmcnt(3)
	v_fma_mix_f32 v18, v20, v21, v18 op_sel_hi:[0,1,0]
	v_add_nc_u32_e32 v21, 64, v15
	s_waitcnt vmcnt(2) lgkmcnt(2)
	s_delay_alu instid0(VALU_DEP_2) | instskip(SKIP_1) | instid1(VALU_DEP_1)
	v_fma_mix_f32 v18, v12, v22, v18 op_sel_hi:[0,1,0]
	s_waitcnt vmcnt(1) lgkmcnt(1)
	v_fma_mix_f32 v18, v11, v23, v18 op_sel_hi:[0,1,0]
	v_cmpx_gt_i32_e64 s4, v21
	s_cbranch_execz .LBB428_46
; %bb.41:
	s_clause 0x3
	flat_load_u16 v22, v[2:3] offset:128
	flat_load_u16 v23, v[4:5] offset:128
	;; [unrolled: 1-line block ×4, first 2 shown]
	s_mov_b32 s2, exec_lo
	s_waitcnt vmcnt(3) lgkmcnt(3)
	v_fma_mix_f32 v17, v20, v22, v17 op_sel_hi:[0,1,0]
	v_add_nc_u32_e32 v22, 0x80, v15
	s_waitcnt vmcnt(2) lgkmcnt(2)
	s_delay_alu instid0(VALU_DEP_2) | instskip(SKIP_1) | instid1(VALU_DEP_1)
	v_fma_mix_f32 v17, v12, v23, v17 op_sel_hi:[0,1,0]
	s_waitcnt vmcnt(1) lgkmcnt(1)
	v_fma_mix_f32 v17, v11, v24, v17 op_sel_hi:[0,1,0]
	v_cmpx_gt_i32_e64 s4, v22
	s_cbranch_execz .LBB428_45
; %bb.42:
	s_clause 0x3
	flat_load_u16 v23, v[2:3] offset:256
	flat_load_u16 v24, v[4:5] offset:256
	;; [unrolled: 1-line block ×4, first 2 shown]
	s_mov_b32 s3, exec_lo
	s_waitcnt vmcnt(3) lgkmcnt(3)
	v_fma_mix_f32 v16, v20, v23, v16 op_sel_hi:[0,1,0]
	v_add_nc_u32_e32 v23, 0xc0, v15
	s_waitcnt vmcnt(2) lgkmcnt(2)
	s_delay_alu instid0(VALU_DEP_2) | instskip(SKIP_1) | instid1(VALU_DEP_1)
	v_fma_mix_f32 v16, v12, v24, v16 op_sel_hi:[0,1,0]
	s_waitcnt vmcnt(1) lgkmcnt(1)
	v_fma_mix_f32 v15, v11, v25, v16 op_sel_hi:[0,1,0]
	v_cmpx_gt_i32_e64 s4, v23
	s_cbranch_execz .LBB428_44
; %bb.43:
	s_clause 0x3
	flat_load_u16 v2, v[2:3] offset:384
	flat_load_u16 v3, v[4:5] offset:384
	;; [unrolled: 1-line block ×4, first 2 shown]
	s_waitcnt vmcnt(3) lgkmcnt(3)
	v_fma_mix_f32 v2, v20, v2, v14 op_sel_hi:[0,1,0]
	s_waitcnt vmcnt(2) lgkmcnt(2)
	s_delay_alu instid0(VALU_DEP_1) | instskip(SKIP_1) | instid1(VALU_DEP_1)
	v_fma_mix_f32 v2, v12, v3, v2 op_sel_hi:[0,1,0]
	s_waitcnt vmcnt(1) lgkmcnt(1)
	v_fma_mix_f32 v2, v11, v4, v2 op_sel_hi:[0,1,0]
	s_waitcnt vmcnt(0) lgkmcnt(0)
	s_delay_alu instid0(VALU_DEP_1)
	v_fma_mix_f32 v14, v10, v5, v2 op_sel_hi:[0,1,0]
.LBB428_44:
	s_or_b32 exec_lo, exec_lo, s3
	s_waitcnt vmcnt(0) lgkmcnt(0)
	v_fma_mix_f32 v16, v10, v22, v15 op_sel_hi:[0,1,0]
.LBB428_45:
	s_or_b32 exec_lo, exec_lo, s2
	s_waitcnt vmcnt(0) lgkmcnt(0)
	v_fma_mix_f32 v17, v10, v21, v17 op_sel_hi:[0,1,0]
.LBB428_46:
	s_or_b32 exec_lo, exec_lo, s0
	s_waitcnt vmcnt(0) lgkmcnt(0)
	v_fma_mix_f32 v18, v10, v19, v18 op_sel_hi:[0,1,0]
.LBB428_47:
	s_or_b32 exec_lo, exec_lo, s1
.LBB428_48:
	v_lshlrev_b32_e32 v2, 8, v13
	s_mov_b32 s0, exec_lo
                                        ; implicit-def: $vgpr5
	s_delay_alu instid0(VALU_DEP_1)
	v_add_lshl_u32 v1, v2, v1, 2
                                        ; implicit-def: $vgpr2_vgpr3
	ds_store_2addr_stride64_b32 v1, v18, v17 offset1:1
	ds_store_2addr_stride64_b32 v1, v16, v14 offset0:2 offset1:3
	s_waitcnt lgkmcnt(0)
	s_barrier
	buffer_gl0_inv
	v_cmpx_gt_u32_e32 0x100, v0
	s_cbranch_execz .LBB428_54
; %bb.49:
	v_lshlrev_b32_e32 v5, 2, v0
	s_mov_b32 s2, s17
	s_mov_b32 s1, exec_lo
	ds_load_2addr_stride64_b32 v[1:2], v5 offset1:4
	ds_load_2addr_stride64_b32 v[3:4], v5 offset0:8 offset1:12
	s_waitcnt lgkmcnt(1)
	v_add_f32_e32 v1, v1, v2
	s_waitcnt lgkmcnt(0)
	s_delay_alu instid0(VALU_DEP_1) | instskip(SKIP_1) | instid1(VALU_DEP_2)
	v_add_f32_e32 v2, v3, v1
	v_or_b32_e32 v1, s14, v0
	v_add_f32_e32 v0, v4, v2
                                        ; implicit-def: $vgpr2_vgpr3
	ds_store_b32 v5, v0
                                        ; implicit-def: $vgpr5
	v_cmpx_gt_i32_e64 s4, v1
	s_cbranch_execz .LBB428_53
; %bb.50:
	v_mul_lo_u32 v2, v1, s16
	v_cmp_eq_f32_e64 s2, s7, 0
	v_mul_f32_e32 v0, s6, v0
	s_delay_alu instid0(VALU_DEP_2) | instskip(NEXT) | instid1(VALU_DEP_3)
	s_and_b32 vcc_lo, exec_lo, s2
	v_ashrrev_i32_e32 v3, 31, v2
	s_cbranch_vccnz .LBB428_52
; %bb.51:
	s_delay_alu instid0(VALU_DEP_1) | instskip(NEXT) | instid1(VALU_DEP_1)
	v_lshlrev_b64 v[4:5], 1, v[2:3]
	v_add_co_u32 v4, vcc_lo, s13, v4
	s_delay_alu instid0(VALU_DEP_2)
	v_add_co_ci_u32_e32 v5, vcc_lo, s15, v5, vcc_lo
	global_load_u16 v1, v[4:5], off
	s_waitcnt vmcnt(0)
	v_fma_mix_f32 v0, v1, s7, v0 op_sel_hi:[1,0,0]
.LBB428_52:
	s_delay_alu instid0(VALU_DEP_1)
	v_cvt_f16_f32_e32 v5, v0
	s_or_b32 s2, s17, exec_lo
.LBB428_53:
	s_or_b32 exec_lo, exec_lo, s1
	s_delay_alu instid0(SALU_CYCLE_1) | instskip(SKIP_1) | instid1(SALU_CYCLE_1)
	s_and_not1_b32 s1, s17, exec_lo
	s_and_b32 s2, s2, exec_lo
	s_or_b32 s17, s1, s2
.LBB428_54:
	s_or_b32 exec_lo, exec_lo, s0
.LBB428_55:
	s_and_saveexec_b32 s0, s17
	s_cbranch_execz .LBB428_57
; %bb.56:
	v_lshlrev_b64 v[0:1], 1, v[2:3]
	s_delay_alu instid0(VALU_DEP_1) | instskip(NEXT) | instid1(VALU_DEP_2)
	v_add_co_u32 v0, vcc_lo, s13, v0
	v_add_co_ci_u32_e32 v1, vcc_lo, s15, v1, vcc_lo
	global_store_b16 v[0:1], v5, off
.LBB428_57:
	s_nop 0
	s_sendmsg sendmsg(MSG_DEALLOC_VGPRS)
	s_endpgm
	.section	.rodata,"a",@progbits
	.p2align	6, 0x0
	.amdhsa_kernel _ZL20rocblas_gemvn_kernelILi64ELi4EiPKDF16_fKPDF16_EviiT3_lPKT2_lT1_lS7_lS8_lS4_lPT4_lS8_li
		.amdhsa_group_segment_fixed_size 4096
		.amdhsa_private_segment_fixed_size 0
		.amdhsa_kernarg_size 400
		.amdhsa_user_sgpr_count 14
		.amdhsa_user_sgpr_dispatch_ptr 0
		.amdhsa_user_sgpr_queue_ptr 0
		.amdhsa_user_sgpr_kernarg_segment_ptr 1
		.amdhsa_user_sgpr_dispatch_id 0
		.amdhsa_user_sgpr_private_segment_size 0
		.amdhsa_wavefront_size32 1
		.amdhsa_uses_dynamic_stack 0
		.amdhsa_enable_private_segment 0
		.amdhsa_system_sgpr_workgroup_id_x 1
		.amdhsa_system_sgpr_workgroup_id_y 0
		.amdhsa_system_sgpr_workgroup_id_z 1
		.amdhsa_system_sgpr_workgroup_info 0
		.amdhsa_system_vgpr_workitem_id 1
		.amdhsa_next_free_vgpr 45
		.amdhsa_next_free_sgpr 28
		.amdhsa_reserve_vcc 1
		.amdhsa_float_round_mode_32 0
		.amdhsa_float_round_mode_16_64 0
		.amdhsa_float_denorm_mode_32 3
		.amdhsa_float_denorm_mode_16_64 3
		.amdhsa_dx10_clamp 1
		.amdhsa_ieee_mode 1
		.amdhsa_fp16_overflow 0
		.amdhsa_workgroup_processor_mode 1
		.amdhsa_memory_ordered 1
		.amdhsa_forward_progress 0
		.amdhsa_shared_vgpr_count 0
		.amdhsa_exception_fp_ieee_invalid_op 0
		.amdhsa_exception_fp_denorm_src 0
		.amdhsa_exception_fp_ieee_div_zero 0
		.amdhsa_exception_fp_ieee_overflow 0
		.amdhsa_exception_fp_ieee_underflow 0
		.amdhsa_exception_fp_ieee_inexact 0
		.amdhsa_exception_int_div_zero 0
	.end_amdhsa_kernel
	.section	.text._ZL20rocblas_gemvn_kernelILi64ELi4EiPKDF16_fKPDF16_EviiT3_lPKT2_lT1_lS7_lS8_lS4_lPT4_lS8_li,"axG",@progbits,_ZL20rocblas_gemvn_kernelILi64ELi4EiPKDF16_fKPDF16_EviiT3_lPKT2_lT1_lS7_lS8_lS4_lPT4_lS8_li,comdat
.Lfunc_end428:
	.size	_ZL20rocblas_gemvn_kernelILi64ELi4EiPKDF16_fKPDF16_EviiT3_lPKT2_lT1_lS7_lS8_lS4_lPT4_lS8_li, .Lfunc_end428-_ZL20rocblas_gemvn_kernelILi64ELi4EiPKDF16_fKPDF16_EviiT3_lPKT2_lT1_lS7_lS8_lS4_lPT4_lS8_li
                                        ; -- End function
	.section	.AMDGPU.csdata,"",@progbits
; Kernel info:
; codeLenInByte = 3076
; NumSgprs: 30
; NumVgprs: 45
; ScratchSize: 0
; MemoryBound: 0
; FloatMode: 240
; IeeeMode: 1
; LDSByteSize: 4096 bytes/workgroup (compile time only)
; SGPRBlocks: 3
; VGPRBlocks: 5
; NumSGPRsForWavesPerEU: 30
; NumVGPRsForWavesPerEU: 45
; Occupancy: 16
; WaveLimiterHint : 1
; COMPUTE_PGM_RSRC2:SCRATCH_EN: 0
; COMPUTE_PGM_RSRC2:USER_SGPR: 14
; COMPUTE_PGM_RSRC2:TRAP_HANDLER: 0
; COMPUTE_PGM_RSRC2:TGID_X_EN: 1
; COMPUTE_PGM_RSRC2:TGID_Y_EN: 0
; COMPUTE_PGM_RSRC2:TGID_Z_EN: 1
; COMPUTE_PGM_RSRC2:TIDIG_COMP_CNT: 1
	.section	.text._ZL20rocblas_gemvn_kernelILi64ELi4ElPKDF16_fKPDF16_EviiT3_lPKT2_lT1_lS7_lS8_lS4_lPT4_lS8_li,"axG",@progbits,_ZL20rocblas_gemvn_kernelILi64ELi4ElPKDF16_fKPDF16_EviiT3_lPKT2_lT1_lS7_lS8_lS4_lPT4_lS8_li,comdat
	.globl	_ZL20rocblas_gemvn_kernelILi64ELi4ElPKDF16_fKPDF16_EviiT3_lPKT2_lT1_lS7_lS8_lS4_lPT4_lS8_li ; -- Begin function _ZL20rocblas_gemvn_kernelILi64ELi4ElPKDF16_fKPDF16_EviiT3_lPKT2_lT1_lS7_lS8_lS4_lPT4_lS8_li
	.p2align	8
	.type	_ZL20rocblas_gemvn_kernelILi64ELi4ElPKDF16_fKPDF16_EviiT3_lPKT2_lT1_lS7_lS8_lS4_lPT4_lS8_li,@function
_ZL20rocblas_gemvn_kernelILi64ELi4ElPKDF16_fKPDF16_EviiT3_lPKT2_lT1_lS7_lS8_lS4_lPT4_lS8_li: ; @_ZL20rocblas_gemvn_kernelILi64ELi4ElPKDF16_fKPDF16_EviiT3_lPKT2_lT1_lS7_lS8_lS4_lPT4_lS8_li
; %bb.0:
	s_load_b64 s[4:5], s[0:1], 0x9c
	s_waitcnt lgkmcnt(0)
	s_lshr_b32 s3, s4, 16
	s_and_b32 s4, s4, 0xffff
	s_and_b32 s5, s5, 0xffff
	s_mul_i32 s3, s3, s4
	s_delay_alu instid0(SALU_CYCLE_1) | instskip(NEXT) | instid1(SALU_CYCLE_1)
	s_mul_i32 s3, s3, s5
	s_cmpk_lg_i32 s3, 0x100
	s_cbranch_scc1 .LBB429_57
; %bb.1:
	s_load_b128 s[8:11], s[0:1], 0x0
	s_waitcnt lgkmcnt(0)
	s_load_b32 s11, s[0:1], 0x58
	s_mov_b32 s2, s15
	v_cmp_eq_f32_e64 s15, s10, 0
	s_waitcnt lgkmcnt(0)
	v_cmp_eq_f32_e64 s3, s11, 1.0
	s_delay_alu instid0(VALU_DEP_1) | instskip(NEXT) | instid1(SALU_CYCLE_1)
	s_and_b32 s3, s15, s3
	s_and_b32 vcc_lo, exec_lo, s3
	s_cbranch_vccnz .LBB429_57
; %bb.2:
	s_clause 0x1
	s_load_b128 s[4:7], s[0:1], 0x18
	s_load_b64 s[12:13], s[0:1], 0x28
	v_cmp_neq_f32_e64 s20, s10, 0
	s_delay_alu instid0(VALU_DEP_1)
	s_and_b32 vcc_lo, exec_lo, s20
	s_cbranch_vccnz .LBB429_4
; %bb.3:
	s_mov_b32 s3, 0
	s_mov_b64 s[16:17], 0
	s_cbranch_execz .LBB429_5
	s_branch .LBB429_6
.LBB429_4:
	s_mov_b32 s3, -1
                                        ; implicit-def: $sgpr16_sgpr17
.LBB429_5:
	s_mov_b32 s3, 0
	s_delay_alu instid0(SALU_CYCLE_1)
	s_lshl_b64 s[16:17], s[2:3], 3
	s_waitcnt lgkmcnt(0)
	s_add_u32 s4, s4, s16
	s_addc_u32 s5, s5, s17
	s_lshl_b64 s[6:7], s[6:7], 1
	s_load_b64 s[4:5], s[4:5], 0x0
	s_waitcnt lgkmcnt(0)
	s_add_u32 s16, s4, s6
	s_addc_u32 s17, s5, s7
.LBB429_6:
	s_waitcnt lgkmcnt(0)
	s_clause 0x1
	s_load_b128 s[4:7], s[0:1], 0x38
	s_load_b64 s[18:19], s[0:1], 0x48
	s_and_not1_b32 vcc_lo, exec_lo, s20
	s_cbranch_vccnz .LBB429_8
; %bb.7:
	s_lshl_b64 s[20:21], s[2:3], 3
	s_waitcnt lgkmcnt(0)
	s_add_u32 s4, s4, s20
	s_addc_u32 s5, s5, s21
	s_lshl_b64 s[6:7], s[6:7], 1
	s_load_b64 s[4:5], s[4:5], 0x0
	s_waitcnt lgkmcnt(0)
	s_add_u32 s20, s4, s6
	s_addc_u32 s21, s5, s7
	s_branch .LBB429_9
.LBB429_8:
	s_mov_b64 s[20:21], 0
.LBB429_9:
	s_load_b128 s[24:27], s[0:1], 0x68
	s_waitcnt lgkmcnt(0)
	s_load_b64 s[6:7], s[0:1], 0x78
	s_lshl_b64 s[2:3], s[2:3], 3
	v_and_b32_e32 v20, 0x3ff, v0
	v_bfe_u32 v21, v0, 10, 10
	s_delay_alu instid0(VALU_DEP_1)
	v_lshl_add_u32 v19, v21, 6, v20
	s_add_u32 s0, s24, s2
	s_addc_u32 s1, s25, s3
	s_lshl_b64 s[22:23], s[26:27], 1
	s_load_b64 s[2:3], s[0:1], 0x0
	v_cmp_gt_u32_e64 s0, 0x100, v19
	s_waitcnt lgkmcnt(0)
	s_add_u32 s5, s2, s22
	s_addc_u32 s26, s3, s23
	s_and_not1_b32 vcc_lo, exec_lo, s15
	s_cbranch_vccnz .LBB429_14
; %bb.10:
	s_mov_b32 s1, 0
	s_mov_b32 s27, 0
                                        ; implicit-def: $vgpr3
                                        ; implicit-def: $vgpr0_vgpr1
	s_and_saveexec_b32 s2, s0
	s_cbranch_execz .LBB429_15
; %bb.11:
	v_lshl_or_b32 v2, s14, 8, v19
	v_mov_b32_e32 v3, 0
	s_ashr_i32 s23, s8, 31
	s_mov_b32 s22, s8
	s_mov_b32 s3, 0
                                        ; implicit-def: $vgpr0_vgpr1
	s_delay_alu instid0(VALU_DEP_1)
	v_cmp_gt_i64_e32 vcc_lo, s[22:23], v[2:3]
                                        ; implicit-def: $vgpr3
	s_and_saveexec_b32 s0, vcc_lo
	s_cbranch_execz .LBB429_17
; %bb.12:
	v_mad_u64_u32 v[0:1], null, v2, s6, 0
	v_cmp_eq_f32_e64 s3, s11, 0
	s_delay_alu instid0(VALU_DEP_1) | instskip(NEXT) | instid1(VALU_DEP_2)
	s_and_b32 vcc_lo, exec_lo, s3
	v_mad_u64_u32 v[3:4], null, v2, s7, v[1:2]
	s_delay_alu instid0(VALU_DEP_1)
	v_mov_b32_e32 v1, v3
	s_cbranch_vccnz .LBB429_16
; %bb.13:
	s_delay_alu instid0(VALU_DEP_1) | instskip(SKIP_1) | instid1(VALU_DEP_1)
	v_lshlrev_b64 v[2:3], 1, v[0:1]
	s_mov_b32 s3, exec_lo
	v_add_co_u32 v2, vcc_lo, s5, v2
	s_delay_alu instid0(VALU_DEP_2)
	v_add_co_ci_u32_e32 v3, vcc_lo, s26, v3, vcc_lo
	global_load_u16 v2, v[2:3], off
	s_waitcnt vmcnt(0)
	v_fma_mixlo_f16 v3, v2, s11, 0 op_sel_hi:[1,0,0]
	s_branch .LBB429_17
.LBB429_14:
	s_mov_b32 s27, 0
                                        ; implicit-def: $vgpr3
                                        ; implicit-def: $vgpr0_vgpr1
	s_cbranch_execnz .LBB429_18
	s_branch .LBB429_55
.LBB429_15:
	s_or_b32 exec_lo, exec_lo, s2
	s_delay_alu instid0(SALU_CYCLE_1)
	s_and_b32 vcc_lo, exec_lo, s1
	s_cbranch_vccnz .LBB429_18
	s_branch .LBB429_55
.LBB429_16:
	v_mov_b32_e32 v3, 0
	s_mov_b32 s3, exec_lo
.LBB429_17:
	s_or_b32 exec_lo, exec_lo, s0
	s_delay_alu instid0(SALU_CYCLE_1) | instskip(SKIP_1) | instid1(SALU_CYCLE_1)
	s_and_b32 s27, s3, exec_lo
	s_or_b32 exec_lo, exec_lo, s2
	s_and_b32 vcc_lo, exec_lo, s1
	s_cbranch_vccz .LBB429_55
.LBB429_18:
	s_ashr_i32 s0, s9, 31
	s_lshl_b32 s28, s14, 8
	s_lshr_b32 s0, s0, 28
	v_dual_mov_b32 v26, 0 :: v_dual_lshlrev_b32 v23, 2, v21
	v_dual_mov_b32 v25, 0 :: v_dual_add_nc_u32 v0, s28, v20
	v_mov_b32_e32 v24, 0
	v_mov_b32_e32 v22, 0
	s_add_i32 s0, s9, s0
	s_mov_b32 s30, exec_lo
	s_and_b32 s29, s0, -16
	s_delay_alu instid0(SALU_CYCLE_1)
	v_cmpx_gt_i32_e64 s29, v23
	s_cbranch_execz .LBB429_30
; %bb.19:
	v_lshlrev_b32_e32 v22, 2, v21
	v_mad_u64_u32 v[5:6], null, s18, v21, 0
	v_add_nc_u32_e32 v10, 0xc0, v0
	v_mad_u64_u32 v[7:8], null, s12, v21, 0
	s_delay_alu instid0(VALU_DEP_4) | instskip(SKIP_1) | instid1(VALU_DEP_4)
	v_or_b32_e32 v29, 3, v22
	v_or_b32_e32 v31, 2, v22
	v_cmp_gt_i32_e64 s2, s8, v10
	v_ashrrev_i32_e32 v1, 31, v0
	v_cmp_gt_i32_e32 vcc_lo, s8, v0
	v_mad_u64_u32 v[3:4], null, s12, v29, 0
	v_mad_u64_u32 v[16:17], null, s18, v29, 0
	v_add_nc_u32_e32 v2, 64, v0
	v_add_nc_u32_e32 v9, 0x80, v0
	v_mad_u64_u32 v[14:15], null, s12, v31, 0
	v_mad_u64_u32 v[35:36], null, s18, v31, 0
	s_delay_alu instid0(VALU_DEP_4)
	v_cmp_gt_i32_e64 s0, s8, v2
	v_mov_b32_e32 v2, v4
	v_mov_b32_e32 v4, v6
	v_cmp_gt_i32_e64 s1, s8, v9
	v_mov_b32_e32 v6, v8
	s_lshl_b64 s[14:15], s[12:13], 5
	v_mad_u64_u32 v[9:10], null, s13, v29, v[2:3]
	v_mad_u64_u32 v[10:11], null, s19, v21, v[4:5]
	s_delay_alu instid0(VALU_DEP_3) | instskip(SKIP_2) | instid1(VALU_DEP_4)
	v_mad_u64_u32 v[11:12], null, s13, v21, v[6:7]
	v_lshlrev_b64 v[1:2], 1, v[0:1]
	s_lshl_b64 s[22:23], s[18:19], 5
	v_mov_b32_e32 v4, v9
	s_mov_b32 s31, 0
	s_delay_alu instid0(VALU_DEP_4) | instskip(SKIP_1) | instid1(VALU_DEP_4)
	v_mov_b32_e32 v6, v10
	s_mov_b64 s[24:25], s[20:21]
	v_mov_b32_e32 v8, v11
	v_lshlrev_b64 v[9:10], 1, v[3:4]
	s_delay_alu instid0(VALU_DEP_3) | instskip(SKIP_2) | instid1(VALU_DEP_4)
	v_lshlrev_b64 v[3:4], 3, v[5:6]
	v_mov_b32_e32 v5, v15
	v_mad_u64_u32 v[12:13], null, s18, v22, s[18:19]
	v_add_co_u32 v27, s3, s16, v9
	s_delay_alu instid0(VALU_DEP_1) | instskip(SKIP_1) | instid1(VALU_DEP_4)
	v_add_co_ci_u32_e64 v28, s3, s17, v10, s3
	v_mad_u64_u32 v[9:10], null, s12, v22, s[12:13]
	v_mov_b32_e32 v6, v13
	v_lshlrev_b64 v[7:8], 3, v[7:8]
	s_delay_alu instid0(VALU_DEP_2) | instskip(SKIP_1) | instid1(VALU_DEP_3)
	v_mad_u64_u32 v[24:25], null, s13, v31, v[5:6]
	v_mov_b32_e32 v5, v17
	v_mad_u64_u32 v[17:18], null, s19, v22, v[6:7]
	s_delay_alu instid0(VALU_DEP_2) | instskip(SKIP_2) | instid1(VALU_DEP_4)
	v_mad_u64_u32 v[25:26], null, s19, v29, v[5:6]
	v_mov_b32_e32 v5, v10
	v_mov_b32_e32 v15, v24
	;; [unrolled: 1-line block ×3, first 2 shown]
	v_add_co_u32 v29, s3, s16, v7
	s_delay_alu instid0(VALU_DEP_4) | instskip(SKIP_4) | instid1(VALU_DEP_4)
	v_mad_u64_u32 v[10:11], null, s13, v22, v[5:6]
	v_mov_b32_e32 v5, v36
	v_mov_b32_e32 v17, v25
	v_lshlrev_b64 v[14:15], 1, v[14:15]
	v_add_co_ci_u32_e64 v30, s3, s17, v8, s3
	v_mad_u64_u32 v[24:25], null, s19, v31, v[5:6]
	v_mov_b32_e32 v25, 0
	v_lshlrev_b64 v[9:10], 1, v[9:10]
	v_add_co_u32 v31, s3, s16, v14
	s_delay_alu instid0(VALU_DEP_1) | instskip(SKIP_1) | instid1(VALU_DEP_4)
	v_add_co_ci_u32_e64 v32, s3, s17, v15, s3
	v_mov_b32_e32 v36, v24
	v_add_co_u32 v33, s3, s16, v9
	v_lshlrev_b64 v[5:6], 1, v[12:13]
	v_lshlrev_b64 v[7:8], 1, v[16:17]
	v_add_co_ci_u32_e64 v34, s3, s17, v10, s3
	v_lshlrev_b64 v[9:10], 1, v[35:36]
	v_mov_b32_e32 v26, 0
	v_mov_b32_e32 v24, 0
	;; [unrolled: 1-line block ×3, first 2 shown]
	s_branch .LBB429_24
.LBB429_20:                             ;   in Loop: Header=BB429_24 Depth=1
	s_or_b32 exec_lo, exec_lo, s34
	s_waitcnt vmcnt(3) lgkmcnt(3)
	v_fma_mix_f32 v11, v47, v51, v24 op_sel_hi:[0,1,0]
	s_waitcnt vmcnt(2) lgkmcnt(2)
	s_delay_alu instid0(VALU_DEP_1) | instskip(SKIP_1) | instid1(VALU_DEP_1)
	v_fma_mix_f32 v11, v48, v52, v11 op_sel_hi:[0,1,0]
	s_waitcnt vmcnt(1) lgkmcnt(1)
	v_fma_mix_f32 v11, v49, v53, v11 op_sel_hi:[0,1,0]
	s_waitcnt vmcnt(0) lgkmcnt(0)
	s_delay_alu instid0(VALU_DEP_1)
	v_fma_mix_f32 v24, v50, v54, v11 op_sel_hi:[0,1,0]
.LBB429_21:                             ;   in Loop: Header=BB429_24 Depth=1
	s_or_b32 exec_lo, exec_lo, s33
	s_waitcnt vmcnt(3) lgkmcnt(3)
	v_fma_mix_f32 v11, v47, v43, v25 op_sel_hi:[0,1,0]
	s_waitcnt vmcnt(2) lgkmcnt(2)
	s_delay_alu instid0(VALU_DEP_1) | instskip(SKIP_1) | instid1(VALU_DEP_1)
	v_fma_mix_f32 v11, v48, v44, v11 op_sel_hi:[0,1,0]
	s_waitcnt vmcnt(1) lgkmcnt(1)
	v_fma_mix_f32 v11, v49, v45, v11 op_sel_hi:[0,1,0]
	s_waitcnt vmcnt(0) lgkmcnt(0)
	s_delay_alu instid0(VALU_DEP_1)
	v_fma_mix_f32 v25, v50, v46, v11 op_sel_hi:[0,1,0]
.LBB429_22:                             ;   in Loop: Header=BB429_24 Depth=1
	s_or_b32 exec_lo, exec_lo, s3
	s_waitcnt vmcnt(3) lgkmcnt(3)
	v_fma_mix_f32 v11, v35, v39, v26 op_sel_hi:[1,1,0]
	s_waitcnt vmcnt(2) lgkmcnt(2)
	s_delay_alu instid0(VALU_DEP_1) | instskip(SKIP_1) | instid1(VALU_DEP_1)
	v_fma_mix_f32 v11, v36, v40, v11 op_sel_hi:[1,1,0]
	s_waitcnt vmcnt(1) lgkmcnt(1)
	v_fma_mix_f32 v11, v37, v41, v11 op_sel_hi:[1,1,0]
	s_waitcnt vmcnt(0) lgkmcnt(0)
	s_delay_alu instid0(VALU_DEP_1)
	v_fma_mix_f32 v26, v38, v42, v11 op_sel_hi:[1,1,0]
.LBB429_23:                             ;   in Loop: Header=BB429_24 Depth=1
	s_or_b32 exec_lo, exec_lo, s4
	v_add_co_u32 v27, s3, v27, s14
	s_delay_alu instid0(VALU_DEP_1) | instskip(SKIP_4) | instid1(VALU_DEP_1)
	v_add_co_ci_u32_e64 v28, s3, s15, v28, s3
	v_add_co_u32 v29, s3, v29, s14
	v_add_nc_u32_e32 v23, 16, v23
	v_add_co_ci_u32_e64 v30, s3, s15, v30, s3
	v_add_co_u32 v31, s3, v31, s14
	v_add_co_ci_u32_e64 v32, s3, s15, v32, s3
	s_delay_alu instid0(VALU_DEP_4) | instskip(SKIP_1) | instid1(VALU_DEP_1)
	v_cmp_le_i32_e64 s3, s29, v23
	v_add_co_u32 v33, s4, v33, s14
	v_add_co_ci_u32_e64 v34, s4, s15, v34, s4
	s_add_u32 s24, s24, s22
	s_addc_u32 s25, s25, s23
	s_or_b32 s31, s3, s31
	s_delay_alu instid0(SALU_CYCLE_1)
	s_and_not1_b32 exec_lo, exec_lo, s31
	s_cbranch_execz .LBB429_29
.LBB429_24:                             ; =>This Inner Loop Header: Depth=1
	s_and_saveexec_b32 s4, vcc_lo
	s_cbranch_execz .LBB429_23
; %bb.25:                               ;   in Loop: Header=BB429_24 Depth=1
	v_add_co_u32 v35, s3, s24, v3
	s_delay_alu instid0(VALU_DEP_1) | instskip(SKIP_1) | instid1(VALU_DEP_1)
	v_add_co_ci_u32_e64 v36, s3, s25, v4, s3
	v_add_co_u32 v37, s3, s24, v5
	v_add_co_ci_u32_e64 v38, s3, s25, v6, s3
	v_add_co_u32 v39, s3, s24, v9
	s_delay_alu instid0(VALU_DEP_1) | instskip(SKIP_1) | instid1(VALU_DEP_1)
	v_add_co_ci_u32_e64 v40, s3, s25, v10, s3
	v_add_co_u32 v41, s3, s24, v7
	v_add_co_ci_u32_e64 v42, s3, s25, v8, s3
	;; [unrolled: 5-line block ×4, first 2 shown]
	s_clause 0x3
	flat_load_u16 v35, v[35:36]
	flat_load_u16 v36, v[37:38]
	;; [unrolled: 1-line block ×8, first 2 shown]
	s_and_saveexec_b32 s3, s0
	s_cbranch_execz .LBB429_22
; %bb.26:                               ;   in Loop: Header=BB429_24 Depth=1
	flat_load_u16 v43, v[11:12] offset:128
	flat_load_u16 v44, v[13:14] offset:128
	;; [unrolled: 1-line block ×4, first 2 shown]
	s_waitcnt vmcnt(11) lgkmcnt(11)
	v_cvt_f32_f16_e32 v47, v35
	s_waitcnt vmcnt(10) lgkmcnt(10)
	v_cvt_f32_f16_e32 v48, v36
	;; [unrolled: 2-line block ×4, first 2 shown]
	s_and_saveexec_b32 s33, s1
	s_cbranch_execz .LBB429_21
; %bb.27:                               ;   in Loop: Header=BB429_24 Depth=1
	flat_load_u16 v51, v[11:12] offset:256
	flat_load_u16 v52, v[13:14] offset:256
	flat_load_u16 v53, v[15:16] offset:256
	flat_load_u16 v54, v[17:18] offset:256
	s_and_saveexec_b32 s34, s2
	s_cbranch_execz .LBB429_20
; %bb.28:                               ;   in Loop: Header=BB429_24 Depth=1
	flat_load_u16 v11, v[11:12] offset:384
	flat_load_u16 v12, v[13:14] offset:384
	;; [unrolled: 1-line block ×4, first 2 shown]
	s_waitcnt vmcnt(3) lgkmcnt(3)
	v_fma_mix_f32 v11, v47, v11, v22 op_sel_hi:[0,1,0]
	s_waitcnt vmcnt(2) lgkmcnt(2)
	s_delay_alu instid0(VALU_DEP_1) | instskip(SKIP_1) | instid1(VALU_DEP_1)
	v_fma_mix_f32 v11, v48, v12, v11 op_sel_hi:[0,1,0]
	s_waitcnt vmcnt(1) lgkmcnt(1)
	v_fma_mix_f32 v11, v49, v13, v11 op_sel_hi:[0,1,0]
	s_waitcnt vmcnt(0) lgkmcnt(0)
	s_delay_alu instid0(VALU_DEP_1)
	v_fma_mix_f32 v22, v50, v14, v11 op_sel_hi:[0,1,0]
	s_branch .LBB429_20
.LBB429_29:
	s_or_b32 exec_lo, exec_lo, s31
.LBB429_30:
	s_delay_alu instid0(SALU_CYCLE_1) | instskip(SKIP_1) | instid1(SALU_CYCLE_1)
	s_or_b32 exec_lo, exec_lo, s30
	s_sub_i32 s0, s9, s29
	s_cmp_lt_i32 s0, 1
	s_cbranch_scc1 .LBB429_48
; %bb.31:
	v_cmp_gt_i32_e32 vcc_lo, s9, v23
	v_dual_mov_b32 v9, 0 :: v_dual_mov_b32 v10, 0
	v_or_b32_e32 v2, 1, v23
	v_dual_mov_b32 v11, 0 :: v_dual_mov_b32 v12, 0
	s_and_saveexec_b32 s1, vcc_lo
	s_cbranch_execz .LBB429_39
; %bb.32:
	v_mad_u64_u32 v[3:4], null, v23, s18, 0
	v_mov_b32_e32 v11, 0
	v_mov_b32_e32 v9, 0
	s_mov_b32 s2, exec_lo
	s_delay_alu instid0(VALU_DEP_3) | instskip(NEXT) | instid1(VALU_DEP_1)
	v_dual_mov_b32 v10, 0 :: v_dual_mov_b32 v1, v4
	v_mad_u64_u32 v[4:5], null, v23, s19, v[1:2]
	s_delay_alu instid0(VALU_DEP_1) | instskip(NEXT) | instid1(VALU_DEP_1)
	v_lshlrev_b64 v[3:4], 1, v[3:4]
	v_add_co_u32 v3, s0, s20, v3
	s_delay_alu instid0(VALU_DEP_1)
	v_add_co_ci_u32_e64 v4, s0, s21, v4, s0
	flat_load_u16 v1, v[3:4]
	v_cmpx_gt_i32_e64 s9, v2
	s_cbranch_execz .LBB429_38
; %bb.33:
	v_mad_u64_u32 v[3:4], null, v2, s18, 0
	v_mov_b32_e32 v10, 0
	s_mov_b32 s3, exec_lo
	v_mov_b32_e32 v9, 0
	s_delay_alu instid0(VALU_DEP_3) | instskip(NEXT) | instid1(VALU_DEP_1)
	v_mad_u64_u32 v[5:6], null, v2, s19, v[4:5]
	v_mov_b32_e32 v4, v5
	s_delay_alu instid0(VALU_DEP_1) | instskip(NEXT) | instid1(VALU_DEP_1)
	v_lshlrev_b64 v[3:4], 1, v[3:4]
	v_add_co_u32 v3, s0, s20, v3
	s_delay_alu instid0(VALU_DEP_1) | instskip(SKIP_2) | instid1(VALU_DEP_1)
	v_add_co_ci_u32_e64 v4, s0, s21, v4, s0
	flat_load_u16 v3, v[3:4]
	v_or_b32_e32 v4, 2, v23
	v_cmpx_gt_i32_e64 s9, v4
	s_cbranch_execz .LBB429_37
; %bb.34:
	v_mad_u64_u32 v[5:6], null, v4, s18, 0
	s_mov_b32 s4, exec_lo
	v_mov_b32_e32 v9, 0
	s_delay_alu instid0(VALU_DEP_2) | instskip(NEXT) | instid1(VALU_DEP_1)
	v_mad_u64_u32 v[7:8], null, v4, s19, v[6:7]
	v_mov_b32_e32 v6, v7
	s_delay_alu instid0(VALU_DEP_1) | instskip(NEXT) | instid1(VALU_DEP_1)
	v_lshlrev_b64 v[4:5], 1, v[5:6]
	v_add_co_u32 v4, s0, s20, v4
	s_delay_alu instid0(VALU_DEP_1) | instskip(SKIP_2) | instid1(VALU_DEP_1)
	v_add_co_ci_u32_e64 v5, s0, s21, v5, s0
	flat_load_u16 v4, v[4:5]
	v_or_b32_e32 v5, 3, v23
	v_cmpx_gt_i32_e64 s9, v5
	s_cbranch_execz .LBB429_36
; %bb.35:
	v_mad_u64_u32 v[6:7], null, v5, s18, 0
	s_delay_alu instid0(VALU_DEP_1) | instskip(NEXT) | instid1(VALU_DEP_1)
	v_mad_u64_u32 v[8:9], null, v5, s19, v[7:8]
	v_mov_b32_e32 v7, v8
	s_delay_alu instid0(VALU_DEP_1) | instskip(NEXT) | instid1(VALU_DEP_1)
	v_lshlrev_b64 v[5:6], 1, v[6:7]
	v_add_co_u32 v5, s0, s20, v5
	s_delay_alu instid0(VALU_DEP_1)
	v_add_co_ci_u32_e64 v6, s0, s21, v6, s0
	flat_load_u16 v5, v[5:6]
	s_waitcnt vmcnt(0) lgkmcnt(0)
	v_cvt_f32_f16_e32 v9, v5
.LBB429_36:
	s_or_b32 exec_lo, exec_lo, s4
	s_waitcnt vmcnt(0) lgkmcnt(0)
	v_cvt_f32_f16_e32 v10, v4
.LBB429_37:
	s_or_b32 exec_lo, exec_lo, s3
	s_waitcnt vmcnt(0) lgkmcnt(0)
	v_cvt_f32_f16_e32 v11, v3
.LBB429_38:
	s_or_b32 exec_lo, exec_lo, s2
	s_waitcnt vmcnt(0) lgkmcnt(0)
	v_cvt_f32_f16_e32 v12, v1
.LBB429_39:
	s_or_b32 exec_lo, exec_lo, s1
	s_delay_alu instid0(SALU_CYCLE_1)
	s_mov_b32 s1, exec_lo
	v_cmpx_gt_i32_e64 s8, v0
	s_cbranch_execz .LBB429_47
; %bb.40:
	v_mad_u64_u32 v[3:4], null, v23, s12, 0
	v_mad_u64_u32 v[5:6], null, v2, s12, 0
	v_or_b32_e32 v29, 2, v23
	v_ashrrev_i32_e32 v1, 31, v0
	v_or_b32_e32 v30, 3, v23
	v_cndmask_b32_e32 v3, 0, v3, vcc_lo
	s_delay_alu instid0(VALU_DEP_4)
	v_cmp_gt_i32_e64 s0, s9, v29
	v_mad_u64_u32 v[13:14], null, v23, s13, v[4:5]
	v_mad_u64_u32 v[14:15], null, v29, s12, 0
	v_lshlrev_b64 v[7:8], 1, v[0:1]
	v_mov_b32_e32 v1, v6
	v_mad_u64_u32 v[16:17], null, v30, s12, 0
	v_cndmask_b32_e32 v4, 0, v13, vcc_lo
	v_cmp_gt_i32_e32 vcc_lo, s9, v2
	s_delay_alu instid0(VALU_DEP_4)
	v_mad_u64_u32 v[27:28], null, v2, s13, v[1:2]
	v_mov_b32_e32 v1, v15
	v_cndmask_b32_e64 v13, 0, v14, s0
	v_mov_b32_e32 v6, v17
	v_cndmask_b32_e32 v2, 0, v5, vcc_lo
	v_lshlrev_b64 v[4:5], 1, v[3:4]
	s_delay_alu instid0(VALU_DEP_2) | instskip(NEXT) | instid1(VALU_DEP_1)
	v_mad_u64_u32 v[17:18], null, v29, s13, v[1:2]
	v_cndmask_b32_e64 v14, 0, v17, s0
	v_mad_u64_u32 v[17:18], null, v30, s13, v[6:7]
	v_cndmask_b32_e32 v3, 0, v27, vcc_lo
	v_add_co_u32 v1, vcc_lo, s16, v4
	v_add_co_ci_u32_e32 v5, vcc_lo, s17, v5, vcc_lo
	s_delay_alu instid0(VALU_DEP_3) | instskip(NEXT) | instid1(VALU_DEP_3)
	v_lshlrev_b64 v[3:4], 1, v[2:3]
	v_add_co_u32 v1, vcc_lo, v1, v7
	s_delay_alu instid0(VALU_DEP_3) | instskip(SKIP_1) | instid1(VALU_DEP_4)
	v_add_co_ci_u32_e32 v2, vcc_lo, v5, v8, vcc_lo
	v_lshlrev_b64 v[5:6], 1, v[13:14]
	v_add_co_u32 v3, vcc_lo, s16, v3
	v_add_co_ci_u32_e32 v4, vcc_lo, s17, v4, vcc_lo
	s_mov_b32 s0, exec_lo
	s_delay_alu instid0(VALU_DEP_2) | instskip(NEXT) | instid1(VALU_DEP_2)
	v_add_co_u32 v3, vcc_lo, v3, v7
	v_add_co_ci_u32_e32 v4, vcc_lo, v4, v8, vcc_lo
	v_cmp_gt_i32_e32 vcc_lo, s9, v30
	s_clause 0x1
	flat_load_u16 v15, v[1:2]
	flat_load_u16 v18, v[3:4]
	v_dual_cndmask_b32 v14, 0, v17 :: v_dual_cndmask_b32 v13, 0, v16
	v_add_co_u32 v5, vcc_lo, s16, v5
	v_add_co_ci_u32_e32 v6, vcc_lo, s17, v6, vcc_lo
	s_delay_alu instid0(VALU_DEP_3) | instskip(NEXT) | instid1(VALU_DEP_3)
	v_lshlrev_b64 v[13:14], 1, v[13:14]
	v_add_co_u32 v5, vcc_lo, v5, v7
	s_delay_alu instid0(VALU_DEP_3) | instskip(NEXT) | instid1(VALU_DEP_3)
	v_add_co_ci_u32_e32 v6, vcc_lo, v6, v8, vcc_lo
	v_add_co_u32 v13, vcc_lo, s16, v13
	s_delay_alu instid0(VALU_DEP_4)
	v_add_co_ci_u32_e32 v14, vcc_lo, s17, v14, vcc_lo
	flat_load_u16 v16, v[5:6]
	v_add_co_u32 v7, vcc_lo, v13, v7
	v_add_co_ci_u32_e32 v8, vcc_lo, v14, v8, vcc_lo
	flat_load_u16 v13, v[7:8]
	s_waitcnt vmcnt(3) lgkmcnt(3)
	v_fma_mix_f32 v14, v12, v15, v26 op_sel_hi:[0,1,0]
	v_add_nc_u32_e32 v15, 64, v0
	s_waitcnt vmcnt(2) lgkmcnt(2)
	s_delay_alu instid0(VALU_DEP_2) | instskip(SKIP_1) | instid1(VALU_DEP_1)
	v_fma_mix_f32 v14, v11, v18, v14 op_sel_hi:[0,1,0]
	s_waitcnt vmcnt(1) lgkmcnt(1)
	v_fma_mix_f32 v14, v10, v16, v14 op_sel_hi:[0,1,0]
	v_cmpx_gt_i32_e64 s8, v15
	s_cbranch_execz .LBB429_46
; %bb.41:
	s_clause 0x3
	flat_load_u16 v16, v[1:2] offset:128
	flat_load_u16 v17, v[3:4] offset:128
	;; [unrolled: 1-line block ×4, first 2 shown]
	s_mov_b32 s2, exec_lo
	s_waitcnt vmcnt(3) lgkmcnt(3)
	v_fma_mix_f32 v16, v12, v16, v25 op_sel_hi:[0,1,0]
	s_waitcnt vmcnt(2) lgkmcnt(2)
	s_delay_alu instid0(VALU_DEP_1) | instskip(SKIP_2) | instid1(VALU_DEP_2)
	v_fma_mix_f32 v16, v11, v17, v16 op_sel_hi:[0,1,0]
	v_add_nc_u32_e32 v17, 0x80, v0
	s_waitcnt vmcnt(1) lgkmcnt(1)
	v_fma_mix_f32 v16, v10, v18, v16 op_sel_hi:[0,1,0]
	s_delay_alu instid0(VALU_DEP_2)
	v_cmpx_gt_i32_e64 s8, v17
	s_cbranch_execz .LBB429_45
; %bb.42:
	s_clause 0x3
	flat_load_u16 v18, v[1:2] offset:256
	flat_load_u16 v23, v[3:4] offset:256
	flat_load_u16 v25, v[5:6] offset:256
	flat_load_u16 v17, v[7:8] offset:256
	s_mov_b32 s3, exec_lo
	s_waitcnt vmcnt(3) lgkmcnt(3)
	v_fma_mix_f32 v18, v12, v18, v24 op_sel_hi:[0,1,0]
	s_waitcnt vmcnt(2) lgkmcnt(2)
	s_delay_alu instid0(VALU_DEP_1) | instskip(SKIP_2) | instid1(VALU_DEP_2)
	v_fma_mix_f32 v18, v11, v23, v18 op_sel_hi:[0,1,0]
	v_add_nc_u32_e32 v23, 0xc0, v0
	s_waitcnt vmcnt(1) lgkmcnt(1)
	v_fma_mix_f32 v0, v10, v25, v18 op_sel_hi:[0,1,0]
	s_delay_alu instid0(VALU_DEP_2)
	v_cmpx_gt_i32_e64 s8, v23
	s_cbranch_execz .LBB429_44
; %bb.43:
	s_clause 0x3
	flat_load_u16 v1, v[1:2] offset:384
	flat_load_u16 v2, v[3:4] offset:384
	;; [unrolled: 1-line block ×4, first 2 shown]
	s_waitcnt vmcnt(3) lgkmcnt(3)
	v_fma_mix_f32 v1, v12, v1, v22 op_sel_hi:[0,1,0]
	s_waitcnt vmcnt(2) lgkmcnt(2)
	s_delay_alu instid0(VALU_DEP_1) | instskip(SKIP_1) | instid1(VALU_DEP_1)
	v_fma_mix_f32 v1, v11, v2, v1 op_sel_hi:[0,1,0]
	s_waitcnt vmcnt(1) lgkmcnt(1)
	v_fma_mix_f32 v1, v10, v3, v1 op_sel_hi:[0,1,0]
	s_waitcnt vmcnt(0) lgkmcnt(0)
	s_delay_alu instid0(VALU_DEP_1)
	v_fma_mix_f32 v22, v9, v4, v1 op_sel_hi:[0,1,0]
.LBB429_44:
	s_or_b32 exec_lo, exec_lo, s3
	s_waitcnt vmcnt(0) lgkmcnt(0)
	v_fma_mix_f32 v24, v9, v17, v0 op_sel_hi:[0,1,0]
.LBB429_45:
	s_or_b32 exec_lo, exec_lo, s2
	s_waitcnt vmcnt(0) lgkmcnt(0)
	v_fma_mix_f32 v25, v9, v15, v16 op_sel_hi:[0,1,0]
.LBB429_46:
	s_or_b32 exec_lo, exec_lo, s0
	s_waitcnt vmcnt(0) lgkmcnt(0)
	v_fma_mix_f32 v26, v9, v13, v14 op_sel_hi:[0,1,0]
.LBB429_47:
	s_or_b32 exec_lo, exec_lo, s1
.LBB429_48:
	v_lshlrev_b32_e32 v0, 8, v21
	s_mov_b32 s0, exec_lo
                                        ; implicit-def: $vgpr3
	s_delay_alu instid0(VALU_DEP_1)
	v_add_lshl_u32 v0, v0, v20, 2
	ds_store_2addr_stride64_b32 v0, v26, v25 offset1:1
	ds_store_2addr_stride64_b32 v0, v24, v22 offset0:2 offset1:3
	s_waitcnt lgkmcnt(0)
	s_barrier
	buffer_gl0_inv
                                        ; implicit-def: $vgpr0_vgpr1
	v_cmpx_gt_u32_e32 0x100, v19
	s_cbranch_execz .LBB429_54
; %bb.49:
	v_lshlrev_b32_e32 v5, 2, v19
	v_or_b32_e32 v4, s28, v19
	s_mov_b32 s2, s27
	s_mov_b32 s1, exec_lo
	ds_load_2addr_stride64_b32 v[0:1], v5 offset1:4
	ds_load_2addr_stride64_b32 v[2:3], v5 offset0:8 offset1:12
	s_waitcnt lgkmcnt(1)
	v_add_f32_e32 v0, v0, v1
	s_waitcnt lgkmcnt(0)
	s_delay_alu instid0(VALU_DEP_1) | instskip(NEXT) | instid1(VALU_DEP_1)
	v_add_f32_e32 v0, v2, v0
	v_add_f32_e32 v2, v3, v0
                                        ; implicit-def: $vgpr3
                                        ; implicit-def: $vgpr0_vgpr1
	ds_store_b32 v5, v2
	v_cmpx_gt_i32_e64 s8, v4
	s_cbranch_execz .LBB429_53
; %bb.50:
	v_ashrrev_i32_e32 v3, 31, v4
	v_mul_lo_u32 v5, v4, s7
	v_mad_u64_u32 v[0:1], null, v4, s6, 0
	v_cmp_eq_f32_e64 s2, s11, 0
	s_delay_alu instid0(VALU_DEP_4) | instskip(SKIP_1) | instid1(VALU_DEP_3)
	v_mul_lo_u32 v3, v3, s6
	v_mul_f32_e32 v2, s10, v2
	s_and_b32 vcc_lo, exec_lo, s2
	s_delay_alu instid0(VALU_DEP_2)
	v_add3_u32 v1, v1, v5, v3
	s_cbranch_vccnz .LBB429_52
; %bb.51:
	s_delay_alu instid0(VALU_DEP_1) | instskip(NEXT) | instid1(VALU_DEP_1)
	v_lshlrev_b64 v[3:4], 1, v[0:1]
	v_add_co_u32 v3, vcc_lo, s5, v3
	s_delay_alu instid0(VALU_DEP_2)
	v_add_co_ci_u32_e32 v4, vcc_lo, s26, v4, vcc_lo
	global_load_u16 v3, v[3:4], off
	s_waitcnt vmcnt(0)
	v_fma_mix_f32 v2, v3, s11, v2 op_sel_hi:[1,0,0]
.LBB429_52:
	s_delay_alu instid0(VALU_DEP_1)
	v_cvt_f16_f32_e32 v3, v2
	s_or_b32 s2, s27, exec_lo
.LBB429_53:
	s_or_b32 exec_lo, exec_lo, s1
	s_delay_alu instid0(SALU_CYCLE_1) | instskip(SKIP_1) | instid1(SALU_CYCLE_1)
	s_and_not1_b32 s1, s27, exec_lo
	s_and_b32 s2, s2, exec_lo
	s_or_b32 s27, s1, s2
.LBB429_54:
	s_or_b32 exec_lo, exec_lo, s0
.LBB429_55:
	s_and_saveexec_b32 s0, s27
	s_cbranch_execz .LBB429_57
; %bb.56:
	v_lshlrev_b64 v[0:1], 1, v[0:1]
	s_delay_alu instid0(VALU_DEP_1) | instskip(NEXT) | instid1(VALU_DEP_2)
	v_add_co_u32 v0, vcc_lo, s5, v0
	v_add_co_ci_u32_e32 v1, vcc_lo, s26, v1, vcc_lo
	global_store_b16 v[0:1], v3, off
.LBB429_57:
	s_nop 0
	s_sendmsg sendmsg(MSG_DEALLOC_VGPRS)
	s_endpgm
	.section	.rodata,"a",@progbits
	.p2align	6, 0x0
	.amdhsa_kernel _ZL20rocblas_gemvn_kernelILi64ELi4ElPKDF16_fKPDF16_EviiT3_lPKT2_lT1_lS7_lS8_lS4_lPT4_lS8_li
		.amdhsa_group_segment_fixed_size 4096
		.amdhsa_private_segment_fixed_size 0
		.amdhsa_kernarg_size 400
		.amdhsa_user_sgpr_count 14
		.amdhsa_user_sgpr_dispatch_ptr 0
		.amdhsa_user_sgpr_queue_ptr 0
		.amdhsa_user_sgpr_kernarg_segment_ptr 1
		.amdhsa_user_sgpr_dispatch_id 0
		.amdhsa_user_sgpr_private_segment_size 0
		.amdhsa_wavefront_size32 1
		.amdhsa_uses_dynamic_stack 0
		.amdhsa_enable_private_segment 0
		.amdhsa_system_sgpr_workgroup_id_x 1
		.amdhsa_system_sgpr_workgroup_id_y 0
		.amdhsa_system_sgpr_workgroup_id_z 1
		.amdhsa_system_sgpr_workgroup_info 0
		.amdhsa_system_vgpr_workitem_id 1
		.amdhsa_next_free_vgpr 55
		.amdhsa_next_free_sgpr 35
		.amdhsa_reserve_vcc 1
		.amdhsa_float_round_mode_32 0
		.amdhsa_float_round_mode_16_64 0
		.amdhsa_float_denorm_mode_32 3
		.amdhsa_float_denorm_mode_16_64 3
		.amdhsa_dx10_clamp 1
		.amdhsa_ieee_mode 1
		.amdhsa_fp16_overflow 0
		.amdhsa_workgroup_processor_mode 1
		.amdhsa_memory_ordered 1
		.amdhsa_forward_progress 0
		.amdhsa_shared_vgpr_count 0
		.amdhsa_exception_fp_ieee_invalid_op 0
		.amdhsa_exception_fp_denorm_src 0
		.amdhsa_exception_fp_ieee_div_zero 0
		.amdhsa_exception_fp_ieee_overflow 0
		.amdhsa_exception_fp_ieee_underflow 0
		.amdhsa_exception_fp_ieee_inexact 0
		.amdhsa_exception_int_div_zero 0
	.end_amdhsa_kernel
	.section	.text._ZL20rocblas_gemvn_kernelILi64ELi4ElPKDF16_fKPDF16_EviiT3_lPKT2_lT1_lS7_lS8_lS4_lPT4_lS8_li,"axG",@progbits,_ZL20rocblas_gemvn_kernelILi64ELi4ElPKDF16_fKPDF16_EviiT3_lPKT2_lT1_lS7_lS8_lS4_lPT4_lS8_li,comdat
.Lfunc_end429:
	.size	_ZL20rocblas_gemvn_kernelILi64ELi4ElPKDF16_fKPDF16_EviiT3_lPKT2_lT1_lS7_lS8_lS4_lPT4_lS8_li, .Lfunc_end429-_ZL20rocblas_gemvn_kernelILi64ELi4ElPKDF16_fKPDF16_EviiT3_lPKT2_lT1_lS7_lS8_lS4_lPT4_lS8_li
                                        ; -- End function
	.section	.AMDGPU.csdata,"",@progbits
; Kernel info:
; codeLenInByte = 3440
; NumSgprs: 37
; NumVgprs: 55
; ScratchSize: 0
; MemoryBound: 0
; FloatMode: 240
; IeeeMode: 1
; LDSByteSize: 4096 bytes/workgroup (compile time only)
; SGPRBlocks: 4
; VGPRBlocks: 6
; NumSGPRsForWavesPerEU: 37
; NumVGPRsForWavesPerEU: 55
; Occupancy: 16
; WaveLimiterHint : 1
; COMPUTE_PGM_RSRC2:SCRATCH_EN: 0
; COMPUTE_PGM_RSRC2:USER_SGPR: 14
; COMPUTE_PGM_RSRC2:TRAP_HANDLER: 0
; COMPUTE_PGM_RSRC2:TGID_X_EN: 1
; COMPUTE_PGM_RSRC2:TGID_Y_EN: 0
; COMPUTE_PGM_RSRC2:TGID_Z_EN: 1
; COMPUTE_PGM_RSRC2:TIDIG_COMP_CNT: 1
	.section	.text._ZL20rocblas_gemvn_kernelILi32ELi16EiPKDF16_PKfKPDF16_EviiT3_lPKT2_lT1_lS9_lSA_lS6_lPT4_lSA_li,"axG",@progbits,_ZL20rocblas_gemvn_kernelILi32ELi16EiPKDF16_PKfKPDF16_EviiT3_lPKT2_lT1_lS9_lSA_lS6_lPT4_lSA_li,comdat
	.globl	_ZL20rocblas_gemvn_kernelILi32ELi16EiPKDF16_PKfKPDF16_EviiT3_lPKT2_lT1_lS9_lSA_lS6_lPT4_lSA_li ; -- Begin function _ZL20rocblas_gemvn_kernelILi32ELi16EiPKDF16_PKfKPDF16_EviiT3_lPKT2_lT1_lS9_lSA_lS6_lPT4_lSA_li
	.p2align	8
	.type	_ZL20rocblas_gemvn_kernelILi32ELi16EiPKDF16_PKfKPDF16_EviiT3_lPKT2_lT1_lS9_lSA_lS6_lPT4_lSA_li,@function
_ZL20rocblas_gemvn_kernelILi32ELi16EiPKDF16_PKfKPDF16_EviiT3_lPKT2_lT1_lS9_lSA_lS6_lPT4_lSA_li: ; @_ZL20rocblas_gemvn_kernelILi32ELi16EiPKDF16_PKfKPDF16_EviiT3_lPKT2_lT1_lS9_lSA_lS6_lPT4_lSA_li
; %bb.0:
	s_load_b64 s[4:5], s[0:1], 0x9c
	s_waitcnt lgkmcnt(0)
	s_lshr_b32 s3, s4, 16
	s_and_b32 s4, s4, 0xffff
	s_and_b32 s5, s5, 0xffff
	s_mul_i32 s3, s3, s4
	s_delay_alu instid0(SALU_CYCLE_1) | instskip(NEXT) | instid1(SALU_CYCLE_1)
	s_mul_i32 s3, s3, s5
	s_cmpk_lg_i32 s3, 0x200
	s_cbranch_scc1 .LBB430_54
; %bb.1:
	s_clause 0x1
	s_load_b256 s[16:23], s[0:1], 0x8
	s_load_b256 s[4:11], s[0:1], 0x58
	s_mov_b32 s2, s15
	s_waitcnt lgkmcnt(0)
	s_mul_i32 s3, s15, s19
	s_mul_hi_u32 s13, s15, s18
	s_mul_i32 s12, s15, s18
	s_add_i32 s13, s13, s3
	s_mul_i32 s3, s15, s7
	s_lshl_b64 s[12:13], s[12:13], 2
	s_mul_hi_u32 s7, s15, s6
	s_add_u32 s12, s16, s12
	s_addc_u32 s13, s17, s13
	s_add_i32 s7, s7, s3
	s_mul_i32 s6, s15, s6
	s_delay_alu instid0(SALU_CYCLE_1) | instskip(NEXT) | instid1(SALU_CYCLE_1)
	s_lshl_b64 s[6:7], s[6:7], 2
	s_add_u32 s4, s4, s6
	s_addc_u32 s5, s5, s7
	s_load_b32 s16, s[12:13], 0x0
	s_load_b32 s15, s[4:5], 0x0
	s_waitcnt lgkmcnt(0)
	v_cmp_eq_f32_e64 s18, s16, 0
	v_cmp_eq_f32_e64 s3, s15, 1.0
	s_delay_alu instid0(VALU_DEP_1) | instskip(NEXT) | instid1(SALU_CYCLE_1)
	s_and_b32 s3, s18, s3
	s_and_b32 vcc_lo, exec_lo, s3
	s_mov_b32 s3, 0
	s_cbranch_vccnz .LBB430_54
; %bb.2:
	v_cmp_neq_f32_e64 s4, s16, 0
	s_mov_b64 s[12:13], 0
	s_and_b32 vcc_lo, exec_lo, s18
	s_mov_b64 s[6:7], 0
	s_cbranch_vccnz .LBB430_4
; %bb.3:
	s_lshl_b64 s[6:7], s[2:3], 3
	s_delay_alu instid0(SALU_CYCLE_1)
	s_add_u32 s6, s20, s6
	s_addc_u32 s7, s21, s7
	s_lshl_b64 s[20:21], s[22:23], 1
	s_load_b64 s[6:7], s[6:7], 0x0
	s_waitcnt lgkmcnt(0)
	s_add_u32 s6, s6, s20
	s_addc_u32 s7, s7, s21
.LBB430_4:
	s_and_not1_b32 vcc_lo, exec_lo, s4
	s_cbranch_vccnz .LBB430_6
; %bb.5:
	s_load_b128 s[20:23], s[0:1], 0x38
	s_lshl_b64 s[4:5], s[2:3], 3
	s_waitcnt lgkmcnt(0)
	s_add_u32 s4, s20, s4
	s_addc_u32 s5, s21, s5
	s_lshl_b64 s[12:13], s[22:23], 1
	s_load_b64 s[4:5], s[4:5], 0x0
	s_waitcnt lgkmcnt(0)
	s_add_u32 s12, s4, s12
	s_addc_u32 s13, s5, s13
.LBB430_6:
	s_lshl_b64 s[2:3], s[2:3], 3
	v_and_b32_e32 v1, 0x3ff, v0
	s_add_u32 s2, s8, s2
	s_addc_u32 s3, s9, s3
	v_bfe_u32 v13, v0, 10, 10
	s_load_b64 s[20:21], s[2:3], 0x0
	s_clause 0x1
	s_load_b64 s[4:5], s[0:1], 0x0
	s_load_b32 s17, s[0:1], 0x78
	s_lshl_b64 s[10:11], s[10:11], 1
	v_lshl_add_u32 v0, v13, 5, v1
	s_delay_alu instid0(VALU_DEP_1)
	v_cmp_gt_u32_e64 s2, 0x80, v0
	s_waitcnt lgkmcnt(0)
	s_add_u32 s9, s20, s10
	s_addc_u32 s10, s21, s11
	s_and_not1_b32 vcc_lo, exec_lo, s18
	s_cbranch_vccnz .LBB430_11
; %bb.7:
	s_mov_b32 s3, 0
	s_mov_b32 s11, 0
                                        ; implicit-def: $vgpr5
                                        ; implicit-def: $vgpr2_vgpr3
	s_and_saveexec_b32 s8, s2
	s_cbranch_execz .LBB430_12
; %bb.8:
	v_lshl_or_b32 v4, s14, 7, v0
	v_mov_b32_e32 v5, 0
	s_ashr_i32 s19, s4, 31
	s_mov_b32 s18, s4
                                        ; implicit-def: $vgpr2_vgpr3
	s_delay_alu instid0(VALU_DEP_1) | instid1(SALU_CYCLE_1)
	v_cmp_gt_i64_e32 vcc_lo, s[18:19], v[4:5]
                                        ; implicit-def: $vgpr5
	s_and_saveexec_b32 s2, vcc_lo
	s_cbranch_execz .LBB430_14
; %bb.9:
	v_mad_u64_u32 v[2:3], null, s17, v4, 0
	s_ashr_i32 s11, s17, 31
	s_delay_alu instid0(VALU_DEP_1) | instid1(SALU_CYCLE_1)
	v_mad_u64_u32 v[5:6], null, s11, v4, v[3:4]
	v_cmp_eq_f32_e64 s11, s15, 0
	s_delay_alu instid0(VALU_DEP_1) | instskip(NEXT) | instid1(VALU_DEP_2)
	s_and_b32 vcc_lo, exec_lo, s11
	v_mov_b32_e32 v3, v5
	s_cbranch_vccnz .LBB430_13
; %bb.10:
	s_delay_alu instid0(VALU_DEP_1) | instskip(SKIP_1) | instid1(VALU_DEP_1)
	v_lshlrev_b64 v[4:5], 1, v[2:3]
	s_mov_b32 s11, exec_lo
	v_add_co_u32 v4, vcc_lo, s9, v4
	s_delay_alu instid0(VALU_DEP_2)
	v_add_co_ci_u32_e32 v5, vcc_lo, s10, v5, vcc_lo
	global_load_u16 v4, v[4:5], off
	s_waitcnt vmcnt(0)
	v_fma_mixlo_f16 v5, s15, v4, 0 op_sel_hi:[0,1,0]
	s_branch .LBB430_14
.LBB430_11:
	s_mov_b32 s11, 0
                                        ; implicit-def: $vgpr5
                                        ; implicit-def: $vgpr2_vgpr3
	s_cbranch_execnz .LBB430_15
	s_branch .LBB430_52
.LBB430_12:
	s_or_b32 exec_lo, exec_lo, s8
	s_delay_alu instid0(SALU_CYCLE_1)
	s_and_b32 vcc_lo, exec_lo, s3
	s_cbranch_vccnz .LBB430_15
	s_branch .LBB430_52
.LBB430_13:
	v_mov_b32_e32 v5, 0
	s_mov_b32 s11, exec_lo
.LBB430_14:
	s_or_b32 exec_lo, exec_lo, s2
	s_delay_alu instid0(SALU_CYCLE_1) | instskip(SKIP_1) | instid1(SALU_CYCLE_1)
	s_and_b32 s11, s11, exec_lo
	s_or_b32 exec_lo, exec_lo, s8
	s_and_b32 vcc_lo, exec_lo, s3
	s_cbranch_vccz .LBB430_52
.LBB430_15:
	s_clause 0x1
	s_load_b32 s18, s[0:1], 0x28
	s_load_b32 s8, s[0:1], 0x48
	s_ashr_i32 s0, s5, 31
	s_lshl_b32 s14, s14, 7
	s_lshr_b32 s0, s0, 26
	v_dual_mov_b32 v18, 0 :: v_dual_lshlrev_b32 v19, 2, v13
	v_dual_mov_b32 v16, 0 :: v_dual_add_nc_u32 v15, s14, v1
	v_dual_mov_b32 v17, 0 :: v_dual_mov_b32 v14, 0
	s_add_i32 s19, s5, s0
	s_mov_b32 s20, exec_lo
	s_and_not1_b32 s19, s19, 63
	s_delay_alu instid0(SALU_CYCLE_1)
	v_cmpx_gt_i32_e64 s19, v19
	s_cbranch_execz .LBB430_27
; %bb.16:
	s_waitcnt lgkmcnt(0)
	v_mul_lo_u32 v3, s18, v19
	v_dual_mov_b32 v17, 0 :: v_dual_add_nc_u32 v2, 32, v15
	v_add_nc_u32_e32 v6, 2, v19
	v_dual_mov_b32 v18, 0 :: v_dual_add_nc_u32 v5, 0x60, v15
	s_delay_alu instid0(VALU_DEP_3)
	v_cmp_gt_i32_e64 s0, s4, v2
	v_add_nc_u32_e32 v4, 64, v15
	v_add3_u32 v20, v3, s18, v1
	v_mad_u64_u32 v[2:3], null, s18, v6, v[1:2]
	v_cmp_gt_i32_e64 s2, s4, v5
	v_mul_lo_u32 v5, v13, s18
	v_dual_mov_b32 v16, 0 :: v_dual_add_nc_u32 v7, 3, v19
	v_mul_lo_u32 v8, v13, s8
	v_cmp_gt_i32_e64 s1, s4, v4
	v_mul_lo_u32 v22, s8, v6
	s_delay_alu instid0(VALU_DEP_4)
	v_mad_u64_u32 v[3:4], null, s18, v7, v[1:2]
	v_lshl_add_u32 v21, v5, 2, v1
	v_mad_u64_u32 v[4:5], null, s8, v19, s[8:9]
	v_mul_lo_u32 v23, s8, v7
	v_cmp_gt_i32_e32 vcc_lo, s4, v15
	v_lshlrev_b32_e32 v24, 2, v8
	v_mov_b32_e32 v14, 0
	s_lshl_b32 s21, s18, 6
	s_lshl_b32 s23, s8, 6
	s_mov_b32 s22, 0
	s_mov_b32 s24, 0
	s_branch .LBB430_21
.LBB430_17:                             ;   in Loop: Header=BB430_21 Depth=1
	s_or_b32 exec_lo, exec_lo, s27
	s_waitcnt vmcnt(3) lgkmcnt(3)
	v_fma_mix_f32 v5, v37, v41, v16 op_sel_hi:[0,1,0]
	s_waitcnt vmcnt(2) lgkmcnt(2)
	s_delay_alu instid0(VALU_DEP_1) | instskip(SKIP_1) | instid1(VALU_DEP_1)
	v_fma_mix_f32 v5, v38, v42, v5 op_sel_hi:[0,1,0]
	s_waitcnt vmcnt(1) lgkmcnt(1)
	v_fma_mix_f32 v5, v39, v43, v5 op_sel_hi:[0,1,0]
	s_waitcnt vmcnt(0) lgkmcnt(0)
	s_delay_alu instid0(VALU_DEP_1)
	v_fma_mix_f32 v16, v40, v44, v5 op_sel_hi:[0,1,0]
.LBB430_18:                             ;   in Loop: Header=BB430_21 Depth=1
	s_or_b32 exec_lo, exec_lo, s26
	s_waitcnt vmcnt(3) lgkmcnt(3)
	v_fma_mix_f32 v5, v37, v33, v17 op_sel_hi:[0,1,0]
	s_waitcnt vmcnt(2) lgkmcnt(2)
	s_delay_alu instid0(VALU_DEP_1) | instskip(SKIP_1) | instid1(VALU_DEP_1)
	v_fma_mix_f32 v5, v38, v34, v5 op_sel_hi:[0,1,0]
	s_waitcnt vmcnt(1) lgkmcnt(1)
	v_fma_mix_f32 v5, v39, v35, v5 op_sel_hi:[0,1,0]
	s_waitcnt vmcnt(0) lgkmcnt(0)
	s_delay_alu instid0(VALU_DEP_1)
	v_fma_mix_f32 v17, v40, v36, v5 op_sel_hi:[0,1,0]
.LBB430_19:                             ;   in Loop: Header=BB430_21 Depth=1
	s_or_b32 exec_lo, exec_lo, s3
	s_waitcnt vmcnt(3) lgkmcnt(3)
	v_fma_mix_f32 v5, v25, v29, v18 op_sel_hi:[1,1,0]
	s_waitcnt vmcnt(2) lgkmcnt(2)
	s_delay_alu instid0(VALU_DEP_1) | instskip(SKIP_1) | instid1(VALU_DEP_1)
	v_fma_mix_f32 v5, v26, v30, v5 op_sel_hi:[1,1,0]
	s_waitcnt vmcnt(1) lgkmcnt(1)
	v_fma_mix_f32 v5, v27, v31, v5 op_sel_hi:[1,1,0]
	s_waitcnt vmcnt(0) lgkmcnt(0)
	s_delay_alu instid0(VALU_DEP_1)
	v_fma_mix_f32 v18, v28, v32, v5 op_sel_hi:[1,1,0]
.LBB430_20:                             ;   in Loop: Header=BB430_21 Depth=1
	s_or_b32 exec_lo, exec_lo, s25
	v_add_nc_u32_e32 v19, 64, v19
	v_add_nc_u32_e32 v20, s21, v20
	;; [unrolled: 1-line block ×5, first 2 shown]
	v_cmp_le_i32_e64 s3, s19, v19
	s_add_i32 s24, s24, s23
	s_delay_alu instid0(VALU_DEP_1) | instskip(NEXT) | instid1(SALU_CYCLE_1)
	s_or_b32 s22, s3, s22
	s_and_not1_b32 exec_lo, exec_lo, s22
	s_cbranch_execz .LBB430_26
.LBB430_21:                             ; =>This Inner Loop Header: Depth=1
	s_and_saveexec_b32 s25, vcc_lo
	s_cbranch_execz .LBB430_20
; %bb.22:                               ;   in Loop: Header=BB430_21 Depth=1
	v_add_nc_u32_e32 v5, s24, v24
	v_add_nc_u32_e32 v7, s24, v4
	;; [unrolled: 1-line block ×5, first 2 shown]
	v_ashrrev_i32_e32 v6, 31, v5
	v_ashrrev_i32_e32 v8, 31, v7
	;; [unrolled: 1-line block ×5, first 2 shown]
	v_lshlrev_b64 v[5:6], 1, v[5:6]
	v_lshlrev_b64 v[7:8], 1, v[7:8]
	;; [unrolled: 1-line block ×3, first 2 shown]
	s_delay_alu instid0(VALU_DEP_3) | instskip(NEXT) | instid1(VALU_DEP_1)
	v_add_co_u32 v27, s3, s12, v5
	v_add_co_ci_u32_e64 v28, s3, s13, v6, s3
	s_delay_alu instid0(VALU_DEP_4)
	v_add_co_u32 v29, s3, s12, v7
	v_add_nc_u32_e32 v7, s14, v20
	v_add_co_ci_u32_e64 v30, s3, s13, v8, s3
	v_lshlrev_b64 v[5:6], 1, v[11:12]
	v_add_co_u32 v31, s3, s12, v9
	v_add_nc_u32_e32 v11, s14, v2
	v_add_co_ci_u32_e64 v32, s3, s13, v10, s3
	v_lshlrev_b64 v[9:10], 1, v[25:26]
	v_ashrrev_i32_e32 v8, 31, v7
	v_add_nc_u32_e32 v25, s14, v3
	v_add_co_u32 v33, s3, s12, v5
	v_ashrrev_i32_e32 v12, 31, v11
	v_add_co_ci_u32_e64 v34, s3, s13, v6, s3
	v_lshlrev_b64 v[7:8], 1, v[7:8]
	v_add_co_u32 v5, s3, s6, v9
	v_ashrrev_i32_e32 v26, 31, v25
	v_add_co_ci_u32_e64 v6, s3, s7, v10, s3
	v_lshlrev_b64 v[9:10], 1, v[11:12]
	v_add_co_u32 v7, s3, s6, v7
	s_delay_alu instid0(VALU_DEP_4) | instskip(SKIP_1) | instid1(VALU_DEP_4)
	v_lshlrev_b64 v[11:12], 1, v[25:26]
	v_add_co_ci_u32_e64 v8, s3, s7, v8, s3
	v_add_co_u32 v9, s3, s6, v9
	s_delay_alu instid0(VALU_DEP_1) | instskip(NEXT) | instid1(VALU_DEP_4)
	v_add_co_ci_u32_e64 v10, s3, s7, v10, s3
	v_add_co_u32 v11, s3, s6, v11
	s_delay_alu instid0(VALU_DEP_1)
	v_add_co_ci_u32_e64 v12, s3, s7, v12, s3
	s_clause 0x3
	flat_load_u16 v25, v[27:28]
	flat_load_u16 v26, v[29:30]
	;; [unrolled: 1-line block ×4, first 2 shown]
	s_clause 0x3
	flat_load_u16 v29, v[5:6]
	flat_load_u16 v30, v[7:8]
	;; [unrolled: 1-line block ×4, first 2 shown]
	s_and_saveexec_b32 s3, s0
	s_cbranch_execz .LBB430_19
; %bb.23:                               ;   in Loop: Header=BB430_21 Depth=1
	s_clause 0x3
	flat_load_u16 v33, v[5:6] offset:64
	flat_load_u16 v34, v[7:8] offset:64
	;; [unrolled: 1-line block ×4, first 2 shown]
	s_waitcnt vmcnt(11) lgkmcnt(11)
	v_cvt_f32_f16_e32 v37, v25
	s_waitcnt vmcnt(10) lgkmcnt(10)
	v_cvt_f32_f16_e32 v38, v26
	;; [unrolled: 2-line block ×4, first 2 shown]
	s_and_saveexec_b32 s26, s1
	s_cbranch_execz .LBB430_18
; %bb.24:                               ;   in Loop: Header=BB430_21 Depth=1
	s_clause 0x3
	flat_load_u16 v41, v[5:6] offset:128
	flat_load_u16 v42, v[7:8] offset:128
	;; [unrolled: 1-line block ×4, first 2 shown]
	s_and_saveexec_b32 s27, s2
	s_cbranch_execz .LBB430_17
; %bb.25:                               ;   in Loop: Header=BB430_21 Depth=1
	s_clause 0x3
	flat_load_u16 v5, v[5:6] offset:192
	flat_load_u16 v6, v[7:8] offset:192
	;; [unrolled: 1-line block ×4, first 2 shown]
	s_waitcnt vmcnt(3) lgkmcnt(3)
	v_fma_mix_f32 v5, v37, v5, v14 op_sel_hi:[0,1,0]
	s_waitcnt vmcnt(2) lgkmcnt(2)
	s_delay_alu instid0(VALU_DEP_1) | instskip(SKIP_1) | instid1(VALU_DEP_1)
	v_fma_mix_f32 v5, v38, v6, v5 op_sel_hi:[0,1,0]
	s_waitcnt vmcnt(1) lgkmcnt(1)
	v_fma_mix_f32 v5, v39, v7, v5 op_sel_hi:[0,1,0]
	s_waitcnt vmcnt(0) lgkmcnt(0)
	s_delay_alu instid0(VALU_DEP_1)
	v_fma_mix_f32 v14, v40, v8, v5 op_sel_hi:[0,1,0]
	s_branch .LBB430_17
.LBB430_26:
	s_or_b32 exec_lo, exec_lo, s22
.LBB430_27:
	s_delay_alu instid0(SALU_CYCLE_1) | instskip(SKIP_1) | instid1(SALU_CYCLE_1)
	s_or_b32 exec_lo, exec_lo, s20
	s_sub_i32 s0, s5, s19
	s_cmp_lt_i32 s0, 1
	s_cbranch_scc1 .LBB430_45
; %bb.28:
	v_cmp_gt_i32_e32 vcc_lo, s5, v19
	v_dual_mov_b32 v10, 0 :: v_dual_mov_b32 v11, 0
	v_or_b32_e32 v2, 1, v19
	v_mov_b32_e32 v12, 0
	v_mov_b32_e32 v20, 0
	s_and_saveexec_b32 s1, vcc_lo
	s_cbranch_execz .LBB430_36
; %bb.29:
	s_waitcnt lgkmcnt(0)
	v_mul_lo_u32 v3, v19, s8
	v_dual_mov_b32 v12, 0 :: v_dual_mov_b32 v11, 0
	v_mov_b32_e32 v10, 0
	s_mov_b32 s2, exec_lo
	s_delay_alu instid0(VALU_DEP_3) | instskip(NEXT) | instid1(VALU_DEP_1)
	v_ashrrev_i32_e32 v4, 31, v3
	v_lshlrev_b64 v[3:4], 1, v[3:4]
	s_delay_alu instid0(VALU_DEP_1) | instskip(NEXT) | instid1(VALU_DEP_1)
	v_add_co_u32 v3, s0, s12, v3
	v_add_co_ci_u32_e64 v4, s0, s13, v4, s0
	flat_load_u16 v3, v[3:4]
	v_cmpx_gt_i32_e64 s5, v2
	s_cbranch_execz .LBB430_35
; %bb.30:
	v_mul_lo_u32 v4, v2, s8
	v_dual_mov_b32 v11, 0 :: v_dual_mov_b32 v10, 0
	s_mov_b32 s3, exec_lo
	s_delay_alu instid0(VALU_DEP_2) | instskip(NEXT) | instid1(VALU_DEP_1)
	v_ashrrev_i32_e32 v5, 31, v4
	v_lshlrev_b64 v[4:5], 1, v[4:5]
	s_delay_alu instid0(VALU_DEP_1) | instskip(NEXT) | instid1(VALU_DEP_1)
	v_add_co_u32 v4, s0, s12, v4
	v_add_co_ci_u32_e64 v5, s0, s13, v5, s0
	flat_load_u16 v4, v[4:5]
	v_or_b32_e32 v5, 2, v19
	s_delay_alu instid0(VALU_DEP_1)
	v_cmpx_gt_i32_e64 s5, v5
	s_cbranch_execz .LBB430_34
; %bb.31:
	v_mul_lo_u32 v5, v5, s8
	v_mov_b32_e32 v10, 0
	s_mov_b32 s19, exec_lo
	s_delay_alu instid0(VALU_DEP_2) | instskip(NEXT) | instid1(VALU_DEP_1)
	v_ashrrev_i32_e32 v6, 31, v5
	v_lshlrev_b64 v[5:6], 1, v[5:6]
	s_delay_alu instid0(VALU_DEP_1) | instskip(NEXT) | instid1(VALU_DEP_1)
	v_add_co_u32 v5, s0, s12, v5
	v_add_co_ci_u32_e64 v6, s0, s13, v6, s0
	flat_load_u16 v5, v[5:6]
	v_or_b32_e32 v6, 3, v19
	s_delay_alu instid0(VALU_DEP_1)
	v_cmpx_gt_i32_e64 s5, v6
	s_cbranch_execz .LBB430_33
; %bb.32:
	v_mul_lo_u32 v6, v6, s8
	s_delay_alu instid0(VALU_DEP_1) | instskip(NEXT) | instid1(VALU_DEP_1)
	v_ashrrev_i32_e32 v7, 31, v6
	v_lshlrev_b64 v[6:7], 1, v[6:7]
	s_delay_alu instid0(VALU_DEP_1) | instskip(NEXT) | instid1(VALU_DEP_1)
	v_add_co_u32 v6, s0, s12, v6
	v_add_co_ci_u32_e64 v7, s0, s13, v7, s0
	flat_load_u16 v6, v[6:7]
	s_waitcnt vmcnt(0) lgkmcnt(0)
	v_cvt_f32_f16_e32 v10, v6
.LBB430_33:
	s_or_b32 exec_lo, exec_lo, s19
	s_waitcnt vmcnt(0) lgkmcnt(0)
	v_cvt_f32_f16_e32 v11, v5
.LBB430_34:
	s_or_b32 exec_lo, exec_lo, s3
	s_waitcnt vmcnt(0) lgkmcnt(0)
	v_cvt_f32_f16_e32 v12, v4
.LBB430_35:
	s_or_b32 exec_lo, exec_lo, s2
	s_waitcnt vmcnt(0) lgkmcnt(0)
	v_cvt_f32_f16_e32 v20, v3
.LBB430_36:
	s_or_b32 exec_lo, exec_lo, s1
	s_delay_alu instid0(SALU_CYCLE_1)
	s_mov_b32 s1, exec_lo
	v_cmpx_gt_i32_e64 s4, v15
	s_cbranch_execz .LBB430_44
; %bb.37:
	s_waitcnt lgkmcnt(0)
	v_mul_lo_u32 v3, v19, s18
	v_or_b32_e32 v6, 3, v19
	v_or_b32_e32 v4, 2, v19
	v_mul_lo_u32 v5, v2, s18
	s_mov_b32 s0, exec_lo
	s_delay_alu instid0(VALU_DEP_3) | instskip(NEXT) | instid1(VALU_DEP_3)
	v_mul_lo_u32 v8, v6, s18
	v_mul_lo_u32 v7, v4, s18
	v_cndmask_b32_e32 v3, 0, v3, vcc_lo
	v_cmp_gt_i32_e32 vcc_lo, s5, v2
	v_cndmask_b32_e32 v5, 0, v5, vcc_lo
	v_cmp_gt_i32_e32 vcc_lo, s5, v4
	;; [unrolled: 2-line block ×3, first 2 shown]
	s_delay_alu instid0(VALU_DEP_2) | instskip(SKIP_3) | instid1(VALU_DEP_4)
	v_add_nc_u32_e32 v6, v7, v15
	v_cndmask_b32_e32 v8, 0, v8, vcc_lo
	v_add_nc_u32_e32 v2, v3, v15
	v_add_nc_u32_e32 v4, v5, v15
	v_ashrrev_i32_e32 v7, 31, v6
	s_delay_alu instid0(VALU_DEP_4) | instskip(NEXT) | instid1(VALU_DEP_4)
	v_add_nc_u32_e32 v8, v8, v15
	v_ashrrev_i32_e32 v3, 31, v2
	s_delay_alu instid0(VALU_DEP_4) | instskip(NEXT) | instid1(VALU_DEP_4)
	v_ashrrev_i32_e32 v5, 31, v4
	v_lshlrev_b64 v[6:7], 1, v[6:7]
	s_delay_alu instid0(VALU_DEP_4) | instskip(NEXT) | instid1(VALU_DEP_4)
	v_ashrrev_i32_e32 v9, 31, v8
	v_lshlrev_b64 v[2:3], 1, v[2:3]
	s_delay_alu instid0(VALU_DEP_4) | instskip(NEXT) | instid1(VALU_DEP_3)
	v_lshlrev_b64 v[4:5], 1, v[4:5]
	v_lshlrev_b64 v[8:9], 1, v[8:9]
	s_delay_alu instid0(VALU_DEP_3) | instskip(NEXT) | instid1(VALU_DEP_4)
	v_add_co_u32 v2, vcc_lo, s6, v2
	v_add_co_ci_u32_e32 v3, vcc_lo, s7, v3, vcc_lo
	s_delay_alu instid0(VALU_DEP_4)
	v_add_co_u32 v4, vcc_lo, s6, v4
	v_add_co_ci_u32_e32 v5, vcc_lo, s7, v5, vcc_lo
	flat_load_u16 v21, v[2:3]
	v_add_co_u32 v6, vcc_lo, s6, v6
	v_add_co_ci_u32_e32 v7, vcc_lo, s7, v7, vcc_lo
	s_clause 0x1
	flat_load_u16 v22, v[4:5]
	flat_load_u16 v23, v[6:7]
	v_add_co_u32 v8, vcc_lo, s6, v8
	v_add_co_ci_u32_e32 v9, vcc_lo, s7, v9, vcc_lo
	flat_load_u16 v19, v[8:9]
	s_waitcnt vmcnt(3) lgkmcnt(3)
	v_fma_mix_f32 v18, v20, v21, v18 op_sel_hi:[0,1,0]
	v_add_nc_u32_e32 v21, 32, v15
	s_waitcnt vmcnt(2) lgkmcnt(2)
	s_delay_alu instid0(VALU_DEP_2) | instskip(SKIP_1) | instid1(VALU_DEP_1)
	v_fma_mix_f32 v18, v12, v22, v18 op_sel_hi:[0,1,0]
	s_waitcnt vmcnt(1) lgkmcnt(1)
	v_fma_mix_f32 v18, v11, v23, v18 op_sel_hi:[0,1,0]
	v_cmpx_gt_i32_e64 s4, v21
	s_cbranch_execz .LBB430_43
; %bb.38:
	s_clause 0x3
	flat_load_u16 v22, v[2:3] offset:64
	flat_load_u16 v23, v[4:5] offset:64
	;; [unrolled: 1-line block ×4, first 2 shown]
	s_mov_b32 s2, exec_lo
	s_waitcnt vmcnt(3) lgkmcnt(3)
	v_fma_mix_f32 v17, v20, v22, v17 op_sel_hi:[0,1,0]
	v_add_nc_u32_e32 v22, 64, v15
	s_waitcnt vmcnt(2) lgkmcnt(2)
	s_delay_alu instid0(VALU_DEP_2) | instskip(SKIP_1) | instid1(VALU_DEP_1)
	v_fma_mix_f32 v17, v12, v23, v17 op_sel_hi:[0,1,0]
	s_waitcnt vmcnt(1) lgkmcnt(1)
	v_fma_mix_f32 v17, v11, v24, v17 op_sel_hi:[0,1,0]
	v_cmpx_gt_i32_e64 s4, v22
	s_cbranch_execz .LBB430_42
; %bb.39:
	s_clause 0x3
	flat_load_u16 v23, v[2:3] offset:128
	flat_load_u16 v24, v[4:5] offset:128
	;; [unrolled: 1-line block ×4, first 2 shown]
	s_mov_b32 s3, exec_lo
	s_waitcnt vmcnt(3) lgkmcnt(3)
	v_fma_mix_f32 v16, v20, v23, v16 op_sel_hi:[0,1,0]
	v_add_nc_u32_e32 v23, 0x60, v15
	s_waitcnt vmcnt(2) lgkmcnt(2)
	s_delay_alu instid0(VALU_DEP_2) | instskip(SKIP_1) | instid1(VALU_DEP_1)
	v_fma_mix_f32 v16, v12, v24, v16 op_sel_hi:[0,1,0]
	s_waitcnt vmcnt(1) lgkmcnt(1)
	v_fma_mix_f32 v15, v11, v25, v16 op_sel_hi:[0,1,0]
	v_cmpx_gt_i32_e64 s4, v23
	s_cbranch_execz .LBB430_41
; %bb.40:
	s_clause 0x3
	flat_load_u16 v2, v[2:3] offset:192
	flat_load_u16 v3, v[4:5] offset:192
	;; [unrolled: 1-line block ×4, first 2 shown]
	s_waitcnt vmcnt(3) lgkmcnt(3)
	v_fma_mix_f32 v2, v20, v2, v14 op_sel_hi:[0,1,0]
	s_waitcnt vmcnt(2) lgkmcnt(2)
	s_delay_alu instid0(VALU_DEP_1) | instskip(SKIP_1) | instid1(VALU_DEP_1)
	v_fma_mix_f32 v2, v12, v3, v2 op_sel_hi:[0,1,0]
	s_waitcnt vmcnt(1) lgkmcnt(1)
	v_fma_mix_f32 v2, v11, v4, v2 op_sel_hi:[0,1,0]
	s_waitcnt vmcnt(0) lgkmcnt(0)
	s_delay_alu instid0(VALU_DEP_1)
	v_fma_mix_f32 v14, v10, v5, v2 op_sel_hi:[0,1,0]
.LBB430_41:
	s_or_b32 exec_lo, exec_lo, s3
	s_waitcnt vmcnt(0) lgkmcnt(0)
	v_fma_mix_f32 v16, v10, v22, v15 op_sel_hi:[0,1,0]
.LBB430_42:
	s_or_b32 exec_lo, exec_lo, s2
	s_waitcnt vmcnt(0) lgkmcnt(0)
	v_fma_mix_f32 v17, v10, v21, v17 op_sel_hi:[0,1,0]
.LBB430_43:
	s_or_b32 exec_lo, exec_lo, s0
	s_waitcnt vmcnt(0) lgkmcnt(0)
	v_fma_mix_f32 v18, v10, v19, v18 op_sel_hi:[0,1,0]
.LBB430_44:
	s_or_b32 exec_lo, exec_lo, s1
.LBB430_45:
	v_lshlrev_b32_e32 v2, 7, v13
	s_mov_b32 s0, exec_lo
                                        ; implicit-def: $vgpr5
	s_delay_alu instid0(VALU_DEP_1)
	v_add_lshl_u32 v1, v2, v1, 2
                                        ; implicit-def: $vgpr2_vgpr3
	ds_store_2addr_b32 v1, v18, v17 offset1:32
	ds_store_2addr_b32 v1, v16, v14 offset0:64 offset1:96
	s_waitcnt lgkmcnt(0)
	s_barrier
	buffer_gl0_inv
	v_cmpx_gt_u32_e32 0x80, v0
	s_cbranch_execz .LBB430_51
; %bb.46:
	v_lshlrev_b32_e32 v7, 2, v0
	s_mov_b32 s2, s11
	s_mov_b32 s1, exec_lo
	ds_load_2addr_stride64_b32 v[1:2], v7 offset1:2
	ds_load_2addr_stride64_b32 v[3:4], v7 offset0:4 offset1:6
	ds_load_2addr_stride64_b32 v[5:6], v7 offset0:8 offset1:10
	s_waitcnt lgkmcnt(2)
	v_add_f32_e32 v8, v1, v2
	ds_load_2addr_stride64_b32 v[1:2], v7 offset0:12 offset1:14
	s_waitcnt lgkmcnt(2)
	v_add_f32_e32 v3, v3, v8
	s_delay_alu instid0(VALU_DEP_1) | instskip(SKIP_3) | instid1(VALU_DEP_1)
	v_add_f32_e32 v8, v4, v3
	ds_load_2addr_stride64_b32 v[3:4], v7 offset0:16 offset1:18
	s_waitcnt lgkmcnt(2)
	v_add_f32_e32 v5, v5, v8
	v_add_f32_e32 v8, v6, v5
	ds_load_2addr_stride64_b32 v[5:6], v7 offset0:20 offset1:22
	s_waitcnt lgkmcnt(2)
	v_add_f32_e32 v1, v1, v8
	s_delay_alu instid0(VALU_DEP_1) | instskip(SKIP_1) | instid1(VALU_DEP_1)
	v_add_f32_e32 v1, v2, v1
	s_waitcnt lgkmcnt(1)
	v_add_f32_e32 v3, v3, v1
	ds_load_2addr_stride64_b32 v[1:2], v7 offset0:24 offset1:26
	v_add_f32_e32 v3, v4, v3
	s_waitcnt lgkmcnt(1)
	s_delay_alu instid0(VALU_DEP_1) | instskip(SKIP_3) | instid1(VALU_DEP_1)
	v_add_f32_e32 v5, v5, v3
	ds_load_2addr_stride64_b32 v[3:4], v7 offset0:28 offset1:30
	v_add_f32_e32 v5, v6, v5
	s_waitcnt lgkmcnt(1)
	v_add_f32_e32 v1, v1, v5
                                        ; implicit-def: $vgpr5
	s_delay_alu instid0(VALU_DEP_1) | instskip(SKIP_1) | instid1(VALU_DEP_1)
	v_add_f32_e32 v1, v2, v1
	s_waitcnt lgkmcnt(0)
	v_add_f32_e32 v2, v3, v1
	v_or_b32_e32 v1, s14, v0
	s_delay_alu instid0(VALU_DEP_2)
	v_add_f32_e32 v0, v4, v2
                                        ; implicit-def: $vgpr2_vgpr3
	ds_store_b32 v7, v0
	v_cmpx_gt_i32_e64 s4, v1
	s_cbranch_execz .LBB430_50
; %bb.47:
	v_mul_lo_u32 v2, v1, s17
	v_cmp_eq_f32_e64 s2, s15, 0
	v_mul_f32_e32 v0, s16, v0
	s_delay_alu instid0(VALU_DEP_2) | instskip(NEXT) | instid1(VALU_DEP_3)
	s_and_b32 vcc_lo, exec_lo, s2
	v_ashrrev_i32_e32 v3, 31, v2
	s_cbranch_vccnz .LBB430_49
; %bb.48:
	s_delay_alu instid0(VALU_DEP_1) | instskip(NEXT) | instid1(VALU_DEP_1)
	v_lshlrev_b64 v[4:5], 1, v[2:3]
	v_add_co_u32 v4, vcc_lo, s9, v4
	s_delay_alu instid0(VALU_DEP_2)
	v_add_co_ci_u32_e32 v5, vcc_lo, s10, v5, vcc_lo
	global_load_u16 v1, v[4:5], off
	s_waitcnt vmcnt(0)
	v_fma_mix_f32 v0, s15, v1, v0 op_sel_hi:[0,1,0]
.LBB430_49:
	s_delay_alu instid0(VALU_DEP_1)
	v_cvt_f16_f32_e32 v5, v0
	s_or_b32 s2, s11, exec_lo
.LBB430_50:
	s_or_b32 exec_lo, exec_lo, s1
	s_delay_alu instid0(SALU_CYCLE_1) | instskip(SKIP_1) | instid1(SALU_CYCLE_1)
	s_and_not1_b32 s1, s11, exec_lo
	s_and_b32 s2, s2, exec_lo
	s_or_b32 s11, s1, s2
.LBB430_51:
	s_or_b32 exec_lo, exec_lo, s0
.LBB430_52:
	s_and_saveexec_b32 s0, s11
	s_cbranch_execz .LBB430_54
; %bb.53:
	v_lshlrev_b64 v[0:1], 1, v[2:3]
	s_delay_alu instid0(VALU_DEP_1) | instskip(NEXT) | instid1(VALU_DEP_2)
	v_add_co_u32 v0, vcc_lo, s9, v0
	v_add_co_ci_u32_e32 v1, vcc_lo, s10, v1, vcc_lo
	global_store_b16 v[0:1], v5, off
.LBB430_54:
	s_nop 0
	s_sendmsg sendmsg(MSG_DEALLOC_VGPRS)
	s_endpgm
	.section	.rodata,"a",@progbits
	.p2align	6, 0x0
	.amdhsa_kernel _ZL20rocblas_gemvn_kernelILi32ELi16EiPKDF16_PKfKPDF16_EviiT3_lPKT2_lT1_lS9_lSA_lS6_lPT4_lSA_li
		.amdhsa_group_segment_fixed_size 8192
		.amdhsa_private_segment_fixed_size 0
		.amdhsa_kernarg_size 400
		.amdhsa_user_sgpr_count 14
		.amdhsa_user_sgpr_dispatch_ptr 0
		.amdhsa_user_sgpr_queue_ptr 0
		.amdhsa_user_sgpr_kernarg_segment_ptr 1
		.amdhsa_user_sgpr_dispatch_id 0
		.amdhsa_user_sgpr_private_segment_size 0
		.amdhsa_wavefront_size32 1
		.amdhsa_uses_dynamic_stack 0
		.amdhsa_enable_private_segment 0
		.amdhsa_system_sgpr_workgroup_id_x 1
		.amdhsa_system_sgpr_workgroup_id_y 0
		.amdhsa_system_sgpr_workgroup_id_z 1
		.amdhsa_system_sgpr_workgroup_info 0
		.amdhsa_system_vgpr_workitem_id 1
		.amdhsa_next_free_vgpr 45
		.amdhsa_next_free_sgpr 28
		.amdhsa_reserve_vcc 1
		.amdhsa_float_round_mode_32 0
		.amdhsa_float_round_mode_16_64 0
		.amdhsa_float_denorm_mode_32 3
		.amdhsa_float_denorm_mode_16_64 3
		.amdhsa_dx10_clamp 1
		.amdhsa_ieee_mode 1
		.amdhsa_fp16_overflow 0
		.amdhsa_workgroup_processor_mode 1
		.amdhsa_memory_ordered 1
		.amdhsa_forward_progress 0
		.amdhsa_shared_vgpr_count 0
		.amdhsa_exception_fp_ieee_invalid_op 0
		.amdhsa_exception_fp_denorm_src 0
		.amdhsa_exception_fp_ieee_div_zero 0
		.amdhsa_exception_fp_ieee_overflow 0
		.amdhsa_exception_fp_ieee_underflow 0
		.amdhsa_exception_fp_ieee_inexact 0
		.amdhsa_exception_int_div_zero 0
	.end_amdhsa_kernel
	.section	.text._ZL20rocblas_gemvn_kernelILi32ELi16EiPKDF16_PKfKPDF16_EviiT3_lPKT2_lT1_lS9_lSA_lS6_lPT4_lSA_li,"axG",@progbits,_ZL20rocblas_gemvn_kernelILi32ELi16EiPKDF16_PKfKPDF16_EviiT3_lPKT2_lT1_lS9_lSA_lS6_lPT4_lSA_li,comdat
.Lfunc_end430:
	.size	_ZL20rocblas_gemvn_kernelILi32ELi16EiPKDF16_PKfKPDF16_EviiT3_lPKT2_lT1_lS9_lSA_lS6_lPT4_lSA_li, .Lfunc_end430-_ZL20rocblas_gemvn_kernelILi32ELi16EiPKDF16_PKfKPDF16_EviiT3_lPKT2_lT1_lS9_lSA_lS6_lPT4_lSA_li
                                        ; -- End function
	.section	.AMDGPU.csdata,"",@progbits
; Kernel info:
; codeLenInByte = 3244
; NumSgprs: 30
; NumVgprs: 45
; ScratchSize: 0
; MemoryBound: 0
; FloatMode: 240
; IeeeMode: 1
; LDSByteSize: 8192 bytes/workgroup (compile time only)
; SGPRBlocks: 3
; VGPRBlocks: 5
; NumSGPRsForWavesPerEU: 30
; NumVGPRsForWavesPerEU: 45
; Occupancy: 16
; WaveLimiterHint : 1
; COMPUTE_PGM_RSRC2:SCRATCH_EN: 0
; COMPUTE_PGM_RSRC2:USER_SGPR: 14
; COMPUTE_PGM_RSRC2:TRAP_HANDLER: 0
; COMPUTE_PGM_RSRC2:TGID_X_EN: 1
; COMPUTE_PGM_RSRC2:TGID_Y_EN: 0
; COMPUTE_PGM_RSRC2:TGID_Z_EN: 1
; COMPUTE_PGM_RSRC2:TIDIG_COMP_CNT: 1
	.section	.text._ZL20rocblas_gemvn_kernelILi32ELi16ElPKDF16_PKfKPDF16_EviiT3_lPKT2_lT1_lS9_lSA_lS6_lPT4_lSA_li,"axG",@progbits,_ZL20rocblas_gemvn_kernelILi32ELi16ElPKDF16_PKfKPDF16_EviiT3_lPKT2_lT1_lS9_lSA_lS6_lPT4_lSA_li,comdat
	.globl	_ZL20rocblas_gemvn_kernelILi32ELi16ElPKDF16_PKfKPDF16_EviiT3_lPKT2_lT1_lS9_lSA_lS6_lPT4_lSA_li ; -- Begin function _ZL20rocblas_gemvn_kernelILi32ELi16ElPKDF16_PKfKPDF16_EviiT3_lPKT2_lT1_lS9_lSA_lS6_lPT4_lSA_li
	.p2align	8
	.type	_ZL20rocblas_gemvn_kernelILi32ELi16ElPKDF16_PKfKPDF16_EviiT3_lPKT2_lT1_lS9_lSA_lS6_lPT4_lSA_li,@function
_ZL20rocblas_gemvn_kernelILi32ELi16ElPKDF16_PKfKPDF16_EviiT3_lPKT2_lT1_lS9_lSA_lS6_lPT4_lSA_li: ; @_ZL20rocblas_gemvn_kernelILi32ELi16ElPKDF16_PKfKPDF16_EviiT3_lPKT2_lT1_lS9_lSA_lS6_lPT4_lSA_li
; %bb.0:
	s_load_b64 s[4:5], s[0:1], 0x9c
	s_waitcnt lgkmcnt(0)
	s_lshr_b32 s3, s4, 16
	s_and_b32 s4, s4, 0xffff
	s_and_b32 s5, s5, 0xffff
	s_mul_i32 s3, s3, s4
	s_delay_alu instid0(SALU_CYCLE_1) | instskip(NEXT) | instid1(SALU_CYCLE_1)
	s_mul_i32 s3, s3, s5
	s_cmpk_lg_i32 s3, 0x200
	s_cbranch_scc1 .LBB431_54
; %bb.1:
	s_clause 0x1
	s_load_b256 s[16:23], s[0:1], 0x8
	s_load_b256 s[4:11], s[0:1], 0x58
	s_mov_b32 s2, s15
	s_waitcnt lgkmcnt(0)
	s_mul_i32 s3, s15, s19
	s_mul_hi_u32 s13, s15, s18
	s_mul_i32 s12, s15, s18
	s_add_i32 s13, s13, s3
	s_mul_i32 s3, s15, s7
	s_lshl_b64 s[12:13], s[12:13], 2
	s_mul_hi_u32 s7, s15, s6
	s_add_u32 s12, s16, s12
	s_addc_u32 s13, s17, s13
	s_add_i32 s7, s7, s3
	s_mul_i32 s6, s15, s6
	s_delay_alu instid0(SALU_CYCLE_1) | instskip(NEXT) | instid1(SALU_CYCLE_1)
	s_lshl_b64 s[6:7], s[6:7], 2
	s_add_u32 s4, s4, s6
	s_addc_u32 s5, s5, s7
	s_load_b32 s27, s[12:13], 0x0
	s_load_b32 s26, s[4:5], 0x0
	s_waitcnt lgkmcnt(0)
	v_cmp_eq_f32_e64 s15, s27, 0
	v_cmp_eq_f32_e64 s3, s26, 1.0
	s_delay_alu instid0(VALU_DEP_1) | instskip(NEXT) | instid1(SALU_CYCLE_1)
	s_and_b32 s3, s15, s3
	s_and_b32 vcc_lo, exec_lo, s3
	s_mov_b32 s3, 0
	s_cbranch_vccnz .LBB431_54
; %bb.2:
	s_clause 0x1
	s_load_b64 s[16:17], s[0:1], 0x28
	s_load_b64 s[12:13], s[0:1], 0x78
	v_cmp_neq_f32_e64 s28, s27, 0
	s_mov_b64 s[24:25], 0
	s_and_b32 vcc_lo, exec_lo, s15
	s_mov_b64 s[18:19], 0
	s_cbranch_vccnz .LBB431_4
; %bb.3:
	s_lshl_b64 s[4:5], s[2:3], 3
	s_delay_alu instid0(SALU_CYCLE_1)
	s_add_u32 s4, s20, s4
	s_addc_u32 s5, s21, s5
	s_lshl_b64 s[6:7], s[22:23], 1
	s_load_b64 s[4:5], s[4:5], 0x0
	s_waitcnt lgkmcnt(0)
	s_add_u32 s18, s4, s6
	s_addc_u32 s19, s5, s7
.LBB431_4:
	s_clause 0x1
	s_load_b128 s[4:7], s[0:1], 0x38
	s_load_b64 s[20:21], s[0:1], 0x48
	s_and_not1_b32 vcc_lo, exec_lo, s28
	s_cbranch_vccnz .LBB431_6
; %bb.5:
	s_lshl_b64 s[22:23], s[2:3], 3
	s_waitcnt lgkmcnt(0)
	s_add_u32 s4, s4, s22
	s_addc_u32 s5, s5, s23
	s_lshl_b64 s[6:7], s[6:7], 1
	s_load_b64 s[4:5], s[4:5], 0x0
	s_waitcnt lgkmcnt(0)
	s_add_u32 s24, s4, s6
	s_addc_u32 s25, s5, s7
.LBB431_6:
	s_lshl_b64 s[2:3], s[2:3], 3
	v_and_b32_e32 v20, 0x3ff, v0
	s_add_u32 s2, s8, s2
	s_addc_u32 s3, s9, s3
	v_bfe_u32 v21, v0, 10, 10
	s_load_b64 s[2:3], s[2:3], 0x0
	s_waitcnt lgkmcnt(0)
	s_load_b64 s[6:7], s[0:1], 0x0
	s_lshl_b64 s[8:9], s[10:11], 1
	v_lshl_add_u32 v19, v21, 5, v20
	s_delay_alu instid0(VALU_DEP_1)
	v_cmp_gt_u32_e64 s0, 0x80, v19
	s_add_u32 s5, s2, s8
	s_addc_u32 s22, s3, s9
	s_and_not1_b32 vcc_lo, exec_lo, s15
	s_cbranch_vccnz .LBB431_11
; %bb.7:
	s_mov_b32 s1, 0
	s_mov_b32 s23, 0
                                        ; implicit-def: $vgpr3
                                        ; implicit-def: $vgpr0_vgpr1
	s_and_saveexec_b32 s2, s0
	s_cbranch_execz .LBB431_12
; %bb.8:
	v_lshl_or_b32 v2, s14, 7, v19
	v_mov_b32_e32 v3, 0
	s_waitcnt lgkmcnt(0)
	s_ashr_i32 s9, s6, 31
	s_mov_b32 s8, s6
	s_mov_b32 s3, 0
                                        ; implicit-def: $vgpr0_vgpr1
	v_cmp_gt_i64_e32 vcc_lo, s[8:9], v[2:3]
                                        ; implicit-def: $vgpr3
	s_and_saveexec_b32 s0, vcc_lo
	s_cbranch_execz .LBB431_14
; %bb.9:
	v_mad_u64_u32 v[0:1], null, v2, s12, 0
	v_cmp_eq_f32_e64 s3, s26, 0
	s_delay_alu instid0(VALU_DEP_1) | instskip(NEXT) | instid1(VALU_DEP_2)
	s_and_b32 vcc_lo, exec_lo, s3
	v_mad_u64_u32 v[3:4], null, v2, s13, v[1:2]
	s_delay_alu instid0(VALU_DEP_1)
	v_mov_b32_e32 v1, v3
	s_cbranch_vccnz .LBB431_13
; %bb.10:
	s_delay_alu instid0(VALU_DEP_1) | instskip(SKIP_1) | instid1(VALU_DEP_1)
	v_lshlrev_b64 v[2:3], 1, v[0:1]
	s_mov_b32 s3, exec_lo
	v_add_co_u32 v2, vcc_lo, s5, v2
	s_delay_alu instid0(VALU_DEP_2)
	v_add_co_ci_u32_e32 v3, vcc_lo, s22, v3, vcc_lo
	global_load_u16 v2, v[2:3], off
	s_waitcnt vmcnt(0)
	v_fma_mixlo_f16 v3, s26, v2, 0 op_sel_hi:[0,1,0]
	s_branch .LBB431_14
.LBB431_11:
	s_mov_b32 s23, 0
                                        ; implicit-def: $vgpr3
                                        ; implicit-def: $vgpr0_vgpr1
	s_cbranch_execnz .LBB431_15
	s_branch .LBB431_52
.LBB431_12:
	s_or_b32 exec_lo, exec_lo, s2
	s_delay_alu instid0(SALU_CYCLE_1)
	s_and_b32 vcc_lo, exec_lo, s1
	s_cbranch_vccnz .LBB431_15
	s_branch .LBB431_52
.LBB431_13:
	v_mov_b32_e32 v3, 0
	s_mov_b32 s3, exec_lo
.LBB431_14:
	s_or_b32 exec_lo, exec_lo, s0
	s_delay_alu instid0(SALU_CYCLE_1) | instskip(SKIP_1) | instid1(SALU_CYCLE_1)
	s_and_b32 s23, s3, exec_lo
	s_or_b32 exec_lo, exec_lo, s2
	s_and_b32 vcc_lo, exec_lo, s1
	s_cbranch_vccz .LBB431_52
.LBB431_15:
	s_waitcnt lgkmcnt(0)
	s_ashr_i32 s0, s7, 31
	s_lshl_b32 s28, s14, 7
	s_lshr_b32 s0, s0, 26
	v_dual_mov_b32 v26, 0 :: v_dual_lshlrev_b32 v23, 2, v21
	v_dual_mov_b32 v25, 0 :: v_dual_add_nc_u32 v0, s28, v20
	v_mov_b32_e32 v24, 0
	v_mov_b32_e32 v22, 0
	s_add_i32 s29, s7, s0
	s_mov_b32 s30, exec_lo
	s_and_not1_b32 s29, s29, 63
	s_delay_alu instid0(SALU_CYCLE_1)
	v_cmpx_gt_i32_e64 s29, v23
	s_cbranch_execz .LBB431_27
; %bb.16:
	v_lshlrev_b32_e32 v22, 2, v21
	v_mad_u64_u32 v[5:6], null, s20, v21, 0
	v_add_nc_u32_e32 v10, 0x60, v0
	v_mad_u64_u32 v[7:8], null, s16, v21, 0
	s_delay_alu instid0(VALU_DEP_4) | instskip(SKIP_1) | instid1(VALU_DEP_4)
	v_or_b32_e32 v29, 3, v22
	v_or_b32_e32 v31, 2, v22
	v_cmp_gt_i32_e64 s2, s6, v10
	v_ashrrev_i32_e32 v1, 31, v0
	v_cmp_gt_i32_e32 vcc_lo, s6, v0
	v_mad_u64_u32 v[3:4], null, s16, v29, 0
	v_mad_u64_u32 v[16:17], null, s20, v29, 0
	v_add_nc_u32_e32 v2, 32, v0
	v_add_nc_u32_e32 v9, 64, v0
	v_mad_u64_u32 v[14:15], null, s16, v31, 0
	v_mad_u64_u32 v[35:36], null, s20, v31, 0
	s_delay_alu instid0(VALU_DEP_4)
	v_cmp_gt_i32_e64 s0, s6, v2
	v_mov_b32_e32 v2, v4
	v_mov_b32_e32 v4, v6
	v_cmp_gt_i32_e64 s1, s6, v9
	v_mov_b32_e32 v6, v8
	s_lshl_b64 s[8:9], s[16:17], 7
	v_mad_u64_u32 v[9:10], null, s17, v29, v[2:3]
	v_mad_u64_u32 v[10:11], null, s21, v21, v[4:5]
	s_delay_alu instid0(VALU_DEP_3) | instskip(SKIP_2) | instid1(VALU_DEP_4)
	v_mad_u64_u32 v[11:12], null, s17, v21, v[6:7]
	v_lshlrev_b64 v[1:2], 1, v[0:1]
	s_lshl_b64 s[10:11], s[20:21], 7
	v_mov_b32_e32 v4, v9
	s_mov_b32 s31, 0
	s_delay_alu instid0(VALU_DEP_4) | instskip(SKIP_1) | instid1(VALU_DEP_4)
	v_mov_b32_e32 v6, v10
	s_mov_b64 s[14:15], s[24:25]
	v_mov_b32_e32 v8, v11
	v_lshlrev_b64 v[9:10], 1, v[3:4]
	s_delay_alu instid0(VALU_DEP_3) | instskip(SKIP_2) | instid1(VALU_DEP_4)
	v_lshlrev_b64 v[3:4], 3, v[5:6]
	v_mov_b32_e32 v5, v15
	v_mad_u64_u32 v[12:13], null, s20, v22, s[20:21]
	v_add_co_u32 v27, s3, s18, v9
	s_delay_alu instid0(VALU_DEP_1) | instskip(SKIP_1) | instid1(VALU_DEP_4)
	v_add_co_ci_u32_e64 v28, s3, s19, v10, s3
	v_mad_u64_u32 v[9:10], null, s16, v22, s[16:17]
	v_mov_b32_e32 v6, v13
	v_lshlrev_b64 v[7:8], 3, v[7:8]
	s_delay_alu instid0(VALU_DEP_2) | instskip(SKIP_1) | instid1(VALU_DEP_3)
	v_mad_u64_u32 v[24:25], null, s17, v31, v[5:6]
	v_mov_b32_e32 v5, v17
	v_mad_u64_u32 v[17:18], null, s21, v22, v[6:7]
	s_delay_alu instid0(VALU_DEP_2) | instskip(SKIP_2) | instid1(VALU_DEP_4)
	v_mad_u64_u32 v[25:26], null, s21, v29, v[5:6]
	v_mov_b32_e32 v5, v10
	v_mov_b32_e32 v15, v24
	;; [unrolled: 1-line block ×3, first 2 shown]
	v_add_co_u32 v29, s3, s18, v7
	s_delay_alu instid0(VALU_DEP_4) | instskip(SKIP_4) | instid1(VALU_DEP_4)
	v_mad_u64_u32 v[10:11], null, s17, v22, v[5:6]
	v_mov_b32_e32 v5, v36
	v_mov_b32_e32 v17, v25
	v_lshlrev_b64 v[14:15], 1, v[14:15]
	v_add_co_ci_u32_e64 v30, s3, s19, v8, s3
	v_mad_u64_u32 v[24:25], null, s21, v31, v[5:6]
	v_mov_b32_e32 v25, 0
	v_lshlrev_b64 v[9:10], 1, v[9:10]
	v_add_co_u32 v31, s3, s18, v14
	s_delay_alu instid0(VALU_DEP_1) | instskip(SKIP_1) | instid1(VALU_DEP_4)
	v_add_co_ci_u32_e64 v32, s3, s19, v15, s3
	v_mov_b32_e32 v36, v24
	v_add_co_u32 v33, s3, s18, v9
	v_lshlrev_b64 v[5:6], 1, v[12:13]
	v_lshlrev_b64 v[7:8], 1, v[16:17]
	v_add_co_ci_u32_e64 v34, s3, s19, v10, s3
	v_lshlrev_b64 v[9:10], 1, v[35:36]
	v_mov_b32_e32 v26, 0
	v_mov_b32_e32 v24, 0
	;; [unrolled: 1-line block ×3, first 2 shown]
	s_branch .LBB431_21
.LBB431_17:                             ;   in Loop: Header=BB431_21 Depth=1
	s_or_b32 exec_lo, exec_lo, s34
	s_waitcnt vmcnt(3) lgkmcnt(3)
	v_fma_mix_f32 v11, v47, v51, v24 op_sel_hi:[0,1,0]
	s_waitcnt vmcnt(2) lgkmcnt(2)
	s_delay_alu instid0(VALU_DEP_1) | instskip(SKIP_1) | instid1(VALU_DEP_1)
	v_fma_mix_f32 v11, v48, v52, v11 op_sel_hi:[0,1,0]
	s_waitcnt vmcnt(1) lgkmcnt(1)
	v_fma_mix_f32 v11, v49, v53, v11 op_sel_hi:[0,1,0]
	s_waitcnt vmcnt(0) lgkmcnt(0)
	s_delay_alu instid0(VALU_DEP_1)
	v_fma_mix_f32 v24, v50, v54, v11 op_sel_hi:[0,1,0]
.LBB431_18:                             ;   in Loop: Header=BB431_21 Depth=1
	s_or_b32 exec_lo, exec_lo, s33
	s_waitcnt vmcnt(3) lgkmcnt(3)
	v_fma_mix_f32 v11, v47, v43, v25 op_sel_hi:[0,1,0]
	s_waitcnt vmcnt(2) lgkmcnt(2)
	s_delay_alu instid0(VALU_DEP_1) | instskip(SKIP_1) | instid1(VALU_DEP_1)
	v_fma_mix_f32 v11, v48, v44, v11 op_sel_hi:[0,1,0]
	s_waitcnt vmcnt(1) lgkmcnt(1)
	v_fma_mix_f32 v11, v49, v45, v11 op_sel_hi:[0,1,0]
	s_waitcnt vmcnt(0) lgkmcnt(0)
	s_delay_alu instid0(VALU_DEP_1)
	v_fma_mix_f32 v25, v50, v46, v11 op_sel_hi:[0,1,0]
.LBB431_19:                             ;   in Loop: Header=BB431_21 Depth=1
	s_or_b32 exec_lo, exec_lo, s3
	s_waitcnt vmcnt(3) lgkmcnt(3)
	v_fma_mix_f32 v11, v35, v39, v26 op_sel_hi:[1,1,0]
	s_waitcnt vmcnt(2) lgkmcnt(2)
	s_delay_alu instid0(VALU_DEP_1) | instskip(SKIP_1) | instid1(VALU_DEP_1)
	v_fma_mix_f32 v11, v36, v40, v11 op_sel_hi:[1,1,0]
	s_waitcnt vmcnt(1) lgkmcnt(1)
	v_fma_mix_f32 v11, v37, v41, v11 op_sel_hi:[1,1,0]
	s_waitcnt vmcnt(0) lgkmcnt(0)
	s_delay_alu instid0(VALU_DEP_1)
	v_fma_mix_f32 v26, v38, v42, v11 op_sel_hi:[1,1,0]
.LBB431_20:                             ;   in Loop: Header=BB431_21 Depth=1
	s_or_b32 exec_lo, exec_lo, s4
	v_add_co_u32 v27, s3, v27, s8
	s_delay_alu instid0(VALU_DEP_1) | instskip(SKIP_4) | instid1(VALU_DEP_1)
	v_add_co_ci_u32_e64 v28, s3, s9, v28, s3
	v_add_co_u32 v29, s3, v29, s8
	v_add_nc_u32_e32 v23, 64, v23
	v_add_co_ci_u32_e64 v30, s3, s9, v30, s3
	v_add_co_u32 v31, s3, v31, s8
	v_add_co_ci_u32_e64 v32, s3, s9, v32, s3
	s_delay_alu instid0(VALU_DEP_4) | instskip(SKIP_1) | instid1(VALU_DEP_1)
	v_cmp_le_i32_e64 s3, s29, v23
	v_add_co_u32 v33, s4, v33, s8
	v_add_co_ci_u32_e64 v34, s4, s9, v34, s4
	s_add_u32 s14, s14, s10
	s_addc_u32 s15, s15, s11
	s_or_b32 s31, s3, s31
	s_delay_alu instid0(SALU_CYCLE_1)
	s_and_not1_b32 exec_lo, exec_lo, s31
	s_cbranch_execz .LBB431_26
.LBB431_21:                             ; =>This Inner Loop Header: Depth=1
	s_and_saveexec_b32 s4, vcc_lo
	s_cbranch_execz .LBB431_20
; %bb.22:                               ;   in Loop: Header=BB431_21 Depth=1
	v_add_co_u32 v35, s3, s14, v3
	s_delay_alu instid0(VALU_DEP_1) | instskip(SKIP_1) | instid1(VALU_DEP_1)
	v_add_co_ci_u32_e64 v36, s3, s15, v4, s3
	v_add_co_u32 v37, s3, s14, v5
	v_add_co_ci_u32_e64 v38, s3, s15, v6, s3
	v_add_co_u32 v39, s3, s14, v9
	s_delay_alu instid0(VALU_DEP_1) | instskip(SKIP_1) | instid1(VALU_DEP_1)
	v_add_co_ci_u32_e64 v40, s3, s15, v10, s3
	v_add_co_u32 v41, s3, s14, v7
	v_add_co_ci_u32_e64 v42, s3, s15, v8, s3
	;; [unrolled: 5-line block ×4, first 2 shown]
	s_clause 0x3
	flat_load_u16 v35, v[35:36]
	flat_load_u16 v36, v[37:38]
	;; [unrolled: 1-line block ×8, first 2 shown]
	s_and_saveexec_b32 s3, s0
	s_cbranch_execz .LBB431_19
; %bb.23:                               ;   in Loop: Header=BB431_21 Depth=1
	flat_load_u16 v43, v[11:12] offset:64
	flat_load_u16 v44, v[13:14] offset:64
	;; [unrolled: 1-line block ×4, first 2 shown]
	s_waitcnt vmcnt(11) lgkmcnt(11)
	v_cvt_f32_f16_e32 v47, v35
	s_waitcnt vmcnt(10) lgkmcnt(10)
	v_cvt_f32_f16_e32 v48, v36
	;; [unrolled: 2-line block ×4, first 2 shown]
	s_and_saveexec_b32 s33, s1
	s_cbranch_execz .LBB431_18
; %bb.24:                               ;   in Loop: Header=BB431_21 Depth=1
	flat_load_u16 v51, v[11:12] offset:128
	flat_load_u16 v52, v[13:14] offset:128
	;; [unrolled: 1-line block ×4, first 2 shown]
	s_and_saveexec_b32 s34, s2
	s_cbranch_execz .LBB431_17
; %bb.25:                               ;   in Loop: Header=BB431_21 Depth=1
	flat_load_u16 v11, v[11:12] offset:192
	flat_load_u16 v12, v[13:14] offset:192
	;; [unrolled: 1-line block ×4, first 2 shown]
	s_waitcnt vmcnt(3) lgkmcnt(3)
	v_fma_mix_f32 v11, v47, v11, v22 op_sel_hi:[0,1,0]
	s_waitcnt vmcnt(2) lgkmcnt(2)
	s_delay_alu instid0(VALU_DEP_1) | instskip(SKIP_1) | instid1(VALU_DEP_1)
	v_fma_mix_f32 v11, v48, v12, v11 op_sel_hi:[0,1,0]
	s_waitcnt vmcnt(1) lgkmcnt(1)
	v_fma_mix_f32 v11, v49, v13, v11 op_sel_hi:[0,1,0]
	s_waitcnt vmcnt(0) lgkmcnt(0)
	s_delay_alu instid0(VALU_DEP_1)
	v_fma_mix_f32 v22, v50, v14, v11 op_sel_hi:[0,1,0]
	s_branch .LBB431_17
.LBB431_26:
	s_or_b32 exec_lo, exec_lo, s31
.LBB431_27:
	s_delay_alu instid0(SALU_CYCLE_1) | instskip(SKIP_1) | instid1(SALU_CYCLE_1)
	s_or_b32 exec_lo, exec_lo, s30
	s_sub_i32 s0, s7, s29
	s_cmp_lt_i32 s0, 1
	s_cbranch_scc1 .LBB431_45
; %bb.28:
	v_cmp_gt_i32_e32 vcc_lo, s7, v23
	v_dual_mov_b32 v9, 0 :: v_dual_mov_b32 v10, 0
	v_or_b32_e32 v2, 1, v23
	v_dual_mov_b32 v11, 0 :: v_dual_mov_b32 v12, 0
	s_and_saveexec_b32 s1, vcc_lo
	s_cbranch_execz .LBB431_36
; %bb.29:
	v_mad_u64_u32 v[3:4], null, v23, s20, 0
	v_mov_b32_e32 v11, 0
	v_mov_b32_e32 v9, 0
	s_mov_b32 s2, exec_lo
	s_delay_alu instid0(VALU_DEP_3) | instskip(NEXT) | instid1(VALU_DEP_1)
	v_dual_mov_b32 v10, 0 :: v_dual_mov_b32 v1, v4
	v_mad_u64_u32 v[4:5], null, v23, s21, v[1:2]
	s_delay_alu instid0(VALU_DEP_1) | instskip(NEXT) | instid1(VALU_DEP_1)
	v_lshlrev_b64 v[3:4], 1, v[3:4]
	v_add_co_u32 v3, s0, s24, v3
	s_delay_alu instid0(VALU_DEP_1)
	v_add_co_ci_u32_e64 v4, s0, s25, v4, s0
	flat_load_u16 v1, v[3:4]
	v_cmpx_gt_i32_e64 s7, v2
	s_cbranch_execz .LBB431_35
; %bb.30:
	v_mad_u64_u32 v[3:4], null, v2, s20, 0
	v_mov_b32_e32 v10, 0
	s_mov_b32 s3, exec_lo
	v_mov_b32_e32 v9, 0
	s_delay_alu instid0(VALU_DEP_3) | instskip(NEXT) | instid1(VALU_DEP_1)
	v_mad_u64_u32 v[5:6], null, v2, s21, v[4:5]
	v_mov_b32_e32 v4, v5
	s_delay_alu instid0(VALU_DEP_1) | instskip(NEXT) | instid1(VALU_DEP_1)
	v_lshlrev_b64 v[3:4], 1, v[3:4]
	v_add_co_u32 v3, s0, s24, v3
	s_delay_alu instid0(VALU_DEP_1) | instskip(SKIP_2) | instid1(VALU_DEP_1)
	v_add_co_ci_u32_e64 v4, s0, s25, v4, s0
	flat_load_u16 v3, v[3:4]
	v_or_b32_e32 v4, 2, v23
	v_cmpx_gt_i32_e64 s7, v4
	s_cbranch_execz .LBB431_34
; %bb.31:
	v_mad_u64_u32 v[5:6], null, v4, s20, 0
	s_mov_b32 s4, exec_lo
	v_mov_b32_e32 v9, 0
	s_delay_alu instid0(VALU_DEP_2) | instskip(NEXT) | instid1(VALU_DEP_1)
	v_mad_u64_u32 v[7:8], null, v4, s21, v[6:7]
	v_mov_b32_e32 v6, v7
	s_delay_alu instid0(VALU_DEP_1) | instskip(NEXT) | instid1(VALU_DEP_1)
	v_lshlrev_b64 v[4:5], 1, v[5:6]
	v_add_co_u32 v4, s0, s24, v4
	s_delay_alu instid0(VALU_DEP_1) | instskip(SKIP_2) | instid1(VALU_DEP_1)
	v_add_co_ci_u32_e64 v5, s0, s25, v5, s0
	flat_load_u16 v4, v[4:5]
	v_or_b32_e32 v5, 3, v23
	v_cmpx_gt_i32_e64 s7, v5
	s_cbranch_execz .LBB431_33
; %bb.32:
	v_mad_u64_u32 v[6:7], null, v5, s20, 0
	s_delay_alu instid0(VALU_DEP_1) | instskip(NEXT) | instid1(VALU_DEP_1)
	v_mad_u64_u32 v[8:9], null, v5, s21, v[7:8]
	v_mov_b32_e32 v7, v8
	s_delay_alu instid0(VALU_DEP_1) | instskip(NEXT) | instid1(VALU_DEP_1)
	v_lshlrev_b64 v[5:6], 1, v[6:7]
	v_add_co_u32 v5, s0, s24, v5
	s_delay_alu instid0(VALU_DEP_1)
	v_add_co_ci_u32_e64 v6, s0, s25, v6, s0
	flat_load_u16 v5, v[5:6]
	s_waitcnt vmcnt(0) lgkmcnt(0)
	v_cvt_f32_f16_e32 v9, v5
.LBB431_33:
	s_or_b32 exec_lo, exec_lo, s4
	s_waitcnt vmcnt(0) lgkmcnt(0)
	v_cvt_f32_f16_e32 v10, v4
.LBB431_34:
	s_or_b32 exec_lo, exec_lo, s3
	s_waitcnt vmcnt(0) lgkmcnt(0)
	v_cvt_f32_f16_e32 v11, v3
.LBB431_35:
	s_or_b32 exec_lo, exec_lo, s2
	s_waitcnt vmcnt(0) lgkmcnt(0)
	v_cvt_f32_f16_e32 v12, v1
.LBB431_36:
	s_or_b32 exec_lo, exec_lo, s1
	s_delay_alu instid0(SALU_CYCLE_1)
	s_mov_b32 s1, exec_lo
	v_cmpx_gt_i32_e64 s6, v0
	s_cbranch_execz .LBB431_44
; %bb.37:
	v_mad_u64_u32 v[3:4], null, v23, s16, 0
	v_mad_u64_u32 v[5:6], null, v2, s16, 0
	v_or_b32_e32 v29, 2, v23
	v_ashrrev_i32_e32 v1, 31, v0
	v_or_b32_e32 v30, 3, v23
	v_cndmask_b32_e32 v3, 0, v3, vcc_lo
	s_delay_alu instid0(VALU_DEP_4)
	v_cmp_gt_i32_e64 s0, s7, v29
	v_mad_u64_u32 v[13:14], null, v23, s17, v[4:5]
	v_mad_u64_u32 v[14:15], null, v29, s16, 0
	v_lshlrev_b64 v[7:8], 1, v[0:1]
	v_mov_b32_e32 v1, v6
	v_mad_u64_u32 v[16:17], null, v30, s16, 0
	v_cndmask_b32_e32 v4, 0, v13, vcc_lo
	v_cmp_gt_i32_e32 vcc_lo, s7, v2
	s_delay_alu instid0(VALU_DEP_4)
	v_mad_u64_u32 v[27:28], null, v2, s17, v[1:2]
	v_mov_b32_e32 v1, v15
	v_cndmask_b32_e64 v13, 0, v14, s0
	v_mov_b32_e32 v6, v17
	v_cndmask_b32_e32 v2, 0, v5, vcc_lo
	v_lshlrev_b64 v[4:5], 1, v[3:4]
	s_delay_alu instid0(VALU_DEP_2) | instskip(NEXT) | instid1(VALU_DEP_1)
	v_mad_u64_u32 v[17:18], null, v29, s17, v[1:2]
	v_cndmask_b32_e64 v14, 0, v17, s0
	v_mad_u64_u32 v[17:18], null, v30, s17, v[6:7]
	v_cndmask_b32_e32 v3, 0, v27, vcc_lo
	v_add_co_u32 v1, vcc_lo, s18, v4
	v_add_co_ci_u32_e32 v5, vcc_lo, s19, v5, vcc_lo
	s_delay_alu instid0(VALU_DEP_3) | instskip(NEXT) | instid1(VALU_DEP_3)
	v_lshlrev_b64 v[3:4], 1, v[2:3]
	v_add_co_u32 v1, vcc_lo, v1, v7
	s_delay_alu instid0(VALU_DEP_3) | instskip(SKIP_1) | instid1(VALU_DEP_4)
	v_add_co_ci_u32_e32 v2, vcc_lo, v5, v8, vcc_lo
	v_lshlrev_b64 v[5:6], 1, v[13:14]
	v_add_co_u32 v3, vcc_lo, s18, v3
	v_add_co_ci_u32_e32 v4, vcc_lo, s19, v4, vcc_lo
	s_mov_b32 s0, exec_lo
	s_delay_alu instid0(VALU_DEP_2) | instskip(NEXT) | instid1(VALU_DEP_2)
	v_add_co_u32 v3, vcc_lo, v3, v7
	v_add_co_ci_u32_e32 v4, vcc_lo, v4, v8, vcc_lo
	v_cmp_gt_i32_e32 vcc_lo, s7, v30
	s_clause 0x1
	flat_load_u16 v15, v[1:2]
	flat_load_u16 v18, v[3:4]
	v_dual_cndmask_b32 v14, 0, v17 :: v_dual_cndmask_b32 v13, 0, v16
	v_add_co_u32 v5, vcc_lo, s18, v5
	v_add_co_ci_u32_e32 v6, vcc_lo, s19, v6, vcc_lo
	s_delay_alu instid0(VALU_DEP_3) | instskip(NEXT) | instid1(VALU_DEP_3)
	v_lshlrev_b64 v[13:14], 1, v[13:14]
	v_add_co_u32 v5, vcc_lo, v5, v7
	s_delay_alu instid0(VALU_DEP_3) | instskip(NEXT) | instid1(VALU_DEP_3)
	v_add_co_ci_u32_e32 v6, vcc_lo, v6, v8, vcc_lo
	v_add_co_u32 v13, vcc_lo, s18, v13
	s_delay_alu instid0(VALU_DEP_4)
	v_add_co_ci_u32_e32 v14, vcc_lo, s19, v14, vcc_lo
	flat_load_u16 v16, v[5:6]
	v_add_co_u32 v7, vcc_lo, v13, v7
	v_add_co_ci_u32_e32 v8, vcc_lo, v14, v8, vcc_lo
	flat_load_u16 v13, v[7:8]
	s_waitcnt vmcnt(3) lgkmcnt(3)
	v_fma_mix_f32 v14, v12, v15, v26 op_sel_hi:[0,1,0]
	v_add_nc_u32_e32 v15, 32, v0
	s_waitcnt vmcnt(2) lgkmcnt(2)
	s_delay_alu instid0(VALU_DEP_2) | instskip(SKIP_1) | instid1(VALU_DEP_1)
	v_fma_mix_f32 v14, v11, v18, v14 op_sel_hi:[0,1,0]
	s_waitcnt vmcnt(1) lgkmcnt(1)
	v_fma_mix_f32 v14, v10, v16, v14 op_sel_hi:[0,1,0]
	v_cmpx_gt_i32_e64 s6, v15
	s_cbranch_execz .LBB431_43
; %bb.38:
	s_clause 0x3
	flat_load_u16 v16, v[1:2] offset:64
	flat_load_u16 v17, v[3:4] offset:64
	;; [unrolled: 1-line block ×4, first 2 shown]
	s_mov_b32 s2, exec_lo
	s_waitcnt vmcnt(3) lgkmcnt(3)
	v_fma_mix_f32 v16, v12, v16, v25 op_sel_hi:[0,1,0]
	s_waitcnt vmcnt(2) lgkmcnt(2)
	s_delay_alu instid0(VALU_DEP_1) | instskip(SKIP_2) | instid1(VALU_DEP_2)
	v_fma_mix_f32 v16, v11, v17, v16 op_sel_hi:[0,1,0]
	v_add_nc_u32_e32 v17, 64, v0
	s_waitcnt vmcnt(1) lgkmcnt(1)
	v_fma_mix_f32 v16, v10, v18, v16 op_sel_hi:[0,1,0]
	s_delay_alu instid0(VALU_DEP_2)
	v_cmpx_gt_i32_e64 s6, v17
	s_cbranch_execz .LBB431_42
; %bb.39:
	s_clause 0x3
	flat_load_u16 v18, v[1:2] offset:128
	flat_load_u16 v23, v[3:4] offset:128
	;; [unrolled: 1-line block ×4, first 2 shown]
	s_mov_b32 s3, exec_lo
	s_waitcnt vmcnt(3) lgkmcnt(3)
	v_fma_mix_f32 v18, v12, v18, v24 op_sel_hi:[0,1,0]
	s_waitcnt vmcnt(2) lgkmcnt(2)
	s_delay_alu instid0(VALU_DEP_1) | instskip(SKIP_2) | instid1(VALU_DEP_2)
	v_fma_mix_f32 v18, v11, v23, v18 op_sel_hi:[0,1,0]
	v_add_nc_u32_e32 v23, 0x60, v0
	s_waitcnt vmcnt(1) lgkmcnt(1)
	v_fma_mix_f32 v0, v10, v25, v18 op_sel_hi:[0,1,0]
	s_delay_alu instid0(VALU_DEP_2)
	v_cmpx_gt_i32_e64 s6, v23
	s_cbranch_execz .LBB431_41
; %bb.40:
	s_clause 0x3
	flat_load_u16 v1, v[1:2] offset:192
	flat_load_u16 v2, v[3:4] offset:192
	;; [unrolled: 1-line block ×4, first 2 shown]
	s_waitcnt vmcnt(3) lgkmcnt(3)
	v_fma_mix_f32 v1, v12, v1, v22 op_sel_hi:[0,1,0]
	s_waitcnt vmcnt(2) lgkmcnt(2)
	s_delay_alu instid0(VALU_DEP_1) | instskip(SKIP_1) | instid1(VALU_DEP_1)
	v_fma_mix_f32 v1, v11, v2, v1 op_sel_hi:[0,1,0]
	s_waitcnt vmcnt(1) lgkmcnt(1)
	v_fma_mix_f32 v1, v10, v3, v1 op_sel_hi:[0,1,0]
	s_waitcnt vmcnt(0) lgkmcnt(0)
	s_delay_alu instid0(VALU_DEP_1)
	v_fma_mix_f32 v22, v9, v4, v1 op_sel_hi:[0,1,0]
.LBB431_41:
	s_or_b32 exec_lo, exec_lo, s3
	s_waitcnt vmcnt(0) lgkmcnt(0)
	v_fma_mix_f32 v24, v9, v17, v0 op_sel_hi:[0,1,0]
.LBB431_42:
	s_or_b32 exec_lo, exec_lo, s2
	s_waitcnt vmcnt(0) lgkmcnt(0)
	v_fma_mix_f32 v25, v9, v15, v16 op_sel_hi:[0,1,0]
.LBB431_43:
	s_or_b32 exec_lo, exec_lo, s0
	s_waitcnt vmcnt(0) lgkmcnt(0)
	v_fma_mix_f32 v26, v9, v13, v14 op_sel_hi:[0,1,0]
.LBB431_44:
	s_or_b32 exec_lo, exec_lo, s1
.LBB431_45:
	v_lshlrev_b32_e32 v0, 7, v21
	s_mov_b32 s0, exec_lo
                                        ; implicit-def: $vgpr3
	s_delay_alu instid0(VALU_DEP_1)
	v_add_lshl_u32 v0, v0, v20, 2
	ds_store_2addr_b32 v0, v26, v25 offset1:32
	ds_store_2addr_b32 v0, v24, v22 offset0:64 offset1:96
	s_waitcnt lgkmcnt(0)
	s_barrier
	buffer_gl0_inv
                                        ; implicit-def: $vgpr0_vgpr1
	v_cmpx_gt_u32_e32 0x80, v19
	s_cbranch_execz .LBB431_51
; %bb.46:
	v_lshlrev_b32_e32 v6, 2, v19
	s_mov_b32 s2, s23
	s_mov_b32 s1, exec_lo
	ds_load_2addr_stride64_b32 v[0:1], v6 offset1:2
	ds_load_2addr_stride64_b32 v[2:3], v6 offset0:4 offset1:6
	ds_load_2addr_stride64_b32 v[4:5], v6 offset0:8 offset1:10
	s_waitcnt lgkmcnt(2)
	v_add_f32_e32 v7, v0, v1
	ds_load_2addr_stride64_b32 v[0:1], v6 offset0:12 offset1:14
	s_waitcnt lgkmcnt(2)
	v_add_f32_e32 v2, v2, v7
	s_delay_alu instid0(VALU_DEP_1) | instskip(SKIP_3) | instid1(VALU_DEP_1)
	v_add_f32_e32 v7, v3, v2
	ds_load_2addr_stride64_b32 v[2:3], v6 offset0:16 offset1:18
	s_waitcnt lgkmcnt(2)
	v_add_f32_e32 v4, v4, v7
	v_add_f32_e32 v7, v5, v4
	ds_load_2addr_stride64_b32 v[4:5], v6 offset0:20 offset1:22
	s_waitcnt lgkmcnt(2)
	v_add_f32_e32 v0, v0, v7
	s_delay_alu instid0(VALU_DEP_1) | instskip(SKIP_1) | instid1(VALU_DEP_1)
	v_add_f32_e32 v0, v1, v0
	s_waitcnt lgkmcnt(1)
	v_add_f32_e32 v2, v2, v0
	ds_load_2addr_stride64_b32 v[0:1], v6 offset0:24 offset1:26
	v_add_f32_e32 v2, v3, v2
	s_waitcnt lgkmcnt(1)
	s_delay_alu instid0(VALU_DEP_1) | instskip(SKIP_3) | instid1(VALU_DEP_1)
	v_add_f32_e32 v4, v4, v2
	ds_load_2addr_stride64_b32 v[2:3], v6 offset0:28 offset1:30
	v_add_f32_e32 v4, v5, v4
	s_waitcnt lgkmcnt(1)
	v_add_f32_e32 v0, v0, v4
	v_or_b32_e32 v4, s28, v19
	s_delay_alu instid0(VALU_DEP_2) | instskip(SKIP_1) | instid1(VALU_DEP_1)
	v_add_f32_e32 v0, v1, v0
	s_waitcnt lgkmcnt(0)
	v_add_f32_e32 v0, v2, v0
	s_delay_alu instid0(VALU_DEP_1)
	v_add_f32_e32 v2, v3, v0
                                        ; implicit-def: $vgpr3
                                        ; implicit-def: $vgpr0_vgpr1
	ds_store_b32 v6, v2
	v_cmpx_gt_i32_e64 s6, v4
	s_cbranch_execz .LBB431_50
; %bb.47:
	v_ashrrev_i32_e32 v3, 31, v4
	v_mul_lo_u32 v5, v4, s13
	v_mad_u64_u32 v[0:1], null, v4, s12, 0
	v_cmp_eq_f32_e64 s2, s26, 0
	s_delay_alu instid0(VALU_DEP_4) | instskip(SKIP_1) | instid1(VALU_DEP_3)
	v_mul_lo_u32 v3, v3, s12
	v_mul_f32_e32 v2, s27, v2
	s_and_b32 vcc_lo, exec_lo, s2
	s_delay_alu instid0(VALU_DEP_2)
	v_add3_u32 v1, v1, v5, v3
	s_cbranch_vccnz .LBB431_49
; %bb.48:
	s_delay_alu instid0(VALU_DEP_1) | instskip(NEXT) | instid1(VALU_DEP_1)
	v_lshlrev_b64 v[3:4], 1, v[0:1]
	v_add_co_u32 v3, vcc_lo, s5, v3
	s_delay_alu instid0(VALU_DEP_2)
	v_add_co_ci_u32_e32 v4, vcc_lo, s22, v4, vcc_lo
	global_load_u16 v3, v[3:4], off
	s_waitcnt vmcnt(0)
	v_fma_mix_f32 v2, s26, v3, v2 op_sel_hi:[0,1,0]
.LBB431_49:
	s_delay_alu instid0(VALU_DEP_1)
	v_cvt_f16_f32_e32 v3, v2
	s_or_b32 s2, s23, exec_lo
.LBB431_50:
	s_or_b32 exec_lo, exec_lo, s1
	s_delay_alu instid0(SALU_CYCLE_1) | instskip(SKIP_1) | instid1(SALU_CYCLE_1)
	s_and_not1_b32 s1, s23, exec_lo
	s_and_b32 s2, s2, exec_lo
	s_or_b32 s23, s1, s2
.LBB431_51:
	s_or_b32 exec_lo, exec_lo, s0
.LBB431_52:
	s_and_saveexec_b32 s0, s23
	s_cbranch_execz .LBB431_54
; %bb.53:
	v_lshlrev_b64 v[0:1], 1, v[0:1]
	s_delay_alu instid0(VALU_DEP_1) | instskip(NEXT) | instid1(VALU_DEP_2)
	v_add_co_u32 v0, vcc_lo, s5, v0
	v_add_co_ci_u32_e32 v1, vcc_lo, s22, v1, vcc_lo
	global_store_b16 v[0:1], v3, off
.LBB431_54:
	s_nop 0
	s_sendmsg sendmsg(MSG_DEALLOC_VGPRS)
	s_endpgm
	.section	.rodata,"a",@progbits
	.p2align	6, 0x0
	.amdhsa_kernel _ZL20rocblas_gemvn_kernelILi32ELi16ElPKDF16_PKfKPDF16_EviiT3_lPKT2_lT1_lS9_lSA_lS6_lPT4_lSA_li
		.amdhsa_group_segment_fixed_size 8192
		.amdhsa_private_segment_fixed_size 0
		.amdhsa_kernarg_size 400
		.amdhsa_user_sgpr_count 14
		.amdhsa_user_sgpr_dispatch_ptr 0
		.amdhsa_user_sgpr_queue_ptr 0
		.amdhsa_user_sgpr_kernarg_segment_ptr 1
		.amdhsa_user_sgpr_dispatch_id 0
		.amdhsa_user_sgpr_private_segment_size 0
		.amdhsa_wavefront_size32 1
		.amdhsa_uses_dynamic_stack 0
		.amdhsa_enable_private_segment 0
		.amdhsa_system_sgpr_workgroup_id_x 1
		.amdhsa_system_sgpr_workgroup_id_y 0
		.amdhsa_system_sgpr_workgroup_id_z 1
		.amdhsa_system_sgpr_workgroup_info 0
		.amdhsa_system_vgpr_workitem_id 1
		.amdhsa_next_free_vgpr 55
		.amdhsa_next_free_sgpr 35
		.amdhsa_reserve_vcc 1
		.amdhsa_float_round_mode_32 0
		.amdhsa_float_round_mode_16_64 0
		.amdhsa_float_denorm_mode_32 3
		.amdhsa_float_denorm_mode_16_64 3
		.amdhsa_dx10_clamp 1
		.amdhsa_ieee_mode 1
		.amdhsa_fp16_overflow 0
		.amdhsa_workgroup_processor_mode 1
		.amdhsa_memory_ordered 1
		.amdhsa_forward_progress 0
		.amdhsa_shared_vgpr_count 0
		.amdhsa_exception_fp_ieee_invalid_op 0
		.amdhsa_exception_fp_denorm_src 0
		.amdhsa_exception_fp_ieee_div_zero 0
		.amdhsa_exception_fp_ieee_overflow 0
		.amdhsa_exception_fp_ieee_underflow 0
		.amdhsa_exception_fp_ieee_inexact 0
		.amdhsa_exception_int_div_zero 0
	.end_amdhsa_kernel
	.section	.text._ZL20rocblas_gemvn_kernelILi32ELi16ElPKDF16_PKfKPDF16_EviiT3_lPKT2_lT1_lS9_lSA_lS6_lPT4_lSA_li,"axG",@progbits,_ZL20rocblas_gemvn_kernelILi32ELi16ElPKDF16_PKfKPDF16_EviiT3_lPKT2_lT1_lS9_lSA_lS6_lPT4_lSA_li,comdat
.Lfunc_end431:
	.size	_ZL20rocblas_gemvn_kernelILi32ELi16ElPKDF16_PKfKPDF16_EviiT3_lPKT2_lT1_lS9_lSA_lS6_lPT4_lSA_li, .Lfunc_end431-_ZL20rocblas_gemvn_kernelILi32ELi16ElPKDF16_PKfKPDF16_EviiT3_lPKT2_lT1_lS9_lSA_lS6_lPT4_lSA_li
                                        ; -- End function
	.section	.AMDGPU.csdata,"",@progbits
; Kernel info:
; codeLenInByte = 3608
; NumSgprs: 37
; NumVgprs: 55
; ScratchSize: 0
; MemoryBound: 0
; FloatMode: 240
; IeeeMode: 1
; LDSByteSize: 8192 bytes/workgroup (compile time only)
; SGPRBlocks: 4
; VGPRBlocks: 6
; NumSGPRsForWavesPerEU: 37
; NumVGPRsForWavesPerEU: 55
; Occupancy: 16
; WaveLimiterHint : 1
; COMPUTE_PGM_RSRC2:SCRATCH_EN: 0
; COMPUTE_PGM_RSRC2:USER_SGPR: 14
; COMPUTE_PGM_RSRC2:TRAP_HANDLER: 0
; COMPUTE_PGM_RSRC2:TGID_X_EN: 1
; COMPUTE_PGM_RSRC2:TGID_Y_EN: 0
; COMPUTE_PGM_RSRC2:TGID_Z_EN: 1
; COMPUTE_PGM_RSRC2:TIDIG_COMP_CNT: 1
	.section	.text._ZL20rocblas_gemvn_kernelILi32ELi16EiPKDF16_fKPDF16_EviiT3_lPKT2_lT1_lS7_lS8_lS4_lPT4_lS8_li,"axG",@progbits,_ZL20rocblas_gemvn_kernelILi32ELi16EiPKDF16_fKPDF16_EviiT3_lPKT2_lT1_lS7_lS8_lS4_lPT4_lS8_li,comdat
	.globl	_ZL20rocblas_gemvn_kernelILi32ELi16EiPKDF16_fKPDF16_EviiT3_lPKT2_lT1_lS7_lS8_lS4_lPT4_lS8_li ; -- Begin function _ZL20rocblas_gemvn_kernelILi32ELi16EiPKDF16_fKPDF16_EviiT3_lPKT2_lT1_lS7_lS8_lS4_lPT4_lS8_li
	.p2align	8
	.type	_ZL20rocblas_gemvn_kernelILi32ELi16EiPKDF16_fKPDF16_EviiT3_lPKT2_lT1_lS7_lS8_lS4_lPT4_lS8_li,@function
_ZL20rocblas_gemvn_kernelILi32ELi16EiPKDF16_fKPDF16_EviiT3_lPKT2_lT1_lS7_lS8_lS4_lPT4_lS8_li: ; @_ZL20rocblas_gemvn_kernelILi32ELi16EiPKDF16_fKPDF16_EviiT3_lPKT2_lT1_lS7_lS8_lS4_lPT4_lS8_li
; %bb.0:
	s_load_b64 s[4:5], s[0:1], 0x9c
	s_waitcnt lgkmcnt(0)
	s_lshr_b32 s3, s4, 16
	s_and_b32 s4, s4, 0xffff
	s_and_b32 s5, s5, 0xffff
	s_mul_i32 s3, s3, s4
	s_delay_alu instid0(SALU_CYCLE_1) | instskip(NEXT) | instid1(SALU_CYCLE_1)
	s_mul_i32 s3, s3, s5
	s_cmpk_lg_i32 s3, 0x200
	s_cbranch_scc1 .LBB432_57
; %bb.1:
	s_load_b128 s[4:7], s[0:1], 0x0
	s_waitcnt lgkmcnt(0)
	s_load_b32 s7, s[0:1], 0x58
	v_cmp_eq_f32_e64 s12, s6, 0
	s_waitcnt lgkmcnt(0)
	v_cmp_eq_f32_e64 s3, s7, 1.0
	s_delay_alu instid0(VALU_DEP_1) | instskip(NEXT) | instid1(SALU_CYCLE_1)
	s_and_b32 s3, s12, s3
	s_and_b32 vcc_lo, exec_lo, s3
	s_cbranch_vccnz .LBB432_57
; %bb.2:
	v_cmp_neq_f32_e64 s10, s6, 0
	s_mov_b32 s2, s15
	s_delay_alu instid0(VALU_DEP_1)
	s_and_b32 vcc_lo, exec_lo, s10
	s_cbranch_vccnz .LBB432_4
; %bb.3:
	s_mov_b32 s3, 0
	s_mov_b64 s[8:9], 0
	s_cbranch_execz .LBB432_5
	s_branch .LBB432_6
.LBB432_4:
	s_mov_b32 s3, -1
                                        ; implicit-def: $sgpr8_sgpr9
.LBB432_5:
	s_load_b128 s[16:19], s[0:1], 0x18
	s_mov_b32 s3, 0
	s_delay_alu instid0(SALU_CYCLE_1)
	s_lshl_b64 s[8:9], s[2:3], 3
	s_waitcnt lgkmcnt(0)
	s_add_u32 s8, s16, s8
	s_addc_u32 s9, s17, s9
	s_lshl_b64 s[16:17], s[18:19], 1
	s_load_b64 s[8:9], s[8:9], 0x0
	s_waitcnt lgkmcnt(0)
	s_add_u32 s8, s8, s16
	s_addc_u32 s9, s9, s17
.LBB432_6:
	s_and_not1_b32 vcc_lo, exec_lo, s10
	s_cbranch_vccnz .LBB432_8
; %bb.7:
	s_load_b128 s[16:19], s[0:1], 0x38
	s_lshl_b64 s[10:11], s[2:3], 3
	s_waitcnt lgkmcnt(0)
	s_add_u32 s10, s16, s10
	s_addc_u32 s11, s17, s11
	s_lshl_b64 s[16:17], s[18:19], 1
	s_load_b64 s[10:11], s[10:11], 0x0
	s_waitcnt lgkmcnt(0)
	s_add_u32 s10, s10, s16
	s_addc_u32 s11, s11, s17
	s_branch .LBB432_9
.LBB432_8:
	s_mov_b64 s[10:11], 0
.LBB432_9:
	s_clause 0x1
	s_load_b128 s[20:23], s[0:1], 0x68
	s_load_b32 s16, s[0:1], 0x78
	s_lshl_b64 s[2:3], s[2:3], 3
	v_and_b32_e32 v1, 0x3ff, v0
	v_bfe_u32 v13, v0, 10, 10
	s_delay_alu instid0(VALU_DEP_1)
	v_lshl_add_u32 v0, v13, 5, v1
	s_waitcnt lgkmcnt(0)
	s_add_u32 s2, s20, s2
	s_addc_u32 s3, s21, s3
	s_lshl_b64 s[20:21], s[22:23], 1
	s_load_b64 s[18:19], s[2:3], 0x0
	v_cmp_gt_u32_e64 s2, 0x80, v0
	s_waitcnt lgkmcnt(0)
	s_add_u32 s13, s18, s20
	s_addc_u32 s15, s19, s21
	s_and_not1_b32 vcc_lo, exec_lo, s12
	s_cbranch_vccnz .LBB432_14
; %bb.10:
	s_mov_b32 s3, 0
	s_mov_b32 s17, 0
                                        ; implicit-def: $vgpr5
                                        ; implicit-def: $vgpr2_vgpr3
	s_and_saveexec_b32 s12, s2
	s_cbranch_execz .LBB432_15
; %bb.11:
	v_lshl_or_b32 v4, s14, 7, v0
	v_mov_b32_e32 v5, 0
	s_ashr_i32 s19, s4, 31
	s_mov_b32 s18, s4
                                        ; implicit-def: $vgpr2_vgpr3
	s_delay_alu instid0(VALU_DEP_1) | instid1(SALU_CYCLE_1)
	v_cmp_gt_i64_e32 vcc_lo, s[18:19], v[4:5]
                                        ; implicit-def: $vgpr5
	s_and_saveexec_b32 s2, vcc_lo
	s_cbranch_execz .LBB432_17
; %bb.12:
	v_mad_u64_u32 v[2:3], null, s16, v4, 0
	s_ashr_i32 s17, s16, 31
	s_delay_alu instid0(VALU_DEP_1) | instid1(SALU_CYCLE_1)
	v_mad_u64_u32 v[5:6], null, s17, v4, v[3:4]
	v_cmp_eq_f32_e64 s17, s7, 0
	s_delay_alu instid0(VALU_DEP_1) | instskip(NEXT) | instid1(VALU_DEP_2)
	s_and_b32 vcc_lo, exec_lo, s17
	v_mov_b32_e32 v3, v5
	s_cbranch_vccnz .LBB432_16
; %bb.13:
	s_delay_alu instid0(VALU_DEP_1) | instskip(SKIP_1) | instid1(VALU_DEP_1)
	v_lshlrev_b64 v[4:5], 1, v[2:3]
	s_mov_b32 s17, exec_lo
	v_add_co_u32 v4, vcc_lo, s13, v4
	s_delay_alu instid0(VALU_DEP_2)
	v_add_co_ci_u32_e32 v5, vcc_lo, s15, v5, vcc_lo
	global_load_u16 v4, v[4:5], off
	s_waitcnt vmcnt(0)
	v_fma_mixlo_f16 v5, v4, s7, 0 op_sel_hi:[1,0,0]
	s_branch .LBB432_17
.LBB432_14:
	s_mov_b32 s17, 0
                                        ; implicit-def: $vgpr5
                                        ; implicit-def: $vgpr2_vgpr3
	s_cbranch_execnz .LBB432_18
	s_branch .LBB432_55
.LBB432_15:
	s_or_b32 exec_lo, exec_lo, s12
	s_delay_alu instid0(SALU_CYCLE_1)
	s_and_b32 vcc_lo, exec_lo, s3
	s_cbranch_vccnz .LBB432_18
	s_branch .LBB432_55
.LBB432_16:
	v_mov_b32_e32 v5, 0
	s_mov_b32 s17, exec_lo
.LBB432_17:
	s_or_b32 exec_lo, exec_lo, s2
	s_delay_alu instid0(SALU_CYCLE_1) | instskip(SKIP_1) | instid1(SALU_CYCLE_1)
	s_and_b32 s17, s17, exec_lo
	s_or_b32 exec_lo, exec_lo, s12
	s_and_b32 vcc_lo, exec_lo, s3
	s_cbranch_vccz .LBB432_55
.LBB432_18:
	s_clause 0x1
	s_load_b32 s18, s[0:1], 0x28
	s_load_b32 s12, s[0:1], 0x48
	s_ashr_i32 s0, s5, 31
	s_lshl_b32 s14, s14, 7
	s_lshr_b32 s0, s0, 26
	v_dual_mov_b32 v18, 0 :: v_dual_lshlrev_b32 v19, 2, v13
	v_dual_mov_b32 v16, 0 :: v_dual_add_nc_u32 v15, s14, v1
	v_dual_mov_b32 v17, 0 :: v_dual_mov_b32 v14, 0
	s_add_i32 s19, s5, s0
	s_mov_b32 s20, exec_lo
	s_and_not1_b32 s19, s19, 63
	s_delay_alu instid0(SALU_CYCLE_1)
	v_cmpx_gt_i32_e64 s19, v19
	s_cbranch_execz .LBB432_30
; %bb.19:
	s_waitcnt lgkmcnt(0)
	v_mul_lo_u32 v3, s18, v19
	v_dual_mov_b32 v17, 0 :: v_dual_add_nc_u32 v2, 32, v15
	v_add_nc_u32_e32 v6, 2, v19
	v_dual_mov_b32 v18, 0 :: v_dual_add_nc_u32 v5, 0x60, v15
	s_delay_alu instid0(VALU_DEP_3)
	v_cmp_gt_i32_e64 s0, s4, v2
	v_add_nc_u32_e32 v4, 64, v15
	v_add3_u32 v20, v3, s18, v1
	v_mad_u64_u32 v[2:3], null, s18, v6, v[1:2]
	v_cmp_gt_i32_e64 s2, s4, v5
	v_mul_lo_u32 v5, v13, s18
	v_dual_mov_b32 v16, 0 :: v_dual_add_nc_u32 v7, 3, v19
	v_mul_lo_u32 v8, v13, s12
	v_cmp_gt_i32_e64 s1, s4, v4
	v_mul_lo_u32 v22, s12, v6
	s_delay_alu instid0(VALU_DEP_4)
	v_mad_u64_u32 v[3:4], null, s18, v7, v[1:2]
	v_lshl_add_u32 v21, v5, 2, v1
	v_mad_u64_u32 v[4:5], null, s12, v19, s[12:13]
	v_mul_lo_u32 v23, s12, v7
	v_cmp_gt_i32_e32 vcc_lo, s4, v15
	v_lshlrev_b32_e32 v24, 2, v8
	v_mov_b32_e32 v14, 0
	s_lshl_b32 s21, s18, 6
	s_lshl_b32 s23, s12, 6
	s_mov_b32 s22, 0
	s_mov_b32 s24, 0
	s_branch .LBB432_24
.LBB432_20:                             ;   in Loop: Header=BB432_24 Depth=1
	s_or_b32 exec_lo, exec_lo, s27
	s_waitcnt vmcnt(3) lgkmcnt(3)
	v_fma_mix_f32 v5, v37, v41, v16 op_sel_hi:[0,1,0]
	s_waitcnt vmcnt(2) lgkmcnt(2)
	s_delay_alu instid0(VALU_DEP_1) | instskip(SKIP_1) | instid1(VALU_DEP_1)
	v_fma_mix_f32 v5, v38, v42, v5 op_sel_hi:[0,1,0]
	s_waitcnt vmcnt(1) lgkmcnt(1)
	v_fma_mix_f32 v5, v39, v43, v5 op_sel_hi:[0,1,0]
	s_waitcnt vmcnt(0) lgkmcnt(0)
	s_delay_alu instid0(VALU_DEP_1)
	v_fma_mix_f32 v16, v40, v44, v5 op_sel_hi:[0,1,0]
.LBB432_21:                             ;   in Loop: Header=BB432_24 Depth=1
	s_or_b32 exec_lo, exec_lo, s26
	s_waitcnt vmcnt(3) lgkmcnt(3)
	v_fma_mix_f32 v5, v37, v33, v17 op_sel_hi:[0,1,0]
	s_waitcnt vmcnt(2) lgkmcnt(2)
	s_delay_alu instid0(VALU_DEP_1) | instskip(SKIP_1) | instid1(VALU_DEP_1)
	v_fma_mix_f32 v5, v38, v34, v5 op_sel_hi:[0,1,0]
	s_waitcnt vmcnt(1) lgkmcnt(1)
	v_fma_mix_f32 v5, v39, v35, v5 op_sel_hi:[0,1,0]
	s_waitcnt vmcnt(0) lgkmcnt(0)
	s_delay_alu instid0(VALU_DEP_1)
	v_fma_mix_f32 v17, v40, v36, v5 op_sel_hi:[0,1,0]
.LBB432_22:                             ;   in Loop: Header=BB432_24 Depth=1
	s_or_b32 exec_lo, exec_lo, s3
	s_waitcnt vmcnt(3) lgkmcnt(3)
	v_fma_mix_f32 v5, v25, v29, v18 op_sel_hi:[1,1,0]
	s_waitcnt vmcnt(2) lgkmcnt(2)
	s_delay_alu instid0(VALU_DEP_1) | instskip(SKIP_1) | instid1(VALU_DEP_1)
	v_fma_mix_f32 v5, v26, v30, v5 op_sel_hi:[1,1,0]
	s_waitcnt vmcnt(1) lgkmcnt(1)
	v_fma_mix_f32 v5, v27, v31, v5 op_sel_hi:[1,1,0]
	s_waitcnt vmcnt(0) lgkmcnt(0)
	s_delay_alu instid0(VALU_DEP_1)
	v_fma_mix_f32 v18, v28, v32, v5 op_sel_hi:[1,1,0]
.LBB432_23:                             ;   in Loop: Header=BB432_24 Depth=1
	s_or_b32 exec_lo, exec_lo, s25
	v_add_nc_u32_e32 v19, 64, v19
	v_add_nc_u32_e32 v20, s21, v20
	;; [unrolled: 1-line block ×5, first 2 shown]
	v_cmp_le_i32_e64 s3, s19, v19
	s_add_i32 s24, s24, s23
	s_delay_alu instid0(VALU_DEP_1) | instskip(NEXT) | instid1(SALU_CYCLE_1)
	s_or_b32 s22, s3, s22
	s_and_not1_b32 exec_lo, exec_lo, s22
	s_cbranch_execz .LBB432_29
.LBB432_24:                             ; =>This Inner Loop Header: Depth=1
	s_and_saveexec_b32 s25, vcc_lo
	s_cbranch_execz .LBB432_23
; %bb.25:                               ;   in Loop: Header=BB432_24 Depth=1
	v_add_nc_u32_e32 v5, s24, v24
	v_add_nc_u32_e32 v7, s24, v4
	v_add_nc_u32_e32 v9, s24, v22
	v_add_nc_u32_e32 v11, s24, v23
	v_add_nc_u32_e32 v25, s14, v21
	v_ashrrev_i32_e32 v6, 31, v5
	v_ashrrev_i32_e32 v8, 31, v7
	;; [unrolled: 1-line block ×5, first 2 shown]
	v_lshlrev_b64 v[5:6], 1, v[5:6]
	v_lshlrev_b64 v[7:8], 1, v[7:8]
	;; [unrolled: 1-line block ×3, first 2 shown]
	s_delay_alu instid0(VALU_DEP_3) | instskip(NEXT) | instid1(VALU_DEP_1)
	v_add_co_u32 v27, s3, s10, v5
	v_add_co_ci_u32_e64 v28, s3, s11, v6, s3
	s_delay_alu instid0(VALU_DEP_4)
	v_add_co_u32 v29, s3, s10, v7
	v_add_nc_u32_e32 v7, s14, v20
	v_add_co_ci_u32_e64 v30, s3, s11, v8, s3
	v_lshlrev_b64 v[5:6], 1, v[11:12]
	v_add_co_u32 v31, s3, s10, v9
	v_add_nc_u32_e32 v11, s14, v2
	v_add_co_ci_u32_e64 v32, s3, s11, v10, s3
	v_lshlrev_b64 v[9:10], 1, v[25:26]
	v_ashrrev_i32_e32 v8, 31, v7
	v_add_nc_u32_e32 v25, s14, v3
	v_add_co_u32 v33, s3, s10, v5
	v_ashrrev_i32_e32 v12, 31, v11
	v_add_co_ci_u32_e64 v34, s3, s11, v6, s3
	v_lshlrev_b64 v[7:8], 1, v[7:8]
	v_add_co_u32 v5, s3, s8, v9
	v_ashrrev_i32_e32 v26, 31, v25
	v_add_co_ci_u32_e64 v6, s3, s9, v10, s3
	v_lshlrev_b64 v[9:10], 1, v[11:12]
	v_add_co_u32 v7, s3, s8, v7
	s_delay_alu instid0(VALU_DEP_4) | instskip(SKIP_1) | instid1(VALU_DEP_4)
	v_lshlrev_b64 v[11:12], 1, v[25:26]
	v_add_co_ci_u32_e64 v8, s3, s9, v8, s3
	v_add_co_u32 v9, s3, s8, v9
	s_delay_alu instid0(VALU_DEP_1) | instskip(NEXT) | instid1(VALU_DEP_4)
	v_add_co_ci_u32_e64 v10, s3, s9, v10, s3
	v_add_co_u32 v11, s3, s8, v11
	s_delay_alu instid0(VALU_DEP_1)
	v_add_co_ci_u32_e64 v12, s3, s9, v12, s3
	s_clause 0x3
	flat_load_u16 v25, v[27:28]
	flat_load_u16 v26, v[29:30]
	;; [unrolled: 1-line block ×4, first 2 shown]
	s_clause 0x3
	flat_load_u16 v29, v[5:6]
	flat_load_u16 v30, v[7:8]
	;; [unrolled: 1-line block ×4, first 2 shown]
	s_and_saveexec_b32 s3, s0
	s_cbranch_execz .LBB432_22
; %bb.26:                               ;   in Loop: Header=BB432_24 Depth=1
	s_clause 0x3
	flat_load_u16 v33, v[5:6] offset:64
	flat_load_u16 v34, v[7:8] offset:64
	;; [unrolled: 1-line block ×4, first 2 shown]
	s_waitcnt vmcnt(11) lgkmcnt(11)
	v_cvt_f32_f16_e32 v37, v25
	s_waitcnt vmcnt(10) lgkmcnt(10)
	v_cvt_f32_f16_e32 v38, v26
	;; [unrolled: 2-line block ×4, first 2 shown]
	s_and_saveexec_b32 s26, s1
	s_cbranch_execz .LBB432_21
; %bb.27:                               ;   in Loop: Header=BB432_24 Depth=1
	s_clause 0x3
	flat_load_u16 v41, v[5:6] offset:128
	flat_load_u16 v42, v[7:8] offset:128
	;; [unrolled: 1-line block ×4, first 2 shown]
	s_and_saveexec_b32 s27, s2
	s_cbranch_execz .LBB432_20
; %bb.28:                               ;   in Loop: Header=BB432_24 Depth=1
	s_clause 0x3
	flat_load_u16 v5, v[5:6] offset:192
	flat_load_u16 v6, v[7:8] offset:192
	;; [unrolled: 1-line block ×4, first 2 shown]
	s_waitcnt vmcnt(3) lgkmcnt(3)
	v_fma_mix_f32 v5, v37, v5, v14 op_sel_hi:[0,1,0]
	s_waitcnt vmcnt(2) lgkmcnt(2)
	s_delay_alu instid0(VALU_DEP_1) | instskip(SKIP_1) | instid1(VALU_DEP_1)
	v_fma_mix_f32 v5, v38, v6, v5 op_sel_hi:[0,1,0]
	s_waitcnt vmcnt(1) lgkmcnt(1)
	v_fma_mix_f32 v5, v39, v7, v5 op_sel_hi:[0,1,0]
	s_waitcnt vmcnt(0) lgkmcnt(0)
	s_delay_alu instid0(VALU_DEP_1)
	v_fma_mix_f32 v14, v40, v8, v5 op_sel_hi:[0,1,0]
	s_branch .LBB432_20
.LBB432_29:
	s_or_b32 exec_lo, exec_lo, s22
.LBB432_30:
	s_delay_alu instid0(SALU_CYCLE_1) | instskip(SKIP_1) | instid1(SALU_CYCLE_1)
	s_or_b32 exec_lo, exec_lo, s20
	s_sub_i32 s0, s5, s19
	s_cmp_lt_i32 s0, 1
	s_cbranch_scc1 .LBB432_48
; %bb.31:
	v_cmp_gt_i32_e32 vcc_lo, s5, v19
	v_dual_mov_b32 v10, 0 :: v_dual_mov_b32 v11, 0
	v_or_b32_e32 v2, 1, v19
	v_mov_b32_e32 v12, 0
	v_mov_b32_e32 v20, 0
	s_and_saveexec_b32 s1, vcc_lo
	s_cbranch_execz .LBB432_39
; %bb.32:
	s_waitcnt lgkmcnt(0)
	v_mul_lo_u32 v3, v19, s12
	v_dual_mov_b32 v12, 0 :: v_dual_mov_b32 v11, 0
	v_mov_b32_e32 v10, 0
	s_mov_b32 s2, exec_lo
	s_delay_alu instid0(VALU_DEP_3) | instskip(NEXT) | instid1(VALU_DEP_1)
	v_ashrrev_i32_e32 v4, 31, v3
	v_lshlrev_b64 v[3:4], 1, v[3:4]
	s_delay_alu instid0(VALU_DEP_1) | instskip(NEXT) | instid1(VALU_DEP_1)
	v_add_co_u32 v3, s0, s10, v3
	v_add_co_ci_u32_e64 v4, s0, s11, v4, s0
	flat_load_u16 v3, v[3:4]
	v_cmpx_gt_i32_e64 s5, v2
	s_cbranch_execz .LBB432_38
; %bb.33:
	v_mul_lo_u32 v4, v2, s12
	v_dual_mov_b32 v11, 0 :: v_dual_mov_b32 v10, 0
	s_mov_b32 s3, exec_lo
	s_delay_alu instid0(VALU_DEP_2) | instskip(NEXT) | instid1(VALU_DEP_1)
	v_ashrrev_i32_e32 v5, 31, v4
	v_lshlrev_b64 v[4:5], 1, v[4:5]
	s_delay_alu instid0(VALU_DEP_1) | instskip(NEXT) | instid1(VALU_DEP_1)
	v_add_co_u32 v4, s0, s10, v4
	v_add_co_ci_u32_e64 v5, s0, s11, v5, s0
	flat_load_u16 v4, v[4:5]
	v_or_b32_e32 v5, 2, v19
	s_delay_alu instid0(VALU_DEP_1)
	v_cmpx_gt_i32_e64 s5, v5
	s_cbranch_execz .LBB432_37
; %bb.34:
	v_mul_lo_u32 v5, v5, s12
	v_mov_b32_e32 v10, 0
	s_mov_b32 s19, exec_lo
	s_delay_alu instid0(VALU_DEP_2) | instskip(NEXT) | instid1(VALU_DEP_1)
	v_ashrrev_i32_e32 v6, 31, v5
	v_lshlrev_b64 v[5:6], 1, v[5:6]
	s_delay_alu instid0(VALU_DEP_1) | instskip(NEXT) | instid1(VALU_DEP_1)
	v_add_co_u32 v5, s0, s10, v5
	v_add_co_ci_u32_e64 v6, s0, s11, v6, s0
	flat_load_u16 v5, v[5:6]
	v_or_b32_e32 v6, 3, v19
	s_delay_alu instid0(VALU_DEP_1)
	v_cmpx_gt_i32_e64 s5, v6
	s_cbranch_execz .LBB432_36
; %bb.35:
	v_mul_lo_u32 v6, v6, s12
	s_delay_alu instid0(VALU_DEP_1) | instskip(NEXT) | instid1(VALU_DEP_1)
	v_ashrrev_i32_e32 v7, 31, v6
	v_lshlrev_b64 v[6:7], 1, v[6:7]
	s_delay_alu instid0(VALU_DEP_1) | instskip(NEXT) | instid1(VALU_DEP_1)
	v_add_co_u32 v6, s0, s10, v6
	v_add_co_ci_u32_e64 v7, s0, s11, v7, s0
	flat_load_u16 v6, v[6:7]
	s_waitcnt vmcnt(0) lgkmcnt(0)
	v_cvt_f32_f16_e32 v10, v6
.LBB432_36:
	s_or_b32 exec_lo, exec_lo, s19
	s_waitcnt vmcnt(0) lgkmcnt(0)
	v_cvt_f32_f16_e32 v11, v5
.LBB432_37:
	s_or_b32 exec_lo, exec_lo, s3
	s_waitcnt vmcnt(0) lgkmcnt(0)
	v_cvt_f32_f16_e32 v12, v4
.LBB432_38:
	s_or_b32 exec_lo, exec_lo, s2
	s_waitcnt vmcnt(0) lgkmcnt(0)
	v_cvt_f32_f16_e32 v20, v3
.LBB432_39:
	s_or_b32 exec_lo, exec_lo, s1
	s_delay_alu instid0(SALU_CYCLE_1)
	s_mov_b32 s1, exec_lo
	v_cmpx_gt_i32_e64 s4, v15
	s_cbranch_execz .LBB432_47
; %bb.40:
	s_waitcnt lgkmcnt(0)
	v_mul_lo_u32 v3, v19, s18
	v_or_b32_e32 v6, 3, v19
	v_or_b32_e32 v4, 2, v19
	v_mul_lo_u32 v5, v2, s18
	s_mov_b32 s0, exec_lo
	s_delay_alu instid0(VALU_DEP_3) | instskip(NEXT) | instid1(VALU_DEP_3)
	v_mul_lo_u32 v8, v6, s18
	v_mul_lo_u32 v7, v4, s18
	v_cndmask_b32_e32 v3, 0, v3, vcc_lo
	v_cmp_gt_i32_e32 vcc_lo, s5, v2
	v_cndmask_b32_e32 v5, 0, v5, vcc_lo
	v_cmp_gt_i32_e32 vcc_lo, s5, v4
	v_cndmask_b32_e32 v7, 0, v7, vcc_lo
	v_cmp_gt_i32_e32 vcc_lo, s5, v6
	s_delay_alu instid0(VALU_DEP_2) | instskip(SKIP_3) | instid1(VALU_DEP_4)
	v_add_nc_u32_e32 v6, v7, v15
	v_cndmask_b32_e32 v8, 0, v8, vcc_lo
	v_add_nc_u32_e32 v2, v3, v15
	v_add_nc_u32_e32 v4, v5, v15
	v_ashrrev_i32_e32 v7, 31, v6
	s_delay_alu instid0(VALU_DEP_4) | instskip(NEXT) | instid1(VALU_DEP_4)
	v_add_nc_u32_e32 v8, v8, v15
	v_ashrrev_i32_e32 v3, 31, v2
	s_delay_alu instid0(VALU_DEP_4) | instskip(NEXT) | instid1(VALU_DEP_4)
	v_ashrrev_i32_e32 v5, 31, v4
	v_lshlrev_b64 v[6:7], 1, v[6:7]
	s_delay_alu instid0(VALU_DEP_4) | instskip(NEXT) | instid1(VALU_DEP_4)
	v_ashrrev_i32_e32 v9, 31, v8
	v_lshlrev_b64 v[2:3], 1, v[2:3]
	s_delay_alu instid0(VALU_DEP_4) | instskip(NEXT) | instid1(VALU_DEP_3)
	v_lshlrev_b64 v[4:5], 1, v[4:5]
	v_lshlrev_b64 v[8:9], 1, v[8:9]
	s_delay_alu instid0(VALU_DEP_3) | instskip(NEXT) | instid1(VALU_DEP_4)
	v_add_co_u32 v2, vcc_lo, s8, v2
	v_add_co_ci_u32_e32 v3, vcc_lo, s9, v3, vcc_lo
	s_delay_alu instid0(VALU_DEP_4)
	v_add_co_u32 v4, vcc_lo, s8, v4
	v_add_co_ci_u32_e32 v5, vcc_lo, s9, v5, vcc_lo
	flat_load_u16 v21, v[2:3]
	v_add_co_u32 v6, vcc_lo, s8, v6
	v_add_co_ci_u32_e32 v7, vcc_lo, s9, v7, vcc_lo
	s_clause 0x1
	flat_load_u16 v22, v[4:5]
	flat_load_u16 v23, v[6:7]
	v_add_co_u32 v8, vcc_lo, s8, v8
	v_add_co_ci_u32_e32 v9, vcc_lo, s9, v9, vcc_lo
	flat_load_u16 v19, v[8:9]
	s_waitcnt vmcnt(3) lgkmcnt(3)
	v_fma_mix_f32 v18, v20, v21, v18 op_sel_hi:[0,1,0]
	v_add_nc_u32_e32 v21, 32, v15
	s_waitcnt vmcnt(2) lgkmcnt(2)
	s_delay_alu instid0(VALU_DEP_2) | instskip(SKIP_1) | instid1(VALU_DEP_1)
	v_fma_mix_f32 v18, v12, v22, v18 op_sel_hi:[0,1,0]
	s_waitcnt vmcnt(1) lgkmcnt(1)
	v_fma_mix_f32 v18, v11, v23, v18 op_sel_hi:[0,1,0]
	v_cmpx_gt_i32_e64 s4, v21
	s_cbranch_execz .LBB432_46
; %bb.41:
	s_clause 0x3
	flat_load_u16 v22, v[2:3] offset:64
	flat_load_u16 v23, v[4:5] offset:64
	;; [unrolled: 1-line block ×4, first 2 shown]
	s_mov_b32 s2, exec_lo
	s_waitcnt vmcnt(3) lgkmcnt(3)
	v_fma_mix_f32 v17, v20, v22, v17 op_sel_hi:[0,1,0]
	v_add_nc_u32_e32 v22, 64, v15
	s_waitcnt vmcnt(2) lgkmcnt(2)
	s_delay_alu instid0(VALU_DEP_2) | instskip(SKIP_1) | instid1(VALU_DEP_1)
	v_fma_mix_f32 v17, v12, v23, v17 op_sel_hi:[0,1,0]
	s_waitcnt vmcnt(1) lgkmcnt(1)
	v_fma_mix_f32 v17, v11, v24, v17 op_sel_hi:[0,1,0]
	v_cmpx_gt_i32_e64 s4, v22
	s_cbranch_execz .LBB432_45
; %bb.42:
	s_clause 0x3
	flat_load_u16 v23, v[2:3] offset:128
	flat_load_u16 v24, v[4:5] offset:128
	;; [unrolled: 1-line block ×4, first 2 shown]
	s_mov_b32 s3, exec_lo
	s_waitcnt vmcnt(3) lgkmcnt(3)
	v_fma_mix_f32 v16, v20, v23, v16 op_sel_hi:[0,1,0]
	v_add_nc_u32_e32 v23, 0x60, v15
	s_waitcnt vmcnt(2) lgkmcnt(2)
	s_delay_alu instid0(VALU_DEP_2) | instskip(SKIP_1) | instid1(VALU_DEP_1)
	v_fma_mix_f32 v16, v12, v24, v16 op_sel_hi:[0,1,0]
	s_waitcnt vmcnt(1) lgkmcnt(1)
	v_fma_mix_f32 v15, v11, v25, v16 op_sel_hi:[0,1,0]
	v_cmpx_gt_i32_e64 s4, v23
	s_cbranch_execz .LBB432_44
; %bb.43:
	s_clause 0x3
	flat_load_u16 v2, v[2:3] offset:192
	flat_load_u16 v3, v[4:5] offset:192
	;; [unrolled: 1-line block ×4, first 2 shown]
	s_waitcnt vmcnt(3) lgkmcnt(3)
	v_fma_mix_f32 v2, v20, v2, v14 op_sel_hi:[0,1,0]
	s_waitcnt vmcnt(2) lgkmcnt(2)
	s_delay_alu instid0(VALU_DEP_1) | instskip(SKIP_1) | instid1(VALU_DEP_1)
	v_fma_mix_f32 v2, v12, v3, v2 op_sel_hi:[0,1,0]
	s_waitcnt vmcnt(1) lgkmcnt(1)
	v_fma_mix_f32 v2, v11, v4, v2 op_sel_hi:[0,1,0]
	s_waitcnt vmcnt(0) lgkmcnt(0)
	s_delay_alu instid0(VALU_DEP_1)
	v_fma_mix_f32 v14, v10, v5, v2 op_sel_hi:[0,1,0]
.LBB432_44:
	s_or_b32 exec_lo, exec_lo, s3
	s_waitcnt vmcnt(0) lgkmcnt(0)
	v_fma_mix_f32 v16, v10, v22, v15 op_sel_hi:[0,1,0]
.LBB432_45:
	s_or_b32 exec_lo, exec_lo, s2
	s_waitcnt vmcnt(0) lgkmcnt(0)
	v_fma_mix_f32 v17, v10, v21, v17 op_sel_hi:[0,1,0]
.LBB432_46:
	s_or_b32 exec_lo, exec_lo, s0
	s_waitcnt vmcnt(0) lgkmcnt(0)
	v_fma_mix_f32 v18, v10, v19, v18 op_sel_hi:[0,1,0]
.LBB432_47:
	s_or_b32 exec_lo, exec_lo, s1
.LBB432_48:
	v_lshlrev_b32_e32 v2, 7, v13
	s_mov_b32 s0, exec_lo
                                        ; implicit-def: $vgpr5
	s_delay_alu instid0(VALU_DEP_1)
	v_add_lshl_u32 v1, v2, v1, 2
                                        ; implicit-def: $vgpr2_vgpr3
	ds_store_2addr_b32 v1, v18, v17 offset1:32
	ds_store_2addr_b32 v1, v16, v14 offset0:64 offset1:96
	s_waitcnt lgkmcnt(0)
	s_barrier
	buffer_gl0_inv
	v_cmpx_gt_u32_e32 0x80, v0
	s_cbranch_execz .LBB432_54
; %bb.49:
	v_lshlrev_b32_e32 v7, 2, v0
	s_mov_b32 s2, s17
	s_mov_b32 s1, exec_lo
	ds_load_2addr_stride64_b32 v[1:2], v7 offset1:2
	ds_load_2addr_stride64_b32 v[3:4], v7 offset0:4 offset1:6
	ds_load_2addr_stride64_b32 v[5:6], v7 offset0:8 offset1:10
	s_waitcnt lgkmcnt(2)
	v_add_f32_e32 v8, v1, v2
	ds_load_2addr_stride64_b32 v[1:2], v7 offset0:12 offset1:14
	s_waitcnt lgkmcnt(2)
	v_add_f32_e32 v3, v3, v8
	s_delay_alu instid0(VALU_DEP_1) | instskip(SKIP_3) | instid1(VALU_DEP_1)
	v_add_f32_e32 v8, v4, v3
	ds_load_2addr_stride64_b32 v[3:4], v7 offset0:16 offset1:18
	s_waitcnt lgkmcnt(2)
	v_add_f32_e32 v5, v5, v8
	v_add_f32_e32 v8, v6, v5
	ds_load_2addr_stride64_b32 v[5:6], v7 offset0:20 offset1:22
	s_waitcnt lgkmcnt(2)
	v_add_f32_e32 v1, v1, v8
	s_delay_alu instid0(VALU_DEP_1) | instskip(SKIP_1) | instid1(VALU_DEP_1)
	v_add_f32_e32 v1, v2, v1
	s_waitcnt lgkmcnt(1)
	v_add_f32_e32 v3, v3, v1
	ds_load_2addr_stride64_b32 v[1:2], v7 offset0:24 offset1:26
	v_add_f32_e32 v3, v4, v3
	s_waitcnt lgkmcnt(1)
	s_delay_alu instid0(VALU_DEP_1) | instskip(SKIP_3) | instid1(VALU_DEP_1)
	v_add_f32_e32 v5, v5, v3
	ds_load_2addr_stride64_b32 v[3:4], v7 offset0:28 offset1:30
	v_add_f32_e32 v5, v6, v5
	s_waitcnt lgkmcnt(1)
	v_add_f32_e32 v1, v1, v5
                                        ; implicit-def: $vgpr5
	s_delay_alu instid0(VALU_DEP_1) | instskip(SKIP_1) | instid1(VALU_DEP_1)
	v_add_f32_e32 v1, v2, v1
	s_waitcnt lgkmcnt(0)
	v_add_f32_e32 v2, v3, v1
	v_or_b32_e32 v1, s14, v0
	s_delay_alu instid0(VALU_DEP_2)
	v_add_f32_e32 v0, v4, v2
                                        ; implicit-def: $vgpr2_vgpr3
	ds_store_b32 v7, v0
	v_cmpx_gt_i32_e64 s4, v1
	s_cbranch_execz .LBB432_53
; %bb.50:
	v_mul_lo_u32 v2, v1, s16
	v_cmp_eq_f32_e64 s2, s7, 0
	v_mul_f32_e32 v0, s6, v0
	s_delay_alu instid0(VALU_DEP_2) | instskip(NEXT) | instid1(VALU_DEP_3)
	s_and_b32 vcc_lo, exec_lo, s2
	v_ashrrev_i32_e32 v3, 31, v2
	s_cbranch_vccnz .LBB432_52
; %bb.51:
	s_delay_alu instid0(VALU_DEP_1) | instskip(NEXT) | instid1(VALU_DEP_1)
	v_lshlrev_b64 v[4:5], 1, v[2:3]
	v_add_co_u32 v4, vcc_lo, s13, v4
	s_delay_alu instid0(VALU_DEP_2)
	v_add_co_ci_u32_e32 v5, vcc_lo, s15, v5, vcc_lo
	global_load_u16 v1, v[4:5], off
	s_waitcnt vmcnt(0)
	v_fma_mix_f32 v0, v1, s7, v0 op_sel_hi:[1,0,0]
.LBB432_52:
	s_delay_alu instid0(VALU_DEP_1)
	v_cvt_f16_f32_e32 v5, v0
	s_or_b32 s2, s17, exec_lo
.LBB432_53:
	s_or_b32 exec_lo, exec_lo, s1
	s_delay_alu instid0(SALU_CYCLE_1) | instskip(SKIP_1) | instid1(SALU_CYCLE_1)
	s_and_not1_b32 s1, s17, exec_lo
	s_and_b32 s2, s2, exec_lo
	s_or_b32 s17, s1, s2
.LBB432_54:
	s_or_b32 exec_lo, exec_lo, s0
.LBB432_55:
	s_and_saveexec_b32 s0, s17
	s_cbranch_execz .LBB432_57
; %bb.56:
	v_lshlrev_b64 v[0:1], 1, v[2:3]
	s_delay_alu instid0(VALU_DEP_1) | instskip(NEXT) | instid1(VALU_DEP_2)
	v_add_co_u32 v0, vcc_lo, s13, v0
	v_add_co_ci_u32_e32 v1, vcc_lo, s15, v1, vcc_lo
	global_store_b16 v[0:1], v5, off
.LBB432_57:
	s_nop 0
	s_sendmsg sendmsg(MSG_DEALLOC_VGPRS)
	s_endpgm
	.section	.rodata,"a",@progbits
	.p2align	6, 0x0
	.amdhsa_kernel _ZL20rocblas_gemvn_kernelILi32ELi16EiPKDF16_fKPDF16_EviiT3_lPKT2_lT1_lS7_lS8_lS4_lPT4_lS8_li
		.amdhsa_group_segment_fixed_size 8192
		.amdhsa_private_segment_fixed_size 0
		.amdhsa_kernarg_size 400
		.amdhsa_user_sgpr_count 14
		.amdhsa_user_sgpr_dispatch_ptr 0
		.amdhsa_user_sgpr_queue_ptr 0
		.amdhsa_user_sgpr_kernarg_segment_ptr 1
		.amdhsa_user_sgpr_dispatch_id 0
		.amdhsa_user_sgpr_private_segment_size 0
		.amdhsa_wavefront_size32 1
		.amdhsa_uses_dynamic_stack 0
		.amdhsa_enable_private_segment 0
		.amdhsa_system_sgpr_workgroup_id_x 1
		.amdhsa_system_sgpr_workgroup_id_y 0
		.amdhsa_system_sgpr_workgroup_id_z 1
		.amdhsa_system_sgpr_workgroup_info 0
		.amdhsa_system_vgpr_workitem_id 1
		.amdhsa_next_free_vgpr 45
		.amdhsa_next_free_sgpr 28
		.amdhsa_reserve_vcc 1
		.amdhsa_float_round_mode_32 0
		.amdhsa_float_round_mode_16_64 0
		.amdhsa_float_denorm_mode_32 3
		.amdhsa_float_denorm_mode_16_64 3
		.amdhsa_dx10_clamp 1
		.amdhsa_ieee_mode 1
		.amdhsa_fp16_overflow 0
		.amdhsa_workgroup_processor_mode 1
		.amdhsa_memory_ordered 1
		.amdhsa_forward_progress 0
		.amdhsa_shared_vgpr_count 0
		.amdhsa_exception_fp_ieee_invalid_op 0
		.amdhsa_exception_fp_denorm_src 0
		.amdhsa_exception_fp_ieee_div_zero 0
		.amdhsa_exception_fp_ieee_overflow 0
		.amdhsa_exception_fp_ieee_underflow 0
		.amdhsa_exception_fp_ieee_inexact 0
		.amdhsa_exception_int_div_zero 0
	.end_amdhsa_kernel
	.section	.text._ZL20rocblas_gemvn_kernelILi32ELi16EiPKDF16_fKPDF16_EviiT3_lPKT2_lT1_lS7_lS8_lS4_lPT4_lS8_li,"axG",@progbits,_ZL20rocblas_gemvn_kernelILi32ELi16EiPKDF16_fKPDF16_EviiT3_lPKT2_lT1_lS7_lS8_lS4_lPT4_lS8_li,comdat
.Lfunc_end432:
	.size	_ZL20rocblas_gemvn_kernelILi32ELi16EiPKDF16_fKPDF16_EviiT3_lPKT2_lT1_lS7_lS8_lS4_lPT4_lS8_li, .Lfunc_end432-_ZL20rocblas_gemvn_kernelILi32ELi16EiPKDF16_fKPDF16_EviiT3_lPKT2_lT1_lS7_lS8_lS4_lPT4_lS8_li
                                        ; -- End function
	.section	.AMDGPU.csdata,"",@progbits
; Kernel info:
; codeLenInByte = 3204
; NumSgprs: 30
; NumVgprs: 45
; ScratchSize: 0
; MemoryBound: 0
; FloatMode: 240
; IeeeMode: 1
; LDSByteSize: 8192 bytes/workgroup (compile time only)
; SGPRBlocks: 3
; VGPRBlocks: 5
; NumSGPRsForWavesPerEU: 30
; NumVGPRsForWavesPerEU: 45
; Occupancy: 16
; WaveLimiterHint : 1
; COMPUTE_PGM_RSRC2:SCRATCH_EN: 0
; COMPUTE_PGM_RSRC2:USER_SGPR: 14
; COMPUTE_PGM_RSRC2:TRAP_HANDLER: 0
; COMPUTE_PGM_RSRC2:TGID_X_EN: 1
; COMPUTE_PGM_RSRC2:TGID_Y_EN: 0
; COMPUTE_PGM_RSRC2:TGID_Z_EN: 1
; COMPUTE_PGM_RSRC2:TIDIG_COMP_CNT: 1
	.section	.text._ZL20rocblas_gemvn_kernelILi32ELi16ElPKDF16_fKPDF16_EviiT3_lPKT2_lT1_lS7_lS8_lS4_lPT4_lS8_li,"axG",@progbits,_ZL20rocblas_gemvn_kernelILi32ELi16ElPKDF16_fKPDF16_EviiT3_lPKT2_lT1_lS7_lS8_lS4_lPT4_lS8_li,comdat
	.globl	_ZL20rocblas_gemvn_kernelILi32ELi16ElPKDF16_fKPDF16_EviiT3_lPKT2_lT1_lS7_lS8_lS4_lPT4_lS8_li ; -- Begin function _ZL20rocblas_gemvn_kernelILi32ELi16ElPKDF16_fKPDF16_EviiT3_lPKT2_lT1_lS7_lS8_lS4_lPT4_lS8_li
	.p2align	8
	.type	_ZL20rocblas_gemvn_kernelILi32ELi16ElPKDF16_fKPDF16_EviiT3_lPKT2_lT1_lS7_lS8_lS4_lPT4_lS8_li,@function
_ZL20rocblas_gemvn_kernelILi32ELi16ElPKDF16_fKPDF16_EviiT3_lPKT2_lT1_lS7_lS8_lS4_lPT4_lS8_li: ; @_ZL20rocblas_gemvn_kernelILi32ELi16ElPKDF16_fKPDF16_EviiT3_lPKT2_lT1_lS7_lS8_lS4_lPT4_lS8_li
; %bb.0:
	s_load_b64 s[4:5], s[0:1], 0x9c
	s_waitcnt lgkmcnt(0)
	s_lshr_b32 s3, s4, 16
	s_and_b32 s4, s4, 0xffff
	s_and_b32 s5, s5, 0xffff
	s_mul_i32 s3, s3, s4
	s_delay_alu instid0(SALU_CYCLE_1) | instskip(NEXT) | instid1(SALU_CYCLE_1)
	s_mul_i32 s3, s3, s5
	s_cmpk_lg_i32 s3, 0x200
	s_cbranch_scc1 .LBB433_57
; %bb.1:
	s_load_b128 s[8:11], s[0:1], 0x0
	s_waitcnt lgkmcnt(0)
	s_load_b32 s11, s[0:1], 0x58
	s_mov_b32 s2, s15
	v_cmp_eq_f32_e64 s15, s10, 0
	s_waitcnt lgkmcnt(0)
	v_cmp_eq_f32_e64 s3, s11, 1.0
	s_delay_alu instid0(VALU_DEP_1) | instskip(NEXT) | instid1(SALU_CYCLE_1)
	s_and_b32 s3, s15, s3
	s_and_b32 vcc_lo, exec_lo, s3
	s_cbranch_vccnz .LBB433_57
; %bb.2:
	s_clause 0x1
	s_load_b128 s[4:7], s[0:1], 0x18
	s_load_b64 s[12:13], s[0:1], 0x28
	v_cmp_neq_f32_e64 s20, s10, 0
	s_delay_alu instid0(VALU_DEP_1)
	s_and_b32 vcc_lo, exec_lo, s20
	s_cbranch_vccnz .LBB433_4
; %bb.3:
	s_mov_b32 s3, 0
	s_mov_b64 s[16:17], 0
	s_cbranch_execz .LBB433_5
	s_branch .LBB433_6
.LBB433_4:
	s_mov_b32 s3, -1
                                        ; implicit-def: $sgpr16_sgpr17
.LBB433_5:
	s_mov_b32 s3, 0
	s_delay_alu instid0(SALU_CYCLE_1)
	s_lshl_b64 s[16:17], s[2:3], 3
	s_waitcnt lgkmcnt(0)
	s_add_u32 s4, s4, s16
	s_addc_u32 s5, s5, s17
	s_lshl_b64 s[6:7], s[6:7], 1
	s_load_b64 s[4:5], s[4:5], 0x0
	s_waitcnt lgkmcnt(0)
	s_add_u32 s16, s4, s6
	s_addc_u32 s17, s5, s7
.LBB433_6:
	s_waitcnt lgkmcnt(0)
	s_clause 0x1
	s_load_b128 s[4:7], s[0:1], 0x38
	s_load_b64 s[18:19], s[0:1], 0x48
	s_and_not1_b32 vcc_lo, exec_lo, s20
	s_cbranch_vccnz .LBB433_8
; %bb.7:
	s_lshl_b64 s[20:21], s[2:3], 3
	s_waitcnt lgkmcnt(0)
	s_add_u32 s4, s4, s20
	s_addc_u32 s5, s5, s21
	s_lshl_b64 s[6:7], s[6:7], 1
	s_load_b64 s[4:5], s[4:5], 0x0
	s_waitcnt lgkmcnt(0)
	s_add_u32 s20, s4, s6
	s_addc_u32 s21, s5, s7
	s_branch .LBB433_9
.LBB433_8:
	s_mov_b64 s[20:21], 0
.LBB433_9:
	s_load_b128 s[24:27], s[0:1], 0x68
	s_waitcnt lgkmcnt(0)
	s_load_b64 s[6:7], s[0:1], 0x78
	s_lshl_b64 s[2:3], s[2:3], 3
	v_and_b32_e32 v20, 0x3ff, v0
	v_bfe_u32 v21, v0, 10, 10
	s_delay_alu instid0(VALU_DEP_1)
	v_lshl_add_u32 v19, v21, 5, v20
	s_add_u32 s0, s24, s2
	s_addc_u32 s1, s25, s3
	s_lshl_b64 s[22:23], s[26:27], 1
	s_load_b64 s[2:3], s[0:1], 0x0
	v_cmp_gt_u32_e64 s0, 0x80, v19
	s_waitcnt lgkmcnt(0)
	s_add_u32 s5, s2, s22
	s_addc_u32 s26, s3, s23
	s_and_not1_b32 vcc_lo, exec_lo, s15
	s_cbranch_vccnz .LBB433_14
; %bb.10:
	s_mov_b32 s1, 0
	s_mov_b32 s27, 0
                                        ; implicit-def: $vgpr3
                                        ; implicit-def: $vgpr0_vgpr1
	s_and_saveexec_b32 s2, s0
	s_cbranch_execz .LBB433_15
; %bb.11:
	v_lshl_or_b32 v2, s14, 7, v19
	v_mov_b32_e32 v3, 0
	s_ashr_i32 s23, s8, 31
	s_mov_b32 s22, s8
	s_mov_b32 s3, 0
                                        ; implicit-def: $vgpr0_vgpr1
	s_delay_alu instid0(VALU_DEP_1)
	v_cmp_gt_i64_e32 vcc_lo, s[22:23], v[2:3]
                                        ; implicit-def: $vgpr3
	s_and_saveexec_b32 s0, vcc_lo
	s_cbranch_execz .LBB433_17
; %bb.12:
	v_mad_u64_u32 v[0:1], null, v2, s6, 0
	v_cmp_eq_f32_e64 s3, s11, 0
	s_delay_alu instid0(VALU_DEP_1) | instskip(NEXT) | instid1(VALU_DEP_2)
	s_and_b32 vcc_lo, exec_lo, s3
	v_mad_u64_u32 v[3:4], null, v2, s7, v[1:2]
	s_delay_alu instid0(VALU_DEP_1)
	v_mov_b32_e32 v1, v3
	s_cbranch_vccnz .LBB433_16
; %bb.13:
	s_delay_alu instid0(VALU_DEP_1) | instskip(SKIP_1) | instid1(VALU_DEP_1)
	v_lshlrev_b64 v[2:3], 1, v[0:1]
	s_mov_b32 s3, exec_lo
	v_add_co_u32 v2, vcc_lo, s5, v2
	s_delay_alu instid0(VALU_DEP_2)
	v_add_co_ci_u32_e32 v3, vcc_lo, s26, v3, vcc_lo
	global_load_u16 v2, v[2:3], off
	s_waitcnt vmcnt(0)
	v_fma_mixlo_f16 v3, v2, s11, 0 op_sel_hi:[1,0,0]
	s_branch .LBB433_17
.LBB433_14:
	s_mov_b32 s27, 0
                                        ; implicit-def: $vgpr3
                                        ; implicit-def: $vgpr0_vgpr1
	s_cbranch_execnz .LBB433_18
	s_branch .LBB433_55
.LBB433_15:
	s_or_b32 exec_lo, exec_lo, s2
	s_delay_alu instid0(SALU_CYCLE_1)
	s_and_b32 vcc_lo, exec_lo, s1
	s_cbranch_vccnz .LBB433_18
	s_branch .LBB433_55
.LBB433_16:
	v_mov_b32_e32 v3, 0
	s_mov_b32 s3, exec_lo
.LBB433_17:
	s_or_b32 exec_lo, exec_lo, s0
	s_delay_alu instid0(SALU_CYCLE_1) | instskip(SKIP_1) | instid1(SALU_CYCLE_1)
	s_and_b32 s27, s3, exec_lo
	s_or_b32 exec_lo, exec_lo, s2
	s_and_b32 vcc_lo, exec_lo, s1
	s_cbranch_vccz .LBB433_55
.LBB433_18:
	s_ashr_i32 s0, s9, 31
	s_lshl_b32 s28, s14, 7
	s_lshr_b32 s0, s0, 26
	v_dual_mov_b32 v26, 0 :: v_dual_lshlrev_b32 v23, 2, v21
	v_dual_mov_b32 v25, 0 :: v_dual_add_nc_u32 v0, s28, v20
	v_mov_b32_e32 v24, 0
	v_mov_b32_e32 v22, 0
	s_add_i32 s29, s9, s0
	s_mov_b32 s30, exec_lo
	s_and_not1_b32 s29, s29, 63
	s_delay_alu instid0(SALU_CYCLE_1)
	v_cmpx_gt_i32_e64 s29, v23
	s_cbranch_execz .LBB433_30
; %bb.19:
	v_lshlrev_b32_e32 v22, 2, v21
	v_mad_u64_u32 v[5:6], null, s18, v21, 0
	v_add_nc_u32_e32 v10, 0x60, v0
	v_mad_u64_u32 v[7:8], null, s12, v21, 0
	s_delay_alu instid0(VALU_DEP_4) | instskip(SKIP_1) | instid1(VALU_DEP_4)
	v_or_b32_e32 v29, 3, v22
	v_or_b32_e32 v31, 2, v22
	v_cmp_gt_i32_e64 s2, s8, v10
	v_ashrrev_i32_e32 v1, 31, v0
	v_cmp_gt_i32_e32 vcc_lo, s8, v0
	v_mad_u64_u32 v[3:4], null, s12, v29, 0
	v_mad_u64_u32 v[16:17], null, s18, v29, 0
	v_add_nc_u32_e32 v2, 32, v0
	v_add_nc_u32_e32 v9, 64, v0
	v_mad_u64_u32 v[14:15], null, s12, v31, 0
	v_mad_u64_u32 v[35:36], null, s18, v31, 0
	s_delay_alu instid0(VALU_DEP_4)
	v_cmp_gt_i32_e64 s0, s8, v2
	v_mov_b32_e32 v2, v4
	v_mov_b32_e32 v4, v6
	v_cmp_gt_i32_e64 s1, s8, v9
	v_mov_b32_e32 v6, v8
	s_lshl_b64 s[14:15], s[12:13], 7
	v_mad_u64_u32 v[9:10], null, s13, v29, v[2:3]
	v_mad_u64_u32 v[10:11], null, s19, v21, v[4:5]
	s_delay_alu instid0(VALU_DEP_3) | instskip(SKIP_2) | instid1(VALU_DEP_4)
	v_mad_u64_u32 v[11:12], null, s13, v21, v[6:7]
	v_lshlrev_b64 v[1:2], 1, v[0:1]
	s_lshl_b64 s[22:23], s[18:19], 7
	v_mov_b32_e32 v4, v9
	s_mov_b32 s31, 0
	s_delay_alu instid0(VALU_DEP_4) | instskip(SKIP_1) | instid1(VALU_DEP_4)
	v_mov_b32_e32 v6, v10
	s_mov_b64 s[24:25], s[20:21]
	v_mov_b32_e32 v8, v11
	v_lshlrev_b64 v[9:10], 1, v[3:4]
	s_delay_alu instid0(VALU_DEP_3) | instskip(SKIP_2) | instid1(VALU_DEP_4)
	v_lshlrev_b64 v[3:4], 3, v[5:6]
	v_mov_b32_e32 v5, v15
	v_mad_u64_u32 v[12:13], null, s18, v22, s[18:19]
	v_add_co_u32 v27, s3, s16, v9
	s_delay_alu instid0(VALU_DEP_1) | instskip(SKIP_1) | instid1(VALU_DEP_4)
	v_add_co_ci_u32_e64 v28, s3, s17, v10, s3
	v_mad_u64_u32 v[9:10], null, s12, v22, s[12:13]
	v_mov_b32_e32 v6, v13
	v_lshlrev_b64 v[7:8], 3, v[7:8]
	s_delay_alu instid0(VALU_DEP_2) | instskip(SKIP_1) | instid1(VALU_DEP_3)
	v_mad_u64_u32 v[24:25], null, s13, v31, v[5:6]
	v_mov_b32_e32 v5, v17
	v_mad_u64_u32 v[17:18], null, s19, v22, v[6:7]
	s_delay_alu instid0(VALU_DEP_2) | instskip(SKIP_2) | instid1(VALU_DEP_4)
	v_mad_u64_u32 v[25:26], null, s19, v29, v[5:6]
	v_mov_b32_e32 v5, v10
	v_mov_b32_e32 v15, v24
	;; [unrolled: 1-line block ×3, first 2 shown]
	v_add_co_u32 v29, s3, s16, v7
	s_delay_alu instid0(VALU_DEP_4) | instskip(SKIP_4) | instid1(VALU_DEP_4)
	v_mad_u64_u32 v[10:11], null, s13, v22, v[5:6]
	v_mov_b32_e32 v5, v36
	v_mov_b32_e32 v17, v25
	v_lshlrev_b64 v[14:15], 1, v[14:15]
	v_add_co_ci_u32_e64 v30, s3, s17, v8, s3
	v_mad_u64_u32 v[24:25], null, s19, v31, v[5:6]
	v_mov_b32_e32 v25, 0
	v_lshlrev_b64 v[9:10], 1, v[9:10]
	v_add_co_u32 v31, s3, s16, v14
	s_delay_alu instid0(VALU_DEP_1) | instskip(SKIP_1) | instid1(VALU_DEP_4)
	v_add_co_ci_u32_e64 v32, s3, s17, v15, s3
	v_mov_b32_e32 v36, v24
	v_add_co_u32 v33, s3, s16, v9
	v_lshlrev_b64 v[5:6], 1, v[12:13]
	v_lshlrev_b64 v[7:8], 1, v[16:17]
	v_add_co_ci_u32_e64 v34, s3, s17, v10, s3
	v_lshlrev_b64 v[9:10], 1, v[35:36]
	v_mov_b32_e32 v26, 0
	v_mov_b32_e32 v24, 0
	;; [unrolled: 1-line block ×3, first 2 shown]
	s_branch .LBB433_24
.LBB433_20:                             ;   in Loop: Header=BB433_24 Depth=1
	s_or_b32 exec_lo, exec_lo, s34
	s_waitcnt vmcnt(3) lgkmcnt(3)
	v_fma_mix_f32 v11, v47, v51, v24 op_sel_hi:[0,1,0]
	s_waitcnt vmcnt(2) lgkmcnt(2)
	s_delay_alu instid0(VALU_DEP_1) | instskip(SKIP_1) | instid1(VALU_DEP_1)
	v_fma_mix_f32 v11, v48, v52, v11 op_sel_hi:[0,1,0]
	s_waitcnt vmcnt(1) lgkmcnt(1)
	v_fma_mix_f32 v11, v49, v53, v11 op_sel_hi:[0,1,0]
	s_waitcnt vmcnt(0) lgkmcnt(0)
	s_delay_alu instid0(VALU_DEP_1)
	v_fma_mix_f32 v24, v50, v54, v11 op_sel_hi:[0,1,0]
.LBB433_21:                             ;   in Loop: Header=BB433_24 Depth=1
	s_or_b32 exec_lo, exec_lo, s33
	s_waitcnt vmcnt(3) lgkmcnt(3)
	v_fma_mix_f32 v11, v47, v43, v25 op_sel_hi:[0,1,0]
	s_waitcnt vmcnt(2) lgkmcnt(2)
	s_delay_alu instid0(VALU_DEP_1) | instskip(SKIP_1) | instid1(VALU_DEP_1)
	v_fma_mix_f32 v11, v48, v44, v11 op_sel_hi:[0,1,0]
	s_waitcnt vmcnt(1) lgkmcnt(1)
	v_fma_mix_f32 v11, v49, v45, v11 op_sel_hi:[0,1,0]
	s_waitcnt vmcnt(0) lgkmcnt(0)
	s_delay_alu instid0(VALU_DEP_1)
	v_fma_mix_f32 v25, v50, v46, v11 op_sel_hi:[0,1,0]
.LBB433_22:                             ;   in Loop: Header=BB433_24 Depth=1
	s_or_b32 exec_lo, exec_lo, s3
	s_waitcnt vmcnt(3) lgkmcnt(3)
	v_fma_mix_f32 v11, v35, v39, v26 op_sel_hi:[1,1,0]
	s_waitcnt vmcnt(2) lgkmcnt(2)
	s_delay_alu instid0(VALU_DEP_1) | instskip(SKIP_1) | instid1(VALU_DEP_1)
	v_fma_mix_f32 v11, v36, v40, v11 op_sel_hi:[1,1,0]
	s_waitcnt vmcnt(1) lgkmcnt(1)
	v_fma_mix_f32 v11, v37, v41, v11 op_sel_hi:[1,1,0]
	s_waitcnt vmcnt(0) lgkmcnt(0)
	s_delay_alu instid0(VALU_DEP_1)
	v_fma_mix_f32 v26, v38, v42, v11 op_sel_hi:[1,1,0]
.LBB433_23:                             ;   in Loop: Header=BB433_24 Depth=1
	s_or_b32 exec_lo, exec_lo, s4
	v_add_co_u32 v27, s3, v27, s14
	s_delay_alu instid0(VALU_DEP_1) | instskip(SKIP_4) | instid1(VALU_DEP_1)
	v_add_co_ci_u32_e64 v28, s3, s15, v28, s3
	v_add_co_u32 v29, s3, v29, s14
	v_add_nc_u32_e32 v23, 64, v23
	v_add_co_ci_u32_e64 v30, s3, s15, v30, s3
	v_add_co_u32 v31, s3, v31, s14
	v_add_co_ci_u32_e64 v32, s3, s15, v32, s3
	s_delay_alu instid0(VALU_DEP_4) | instskip(SKIP_1) | instid1(VALU_DEP_1)
	v_cmp_le_i32_e64 s3, s29, v23
	v_add_co_u32 v33, s4, v33, s14
	v_add_co_ci_u32_e64 v34, s4, s15, v34, s4
	s_add_u32 s24, s24, s22
	s_addc_u32 s25, s25, s23
	s_or_b32 s31, s3, s31
	s_delay_alu instid0(SALU_CYCLE_1)
	s_and_not1_b32 exec_lo, exec_lo, s31
	s_cbranch_execz .LBB433_29
.LBB433_24:                             ; =>This Inner Loop Header: Depth=1
	s_and_saveexec_b32 s4, vcc_lo
	s_cbranch_execz .LBB433_23
; %bb.25:                               ;   in Loop: Header=BB433_24 Depth=1
	v_add_co_u32 v35, s3, s24, v3
	s_delay_alu instid0(VALU_DEP_1) | instskip(SKIP_1) | instid1(VALU_DEP_1)
	v_add_co_ci_u32_e64 v36, s3, s25, v4, s3
	v_add_co_u32 v37, s3, s24, v5
	v_add_co_ci_u32_e64 v38, s3, s25, v6, s3
	v_add_co_u32 v39, s3, s24, v9
	s_delay_alu instid0(VALU_DEP_1) | instskip(SKIP_1) | instid1(VALU_DEP_1)
	v_add_co_ci_u32_e64 v40, s3, s25, v10, s3
	v_add_co_u32 v41, s3, s24, v7
	v_add_co_ci_u32_e64 v42, s3, s25, v8, s3
	;; [unrolled: 5-line block ×4, first 2 shown]
	s_clause 0x3
	flat_load_u16 v35, v[35:36]
	flat_load_u16 v36, v[37:38]
	;; [unrolled: 1-line block ×8, first 2 shown]
	s_and_saveexec_b32 s3, s0
	s_cbranch_execz .LBB433_22
; %bb.26:                               ;   in Loop: Header=BB433_24 Depth=1
	flat_load_u16 v43, v[11:12] offset:64
	flat_load_u16 v44, v[13:14] offset:64
	;; [unrolled: 1-line block ×4, first 2 shown]
	s_waitcnt vmcnt(11) lgkmcnt(11)
	v_cvt_f32_f16_e32 v47, v35
	s_waitcnt vmcnt(10) lgkmcnt(10)
	v_cvt_f32_f16_e32 v48, v36
	;; [unrolled: 2-line block ×4, first 2 shown]
	s_and_saveexec_b32 s33, s1
	s_cbranch_execz .LBB433_21
; %bb.27:                               ;   in Loop: Header=BB433_24 Depth=1
	flat_load_u16 v51, v[11:12] offset:128
	flat_load_u16 v52, v[13:14] offset:128
	;; [unrolled: 1-line block ×4, first 2 shown]
	s_and_saveexec_b32 s34, s2
	s_cbranch_execz .LBB433_20
; %bb.28:                               ;   in Loop: Header=BB433_24 Depth=1
	flat_load_u16 v11, v[11:12] offset:192
	flat_load_u16 v12, v[13:14] offset:192
	flat_load_u16 v13, v[15:16] offset:192
	flat_load_u16 v14, v[17:18] offset:192
	s_waitcnt vmcnt(3) lgkmcnt(3)
	v_fma_mix_f32 v11, v47, v11, v22 op_sel_hi:[0,1,0]
	s_waitcnt vmcnt(2) lgkmcnt(2)
	s_delay_alu instid0(VALU_DEP_1) | instskip(SKIP_1) | instid1(VALU_DEP_1)
	v_fma_mix_f32 v11, v48, v12, v11 op_sel_hi:[0,1,0]
	s_waitcnt vmcnt(1) lgkmcnt(1)
	v_fma_mix_f32 v11, v49, v13, v11 op_sel_hi:[0,1,0]
	s_waitcnt vmcnt(0) lgkmcnt(0)
	s_delay_alu instid0(VALU_DEP_1)
	v_fma_mix_f32 v22, v50, v14, v11 op_sel_hi:[0,1,0]
	s_branch .LBB433_20
.LBB433_29:
	s_or_b32 exec_lo, exec_lo, s31
.LBB433_30:
	s_delay_alu instid0(SALU_CYCLE_1) | instskip(SKIP_1) | instid1(SALU_CYCLE_1)
	s_or_b32 exec_lo, exec_lo, s30
	s_sub_i32 s0, s9, s29
	s_cmp_lt_i32 s0, 1
	s_cbranch_scc1 .LBB433_48
; %bb.31:
	v_cmp_gt_i32_e32 vcc_lo, s9, v23
	v_dual_mov_b32 v9, 0 :: v_dual_mov_b32 v10, 0
	v_or_b32_e32 v2, 1, v23
	v_dual_mov_b32 v11, 0 :: v_dual_mov_b32 v12, 0
	s_and_saveexec_b32 s1, vcc_lo
	s_cbranch_execz .LBB433_39
; %bb.32:
	v_mad_u64_u32 v[3:4], null, v23, s18, 0
	v_mov_b32_e32 v11, 0
	v_mov_b32_e32 v9, 0
	s_mov_b32 s2, exec_lo
	s_delay_alu instid0(VALU_DEP_3) | instskip(NEXT) | instid1(VALU_DEP_1)
	v_dual_mov_b32 v10, 0 :: v_dual_mov_b32 v1, v4
	v_mad_u64_u32 v[4:5], null, v23, s19, v[1:2]
	s_delay_alu instid0(VALU_DEP_1) | instskip(NEXT) | instid1(VALU_DEP_1)
	v_lshlrev_b64 v[3:4], 1, v[3:4]
	v_add_co_u32 v3, s0, s20, v3
	s_delay_alu instid0(VALU_DEP_1)
	v_add_co_ci_u32_e64 v4, s0, s21, v4, s0
	flat_load_u16 v1, v[3:4]
	v_cmpx_gt_i32_e64 s9, v2
	s_cbranch_execz .LBB433_38
; %bb.33:
	v_mad_u64_u32 v[3:4], null, v2, s18, 0
	v_mov_b32_e32 v10, 0
	s_mov_b32 s3, exec_lo
	v_mov_b32_e32 v9, 0
	s_delay_alu instid0(VALU_DEP_3) | instskip(NEXT) | instid1(VALU_DEP_1)
	v_mad_u64_u32 v[5:6], null, v2, s19, v[4:5]
	v_mov_b32_e32 v4, v5
	s_delay_alu instid0(VALU_DEP_1) | instskip(NEXT) | instid1(VALU_DEP_1)
	v_lshlrev_b64 v[3:4], 1, v[3:4]
	v_add_co_u32 v3, s0, s20, v3
	s_delay_alu instid0(VALU_DEP_1) | instskip(SKIP_2) | instid1(VALU_DEP_1)
	v_add_co_ci_u32_e64 v4, s0, s21, v4, s0
	flat_load_u16 v3, v[3:4]
	v_or_b32_e32 v4, 2, v23
	v_cmpx_gt_i32_e64 s9, v4
	s_cbranch_execz .LBB433_37
; %bb.34:
	v_mad_u64_u32 v[5:6], null, v4, s18, 0
	s_mov_b32 s4, exec_lo
	v_mov_b32_e32 v9, 0
	s_delay_alu instid0(VALU_DEP_2) | instskip(NEXT) | instid1(VALU_DEP_1)
	v_mad_u64_u32 v[7:8], null, v4, s19, v[6:7]
	v_mov_b32_e32 v6, v7
	s_delay_alu instid0(VALU_DEP_1) | instskip(NEXT) | instid1(VALU_DEP_1)
	v_lshlrev_b64 v[4:5], 1, v[5:6]
	v_add_co_u32 v4, s0, s20, v4
	s_delay_alu instid0(VALU_DEP_1) | instskip(SKIP_2) | instid1(VALU_DEP_1)
	v_add_co_ci_u32_e64 v5, s0, s21, v5, s0
	flat_load_u16 v4, v[4:5]
	v_or_b32_e32 v5, 3, v23
	v_cmpx_gt_i32_e64 s9, v5
	s_cbranch_execz .LBB433_36
; %bb.35:
	v_mad_u64_u32 v[6:7], null, v5, s18, 0
	s_delay_alu instid0(VALU_DEP_1) | instskip(NEXT) | instid1(VALU_DEP_1)
	v_mad_u64_u32 v[8:9], null, v5, s19, v[7:8]
	v_mov_b32_e32 v7, v8
	s_delay_alu instid0(VALU_DEP_1) | instskip(NEXT) | instid1(VALU_DEP_1)
	v_lshlrev_b64 v[5:6], 1, v[6:7]
	v_add_co_u32 v5, s0, s20, v5
	s_delay_alu instid0(VALU_DEP_1)
	v_add_co_ci_u32_e64 v6, s0, s21, v6, s0
	flat_load_u16 v5, v[5:6]
	s_waitcnt vmcnt(0) lgkmcnt(0)
	v_cvt_f32_f16_e32 v9, v5
.LBB433_36:
	s_or_b32 exec_lo, exec_lo, s4
	s_waitcnt vmcnt(0) lgkmcnt(0)
	v_cvt_f32_f16_e32 v10, v4
.LBB433_37:
	s_or_b32 exec_lo, exec_lo, s3
	s_waitcnt vmcnt(0) lgkmcnt(0)
	v_cvt_f32_f16_e32 v11, v3
.LBB433_38:
	s_or_b32 exec_lo, exec_lo, s2
	s_waitcnt vmcnt(0) lgkmcnt(0)
	v_cvt_f32_f16_e32 v12, v1
.LBB433_39:
	s_or_b32 exec_lo, exec_lo, s1
	s_delay_alu instid0(SALU_CYCLE_1)
	s_mov_b32 s1, exec_lo
	v_cmpx_gt_i32_e64 s8, v0
	s_cbranch_execz .LBB433_47
; %bb.40:
	v_mad_u64_u32 v[3:4], null, v23, s12, 0
	v_mad_u64_u32 v[5:6], null, v2, s12, 0
	v_or_b32_e32 v29, 2, v23
	v_ashrrev_i32_e32 v1, 31, v0
	v_or_b32_e32 v30, 3, v23
	v_cndmask_b32_e32 v3, 0, v3, vcc_lo
	s_delay_alu instid0(VALU_DEP_4)
	v_cmp_gt_i32_e64 s0, s9, v29
	v_mad_u64_u32 v[13:14], null, v23, s13, v[4:5]
	v_mad_u64_u32 v[14:15], null, v29, s12, 0
	v_lshlrev_b64 v[7:8], 1, v[0:1]
	v_mov_b32_e32 v1, v6
	v_mad_u64_u32 v[16:17], null, v30, s12, 0
	v_cndmask_b32_e32 v4, 0, v13, vcc_lo
	v_cmp_gt_i32_e32 vcc_lo, s9, v2
	s_delay_alu instid0(VALU_DEP_4)
	v_mad_u64_u32 v[27:28], null, v2, s13, v[1:2]
	v_mov_b32_e32 v1, v15
	v_cndmask_b32_e64 v13, 0, v14, s0
	v_mov_b32_e32 v6, v17
	v_cndmask_b32_e32 v2, 0, v5, vcc_lo
	v_lshlrev_b64 v[4:5], 1, v[3:4]
	s_delay_alu instid0(VALU_DEP_2) | instskip(NEXT) | instid1(VALU_DEP_1)
	v_mad_u64_u32 v[17:18], null, v29, s13, v[1:2]
	v_cndmask_b32_e64 v14, 0, v17, s0
	v_mad_u64_u32 v[17:18], null, v30, s13, v[6:7]
	v_cndmask_b32_e32 v3, 0, v27, vcc_lo
	v_add_co_u32 v1, vcc_lo, s16, v4
	v_add_co_ci_u32_e32 v5, vcc_lo, s17, v5, vcc_lo
	s_delay_alu instid0(VALU_DEP_3) | instskip(NEXT) | instid1(VALU_DEP_3)
	v_lshlrev_b64 v[3:4], 1, v[2:3]
	v_add_co_u32 v1, vcc_lo, v1, v7
	s_delay_alu instid0(VALU_DEP_3) | instskip(SKIP_1) | instid1(VALU_DEP_4)
	v_add_co_ci_u32_e32 v2, vcc_lo, v5, v8, vcc_lo
	v_lshlrev_b64 v[5:6], 1, v[13:14]
	v_add_co_u32 v3, vcc_lo, s16, v3
	v_add_co_ci_u32_e32 v4, vcc_lo, s17, v4, vcc_lo
	s_mov_b32 s0, exec_lo
	s_delay_alu instid0(VALU_DEP_2) | instskip(NEXT) | instid1(VALU_DEP_2)
	v_add_co_u32 v3, vcc_lo, v3, v7
	v_add_co_ci_u32_e32 v4, vcc_lo, v4, v8, vcc_lo
	v_cmp_gt_i32_e32 vcc_lo, s9, v30
	s_clause 0x1
	flat_load_u16 v15, v[1:2]
	flat_load_u16 v18, v[3:4]
	v_dual_cndmask_b32 v14, 0, v17 :: v_dual_cndmask_b32 v13, 0, v16
	v_add_co_u32 v5, vcc_lo, s16, v5
	v_add_co_ci_u32_e32 v6, vcc_lo, s17, v6, vcc_lo
	s_delay_alu instid0(VALU_DEP_3) | instskip(NEXT) | instid1(VALU_DEP_3)
	v_lshlrev_b64 v[13:14], 1, v[13:14]
	v_add_co_u32 v5, vcc_lo, v5, v7
	s_delay_alu instid0(VALU_DEP_3) | instskip(NEXT) | instid1(VALU_DEP_3)
	v_add_co_ci_u32_e32 v6, vcc_lo, v6, v8, vcc_lo
	v_add_co_u32 v13, vcc_lo, s16, v13
	s_delay_alu instid0(VALU_DEP_4)
	v_add_co_ci_u32_e32 v14, vcc_lo, s17, v14, vcc_lo
	flat_load_u16 v16, v[5:6]
	v_add_co_u32 v7, vcc_lo, v13, v7
	v_add_co_ci_u32_e32 v8, vcc_lo, v14, v8, vcc_lo
	flat_load_u16 v13, v[7:8]
	s_waitcnt vmcnt(3) lgkmcnt(3)
	v_fma_mix_f32 v14, v12, v15, v26 op_sel_hi:[0,1,0]
	v_add_nc_u32_e32 v15, 32, v0
	s_waitcnt vmcnt(2) lgkmcnt(2)
	s_delay_alu instid0(VALU_DEP_2) | instskip(SKIP_1) | instid1(VALU_DEP_1)
	v_fma_mix_f32 v14, v11, v18, v14 op_sel_hi:[0,1,0]
	s_waitcnt vmcnt(1) lgkmcnt(1)
	v_fma_mix_f32 v14, v10, v16, v14 op_sel_hi:[0,1,0]
	v_cmpx_gt_i32_e64 s8, v15
	s_cbranch_execz .LBB433_46
; %bb.41:
	s_clause 0x3
	flat_load_u16 v16, v[1:2] offset:64
	flat_load_u16 v17, v[3:4] offset:64
	;; [unrolled: 1-line block ×4, first 2 shown]
	s_mov_b32 s2, exec_lo
	s_waitcnt vmcnt(3) lgkmcnt(3)
	v_fma_mix_f32 v16, v12, v16, v25 op_sel_hi:[0,1,0]
	s_waitcnt vmcnt(2) lgkmcnt(2)
	s_delay_alu instid0(VALU_DEP_1) | instskip(SKIP_2) | instid1(VALU_DEP_2)
	v_fma_mix_f32 v16, v11, v17, v16 op_sel_hi:[0,1,0]
	v_add_nc_u32_e32 v17, 64, v0
	s_waitcnt vmcnt(1) lgkmcnt(1)
	v_fma_mix_f32 v16, v10, v18, v16 op_sel_hi:[0,1,0]
	s_delay_alu instid0(VALU_DEP_2)
	v_cmpx_gt_i32_e64 s8, v17
	s_cbranch_execz .LBB433_45
; %bb.42:
	s_clause 0x3
	flat_load_u16 v18, v[1:2] offset:128
	flat_load_u16 v23, v[3:4] offset:128
	;; [unrolled: 1-line block ×4, first 2 shown]
	s_mov_b32 s3, exec_lo
	s_waitcnt vmcnt(3) lgkmcnt(3)
	v_fma_mix_f32 v18, v12, v18, v24 op_sel_hi:[0,1,0]
	s_waitcnt vmcnt(2) lgkmcnt(2)
	s_delay_alu instid0(VALU_DEP_1) | instskip(SKIP_2) | instid1(VALU_DEP_2)
	v_fma_mix_f32 v18, v11, v23, v18 op_sel_hi:[0,1,0]
	v_add_nc_u32_e32 v23, 0x60, v0
	s_waitcnt vmcnt(1) lgkmcnt(1)
	v_fma_mix_f32 v0, v10, v25, v18 op_sel_hi:[0,1,0]
	s_delay_alu instid0(VALU_DEP_2)
	v_cmpx_gt_i32_e64 s8, v23
	s_cbranch_execz .LBB433_44
; %bb.43:
	s_clause 0x3
	flat_load_u16 v1, v[1:2] offset:192
	flat_load_u16 v2, v[3:4] offset:192
	;; [unrolled: 1-line block ×4, first 2 shown]
	s_waitcnt vmcnt(3) lgkmcnt(3)
	v_fma_mix_f32 v1, v12, v1, v22 op_sel_hi:[0,1,0]
	s_waitcnt vmcnt(2) lgkmcnt(2)
	s_delay_alu instid0(VALU_DEP_1) | instskip(SKIP_1) | instid1(VALU_DEP_1)
	v_fma_mix_f32 v1, v11, v2, v1 op_sel_hi:[0,1,0]
	s_waitcnt vmcnt(1) lgkmcnt(1)
	v_fma_mix_f32 v1, v10, v3, v1 op_sel_hi:[0,1,0]
	s_waitcnt vmcnt(0) lgkmcnt(0)
	s_delay_alu instid0(VALU_DEP_1)
	v_fma_mix_f32 v22, v9, v4, v1 op_sel_hi:[0,1,0]
.LBB433_44:
	s_or_b32 exec_lo, exec_lo, s3
	s_waitcnt vmcnt(0) lgkmcnt(0)
	v_fma_mix_f32 v24, v9, v17, v0 op_sel_hi:[0,1,0]
.LBB433_45:
	s_or_b32 exec_lo, exec_lo, s2
	s_waitcnt vmcnt(0) lgkmcnt(0)
	v_fma_mix_f32 v25, v9, v15, v16 op_sel_hi:[0,1,0]
.LBB433_46:
	s_or_b32 exec_lo, exec_lo, s0
	s_waitcnt vmcnt(0) lgkmcnt(0)
	v_fma_mix_f32 v26, v9, v13, v14 op_sel_hi:[0,1,0]
.LBB433_47:
	s_or_b32 exec_lo, exec_lo, s1
.LBB433_48:
	v_lshlrev_b32_e32 v0, 7, v21
	s_mov_b32 s0, exec_lo
                                        ; implicit-def: $vgpr3
	s_delay_alu instid0(VALU_DEP_1)
	v_add_lshl_u32 v0, v0, v20, 2
	ds_store_2addr_b32 v0, v26, v25 offset1:32
	ds_store_2addr_b32 v0, v24, v22 offset0:64 offset1:96
	s_waitcnt lgkmcnt(0)
	s_barrier
	buffer_gl0_inv
                                        ; implicit-def: $vgpr0_vgpr1
	v_cmpx_gt_u32_e32 0x80, v19
	s_cbranch_execz .LBB433_54
; %bb.49:
	v_lshlrev_b32_e32 v6, 2, v19
	s_mov_b32 s2, s27
	s_mov_b32 s1, exec_lo
	ds_load_2addr_stride64_b32 v[0:1], v6 offset1:2
	ds_load_2addr_stride64_b32 v[2:3], v6 offset0:4 offset1:6
	ds_load_2addr_stride64_b32 v[4:5], v6 offset0:8 offset1:10
	s_waitcnt lgkmcnt(2)
	v_add_f32_e32 v7, v0, v1
	ds_load_2addr_stride64_b32 v[0:1], v6 offset0:12 offset1:14
	s_waitcnt lgkmcnt(2)
	v_add_f32_e32 v2, v2, v7
	s_delay_alu instid0(VALU_DEP_1) | instskip(SKIP_3) | instid1(VALU_DEP_1)
	v_add_f32_e32 v7, v3, v2
	ds_load_2addr_stride64_b32 v[2:3], v6 offset0:16 offset1:18
	s_waitcnt lgkmcnt(2)
	v_add_f32_e32 v4, v4, v7
	v_add_f32_e32 v7, v5, v4
	ds_load_2addr_stride64_b32 v[4:5], v6 offset0:20 offset1:22
	s_waitcnt lgkmcnt(2)
	v_add_f32_e32 v0, v0, v7
	s_delay_alu instid0(VALU_DEP_1) | instskip(SKIP_1) | instid1(VALU_DEP_1)
	v_add_f32_e32 v0, v1, v0
	s_waitcnt lgkmcnt(1)
	v_add_f32_e32 v2, v2, v0
	ds_load_2addr_stride64_b32 v[0:1], v6 offset0:24 offset1:26
	v_add_f32_e32 v2, v3, v2
	s_waitcnt lgkmcnt(1)
	s_delay_alu instid0(VALU_DEP_1) | instskip(SKIP_3) | instid1(VALU_DEP_1)
	v_add_f32_e32 v4, v4, v2
	ds_load_2addr_stride64_b32 v[2:3], v6 offset0:28 offset1:30
	v_add_f32_e32 v4, v5, v4
	s_waitcnt lgkmcnt(1)
	v_add_f32_e32 v0, v0, v4
	v_or_b32_e32 v4, s28, v19
	s_delay_alu instid0(VALU_DEP_2) | instskip(SKIP_1) | instid1(VALU_DEP_1)
	v_add_f32_e32 v0, v1, v0
	s_waitcnt lgkmcnt(0)
	v_add_f32_e32 v0, v2, v0
	s_delay_alu instid0(VALU_DEP_1)
	v_add_f32_e32 v2, v3, v0
                                        ; implicit-def: $vgpr3
                                        ; implicit-def: $vgpr0_vgpr1
	ds_store_b32 v6, v2
	v_cmpx_gt_i32_e64 s8, v4
	s_cbranch_execz .LBB433_53
; %bb.50:
	v_ashrrev_i32_e32 v3, 31, v4
	v_mul_lo_u32 v5, v4, s7
	v_mad_u64_u32 v[0:1], null, v4, s6, 0
	v_cmp_eq_f32_e64 s2, s11, 0
	s_delay_alu instid0(VALU_DEP_4) | instskip(SKIP_1) | instid1(VALU_DEP_3)
	v_mul_lo_u32 v3, v3, s6
	v_mul_f32_e32 v2, s10, v2
	s_and_b32 vcc_lo, exec_lo, s2
	s_delay_alu instid0(VALU_DEP_2)
	v_add3_u32 v1, v1, v5, v3
	s_cbranch_vccnz .LBB433_52
; %bb.51:
	s_delay_alu instid0(VALU_DEP_1) | instskip(NEXT) | instid1(VALU_DEP_1)
	v_lshlrev_b64 v[3:4], 1, v[0:1]
	v_add_co_u32 v3, vcc_lo, s5, v3
	s_delay_alu instid0(VALU_DEP_2)
	v_add_co_ci_u32_e32 v4, vcc_lo, s26, v4, vcc_lo
	global_load_u16 v3, v[3:4], off
	s_waitcnt vmcnt(0)
	v_fma_mix_f32 v2, v3, s11, v2 op_sel_hi:[1,0,0]
.LBB433_52:
	s_delay_alu instid0(VALU_DEP_1)
	v_cvt_f16_f32_e32 v3, v2
	s_or_b32 s2, s27, exec_lo
.LBB433_53:
	s_or_b32 exec_lo, exec_lo, s1
	s_delay_alu instid0(SALU_CYCLE_1) | instskip(SKIP_1) | instid1(SALU_CYCLE_1)
	s_and_not1_b32 s1, s27, exec_lo
	s_and_b32 s2, s2, exec_lo
	s_or_b32 s27, s1, s2
.LBB433_54:
	s_or_b32 exec_lo, exec_lo, s0
.LBB433_55:
	s_and_saveexec_b32 s0, s27
	s_cbranch_execz .LBB433_57
; %bb.56:
	v_lshlrev_b64 v[0:1], 1, v[0:1]
	s_delay_alu instid0(VALU_DEP_1) | instskip(NEXT) | instid1(VALU_DEP_2)
	v_add_co_u32 v0, vcc_lo, s5, v0
	v_add_co_ci_u32_e32 v1, vcc_lo, s26, v1, vcc_lo
	global_store_b16 v[0:1], v3, off
.LBB433_57:
	s_nop 0
	s_sendmsg sendmsg(MSG_DEALLOC_VGPRS)
	s_endpgm
	.section	.rodata,"a",@progbits
	.p2align	6, 0x0
	.amdhsa_kernel _ZL20rocblas_gemvn_kernelILi32ELi16ElPKDF16_fKPDF16_EviiT3_lPKT2_lT1_lS7_lS8_lS4_lPT4_lS8_li
		.amdhsa_group_segment_fixed_size 8192
		.amdhsa_private_segment_fixed_size 0
		.amdhsa_kernarg_size 400
		.amdhsa_user_sgpr_count 14
		.amdhsa_user_sgpr_dispatch_ptr 0
		.amdhsa_user_sgpr_queue_ptr 0
		.amdhsa_user_sgpr_kernarg_segment_ptr 1
		.amdhsa_user_sgpr_dispatch_id 0
		.amdhsa_user_sgpr_private_segment_size 0
		.amdhsa_wavefront_size32 1
		.amdhsa_uses_dynamic_stack 0
		.amdhsa_enable_private_segment 0
		.amdhsa_system_sgpr_workgroup_id_x 1
		.amdhsa_system_sgpr_workgroup_id_y 0
		.amdhsa_system_sgpr_workgroup_id_z 1
		.amdhsa_system_sgpr_workgroup_info 0
		.amdhsa_system_vgpr_workitem_id 1
		.amdhsa_next_free_vgpr 55
		.amdhsa_next_free_sgpr 35
		.amdhsa_reserve_vcc 1
		.amdhsa_float_round_mode_32 0
		.amdhsa_float_round_mode_16_64 0
		.amdhsa_float_denorm_mode_32 3
		.amdhsa_float_denorm_mode_16_64 3
		.amdhsa_dx10_clamp 1
		.amdhsa_ieee_mode 1
		.amdhsa_fp16_overflow 0
		.amdhsa_workgroup_processor_mode 1
		.amdhsa_memory_ordered 1
		.amdhsa_forward_progress 0
		.amdhsa_shared_vgpr_count 0
		.amdhsa_exception_fp_ieee_invalid_op 0
		.amdhsa_exception_fp_denorm_src 0
		.amdhsa_exception_fp_ieee_div_zero 0
		.amdhsa_exception_fp_ieee_overflow 0
		.amdhsa_exception_fp_ieee_underflow 0
		.amdhsa_exception_fp_ieee_inexact 0
		.amdhsa_exception_int_div_zero 0
	.end_amdhsa_kernel
	.section	.text._ZL20rocblas_gemvn_kernelILi32ELi16ElPKDF16_fKPDF16_EviiT3_lPKT2_lT1_lS7_lS8_lS4_lPT4_lS8_li,"axG",@progbits,_ZL20rocblas_gemvn_kernelILi32ELi16ElPKDF16_fKPDF16_EviiT3_lPKT2_lT1_lS7_lS8_lS4_lPT4_lS8_li,comdat
.Lfunc_end433:
	.size	_ZL20rocblas_gemvn_kernelILi32ELi16ElPKDF16_fKPDF16_EviiT3_lPKT2_lT1_lS7_lS8_lS4_lPT4_lS8_li, .Lfunc_end433-_ZL20rocblas_gemvn_kernelILi32ELi16ElPKDF16_fKPDF16_EviiT3_lPKT2_lT1_lS7_lS8_lS4_lPT4_lS8_li
                                        ; -- End function
	.section	.AMDGPU.csdata,"",@progbits
; Kernel info:
; codeLenInByte = 3568
; NumSgprs: 37
; NumVgprs: 55
; ScratchSize: 0
; MemoryBound: 0
; FloatMode: 240
; IeeeMode: 1
; LDSByteSize: 8192 bytes/workgroup (compile time only)
; SGPRBlocks: 4
; VGPRBlocks: 6
; NumSGPRsForWavesPerEU: 37
; NumVGPRsForWavesPerEU: 55
; Occupancy: 16
; WaveLimiterHint : 1
; COMPUTE_PGM_RSRC2:SCRATCH_EN: 0
; COMPUTE_PGM_RSRC2:USER_SGPR: 14
; COMPUTE_PGM_RSRC2:TRAP_HANDLER: 0
; COMPUTE_PGM_RSRC2:TGID_X_EN: 1
; COMPUTE_PGM_RSRC2:TGID_Y_EN: 0
; COMPUTE_PGM_RSRC2:TGID_Z_EN: 1
; COMPUTE_PGM_RSRC2:TIDIG_COMP_CNT: 1
	.section	.text._ZL20rocblas_gemvn_kernelILi64ELi16EiPKDF16_PKfKPDF16_EviiT3_lPKT2_lT1_lS9_lSA_lS6_lPT4_lSA_li,"axG",@progbits,_ZL20rocblas_gemvn_kernelILi64ELi16EiPKDF16_PKfKPDF16_EviiT3_lPKT2_lT1_lS9_lSA_lS6_lPT4_lSA_li,comdat
	.globl	_ZL20rocblas_gemvn_kernelILi64ELi16EiPKDF16_PKfKPDF16_EviiT3_lPKT2_lT1_lS9_lSA_lS6_lPT4_lSA_li ; -- Begin function _ZL20rocblas_gemvn_kernelILi64ELi16EiPKDF16_PKfKPDF16_EviiT3_lPKT2_lT1_lS9_lSA_lS6_lPT4_lSA_li
	.p2align	8
	.type	_ZL20rocblas_gemvn_kernelILi64ELi16EiPKDF16_PKfKPDF16_EviiT3_lPKT2_lT1_lS9_lSA_lS6_lPT4_lSA_li,@function
_ZL20rocblas_gemvn_kernelILi64ELi16EiPKDF16_PKfKPDF16_EviiT3_lPKT2_lT1_lS9_lSA_lS6_lPT4_lSA_li: ; @_ZL20rocblas_gemvn_kernelILi64ELi16EiPKDF16_PKfKPDF16_EviiT3_lPKT2_lT1_lS9_lSA_lS6_lPT4_lSA_li
; %bb.0:
	s_load_b64 s[4:5], s[0:1], 0x9c
	s_waitcnt lgkmcnt(0)
	s_lshr_b32 s3, s4, 16
	s_and_b32 s4, s4, 0xffff
	s_and_b32 s5, s5, 0xffff
	s_mul_i32 s3, s3, s4
	s_delay_alu instid0(SALU_CYCLE_1) | instskip(NEXT) | instid1(SALU_CYCLE_1)
	s_mul_i32 s3, s3, s5
	s_cmpk_lg_i32 s3, 0x400
	s_cbranch_scc1 .LBB434_54
; %bb.1:
	s_clause 0x1
	s_load_b256 s[16:23], s[0:1], 0x8
	s_load_b256 s[4:11], s[0:1], 0x58
	s_mov_b32 s2, s15
	s_waitcnt lgkmcnt(0)
	s_mul_i32 s3, s15, s19
	s_mul_hi_u32 s13, s15, s18
	s_mul_i32 s12, s15, s18
	s_add_i32 s13, s13, s3
	s_mul_i32 s3, s15, s7
	s_lshl_b64 s[12:13], s[12:13], 2
	s_mul_hi_u32 s7, s15, s6
	s_add_u32 s12, s16, s12
	s_addc_u32 s13, s17, s13
	s_add_i32 s7, s7, s3
	s_mul_i32 s6, s15, s6
	s_delay_alu instid0(SALU_CYCLE_1) | instskip(NEXT) | instid1(SALU_CYCLE_1)
	s_lshl_b64 s[6:7], s[6:7], 2
	s_add_u32 s4, s4, s6
	s_addc_u32 s5, s5, s7
	s_load_b32 s16, s[12:13], 0x0
	s_load_b32 s15, s[4:5], 0x0
	s_waitcnt lgkmcnt(0)
	v_cmp_eq_f32_e64 s18, s16, 0
	v_cmp_eq_f32_e64 s3, s15, 1.0
	s_delay_alu instid0(VALU_DEP_1) | instskip(NEXT) | instid1(SALU_CYCLE_1)
	s_and_b32 s3, s18, s3
	s_and_b32 vcc_lo, exec_lo, s3
	s_mov_b32 s3, 0
	s_cbranch_vccnz .LBB434_54
; %bb.2:
	v_cmp_neq_f32_e64 s4, s16, 0
	s_mov_b64 s[12:13], 0
	s_and_b32 vcc_lo, exec_lo, s18
	s_mov_b64 s[6:7], 0
	s_cbranch_vccnz .LBB434_4
; %bb.3:
	s_lshl_b64 s[6:7], s[2:3], 3
	s_delay_alu instid0(SALU_CYCLE_1)
	s_add_u32 s6, s20, s6
	s_addc_u32 s7, s21, s7
	s_lshl_b64 s[20:21], s[22:23], 1
	s_load_b64 s[6:7], s[6:7], 0x0
	s_waitcnt lgkmcnt(0)
	s_add_u32 s6, s6, s20
	s_addc_u32 s7, s7, s21
.LBB434_4:
	s_and_not1_b32 vcc_lo, exec_lo, s4
	s_cbranch_vccnz .LBB434_6
; %bb.5:
	s_load_b128 s[20:23], s[0:1], 0x38
	s_lshl_b64 s[4:5], s[2:3], 3
	s_waitcnt lgkmcnt(0)
	s_add_u32 s4, s20, s4
	s_addc_u32 s5, s21, s5
	s_lshl_b64 s[12:13], s[22:23], 1
	s_load_b64 s[4:5], s[4:5], 0x0
	s_waitcnt lgkmcnt(0)
	s_add_u32 s12, s4, s12
	s_addc_u32 s13, s5, s13
.LBB434_6:
	s_lshl_b64 s[2:3], s[2:3], 3
	v_and_b32_e32 v1, 0x3ff, v0
	s_add_u32 s2, s8, s2
	s_addc_u32 s3, s9, s3
	v_bfe_u32 v13, v0, 10, 10
	s_load_b64 s[20:21], s[2:3], 0x0
	s_clause 0x1
	s_load_b64 s[4:5], s[0:1], 0x0
	s_load_b32 s17, s[0:1], 0x78
	s_lshl_b64 s[10:11], s[10:11], 1
	v_lshl_add_u32 v0, v13, 6, v1
	s_delay_alu instid0(VALU_DEP_1)
	v_cmp_gt_u32_e64 s2, 0x100, v0
	s_waitcnt lgkmcnt(0)
	s_add_u32 s9, s20, s10
	s_addc_u32 s10, s21, s11
	s_and_not1_b32 vcc_lo, exec_lo, s18
	s_cbranch_vccnz .LBB434_11
; %bb.7:
	s_mov_b32 s3, 0
	s_mov_b32 s11, 0
                                        ; implicit-def: $vgpr5
                                        ; implicit-def: $vgpr2_vgpr3
	s_and_saveexec_b32 s8, s2
	s_cbranch_execz .LBB434_12
; %bb.8:
	v_lshl_or_b32 v4, s14, 8, v0
	v_mov_b32_e32 v5, 0
	s_ashr_i32 s19, s4, 31
	s_mov_b32 s18, s4
                                        ; implicit-def: $vgpr2_vgpr3
	s_delay_alu instid0(VALU_DEP_1) | instid1(SALU_CYCLE_1)
	v_cmp_gt_i64_e32 vcc_lo, s[18:19], v[4:5]
                                        ; implicit-def: $vgpr5
	s_and_saveexec_b32 s2, vcc_lo
	s_cbranch_execz .LBB434_14
; %bb.9:
	v_mad_u64_u32 v[2:3], null, s17, v4, 0
	s_ashr_i32 s11, s17, 31
	s_delay_alu instid0(VALU_DEP_1) | instid1(SALU_CYCLE_1)
	v_mad_u64_u32 v[5:6], null, s11, v4, v[3:4]
	v_cmp_eq_f32_e64 s11, s15, 0
	s_delay_alu instid0(VALU_DEP_1) | instskip(NEXT) | instid1(VALU_DEP_2)
	s_and_b32 vcc_lo, exec_lo, s11
	v_mov_b32_e32 v3, v5
	s_cbranch_vccnz .LBB434_13
; %bb.10:
	s_delay_alu instid0(VALU_DEP_1) | instskip(SKIP_1) | instid1(VALU_DEP_1)
	v_lshlrev_b64 v[4:5], 1, v[2:3]
	s_mov_b32 s11, exec_lo
	v_add_co_u32 v4, vcc_lo, s9, v4
	s_delay_alu instid0(VALU_DEP_2)
	v_add_co_ci_u32_e32 v5, vcc_lo, s10, v5, vcc_lo
	global_load_u16 v4, v[4:5], off
	s_waitcnt vmcnt(0)
	v_fma_mixlo_f16 v5, s15, v4, 0 op_sel_hi:[0,1,0]
	s_branch .LBB434_14
.LBB434_11:
	s_mov_b32 s11, 0
                                        ; implicit-def: $vgpr5
                                        ; implicit-def: $vgpr2_vgpr3
	s_cbranch_execnz .LBB434_15
	s_branch .LBB434_52
.LBB434_12:
	s_or_b32 exec_lo, exec_lo, s8
	s_delay_alu instid0(SALU_CYCLE_1)
	s_and_b32 vcc_lo, exec_lo, s3
	s_cbranch_vccnz .LBB434_15
	s_branch .LBB434_52
.LBB434_13:
	v_mov_b32_e32 v5, 0
	s_mov_b32 s11, exec_lo
.LBB434_14:
	s_or_b32 exec_lo, exec_lo, s2
	s_delay_alu instid0(SALU_CYCLE_1) | instskip(SKIP_1) | instid1(SALU_CYCLE_1)
	s_and_b32 s11, s11, exec_lo
	s_or_b32 exec_lo, exec_lo, s8
	s_and_b32 vcc_lo, exec_lo, s3
	s_cbranch_vccz .LBB434_52
.LBB434_15:
	s_clause 0x1
	s_load_b32 s18, s[0:1], 0x28
	s_load_b32 s8, s[0:1], 0x48
	s_ashr_i32 s0, s5, 31
	s_lshl_b32 s14, s14, 8
	s_lshr_b32 s0, s0, 26
	v_dual_mov_b32 v18, 0 :: v_dual_lshlrev_b32 v19, 2, v13
	v_dual_mov_b32 v16, 0 :: v_dual_add_nc_u32 v15, s14, v1
	v_dual_mov_b32 v17, 0 :: v_dual_mov_b32 v14, 0
	s_add_i32 s19, s5, s0
	s_mov_b32 s20, exec_lo
	s_and_not1_b32 s19, s19, 63
	s_delay_alu instid0(SALU_CYCLE_1)
	v_cmpx_gt_i32_e64 s19, v19
	s_cbranch_execz .LBB434_27
; %bb.16:
	s_waitcnt lgkmcnt(0)
	v_mul_lo_u32 v3, s18, v19
	v_dual_mov_b32 v17, 0 :: v_dual_add_nc_u32 v2, 64, v15
	v_add_nc_u32_e32 v6, 2, v19
	v_dual_mov_b32 v18, 0 :: v_dual_add_nc_u32 v5, 0xc0, v15
	s_delay_alu instid0(VALU_DEP_3)
	v_cmp_gt_i32_e64 s0, s4, v2
	v_add_nc_u32_e32 v4, 0x80, v15
	v_add3_u32 v20, v3, s18, v1
	v_mad_u64_u32 v[2:3], null, s18, v6, v[1:2]
	v_cmp_gt_i32_e64 s2, s4, v5
	v_mul_lo_u32 v5, v13, s18
	v_dual_mov_b32 v16, 0 :: v_dual_add_nc_u32 v7, 3, v19
	v_mul_lo_u32 v8, v13, s8
	v_cmp_gt_i32_e64 s1, s4, v4
	v_mul_lo_u32 v22, s8, v6
	s_delay_alu instid0(VALU_DEP_4)
	v_mad_u64_u32 v[3:4], null, s18, v7, v[1:2]
	v_lshl_add_u32 v21, v5, 2, v1
	v_mad_u64_u32 v[4:5], null, s8, v19, s[8:9]
	v_mul_lo_u32 v23, s8, v7
	v_cmp_gt_i32_e32 vcc_lo, s4, v15
	v_lshlrev_b32_e32 v24, 2, v8
	v_mov_b32_e32 v14, 0
	s_lshl_b32 s21, s18, 6
	s_lshl_b32 s23, s8, 6
	s_mov_b32 s22, 0
	s_mov_b32 s24, 0
	s_branch .LBB434_21
.LBB434_17:                             ;   in Loop: Header=BB434_21 Depth=1
	s_or_b32 exec_lo, exec_lo, s27
	s_waitcnt vmcnt(3) lgkmcnt(3)
	v_fma_mix_f32 v5, v37, v41, v16 op_sel_hi:[0,1,0]
	s_waitcnt vmcnt(2) lgkmcnt(2)
	s_delay_alu instid0(VALU_DEP_1) | instskip(SKIP_1) | instid1(VALU_DEP_1)
	v_fma_mix_f32 v5, v38, v42, v5 op_sel_hi:[0,1,0]
	s_waitcnt vmcnt(1) lgkmcnt(1)
	v_fma_mix_f32 v5, v39, v43, v5 op_sel_hi:[0,1,0]
	s_waitcnt vmcnt(0) lgkmcnt(0)
	s_delay_alu instid0(VALU_DEP_1)
	v_fma_mix_f32 v16, v40, v44, v5 op_sel_hi:[0,1,0]
.LBB434_18:                             ;   in Loop: Header=BB434_21 Depth=1
	s_or_b32 exec_lo, exec_lo, s26
	s_waitcnt vmcnt(3) lgkmcnt(3)
	v_fma_mix_f32 v5, v37, v33, v17 op_sel_hi:[0,1,0]
	s_waitcnt vmcnt(2) lgkmcnt(2)
	s_delay_alu instid0(VALU_DEP_1) | instskip(SKIP_1) | instid1(VALU_DEP_1)
	v_fma_mix_f32 v5, v38, v34, v5 op_sel_hi:[0,1,0]
	s_waitcnt vmcnt(1) lgkmcnt(1)
	v_fma_mix_f32 v5, v39, v35, v5 op_sel_hi:[0,1,0]
	s_waitcnt vmcnt(0) lgkmcnt(0)
	s_delay_alu instid0(VALU_DEP_1)
	v_fma_mix_f32 v17, v40, v36, v5 op_sel_hi:[0,1,0]
.LBB434_19:                             ;   in Loop: Header=BB434_21 Depth=1
	s_or_b32 exec_lo, exec_lo, s3
	s_waitcnt vmcnt(3) lgkmcnt(3)
	v_fma_mix_f32 v5, v25, v29, v18 op_sel_hi:[1,1,0]
	s_waitcnt vmcnt(2) lgkmcnt(2)
	s_delay_alu instid0(VALU_DEP_1) | instskip(SKIP_1) | instid1(VALU_DEP_1)
	v_fma_mix_f32 v5, v26, v30, v5 op_sel_hi:[1,1,0]
	s_waitcnt vmcnt(1) lgkmcnt(1)
	v_fma_mix_f32 v5, v27, v31, v5 op_sel_hi:[1,1,0]
	s_waitcnt vmcnt(0) lgkmcnt(0)
	s_delay_alu instid0(VALU_DEP_1)
	v_fma_mix_f32 v18, v28, v32, v5 op_sel_hi:[1,1,0]
.LBB434_20:                             ;   in Loop: Header=BB434_21 Depth=1
	s_or_b32 exec_lo, exec_lo, s25
	v_add_nc_u32_e32 v19, 64, v19
	v_add_nc_u32_e32 v20, s21, v20
	;; [unrolled: 1-line block ×5, first 2 shown]
	v_cmp_le_i32_e64 s3, s19, v19
	s_add_i32 s24, s24, s23
	s_delay_alu instid0(VALU_DEP_1) | instskip(NEXT) | instid1(SALU_CYCLE_1)
	s_or_b32 s22, s3, s22
	s_and_not1_b32 exec_lo, exec_lo, s22
	s_cbranch_execz .LBB434_26
.LBB434_21:                             ; =>This Inner Loop Header: Depth=1
	s_and_saveexec_b32 s25, vcc_lo
	s_cbranch_execz .LBB434_20
; %bb.22:                               ;   in Loop: Header=BB434_21 Depth=1
	v_add_nc_u32_e32 v5, s24, v24
	v_add_nc_u32_e32 v7, s24, v4
	;; [unrolled: 1-line block ×5, first 2 shown]
	v_ashrrev_i32_e32 v6, 31, v5
	v_ashrrev_i32_e32 v8, 31, v7
	;; [unrolled: 1-line block ×5, first 2 shown]
	v_lshlrev_b64 v[5:6], 1, v[5:6]
	v_lshlrev_b64 v[7:8], 1, v[7:8]
	;; [unrolled: 1-line block ×3, first 2 shown]
	s_delay_alu instid0(VALU_DEP_3) | instskip(NEXT) | instid1(VALU_DEP_1)
	v_add_co_u32 v27, s3, s12, v5
	v_add_co_ci_u32_e64 v28, s3, s13, v6, s3
	s_delay_alu instid0(VALU_DEP_4)
	v_add_co_u32 v29, s3, s12, v7
	v_add_nc_u32_e32 v7, s14, v20
	v_add_co_ci_u32_e64 v30, s3, s13, v8, s3
	v_lshlrev_b64 v[5:6], 1, v[11:12]
	v_add_co_u32 v31, s3, s12, v9
	v_add_nc_u32_e32 v11, s14, v2
	v_add_co_ci_u32_e64 v32, s3, s13, v10, s3
	v_lshlrev_b64 v[9:10], 1, v[25:26]
	v_ashrrev_i32_e32 v8, 31, v7
	v_add_nc_u32_e32 v25, s14, v3
	v_add_co_u32 v33, s3, s12, v5
	v_ashrrev_i32_e32 v12, 31, v11
	v_add_co_ci_u32_e64 v34, s3, s13, v6, s3
	v_lshlrev_b64 v[7:8], 1, v[7:8]
	v_add_co_u32 v5, s3, s6, v9
	v_ashrrev_i32_e32 v26, 31, v25
	v_add_co_ci_u32_e64 v6, s3, s7, v10, s3
	v_lshlrev_b64 v[9:10], 1, v[11:12]
	v_add_co_u32 v7, s3, s6, v7
	s_delay_alu instid0(VALU_DEP_4) | instskip(SKIP_1) | instid1(VALU_DEP_4)
	v_lshlrev_b64 v[11:12], 1, v[25:26]
	v_add_co_ci_u32_e64 v8, s3, s7, v8, s3
	v_add_co_u32 v9, s3, s6, v9
	s_delay_alu instid0(VALU_DEP_1) | instskip(NEXT) | instid1(VALU_DEP_4)
	v_add_co_ci_u32_e64 v10, s3, s7, v10, s3
	v_add_co_u32 v11, s3, s6, v11
	s_delay_alu instid0(VALU_DEP_1)
	v_add_co_ci_u32_e64 v12, s3, s7, v12, s3
	s_clause 0x3
	flat_load_u16 v25, v[27:28]
	flat_load_u16 v26, v[29:30]
	;; [unrolled: 1-line block ×4, first 2 shown]
	s_clause 0x3
	flat_load_u16 v29, v[5:6]
	flat_load_u16 v30, v[7:8]
	;; [unrolled: 1-line block ×4, first 2 shown]
	s_and_saveexec_b32 s3, s0
	s_cbranch_execz .LBB434_19
; %bb.23:                               ;   in Loop: Header=BB434_21 Depth=1
	s_clause 0x3
	flat_load_u16 v33, v[5:6] offset:128
	flat_load_u16 v34, v[7:8] offset:128
	;; [unrolled: 1-line block ×4, first 2 shown]
	s_waitcnt vmcnt(11) lgkmcnt(11)
	v_cvt_f32_f16_e32 v37, v25
	s_waitcnt vmcnt(10) lgkmcnt(10)
	v_cvt_f32_f16_e32 v38, v26
	;; [unrolled: 2-line block ×4, first 2 shown]
	s_and_saveexec_b32 s26, s1
	s_cbranch_execz .LBB434_18
; %bb.24:                               ;   in Loop: Header=BB434_21 Depth=1
	s_clause 0x3
	flat_load_u16 v41, v[5:6] offset:256
	flat_load_u16 v42, v[7:8] offset:256
	;; [unrolled: 1-line block ×4, first 2 shown]
	s_and_saveexec_b32 s27, s2
	s_cbranch_execz .LBB434_17
; %bb.25:                               ;   in Loop: Header=BB434_21 Depth=1
	s_clause 0x3
	flat_load_u16 v5, v[5:6] offset:384
	flat_load_u16 v6, v[7:8] offset:384
	;; [unrolled: 1-line block ×4, first 2 shown]
	s_waitcnt vmcnt(3) lgkmcnt(3)
	v_fma_mix_f32 v5, v37, v5, v14 op_sel_hi:[0,1,0]
	s_waitcnt vmcnt(2) lgkmcnt(2)
	s_delay_alu instid0(VALU_DEP_1) | instskip(SKIP_1) | instid1(VALU_DEP_1)
	v_fma_mix_f32 v5, v38, v6, v5 op_sel_hi:[0,1,0]
	s_waitcnt vmcnt(1) lgkmcnt(1)
	v_fma_mix_f32 v5, v39, v7, v5 op_sel_hi:[0,1,0]
	s_waitcnt vmcnt(0) lgkmcnt(0)
	s_delay_alu instid0(VALU_DEP_1)
	v_fma_mix_f32 v14, v40, v8, v5 op_sel_hi:[0,1,0]
	s_branch .LBB434_17
.LBB434_26:
	s_or_b32 exec_lo, exec_lo, s22
.LBB434_27:
	s_delay_alu instid0(SALU_CYCLE_1) | instskip(SKIP_1) | instid1(SALU_CYCLE_1)
	s_or_b32 exec_lo, exec_lo, s20
	s_sub_i32 s0, s5, s19
	s_cmp_lt_i32 s0, 1
	s_cbranch_scc1 .LBB434_45
; %bb.28:
	v_cmp_gt_i32_e32 vcc_lo, s5, v19
	v_dual_mov_b32 v10, 0 :: v_dual_mov_b32 v11, 0
	v_or_b32_e32 v2, 1, v19
	v_mov_b32_e32 v12, 0
	v_mov_b32_e32 v20, 0
	s_and_saveexec_b32 s1, vcc_lo
	s_cbranch_execz .LBB434_36
; %bb.29:
	s_waitcnt lgkmcnt(0)
	v_mul_lo_u32 v3, v19, s8
	v_dual_mov_b32 v12, 0 :: v_dual_mov_b32 v11, 0
	v_mov_b32_e32 v10, 0
	s_mov_b32 s2, exec_lo
	s_delay_alu instid0(VALU_DEP_3) | instskip(NEXT) | instid1(VALU_DEP_1)
	v_ashrrev_i32_e32 v4, 31, v3
	v_lshlrev_b64 v[3:4], 1, v[3:4]
	s_delay_alu instid0(VALU_DEP_1) | instskip(NEXT) | instid1(VALU_DEP_1)
	v_add_co_u32 v3, s0, s12, v3
	v_add_co_ci_u32_e64 v4, s0, s13, v4, s0
	flat_load_u16 v3, v[3:4]
	v_cmpx_gt_i32_e64 s5, v2
	s_cbranch_execz .LBB434_35
; %bb.30:
	v_mul_lo_u32 v4, v2, s8
	v_dual_mov_b32 v11, 0 :: v_dual_mov_b32 v10, 0
	s_mov_b32 s3, exec_lo
	s_delay_alu instid0(VALU_DEP_2) | instskip(NEXT) | instid1(VALU_DEP_1)
	v_ashrrev_i32_e32 v5, 31, v4
	v_lshlrev_b64 v[4:5], 1, v[4:5]
	s_delay_alu instid0(VALU_DEP_1) | instskip(NEXT) | instid1(VALU_DEP_1)
	v_add_co_u32 v4, s0, s12, v4
	v_add_co_ci_u32_e64 v5, s0, s13, v5, s0
	flat_load_u16 v4, v[4:5]
	v_or_b32_e32 v5, 2, v19
	s_delay_alu instid0(VALU_DEP_1)
	v_cmpx_gt_i32_e64 s5, v5
	s_cbranch_execz .LBB434_34
; %bb.31:
	v_mul_lo_u32 v5, v5, s8
	v_mov_b32_e32 v10, 0
	s_mov_b32 s19, exec_lo
	s_delay_alu instid0(VALU_DEP_2) | instskip(NEXT) | instid1(VALU_DEP_1)
	v_ashrrev_i32_e32 v6, 31, v5
	v_lshlrev_b64 v[5:6], 1, v[5:6]
	s_delay_alu instid0(VALU_DEP_1) | instskip(NEXT) | instid1(VALU_DEP_1)
	v_add_co_u32 v5, s0, s12, v5
	v_add_co_ci_u32_e64 v6, s0, s13, v6, s0
	flat_load_u16 v5, v[5:6]
	v_or_b32_e32 v6, 3, v19
	s_delay_alu instid0(VALU_DEP_1)
	v_cmpx_gt_i32_e64 s5, v6
	s_cbranch_execz .LBB434_33
; %bb.32:
	v_mul_lo_u32 v6, v6, s8
	s_delay_alu instid0(VALU_DEP_1) | instskip(NEXT) | instid1(VALU_DEP_1)
	v_ashrrev_i32_e32 v7, 31, v6
	v_lshlrev_b64 v[6:7], 1, v[6:7]
	s_delay_alu instid0(VALU_DEP_1) | instskip(NEXT) | instid1(VALU_DEP_1)
	v_add_co_u32 v6, s0, s12, v6
	v_add_co_ci_u32_e64 v7, s0, s13, v7, s0
	flat_load_u16 v6, v[6:7]
	s_waitcnt vmcnt(0) lgkmcnt(0)
	v_cvt_f32_f16_e32 v10, v6
.LBB434_33:
	s_or_b32 exec_lo, exec_lo, s19
	s_waitcnt vmcnt(0) lgkmcnt(0)
	v_cvt_f32_f16_e32 v11, v5
.LBB434_34:
	s_or_b32 exec_lo, exec_lo, s3
	s_waitcnt vmcnt(0) lgkmcnt(0)
	v_cvt_f32_f16_e32 v12, v4
.LBB434_35:
	s_or_b32 exec_lo, exec_lo, s2
	s_waitcnt vmcnt(0) lgkmcnt(0)
	v_cvt_f32_f16_e32 v20, v3
.LBB434_36:
	s_or_b32 exec_lo, exec_lo, s1
	s_delay_alu instid0(SALU_CYCLE_1)
	s_mov_b32 s1, exec_lo
	v_cmpx_gt_i32_e64 s4, v15
	s_cbranch_execz .LBB434_44
; %bb.37:
	s_waitcnt lgkmcnt(0)
	v_mul_lo_u32 v3, v19, s18
	v_or_b32_e32 v6, 3, v19
	v_or_b32_e32 v4, 2, v19
	v_mul_lo_u32 v5, v2, s18
	s_mov_b32 s0, exec_lo
	s_delay_alu instid0(VALU_DEP_3) | instskip(NEXT) | instid1(VALU_DEP_3)
	v_mul_lo_u32 v8, v6, s18
	v_mul_lo_u32 v7, v4, s18
	v_cndmask_b32_e32 v3, 0, v3, vcc_lo
	v_cmp_gt_i32_e32 vcc_lo, s5, v2
	v_cndmask_b32_e32 v5, 0, v5, vcc_lo
	v_cmp_gt_i32_e32 vcc_lo, s5, v4
	;; [unrolled: 2-line block ×3, first 2 shown]
	s_delay_alu instid0(VALU_DEP_2) | instskip(SKIP_3) | instid1(VALU_DEP_4)
	v_add_nc_u32_e32 v6, v7, v15
	v_cndmask_b32_e32 v8, 0, v8, vcc_lo
	v_add_nc_u32_e32 v2, v3, v15
	v_add_nc_u32_e32 v4, v5, v15
	v_ashrrev_i32_e32 v7, 31, v6
	s_delay_alu instid0(VALU_DEP_4) | instskip(NEXT) | instid1(VALU_DEP_4)
	v_add_nc_u32_e32 v8, v8, v15
	v_ashrrev_i32_e32 v3, 31, v2
	s_delay_alu instid0(VALU_DEP_4) | instskip(NEXT) | instid1(VALU_DEP_4)
	v_ashrrev_i32_e32 v5, 31, v4
	v_lshlrev_b64 v[6:7], 1, v[6:7]
	s_delay_alu instid0(VALU_DEP_4) | instskip(NEXT) | instid1(VALU_DEP_4)
	v_ashrrev_i32_e32 v9, 31, v8
	v_lshlrev_b64 v[2:3], 1, v[2:3]
	s_delay_alu instid0(VALU_DEP_4) | instskip(NEXT) | instid1(VALU_DEP_3)
	v_lshlrev_b64 v[4:5], 1, v[4:5]
	v_lshlrev_b64 v[8:9], 1, v[8:9]
	s_delay_alu instid0(VALU_DEP_3) | instskip(NEXT) | instid1(VALU_DEP_4)
	v_add_co_u32 v2, vcc_lo, s6, v2
	v_add_co_ci_u32_e32 v3, vcc_lo, s7, v3, vcc_lo
	s_delay_alu instid0(VALU_DEP_4)
	v_add_co_u32 v4, vcc_lo, s6, v4
	v_add_co_ci_u32_e32 v5, vcc_lo, s7, v5, vcc_lo
	flat_load_u16 v21, v[2:3]
	v_add_co_u32 v6, vcc_lo, s6, v6
	v_add_co_ci_u32_e32 v7, vcc_lo, s7, v7, vcc_lo
	s_clause 0x1
	flat_load_u16 v22, v[4:5]
	flat_load_u16 v23, v[6:7]
	v_add_co_u32 v8, vcc_lo, s6, v8
	v_add_co_ci_u32_e32 v9, vcc_lo, s7, v9, vcc_lo
	flat_load_u16 v19, v[8:9]
	s_waitcnt vmcnt(3) lgkmcnt(3)
	v_fma_mix_f32 v18, v20, v21, v18 op_sel_hi:[0,1,0]
	v_add_nc_u32_e32 v21, 64, v15
	s_waitcnt vmcnt(2) lgkmcnt(2)
	s_delay_alu instid0(VALU_DEP_2) | instskip(SKIP_1) | instid1(VALU_DEP_1)
	v_fma_mix_f32 v18, v12, v22, v18 op_sel_hi:[0,1,0]
	s_waitcnt vmcnt(1) lgkmcnt(1)
	v_fma_mix_f32 v18, v11, v23, v18 op_sel_hi:[0,1,0]
	v_cmpx_gt_i32_e64 s4, v21
	s_cbranch_execz .LBB434_43
; %bb.38:
	s_clause 0x3
	flat_load_u16 v22, v[2:3] offset:128
	flat_load_u16 v23, v[4:5] offset:128
	;; [unrolled: 1-line block ×4, first 2 shown]
	s_mov_b32 s2, exec_lo
	s_waitcnt vmcnt(3) lgkmcnt(3)
	v_fma_mix_f32 v17, v20, v22, v17 op_sel_hi:[0,1,0]
	v_add_nc_u32_e32 v22, 0x80, v15
	s_waitcnt vmcnt(2) lgkmcnt(2)
	s_delay_alu instid0(VALU_DEP_2) | instskip(SKIP_1) | instid1(VALU_DEP_1)
	v_fma_mix_f32 v17, v12, v23, v17 op_sel_hi:[0,1,0]
	s_waitcnt vmcnt(1) lgkmcnt(1)
	v_fma_mix_f32 v17, v11, v24, v17 op_sel_hi:[0,1,0]
	v_cmpx_gt_i32_e64 s4, v22
	s_cbranch_execz .LBB434_42
; %bb.39:
	s_clause 0x3
	flat_load_u16 v23, v[2:3] offset:256
	flat_load_u16 v24, v[4:5] offset:256
	;; [unrolled: 1-line block ×4, first 2 shown]
	s_mov_b32 s3, exec_lo
	s_waitcnt vmcnt(3) lgkmcnt(3)
	v_fma_mix_f32 v16, v20, v23, v16 op_sel_hi:[0,1,0]
	v_add_nc_u32_e32 v23, 0xc0, v15
	s_waitcnt vmcnt(2) lgkmcnt(2)
	s_delay_alu instid0(VALU_DEP_2) | instskip(SKIP_1) | instid1(VALU_DEP_1)
	v_fma_mix_f32 v16, v12, v24, v16 op_sel_hi:[0,1,0]
	s_waitcnt vmcnt(1) lgkmcnt(1)
	v_fma_mix_f32 v15, v11, v25, v16 op_sel_hi:[0,1,0]
	v_cmpx_gt_i32_e64 s4, v23
	s_cbranch_execz .LBB434_41
; %bb.40:
	s_clause 0x3
	flat_load_u16 v2, v[2:3] offset:384
	flat_load_u16 v3, v[4:5] offset:384
	;; [unrolled: 1-line block ×4, first 2 shown]
	s_waitcnt vmcnt(3) lgkmcnt(3)
	v_fma_mix_f32 v2, v20, v2, v14 op_sel_hi:[0,1,0]
	s_waitcnt vmcnt(2) lgkmcnt(2)
	s_delay_alu instid0(VALU_DEP_1) | instskip(SKIP_1) | instid1(VALU_DEP_1)
	v_fma_mix_f32 v2, v12, v3, v2 op_sel_hi:[0,1,0]
	s_waitcnt vmcnt(1) lgkmcnt(1)
	v_fma_mix_f32 v2, v11, v4, v2 op_sel_hi:[0,1,0]
	s_waitcnt vmcnt(0) lgkmcnt(0)
	s_delay_alu instid0(VALU_DEP_1)
	v_fma_mix_f32 v14, v10, v5, v2 op_sel_hi:[0,1,0]
.LBB434_41:
	s_or_b32 exec_lo, exec_lo, s3
	s_waitcnt vmcnt(0) lgkmcnt(0)
	v_fma_mix_f32 v16, v10, v22, v15 op_sel_hi:[0,1,0]
.LBB434_42:
	s_or_b32 exec_lo, exec_lo, s2
	s_waitcnt vmcnt(0) lgkmcnt(0)
	v_fma_mix_f32 v17, v10, v21, v17 op_sel_hi:[0,1,0]
.LBB434_43:
	s_or_b32 exec_lo, exec_lo, s0
	s_waitcnt vmcnt(0) lgkmcnt(0)
	v_fma_mix_f32 v18, v10, v19, v18 op_sel_hi:[0,1,0]
.LBB434_44:
	s_or_b32 exec_lo, exec_lo, s1
.LBB434_45:
	v_lshlrev_b32_e32 v2, 8, v13
	s_mov_b32 s0, exec_lo
                                        ; implicit-def: $vgpr5
	s_delay_alu instid0(VALU_DEP_1)
	v_add_lshl_u32 v1, v2, v1, 2
                                        ; implicit-def: $vgpr2_vgpr3
	ds_store_2addr_stride64_b32 v1, v18, v17 offset1:1
	ds_store_2addr_stride64_b32 v1, v16, v14 offset0:2 offset1:3
	s_waitcnt lgkmcnt(0)
	s_barrier
	buffer_gl0_inv
	v_cmpx_gt_u32_e32 0x100, v0
	s_cbranch_execz .LBB434_51
; %bb.46:
	v_lshlrev_b32_e32 v7, 2, v0
	s_mov_b32 s2, s11
	s_mov_b32 s1, exec_lo
	ds_load_2addr_stride64_b32 v[1:2], v7 offset1:4
	ds_load_2addr_stride64_b32 v[3:4], v7 offset0:8 offset1:12
	ds_load_2addr_stride64_b32 v[5:6], v7 offset0:16 offset1:20
	s_waitcnt lgkmcnt(2)
	v_add_f32_e32 v8, v1, v2
	ds_load_2addr_stride64_b32 v[1:2], v7 offset0:24 offset1:28
	s_waitcnt lgkmcnt(2)
	v_add_f32_e32 v3, v3, v8
	s_delay_alu instid0(VALU_DEP_1) | instskip(SKIP_3) | instid1(VALU_DEP_1)
	v_add_f32_e32 v8, v4, v3
	ds_load_2addr_stride64_b32 v[3:4], v7 offset0:32 offset1:36
	s_waitcnt lgkmcnt(2)
	v_add_f32_e32 v5, v5, v8
	v_add_f32_e32 v8, v6, v5
	ds_load_2addr_stride64_b32 v[5:6], v7 offset0:40 offset1:44
	s_waitcnt lgkmcnt(2)
	v_add_f32_e32 v1, v1, v8
	s_delay_alu instid0(VALU_DEP_1) | instskip(SKIP_1) | instid1(VALU_DEP_1)
	v_add_f32_e32 v1, v2, v1
	s_waitcnt lgkmcnt(1)
	v_add_f32_e32 v3, v3, v1
	ds_load_2addr_stride64_b32 v[1:2], v7 offset0:48 offset1:52
	v_add_f32_e32 v3, v4, v3
	s_waitcnt lgkmcnt(1)
	s_delay_alu instid0(VALU_DEP_1) | instskip(SKIP_3) | instid1(VALU_DEP_1)
	v_add_f32_e32 v5, v5, v3
	ds_load_2addr_stride64_b32 v[3:4], v7 offset0:56 offset1:60
	v_add_f32_e32 v5, v6, v5
	s_waitcnt lgkmcnt(1)
	v_add_f32_e32 v1, v1, v5
                                        ; implicit-def: $vgpr5
	s_delay_alu instid0(VALU_DEP_1) | instskip(SKIP_1) | instid1(VALU_DEP_1)
	v_add_f32_e32 v1, v2, v1
	s_waitcnt lgkmcnt(0)
	v_add_f32_e32 v2, v3, v1
	v_or_b32_e32 v1, s14, v0
	s_delay_alu instid0(VALU_DEP_2)
	v_add_f32_e32 v0, v4, v2
                                        ; implicit-def: $vgpr2_vgpr3
	ds_store_b32 v7, v0
	v_cmpx_gt_i32_e64 s4, v1
	s_cbranch_execz .LBB434_50
; %bb.47:
	v_mul_lo_u32 v2, v1, s17
	v_cmp_eq_f32_e64 s2, s15, 0
	v_mul_f32_e32 v0, s16, v0
	s_delay_alu instid0(VALU_DEP_2) | instskip(NEXT) | instid1(VALU_DEP_3)
	s_and_b32 vcc_lo, exec_lo, s2
	v_ashrrev_i32_e32 v3, 31, v2
	s_cbranch_vccnz .LBB434_49
; %bb.48:
	s_delay_alu instid0(VALU_DEP_1) | instskip(NEXT) | instid1(VALU_DEP_1)
	v_lshlrev_b64 v[4:5], 1, v[2:3]
	v_add_co_u32 v4, vcc_lo, s9, v4
	s_delay_alu instid0(VALU_DEP_2)
	v_add_co_ci_u32_e32 v5, vcc_lo, s10, v5, vcc_lo
	global_load_u16 v1, v[4:5], off
	s_waitcnt vmcnt(0)
	v_fma_mix_f32 v0, s15, v1, v0 op_sel_hi:[0,1,0]
.LBB434_49:
	s_delay_alu instid0(VALU_DEP_1)
	v_cvt_f16_f32_e32 v5, v0
	s_or_b32 s2, s11, exec_lo
.LBB434_50:
	s_or_b32 exec_lo, exec_lo, s1
	s_delay_alu instid0(SALU_CYCLE_1) | instskip(SKIP_1) | instid1(SALU_CYCLE_1)
	s_and_not1_b32 s1, s11, exec_lo
	s_and_b32 s2, s2, exec_lo
	s_or_b32 s11, s1, s2
.LBB434_51:
	s_or_b32 exec_lo, exec_lo, s0
.LBB434_52:
	s_and_saveexec_b32 s0, s11
	s_cbranch_execz .LBB434_54
; %bb.53:
	v_lshlrev_b64 v[0:1], 1, v[2:3]
	s_delay_alu instid0(VALU_DEP_1) | instskip(NEXT) | instid1(VALU_DEP_2)
	v_add_co_u32 v0, vcc_lo, s9, v0
	v_add_co_ci_u32_e32 v1, vcc_lo, s10, v1, vcc_lo
	global_store_b16 v[0:1], v5, off
.LBB434_54:
	s_nop 0
	s_sendmsg sendmsg(MSG_DEALLOC_VGPRS)
	s_endpgm
	.section	.rodata,"a",@progbits
	.p2align	6, 0x0
	.amdhsa_kernel _ZL20rocblas_gemvn_kernelILi64ELi16EiPKDF16_PKfKPDF16_EviiT3_lPKT2_lT1_lS9_lSA_lS6_lPT4_lSA_li
		.amdhsa_group_segment_fixed_size 16384
		.amdhsa_private_segment_fixed_size 0
		.amdhsa_kernarg_size 400
		.amdhsa_user_sgpr_count 14
		.amdhsa_user_sgpr_dispatch_ptr 0
		.amdhsa_user_sgpr_queue_ptr 0
		.amdhsa_user_sgpr_kernarg_segment_ptr 1
		.amdhsa_user_sgpr_dispatch_id 0
		.amdhsa_user_sgpr_private_segment_size 0
		.amdhsa_wavefront_size32 1
		.amdhsa_uses_dynamic_stack 0
		.amdhsa_enable_private_segment 0
		.amdhsa_system_sgpr_workgroup_id_x 1
		.amdhsa_system_sgpr_workgroup_id_y 0
		.amdhsa_system_sgpr_workgroup_id_z 1
		.amdhsa_system_sgpr_workgroup_info 0
		.amdhsa_system_vgpr_workitem_id 1
		.amdhsa_next_free_vgpr 45
		.amdhsa_next_free_sgpr 28
		.amdhsa_reserve_vcc 1
		.amdhsa_float_round_mode_32 0
		.amdhsa_float_round_mode_16_64 0
		.amdhsa_float_denorm_mode_32 3
		.amdhsa_float_denorm_mode_16_64 3
		.amdhsa_dx10_clamp 1
		.amdhsa_ieee_mode 1
		.amdhsa_fp16_overflow 0
		.amdhsa_workgroup_processor_mode 1
		.amdhsa_memory_ordered 1
		.amdhsa_forward_progress 0
		.amdhsa_shared_vgpr_count 0
		.amdhsa_exception_fp_ieee_invalid_op 0
		.amdhsa_exception_fp_denorm_src 0
		.amdhsa_exception_fp_ieee_div_zero 0
		.amdhsa_exception_fp_ieee_overflow 0
		.amdhsa_exception_fp_ieee_underflow 0
		.amdhsa_exception_fp_ieee_inexact 0
		.amdhsa_exception_int_div_zero 0
	.end_amdhsa_kernel
	.section	.text._ZL20rocblas_gemvn_kernelILi64ELi16EiPKDF16_PKfKPDF16_EviiT3_lPKT2_lT1_lS9_lSA_lS6_lPT4_lSA_li,"axG",@progbits,_ZL20rocblas_gemvn_kernelILi64ELi16EiPKDF16_PKfKPDF16_EviiT3_lPKT2_lT1_lS9_lSA_lS6_lPT4_lSA_li,comdat
.Lfunc_end434:
	.size	_ZL20rocblas_gemvn_kernelILi64ELi16EiPKDF16_PKfKPDF16_EviiT3_lPKT2_lT1_lS9_lSA_lS6_lPT4_lSA_li, .Lfunc_end434-_ZL20rocblas_gemvn_kernelILi64ELi16EiPKDF16_PKfKPDF16_EviiT3_lPKT2_lT1_lS9_lSA_lS6_lPT4_lSA_li
                                        ; -- End function
	.section	.AMDGPU.csdata,"",@progbits
; Kernel info:
; codeLenInByte = 3252
; NumSgprs: 30
; NumVgprs: 45
; ScratchSize: 0
; MemoryBound: 0
; FloatMode: 240
; IeeeMode: 1
; LDSByteSize: 16384 bytes/workgroup (compile time only)
; SGPRBlocks: 3
; VGPRBlocks: 5
; NumSGPRsForWavesPerEU: 30
; NumVGPRsForWavesPerEU: 45
; Occupancy: 16
; WaveLimiterHint : 1
; COMPUTE_PGM_RSRC2:SCRATCH_EN: 0
; COMPUTE_PGM_RSRC2:USER_SGPR: 14
; COMPUTE_PGM_RSRC2:TRAP_HANDLER: 0
; COMPUTE_PGM_RSRC2:TGID_X_EN: 1
; COMPUTE_PGM_RSRC2:TGID_Y_EN: 0
; COMPUTE_PGM_RSRC2:TGID_Z_EN: 1
; COMPUTE_PGM_RSRC2:TIDIG_COMP_CNT: 1
	.section	.text._ZL20rocblas_gemvn_kernelILi64ELi16ElPKDF16_PKfKPDF16_EviiT3_lPKT2_lT1_lS9_lSA_lS6_lPT4_lSA_li,"axG",@progbits,_ZL20rocblas_gemvn_kernelILi64ELi16ElPKDF16_PKfKPDF16_EviiT3_lPKT2_lT1_lS9_lSA_lS6_lPT4_lSA_li,comdat
	.globl	_ZL20rocblas_gemvn_kernelILi64ELi16ElPKDF16_PKfKPDF16_EviiT3_lPKT2_lT1_lS9_lSA_lS6_lPT4_lSA_li ; -- Begin function _ZL20rocblas_gemvn_kernelILi64ELi16ElPKDF16_PKfKPDF16_EviiT3_lPKT2_lT1_lS9_lSA_lS6_lPT4_lSA_li
	.p2align	8
	.type	_ZL20rocblas_gemvn_kernelILi64ELi16ElPKDF16_PKfKPDF16_EviiT3_lPKT2_lT1_lS9_lSA_lS6_lPT4_lSA_li,@function
_ZL20rocblas_gemvn_kernelILi64ELi16ElPKDF16_PKfKPDF16_EviiT3_lPKT2_lT1_lS9_lSA_lS6_lPT4_lSA_li: ; @_ZL20rocblas_gemvn_kernelILi64ELi16ElPKDF16_PKfKPDF16_EviiT3_lPKT2_lT1_lS9_lSA_lS6_lPT4_lSA_li
; %bb.0:
	s_load_b64 s[4:5], s[0:1], 0x9c
	s_waitcnt lgkmcnt(0)
	s_lshr_b32 s3, s4, 16
	s_and_b32 s4, s4, 0xffff
	s_and_b32 s5, s5, 0xffff
	s_mul_i32 s3, s3, s4
	s_delay_alu instid0(SALU_CYCLE_1) | instskip(NEXT) | instid1(SALU_CYCLE_1)
	s_mul_i32 s3, s3, s5
	s_cmpk_lg_i32 s3, 0x400
	s_cbranch_scc1 .LBB435_54
; %bb.1:
	s_clause 0x1
	s_load_b256 s[16:23], s[0:1], 0x8
	s_load_b256 s[4:11], s[0:1], 0x58
	s_mov_b32 s2, s15
	s_waitcnt lgkmcnt(0)
	s_mul_i32 s3, s15, s19
	s_mul_hi_u32 s13, s15, s18
	s_mul_i32 s12, s15, s18
	s_add_i32 s13, s13, s3
	s_mul_i32 s3, s15, s7
	s_lshl_b64 s[12:13], s[12:13], 2
	s_mul_hi_u32 s7, s15, s6
	s_add_u32 s12, s16, s12
	s_addc_u32 s13, s17, s13
	s_add_i32 s7, s7, s3
	s_mul_i32 s6, s15, s6
	s_delay_alu instid0(SALU_CYCLE_1) | instskip(NEXT) | instid1(SALU_CYCLE_1)
	s_lshl_b64 s[6:7], s[6:7], 2
	s_add_u32 s4, s4, s6
	s_addc_u32 s5, s5, s7
	s_load_b32 s27, s[12:13], 0x0
	s_load_b32 s26, s[4:5], 0x0
	s_waitcnt lgkmcnt(0)
	v_cmp_eq_f32_e64 s15, s27, 0
	v_cmp_eq_f32_e64 s3, s26, 1.0
	s_delay_alu instid0(VALU_DEP_1) | instskip(NEXT) | instid1(SALU_CYCLE_1)
	s_and_b32 s3, s15, s3
	s_and_b32 vcc_lo, exec_lo, s3
	s_mov_b32 s3, 0
	s_cbranch_vccnz .LBB435_54
; %bb.2:
	s_clause 0x1
	s_load_b64 s[16:17], s[0:1], 0x28
	s_load_b64 s[12:13], s[0:1], 0x78
	v_cmp_neq_f32_e64 s28, s27, 0
	s_mov_b64 s[24:25], 0
	s_and_b32 vcc_lo, exec_lo, s15
	s_mov_b64 s[18:19], 0
	s_cbranch_vccnz .LBB435_4
; %bb.3:
	s_lshl_b64 s[4:5], s[2:3], 3
	s_delay_alu instid0(SALU_CYCLE_1)
	s_add_u32 s4, s20, s4
	s_addc_u32 s5, s21, s5
	s_lshl_b64 s[6:7], s[22:23], 1
	s_load_b64 s[4:5], s[4:5], 0x0
	s_waitcnt lgkmcnt(0)
	s_add_u32 s18, s4, s6
	s_addc_u32 s19, s5, s7
.LBB435_4:
	s_clause 0x1
	s_load_b128 s[4:7], s[0:1], 0x38
	s_load_b64 s[20:21], s[0:1], 0x48
	s_and_not1_b32 vcc_lo, exec_lo, s28
	s_cbranch_vccnz .LBB435_6
; %bb.5:
	s_lshl_b64 s[22:23], s[2:3], 3
	s_waitcnt lgkmcnt(0)
	s_add_u32 s4, s4, s22
	s_addc_u32 s5, s5, s23
	s_lshl_b64 s[6:7], s[6:7], 1
	s_load_b64 s[4:5], s[4:5], 0x0
	s_waitcnt lgkmcnt(0)
	s_add_u32 s24, s4, s6
	s_addc_u32 s25, s5, s7
.LBB435_6:
	s_lshl_b64 s[2:3], s[2:3], 3
	v_and_b32_e32 v20, 0x3ff, v0
	s_add_u32 s2, s8, s2
	s_addc_u32 s3, s9, s3
	v_bfe_u32 v21, v0, 10, 10
	s_load_b64 s[2:3], s[2:3], 0x0
	s_waitcnt lgkmcnt(0)
	s_load_b64 s[6:7], s[0:1], 0x0
	s_lshl_b64 s[8:9], s[10:11], 1
	v_lshl_add_u32 v19, v21, 6, v20
	s_delay_alu instid0(VALU_DEP_1)
	v_cmp_gt_u32_e64 s0, 0x100, v19
	s_add_u32 s5, s2, s8
	s_addc_u32 s22, s3, s9
	s_and_not1_b32 vcc_lo, exec_lo, s15
	s_cbranch_vccnz .LBB435_11
; %bb.7:
	s_mov_b32 s1, 0
	s_mov_b32 s23, 0
                                        ; implicit-def: $vgpr3
                                        ; implicit-def: $vgpr0_vgpr1
	s_and_saveexec_b32 s2, s0
	s_cbranch_execz .LBB435_12
; %bb.8:
	v_lshl_or_b32 v2, s14, 8, v19
	v_mov_b32_e32 v3, 0
	s_waitcnt lgkmcnt(0)
	s_ashr_i32 s9, s6, 31
	s_mov_b32 s8, s6
	s_mov_b32 s3, 0
                                        ; implicit-def: $vgpr0_vgpr1
	v_cmp_gt_i64_e32 vcc_lo, s[8:9], v[2:3]
                                        ; implicit-def: $vgpr3
	s_and_saveexec_b32 s0, vcc_lo
	s_cbranch_execz .LBB435_14
; %bb.9:
	v_mad_u64_u32 v[0:1], null, v2, s12, 0
	v_cmp_eq_f32_e64 s3, s26, 0
	s_delay_alu instid0(VALU_DEP_1) | instskip(NEXT) | instid1(VALU_DEP_2)
	s_and_b32 vcc_lo, exec_lo, s3
	v_mad_u64_u32 v[3:4], null, v2, s13, v[1:2]
	s_delay_alu instid0(VALU_DEP_1)
	v_mov_b32_e32 v1, v3
	s_cbranch_vccnz .LBB435_13
; %bb.10:
	s_delay_alu instid0(VALU_DEP_1) | instskip(SKIP_1) | instid1(VALU_DEP_1)
	v_lshlrev_b64 v[2:3], 1, v[0:1]
	s_mov_b32 s3, exec_lo
	v_add_co_u32 v2, vcc_lo, s5, v2
	s_delay_alu instid0(VALU_DEP_2)
	v_add_co_ci_u32_e32 v3, vcc_lo, s22, v3, vcc_lo
	global_load_u16 v2, v[2:3], off
	s_waitcnt vmcnt(0)
	v_fma_mixlo_f16 v3, s26, v2, 0 op_sel_hi:[0,1,0]
	s_branch .LBB435_14
.LBB435_11:
	s_mov_b32 s23, 0
                                        ; implicit-def: $vgpr3
                                        ; implicit-def: $vgpr0_vgpr1
	s_cbranch_execnz .LBB435_15
	s_branch .LBB435_52
.LBB435_12:
	s_or_b32 exec_lo, exec_lo, s2
	s_delay_alu instid0(SALU_CYCLE_1)
	s_and_b32 vcc_lo, exec_lo, s1
	s_cbranch_vccnz .LBB435_15
	s_branch .LBB435_52
.LBB435_13:
	v_mov_b32_e32 v3, 0
	s_mov_b32 s3, exec_lo
.LBB435_14:
	s_or_b32 exec_lo, exec_lo, s0
	s_delay_alu instid0(SALU_CYCLE_1) | instskip(SKIP_1) | instid1(SALU_CYCLE_1)
	s_and_b32 s23, s3, exec_lo
	s_or_b32 exec_lo, exec_lo, s2
	s_and_b32 vcc_lo, exec_lo, s1
	s_cbranch_vccz .LBB435_52
.LBB435_15:
	s_waitcnt lgkmcnt(0)
	s_ashr_i32 s0, s7, 31
	s_lshl_b32 s28, s14, 8
	s_lshr_b32 s0, s0, 26
	v_dual_mov_b32 v26, 0 :: v_dual_lshlrev_b32 v23, 2, v21
	v_dual_mov_b32 v25, 0 :: v_dual_add_nc_u32 v0, s28, v20
	v_mov_b32_e32 v24, 0
	v_mov_b32_e32 v22, 0
	s_add_i32 s29, s7, s0
	s_mov_b32 s30, exec_lo
	s_and_not1_b32 s29, s29, 63
	s_delay_alu instid0(SALU_CYCLE_1)
	v_cmpx_gt_i32_e64 s29, v23
	s_cbranch_execz .LBB435_27
; %bb.16:
	v_lshlrev_b32_e32 v22, 2, v21
	v_mad_u64_u32 v[5:6], null, s20, v21, 0
	v_add_nc_u32_e32 v10, 0xc0, v0
	v_mad_u64_u32 v[7:8], null, s16, v21, 0
	s_delay_alu instid0(VALU_DEP_4) | instskip(SKIP_1) | instid1(VALU_DEP_4)
	v_or_b32_e32 v29, 3, v22
	v_or_b32_e32 v31, 2, v22
	v_cmp_gt_i32_e64 s2, s6, v10
	v_ashrrev_i32_e32 v1, 31, v0
	v_cmp_gt_i32_e32 vcc_lo, s6, v0
	v_mad_u64_u32 v[3:4], null, s16, v29, 0
	v_mad_u64_u32 v[16:17], null, s20, v29, 0
	v_add_nc_u32_e32 v2, 64, v0
	v_add_nc_u32_e32 v9, 0x80, v0
	v_mad_u64_u32 v[14:15], null, s16, v31, 0
	v_mad_u64_u32 v[35:36], null, s20, v31, 0
	s_delay_alu instid0(VALU_DEP_4)
	v_cmp_gt_i32_e64 s0, s6, v2
	v_mov_b32_e32 v2, v4
	v_mov_b32_e32 v4, v6
	v_cmp_gt_i32_e64 s1, s6, v9
	v_mov_b32_e32 v6, v8
	s_lshl_b64 s[8:9], s[16:17], 7
	v_mad_u64_u32 v[9:10], null, s17, v29, v[2:3]
	v_mad_u64_u32 v[10:11], null, s21, v21, v[4:5]
	s_delay_alu instid0(VALU_DEP_3) | instskip(SKIP_2) | instid1(VALU_DEP_4)
	v_mad_u64_u32 v[11:12], null, s17, v21, v[6:7]
	v_lshlrev_b64 v[1:2], 1, v[0:1]
	s_lshl_b64 s[10:11], s[20:21], 7
	v_mov_b32_e32 v4, v9
	s_mov_b32 s31, 0
	s_delay_alu instid0(VALU_DEP_4) | instskip(SKIP_1) | instid1(VALU_DEP_4)
	v_mov_b32_e32 v6, v10
	s_mov_b64 s[14:15], s[24:25]
	v_mov_b32_e32 v8, v11
	v_lshlrev_b64 v[9:10], 1, v[3:4]
	s_delay_alu instid0(VALU_DEP_3) | instskip(SKIP_2) | instid1(VALU_DEP_4)
	v_lshlrev_b64 v[3:4], 3, v[5:6]
	v_mov_b32_e32 v5, v15
	v_mad_u64_u32 v[12:13], null, s20, v22, s[20:21]
	v_add_co_u32 v27, s3, s18, v9
	s_delay_alu instid0(VALU_DEP_1) | instskip(SKIP_1) | instid1(VALU_DEP_4)
	v_add_co_ci_u32_e64 v28, s3, s19, v10, s3
	v_mad_u64_u32 v[9:10], null, s16, v22, s[16:17]
	v_mov_b32_e32 v6, v13
	v_lshlrev_b64 v[7:8], 3, v[7:8]
	s_delay_alu instid0(VALU_DEP_2) | instskip(SKIP_1) | instid1(VALU_DEP_3)
	v_mad_u64_u32 v[24:25], null, s17, v31, v[5:6]
	v_mov_b32_e32 v5, v17
	v_mad_u64_u32 v[17:18], null, s21, v22, v[6:7]
	s_delay_alu instid0(VALU_DEP_2) | instskip(SKIP_2) | instid1(VALU_DEP_4)
	v_mad_u64_u32 v[25:26], null, s21, v29, v[5:6]
	v_mov_b32_e32 v5, v10
	v_mov_b32_e32 v15, v24
	;; [unrolled: 1-line block ×3, first 2 shown]
	v_add_co_u32 v29, s3, s18, v7
	s_delay_alu instid0(VALU_DEP_4) | instskip(SKIP_4) | instid1(VALU_DEP_4)
	v_mad_u64_u32 v[10:11], null, s17, v22, v[5:6]
	v_mov_b32_e32 v5, v36
	v_mov_b32_e32 v17, v25
	v_lshlrev_b64 v[14:15], 1, v[14:15]
	v_add_co_ci_u32_e64 v30, s3, s19, v8, s3
	v_mad_u64_u32 v[24:25], null, s21, v31, v[5:6]
	v_mov_b32_e32 v25, 0
	v_lshlrev_b64 v[9:10], 1, v[9:10]
	v_add_co_u32 v31, s3, s18, v14
	s_delay_alu instid0(VALU_DEP_1) | instskip(SKIP_1) | instid1(VALU_DEP_4)
	v_add_co_ci_u32_e64 v32, s3, s19, v15, s3
	v_mov_b32_e32 v36, v24
	v_add_co_u32 v33, s3, s18, v9
	v_lshlrev_b64 v[5:6], 1, v[12:13]
	v_lshlrev_b64 v[7:8], 1, v[16:17]
	v_add_co_ci_u32_e64 v34, s3, s19, v10, s3
	v_lshlrev_b64 v[9:10], 1, v[35:36]
	v_mov_b32_e32 v26, 0
	v_mov_b32_e32 v24, 0
	;; [unrolled: 1-line block ×3, first 2 shown]
	s_branch .LBB435_21
.LBB435_17:                             ;   in Loop: Header=BB435_21 Depth=1
	s_or_b32 exec_lo, exec_lo, s34
	s_waitcnt vmcnt(3) lgkmcnt(3)
	v_fma_mix_f32 v11, v47, v51, v24 op_sel_hi:[0,1,0]
	s_waitcnt vmcnt(2) lgkmcnt(2)
	s_delay_alu instid0(VALU_DEP_1) | instskip(SKIP_1) | instid1(VALU_DEP_1)
	v_fma_mix_f32 v11, v48, v52, v11 op_sel_hi:[0,1,0]
	s_waitcnt vmcnt(1) lgkmcnt(1)
	v_fma_mix_f32 v11, v49, v53, v11 op_sel_hi:[0,1,0]
	s_waitcnt vmcnt(0) lgkmcnt(0)
	s_delay_alu instid0(VALU_DEP_1)
	v_fma_mix_f32 v24, v50, v54, v11 op_sel_hi:[0,1,0]
.LBB435_18:                             ;   in Loop: Header=BB435_21 Depth=1
	s_or_b32 exec_lo, exec_lo, s33
	s_waitcnt vmcnt(3) lgkmcnt(3)
	v_fma_mix_f32 v11, v47, v43, v25 op_sel_hi:[0,1,0]
	s_waitcnt vmcnt(2) lgkmcnt(2)
	s_delay_alu instid0(VALU_DEP_1) | instskip(SKIP_1) | instid1(VALU_DEP_1)
	v_fma_mix_f32 v11, v48, v44, v11 op_sel_hi:[0,1,0]
	s_waitcnt vmcnt(1) lgkmcnt(1)
	v_fma_mix_f32 v11, v49, v45, v11 op_sel_hi:[0,1,0]
	s_waitcnt vmcnt(0) lgkmcnt(0)
	s_delay_alu instid0(VALU_DEP_1)
	v_fma_mix_f32 v25, v50, v46, v11 op_sel_hi:[0,1,0]
.LBB435_19:                             ;   in Loop: Header=BB435_21 Depth=1
	s_or_b32 exec_lo, exec_lo, s3
	s_waitcnt vmcnt(3) lgkmcnt(3)
	v_fma_mix_f32 v11, v35, v39, v26 op_sel_hi:[1,1,0]
	s_waitcnt vmcnt(2) lgkmcnt(2)
	s_delay_alu instid0(VALU_DEP_1) | instskip(SKIP_1) | instid1(VALU_DEP_1)
	v_fma_mix_f32 v11, v36, v40, v11 op_sel_hi:[1,1,0]
	s_waitcnt vmcnt(1) lgkmcnt(1)
	v_fma_mix_f32 v11, v37, v41, v11 op_sel_hi:[1,1,0]
	s_waitcnt vmcnt(0) lgkmcnt(0)
	s_delay_alu instid0(VALU_DEP_1)
	v_fma_mix_f32 v26, v38, v42, v11 op_sel_hi:[1,1,0]
.LBB435_20:                             ;   in Loop: Header=BB435_21 Depth=1
	s_or_b32 exec_lo, exec_lo, s4
	v_add_co_u32 v27, s3, v27, s8
	s_delay_alu instid0(VALU_DEP_1) | instskip(SKIP_4) | instid1(VALU_DEP_1)
	v_add_co_ci_u32_e64 v28, s3, s9, v28, s3
	v_add_co_u32 v29, s3, v29, s8
	v_add_nc_u32_e32 v23, 64, v23
	v_add_co_ci_u32_e64 v30, s3, s9, v30, s3
	v_add_co_u32 v31, s3, v31, s8
	v_add_co_ci_u32_e64 v32, s3, s9, v32, s3
	s_delay_alu instid0(VALU_DEP_4) | instskip(SKIP_1) | instid1(VALU_DEP_1)
	v_cmp_le_i32_e64 s3, s29, v23
	v_add_co_u32 v33, s4, v33, s8
	v_add_co_ci_u32_e64 v34, s4, s9, v34, s4
	s_add_u32 s14, s14, s10
	s_addc_u32 s15, s15, s11
	s_or_b32 s31, s3, s31
	s_delay_alu instid0(SALU_CYCLE_1)
	s_and_not1_b32 exec_lo, exec_lo, s31
	s_cbranch_execz .LBB435_26
.LBB435_21:                             ; =>This Inner Loop Header: Depth=1
	s_and_saveexec_b32 s4, vcc_lo
	s_cbranch_execz .LBB435_20
; %bb.22:                               ;   in Loop: Header=BB435_21 Depth=1
	v_add_co_u32 v35, s3, s14, v3
	s_delay_alu instid0(VALU_DEP_1) | instskip(SKIP_1) | instid1(VALU_DEP_1)
	v_add_co_ci_u32_e64 v36, s3, s15, v4, s3
	v_add_co_u32 v37, s3, s14, v5
	v_add_co_ci_u32_e64 v38, s3, s15, v6, s3
	v_add_co_u32 v39, s3, s14, v9
	s_delay_alu instid0(VALU_DEP_1) | instskip(SKIP_1) | instid1(VALU_DEP_1)
	v_add_co_ci_u32_e64 v40, s3, s15, v10, s3
	v_add_co_u32 v41, s3, s14, v7
	v_add_co_ci_u32_e64 v42, s3, s15, v8, s3
	;; [unrolled: 5-line block ×4, first 2 shown]
	s_clause 0x3
	flat_load_u16 v35, v[35:36]
	flat_load_u16 v36, v[37:38]
	;; [unrolled: 1-line block ×8, first 2 shown]
	s_and_saveexec_b32 s3, s0
	s_cbranch_execz .LBB435_19
; %bb.23:                               ;   in Loop: Header=BB435_21 Depth=1
	flat_load_u16 v43, v[11:12] offset:128
	flat_load_u16 v44, v[13:14] offset:128
	;; [unrolled: 1-line block ×4, first 2 shown]
	s_waitcnt vmcnt(11) lgkmcnt(11)
	v_cvt_f32_f16_e32 v47, v35
	s_waitcnt vmcnt(10) lgkmcnt(10)
	v_cvt_f32_f16_e32 v48, v36
	;; [unrolled: 2-line block ×4, first 2 shown]
	s_and_saveexec_b32 s33, s1
	s_cbranch_execz .LBB435_18
; %bb.24:                               ;   in Loop: Header=BB435_21 Depth=1
	flat_load_u16 v51, v[11:12] offset:256
	flat_load_u16 v52, v[13:14] offset:256
	flat_load_u16 v53, v[15:16] offset:256
	flat_load_u16 v54, v[17:18] offset:256
	s_and_saveexec_b32 s34, s2
	s_cbranch_execz .LBB435_17
; %bb.25:                               ;   in Loop: Header=BB435_21 Depth=1
	flat_load_u16 v11, v[11:12] offset:384
	flat_load_u16 v12, v[13:14] offset:384
	;; [unrolled: 1-line block ×4, first 2 shown]
	s_waitcnt vmcnt(3) lgkmcnt(3)
	v_fma_mix_f32 v11, v47, v11, v22 op_sel_hi:[0,1,0]
	s_waitcnt vmcnt(2) lgkmcnt(2)
	s_delay_alu instid0(VALU_DEP_1) | instskip(SKIP_1) | instid1(VALU_DEP_1)
	v_fma_mix_f32 v11, v48, v12, v11 op_sel_hi:[0,1,0]
	s_waitcnt vmcnt(1) lgkmcnt(1)
	v_fma_mix_f32 v11, v49, v13, v11 op_sel_hi:[0,1,0]
	s_waitcnt vmcnt(0) lgkmcnt(0)
	s_delay_alu instid0(VALU_DEP_1)
	v_fma_mix_f32 v22, v50, v14, v11 op_sel_hi:[0,1,0]
	s_branch .LBB435_17
.LBB435_26:
	s_or_b32 exec_lo, exec_lo, s31
.LBB435_27:
	s_delay_alu instid0(SALU_CYCLE_1) | instskip(SKIP_1) | instid1(SALU_CYCLE_1)
	s_or_b32 exec_lo, exec_lo, s30
	s_sub_i32 s0, s7, s29
	s_cmp_lt_i32 s0, 1
	s_cbranch_scc1 .LBB435_45
; %bb.28:
	v_cmp_gt_i32_e32 vcc_lo, s7, v23
	v_dual_mov_b32 v9, 0 :: v_dual_mov_b32 v10, 0
	v_or_b32_e32 v2, 1, v23
	v_dual_mov_b32 v11, 0 :: v_dual_mov_b32 v12, 0
	s_and_saveexec_b32 s1, vcc_lo
	s_cbranch_execz .LBB435_36
; %bb.29:
	v_mad_u64_u32 v[3:4], null, v23, s20, 0
	v_mov_b32_e32 v11, 0
	v_mov_b32_e32 v9, 0
	s_mov_b32 s2, exec_lo
	s_delay_alu instid0(VALU_DEP_3) | instskip(NEXT) | instid1(VALU_DEP_1)
	v_dual_mov_b32 v10, 0 :: v_dual_mov_b32 v1, v4
	v_mad_u64_u32 v[4:5], null, v23, s21, v[1:2]
	s_delay_alu instid0(VALU_DEP_1) | instskip(NEXT) | instid1(VALU_DEP_1)
	v_lshlrev_b64 v[3:4], 1, v[3:4]
	v_add_co_u32 v3, s0, s24, v3
	s_delay_alu instid0(VALU_DEP_1)
	v_add_co_ci_u32_e64 v4, s0, s25, v4, s0
	flat_load_u16 v1, v[3:4]
	v_cmpx_gt_i32_e64 s7, v2
	s_cbranch_execz .LBB435_35
; %bb.30:
	v_mad_u64_u32 v[3:4], null, v2, s20, 0
	v_mov_b32_e32 v10, 0
	s_mov_b32 s3, exec_lo
	v_mov_b32_e32 v9, 0
	s_delay_alu instid0(VALU_DEP_3) | instskip(NEXT) | instid1(VALU_DEP_1)
	v_mad_u64_u32 v[5:6], null, v2, s21, v[4:5]
	v_mov_b32_e32 v4, v5
	s_delay_alu instid0(VALU_DEP_1) | instskip(NEXT) | instid1(VALU_DEP_1)
	v_lshlrev_b64 v[3:4], 1, v[3:4]
	v_add_co_u32 v3, s0, s24, v3
	s_delay_alu instid0(VALU_DEP_1) | instskip(SKIP_2) | instid1(VALU_DEP_1)
	v_add_co_ci_u32_e64 v4, s0, s25, v4, s0
	flat_load_u16 v3, v[3:4]
	v_or_b32_e32 v4, 2, v23
	v_cmpx_gt_i32_e64 s7, v4
	s_cbranch_execz .LBB435_34
; %bb.31:
	v_mad_u64_u32 v[5:6], null, v4, s20, 0
	s_mov_b32 s4, exec_lo
	v_mov_b32_e32 v9, 0
	s_delay_alu instid0(VALU_DEP_2) | instskip(NEXT) | instid1(VALU_DEP_1)
	v_mad_u64_u32 v[7:8], null, v4, s21, v[6:7]
	v_mov_b32_e32 v6, v7
	s_delay_alu instid0(VALU_DEP_1) | instskip(NEXT) | instid1(VALU_DEP_1)
	v_lshlrev_b64 v[4:5], 1, v[5:6]
	v_add_co_u32 v4, s0, s24, v4
	s_delay_alu instid0(VALU_DEP_1) | instskip(SKIP_2) | instid1(VALU_DEP_1)
	v_add_co_ci_u32_e64 v5, s0, s25, v5, s0
	flat_load_u16 v4, v[4:5]
	v_or_b32_e32 v5, 3, v23
	v_cmpx_gt_i32_e64 s7, v5
	s_cbranch_execz .LBB435_33
; %bb.32:
	v_mad_u64_u32 v[6:7], null, v5, s20, 0
	s_delay_alu instid0(VALU_DEP_1) | instskip(NEXT) | instid1(VALU_DEP_1)
	v_mad_u64_u32 v[8:9], null, v5, s21, v[7:8]
	v_mov_b32_e32 v7, v8
	s_delay_alu instid0(VALU_DEP_1) | instskip(NEXT) | instid1(VALU_DEP_1)
	v_lshlrev_b64 v[5:6], 1, v[6:7]
	v_add_co_u32 v5, s0, s24, v5
	s_delay_alu instid0(VALU_DEP_1)
	v_add_co_ci_u32_e64 v6, s0, s25, v6, s0
	flat_load_u16 v5, v[5:6]
	s_waitcnt vmcnt(0) lgkmcnt(0)
	v_cvt_f32_f16_e32 v9, v5
.LBB435_33:
	s_or_b32 exec_lo, exec_lo, s4
	s_waitcnt vmcnt(0) lgkmcnt(0)
	v_cvt_f32_f16_e32 v10, v4
.LBB435_34:
	s_or_b32 exec_lo, exec_lo, s3
	s_waitcnt vmcnt(0) lgkmcnt(0)
	v_cvt_f32_f16_e32 v11, v3
.LBB435_35:
	s_or_b32 exec_lo, exec_lo, s2
	s_waitcnt vmcnt(0) lgkmcnt(0)
	v_cvt_f32_f16_e32 v12, v1
.LBB435_36:
	s_or_b32 exec_lo, exec_lo, s1
	s_delay_alu instid0(SALU_CYCLE_1)
	s_mov_b32 s1, exec_lo
	v_cmpx_gt_i32_e64 s6, v0
	s_cbranch_execz .LBB435_44
; %bb.37:
	v_mad_u64_u32 v[3:4], null, v23, s16, 0
	v_mad_u64_u32 v[5:6], null, v2, s16, 0
	v_or_b32_e32 v29, 2, v23
	v_ashrrev_i32_e32 v1, 31, v0
	v_or_b32_e32 v30, 3, v23
	v_cndmask_b32_e32 v3, 0, v3, vcc_lo
	s_delay_alu instid0(VALU_DEP_4)
	v_cmp_gt_i32_e64 s0, s7, v29
	v_mad_u64_u32 v[13:14], null, v23, s17, v[4:5]
	v_mad_u64_u32 v[14:15], null, v29, s16, 0
	v_lshlrev_b64 v[7:8], 1, v[0:1]
	v_mov_b32_e32 v1, v6
	v_mad_u64_u32 v[16:17], null, v30, s16, 0
	v_cndmask_b32_e32 v4, 0, v13, vcc_lo
	v_cmp_gt_i32_e32 vcc_lo, s7, v2
	s_delay_alu instid0(VALU_DEP_4)
	v_mad_u64_u32 v[27:28], null, v2, s17, v[1:2]
	v_mov_b32_e32 v1, v15
	v_cndmask_b32_e64 v13, 0, v14, s0
	v_mov_b32_e32 v6, v17
	v_cndmask_b32_e32 v2, 0, v5, vcc_lo
	v_lshlrev_b64 v[4:5], 1, v[3:4]
	s_delay_alu instid0(VALU_DEP_2) | instskip(NEXT) | instid1(VALU_DEP_1)
	v_mad_u64_u32 v[17:18], null, v29, s17, v[1:2]
	v_cndmask_b32_e64 v14, 0, v17, s0
	v_mad_u64_u32 v[17:18], null, v30, s17, v[6:7]
	v_cndmask_b32_e32 v3, 0, v27, vcc_lo
	v_add_co_u32 v1, vcc_lo, s18, v4
	v_add_co_ci_u32_e32 v5, vcc_lo, s19, v5, vcc_lo
	s_delay_alu instid0(VALU_DEP_3) | instskip(NEXT) | instid1(VALU_DEP_3)
	v_lshlrev_b64 v[3:4], 1, v[2:3]
	v_add_co_u32 v1, vcc_lo, v1, v7
	s_delay_alu instid0(VALU_DEP_3) | instskip(SKIP_1) | instid1(VALU_DEP_4)
	v_add_co_ci_u32_e32 v2, vcc_lo, v5, v8, vcc_lo
	v_lshlrev_b64 v[5:6], 1, v[13:14]
	v_add_co_u32 v3, vcc_lo, s18, v3
	v_add_co_ci_u32_e32 v4, vcc_lo, s19, v4, vcc_lo
	s_mov_b32 s0, exec_lo
	s_delay_alu instid0(VALU_DEP_2) | instskip(NEXT) | instid1(VALU_DEP_2)
	v_add_co_u32 v3, vcc_lo, v3, v7
	v_add_co_ci_u32_e32 v4, vcc_lo, v4, v8, vcc_lo
	v_cmp_gt_i32_e32 vcc_lo, s7, v30
	s_clause 0x1
	flat_load_u16 v15, v[1:2]
	flat_load_u16 v18, v[3:4]
	v_dual_cndmask_b32 v14, 0, v17 :: v_dual_cndmask_b32 v13, 0, v16
	v_add_co_u32 v5, vcc_lo, s18, v5
	v_add_co_ci_u32_e32 v6, vcc_lo, s19, v6, vcc_lo
	s_delay_alu instid0(VALU_DEP_3) | instskip(NEXT) | instid1(VALU_DEP_3)
	v_lshlrev_b64 v[13:14], 1, v[13:14]
	v_add_co_u32 v5, vcc_lo, v5, v7
	s_delay_alu instid0(VALU_DEP_3) | instskip(NEXT) | instid1(VALU_DEP_3)
	v_add_co_ci_u32_e32 v6, vcc_lo, v6, v8, vcc_lo
	v_add_co_u32 v13, vcc_lo, s18, v13
	s_delay_alu instid0(VALU_DEP_4)
	v_add_co_ci_u32_e32 v14, vcc_lo, s19, v14, vcc_lo
	flat_load_u16 v16, v[5:6]
	v_add_co_u32 v7, vcc_lo, v13, v7
	v_add_co_ci_u32_e32 v8, vcc_lo, v14, v8, vcc_lo
	flat_load_u16 v13, v[7:8]
	s_waitcnt vmcnt(3) lgkmcnt(3)
	v_fma_mix_f32 v14, v12, v15, v26 op_sel_hi:[0,1,0]
	v_add_nc_u32_e32 v15, 64, v0
	s_waitcnt vmcnt(2) lgkmcnt(2)
	s_delay_alu instid0(VALU_DEP_2) | instskip(SKIP_1) | instid1(VALU_DEP_1)
	v_fma_mix_f32 v14, v11, v18, v14 op_sel_hi:[0,1,0]
	s_waitcnt vmcnt(1) lgkmcnt(1)
	v_fma_mix_f32 v14, v10, v16, v14 op_sel_hi:[0,1,0]
	v_cmpx_gt_i32_e64 s6, v15
	s_cbranch_execz .LBB435_43
; %bb.38:
	s_clause 0x3
	flat_load_u16 v16, v[1:2] offset:128
	flat_load_u16 v17, v[3:4] offset:128
	;; [unrolled: 1-line block ×4, first 2 shown]
	s_mov_b32 s2, exec_lo
	s_waitcnt vmcnt(3) lgkmcnt(3)
	v_fma_mix_f32 v16, v12, v16, v25 op_sel_hi:[0,1,0]
	s_waitcnt vmcnt(2) lgkmcnt(2)
	s_delay_alu instid0(VALU_DEP_1) | instskip(SKIP_2) | instid1(VALU_DEP_2)
	v_fma_mix_f32 v16, v11, v17, v16 op_sel_hi:[0,1,0]
	v_add_nc_u32_e32 v17, 0x80, v0
	s_waitcnt vmcnt(1) lgkmcnt(1)
	v_fma_mix_f32 v16, v10, v18, v16 op_sel_hi:[0,1,0]
	s_delay_alu instid0(VALU_DEP_2)
	v_cmpx_gt_i32_e64 s6, v17
	s_cbranch_execz .LBB435_42
; %bb.39:
	s_clause 0x3
	flat_load_u16 v18, v[1:2] offset:256
	flat_load_u16 v23, v[3:4] offset:256
	;; [unrolled: 1-line block ×4, first 2 shown]
	s_mov_b32 s3, exec_lo
	s_waitcnt vmcnt(3) lgkmcnt(3)
	v_fma_mix_f32 v18, v12, v18, v24 op_sel_hi:[0,1,0]
	s_waitcnt vmcnt(2) lgkmcnt(2)
	s_delay_alu instid0(VALU_DEP_1) | instskip(SKIP_2) | instid1(VALU_DEP_2)
	v_fma_mix_f32 v18, v11, v23, v18 op_sel_hi:[0,1,0]
	v_add_nc_u32_e32 v23, 0xc0, v0
	s_waitcnt vmcnt(1) lgkmcnt(1)
	v_fma_mix_f32 v0, v10, v25, v18 op_sel_hi:[0,1,0]
	s_delay_alu instid0(VALU_DEP_2)
	v_cmpx_gt_i32_e64 s6, v23
	s_cbranch_execz .LBB435_41
; %bb.40:
	s_clause 0x3
	flat_load_u16 v1, v[1:2] offset:384
	flat_load_u16 v2, v[3:4] offset:384
	flat_load_u16 v3, v[5:6] offset:384
	flat_load_u16 v4, v[7:8] offset:384
	s_waitcnt vmcnt(3) lgkmcnt(3)
	v_fma_mix_f32 v1, v12, v1, v22 op_sel_hi:[0,1,0]
	s_waitcnt vmcnt(2) lgkmcnt(2)
	s_delay_alu instid0(VALU_DEP_1) | instskip(SKIP_1) | instid1(VALU_DEP_1)
	v_fma_mix_f32 v1, v11, v2, v1 op_sel_hi:[0,1,0]
	s_waitcnt vmcnt(1) lgkmcnt(1)
	v_fma_mix_f32 v1, v10, v3, v1 op_sel_hi:[0,1,0]
	s_waitcnt vmcnt(0) lgkmcnt(0)
	s_delay_alu instid0(VALU_DEP_1)
	v_fma_mix_f32 v22, v9, v4, v1 op_sel_hi:[0,1,0]
.LBB435_41:
	s_or_b32 exec_lo, exec_lo, s3
	s_waitcnt vmcnt(0) lgkmcnt(0)
	v_fma_mix_f32 v24, v9, v17, v0 op_sel_hi:[0,1,0]
.LBB435_42:
	s_or_b32 exec_lo, exec_lo, s2
	s_waitcnt vmcnt(0) lgkmcnt(0)
	v_fma_mix_f32 v25, v9, v15, v16 op_sel_hi:[0,1,0]
.LBB435_43:
	s_or_b32 exec_lo, exec_lo, s0
	s_waitcnt vmcnt(0) lgkmcnt(0)
	v_fma_mix_f32 v26, v9, v13, v14 op_sel_hi:[0,1,0]
.LBB435_44:
	s_or_b32 exec_lo, exec_lo, s1
.LBB435_45:
	v_lshlrev_b32_e32 v0, 8, v21
	s_mov_b32 s0, exec_lo
                                        ; implicit-def: $vgpr3
	s_delay_alu instid0(VALU_DEP_1)
	v_add_lshl_u32 v0, v0, v20, 2
	ds_store_2addr_stride64_b32 v0, v26, v25 offset1:1
	ds_store_2addr_stride64_b32 v0, v24, v22 offset0:2 offset1:3
	s_waitcnt lgkmcnt(0)
	s_barrier
	buffer_gl0_inv
                                        ; implicit-def: $vgpr0_vgpr1
	v_cmpx_gt_u32_e32 0x100, v19
	s_cbranch_execz .LBB435_51
; %bb.46:
	v_lshlrev_b32_e32 v6, 2, v19
	s_mov_b32 s2, s23
	s_mov_b32 s1, exec_lo
	ds_load_2addr_stride64_b32 v[0:1], v6 offset1:4
	ds_load_2addr_stride64_b32 v[2:3], v6 offset0:8 offset1:12
	ds_load_2addr_stride64_b32 v[4:5], v6 offset0:16 offset1:20
	s_waitcnt lgkmcnt(2)
	v_add_f32_e32 v7, v0, v1
	ds_load_2addr_stride64_b32 v[0:1], v6 offset0:24 offset1:28
	s_waitcnt lgkmcnt(2)
	v_add_f32_e32 v2, v2, v7
	s_delay_alu instid0(VALU_DEP_1) | instskip(SKIP_3) | instid1(VALU_DEP_1)
	v_add_f32_e32 v7, v3, v2
	ds_load_2addr_stride64_b32 v[2:3], v6 offset0:32 offset1:36
	s_waitcnt lgkmcnt(2)
	v_add_f32_e32 v4, v4, v7
	v_add_f32_e32 v7, v5, v4
	ds_load_2addr_stride64_b32 v[4:5], v6 offset0:40 offset1:44
	s_waitcnt lgkmcnt(2)
	v_add_f32_e32 v0, v0, v7
	s_delay_alu instid0(VALU_DEP_1) | instskip(SKIP_1) | instid1(VALU_DEP_1)
	v_add_f32_e32 v0, v1, v0
	s_waitcnt lgkmcnt(1)
	v_add_f32_e32 v2, v2, v0
	ds_load_2addr_stride64_b32 v[0:1], v6 offset0:48 offset1:52
	v_add_f32_e32 v2, v3, v2
	s_waitcnt lgkmcnt(1)
	s_delay_alu instid0(VALU_DEP_1) | instskip(SKIP_3) | instid1(VALU_DEP_1)
	v_add_f32_e32 v4, v4, v2
	ds_load_2addr_stride64_b32 v[2:3], v6 offset0:56 offset1:60
	v_add_f32_e32 v4, v5, v4
	s_waitcnt lgkmcnt(1)
	v_add_f32_e32 v0, v0, v4
	v_or_b32_e32 v4, s28, v19
	s_delay_alu instid0(VALU_DEP_2) | instskip(SKIP_1) | instid1(VALU_DEP_1)
	v_add_f32_e32 v0, v1, v0
	s_waitcnt lgkmcnt(0)
	v_add_f32_e32 v0, v2, v0
	s_delay_alu instid0(VALU_DEP_1)
	v_add_f32_e32 v2, v3, v0
                                        ; implicit-def: $vgpr3
                                        ; implicit-def: $vgpr0_vgpr1
	ds_store_b32 v6, v2
	v_cmpx_gt_i32_e64 s6, v4
	s_cbranch_execz .LBB435_50
; %bb.47:
	v_ashrrev_i32_e32 v3, 31, v4
	v_mul_lo_u32 v5, v4, s13
	v_mad_u64_u32 v[0:1], null, v4, s12, 0
	v_cmp_eq_f32_e64 s2, s26, 0
	s_delay_alu instid0(VALU_DEP_4) | instskip(SKIP_1) | instid1(VALU_DEP_3)
	v_mul_lo_u32 v3, v3, s12
	v_mul_f32_e32 v2, s27, v2
	s_and_b32 vcc_lo, exec_lo, s2
	s_delay_alu instid0(VALU_DEP_2)
	v_add3_u32 v1, v1, v5, v3
	s_cbranch_vccnz .LBB435_49
; %bb.48:
	s_delay_alu instid0(VALU_DEP_1) | instskip(NEXT) | instid1(VALU_DEP_1)
	v_lshlrev_b64 v[3:4], 1, v[0:1]
	v_add_co_u32 v3, vcc_lo, s5, v3
	s_delay_alu instid0(VALU_DEP_2)
	v_add_co_ci_u32_e32 v4, vcc_lo, s22, v4, vcc_lo
	global_load_u16 v3, v[3:4], off
	s_waitcnt vmcnt(0)
	v_fma_mix_f32 v2, s26, v3, v2 op_sel_hi:[0,1,0]
.LBB435_49:
	s_delay_alu instid0(VALU_DEP_1)
	v_cvt_f16_f32_e32 v3, v2
	s_or_b32 s2, s23, exec_lo
.LBB435_50:
	s_or_b32 exec_lo, exec_lo, s1
	s_delay_alu instid0(SALU_CYCLE_1) | instskip(SKIP_1) | instid1(SALU_CYCLE_1)
	s_and_not1_b32 s1, s23, exec_lo
	s_and_b32 s2, s2, exec_lo
	s_or_b32 s23, s1, s2
.LBB435_51:
	s_or_b32 exec_lo, exec_lo, s0
.LBB435_52:
	s_and_saveexec_b32 s0, s23
	s_cbranch_execz .LBB435_54
; %bb.53:
	v_lshlrev_b64 v[0:1], 1, v[0:1]
	s_delay_alu instid0(VALU_DEP_1) | instskip(NEXT) | instid1(VALU_DEP_2)
	v_add_co_u32 v0, vcc_lo, s5, v0
	v_add_co_ci_u32_e32 v1, vcc_lo, s22, v1, vcc_lo
	global_store_b16 v[0:1], v3, off
.LBB435_54:
	s_nop 0
	s_sendmsg sendmsg(MSG_DEALLOC_VGPRS)
	s_endpgm
	.section	.rodata,"a",@progbits
	.p2align	6, 0x0
	.amdhsa_kernel _ZL20rocblas_gemvn_kernelILi64ELi16ElPKDF16_PKfKPDF16_EviiT3_lPKT2_lT1_lS9_lSA_lS6_lPT4_lSA_li
		.amdhsa_group_segment_fixed_size 16384
		.amdhsa_private_segment_fixed_size 0
		.amdhsa_kernarg_size 400
		.amdhsa_user_sgpr_count 14
		.amdhsa_user_sgpr_dispatch_ptr 0
		.amdhsa_user_sgpr_queue_ptr 0
		.amdhsa_user_sgpr_kernarg_segment_ptr 1
		.amdhsa_user_sgpr_dispatch_id 0
		.amdhsa_user_sgpr_private_segment_size 0
		.amdhsa_wavefront_size32 1
		.amdhsa_uses_dynamic_stack 0
		.amdhsa_enable_private_segment 0
		.amdhsa_system_sgpr_workgroup_id_x 1
		.amdhsa_system_sgpr_workgroup_id_y 0
		.amdhsa_system_sgpr_workgroup_id_z 1
		.amdhsa_system_sgpr_workgroup_info 0
		.amdhsa_system_vgpr_workitem_id 1
		.amdhsa_next_free_vgpr 55
		.amdhsa_next_free_sgpr 35
		.amdhsa_reserve_vcc 1
		.amdhsa_float_round_mode_32 0
		.amdhsa_float_round_mode_16_64 0
		.amdhsa_float_denorm_mode_32 3
		.amdhsa_float_denorm_mode_16_64 3
		.amdhsa_dx10_clamp 1
		.amdhsa_ieee_mode 1
		.amdhsa_fp16_overflow 0
		.amdhsa_workgroup_processor_mode 1
		.amdhsa_memory_ordered 1
		.amdhsa_forward_progress 0
		.amdhsa_shared_vgpr_count 0
		.amdhsa_exception_fp_ieee_invalid_op 0
		.amdhsa_exception_fp_denorm_src 0
		.amdhsa_exception_fp_ieee_div_zero 0
		.amdhsa_exception_fp_ieee_overflow 0
		.amdhsa_exception_fp_ieee_underflow 0
		.amdhsa_exception_fp_ieee_inexact 0
		.amdhsa_exception_int_div_zero 0
	.end_amdhsa_kernel
	.section	.text._ZL20rocblas_gemvn_kernelILi64ELi16ElPKDF16_PKfKPDF16_EviiT3_lPKT2_lT1_lS9_lSA_lS6_lPT4_lSA_li,"axG",@progbits,_ZL20rocblas_gemvn_kernelILi64ELi16ElPKDF16_PKfKPDF16_EviiT3_lPKT2_lT1_lS9_lSA_lS6_lPT4_lSA_li,comdat
.Lfunc_end435:
	.size	_ZL20rocblas_gemvn_kernelILi64ELi16ElPKDF16_PKfKPDF16_EviiT3_lPKT2_lT1_lS9_lSA_lS6_lPT4_lSA_li, .Lfunc_end435-_ZL20rocblas_gemvn_kernelILi64ELi16ElPKDF16_PKfKPDF16_EviiT3_lPKT2_lT1_lS9_lSA_lS6_lPT4_lSA_li
                                        ; -- End function
	.section	.AMDGPU.csdata,"",@progbits
; Kernel info:
; codeLenInByte = 3616
; NumSgprs: 37
; NumVgprs: 55
; ScratchSize: 0
; MemoryBound: 0
; FloatMode: 240
; IeeeMode: 1
; LDSByteSize: 16384 bytes/workgroup (compile time only)
; SGPRBlocks: 4
; VGPRBlocks: 6
; NumSGPRsForWavesPerEU: 37
; NumVGPRsForWavesPerEU: 55
; Occupancy: 16
; WaveLimiterHint : 1
; COMPUTE_PGM_RSRC2:SCRATCH_EN: 0
; COMPUTE_PGM_RSRC2:USER_SGPR: 14
; COMPUTE_PGM_RSRC2:TRAP_HANDLER: 0
; COMPUTE_PGM_RSRC2:TGID_X_EN: 1
; COMPUTE_PGM_RSRC2:TGID_Y_EN: 0
; COMPUTE_PGM_RSRC2:TGID_Z_EN: 1
; COMPUTE_PGM_RSRC2:TIDIG_COMP_CNT: 1
	.section	.text._ZL20rocblas_gemvn_kernelILi64ELi16EiPKDF16_fKPDF16_EviiT3_lPKT2_lT1_lS7_lS8_lS4_lPT4_lS8_li,"axG",@progbits,_ZL20rocblas_gemvn_kernelILi64ELi16EiPKDF16_fKPDF16_EviiT3_lPKT2_lT1_lS7_lS8_lS4_lPT4_lS8_li,comdat
	.globl	_ZL20rocblas_gemvn_kernelILi64ELi16EiPKDF16_fKPDF16_EviiT3_lPKT2_lT1_lS7_lS8_lS4_lPT4_lS8_li ; -- Begin function _ZL20rocblas_gemvn_kernelILi64ELi16EiPKDF16_fKPDF16_EviiT3_lPKT2_lT1_lS7_lS8_lS4_lPT4_lS8_li
	.p2align	8
	.type	_ZL20rocblas_gemvn_kernelILi64ELi16EiPKDF16_fKPDF16_EviiT3_lPKT2_lT1_lS7_lS8_lS4_lPT4_lS8_li,@function
_ZL20rocblas_gemvn_kernelILi64ELi16EiPKDF16_fKPDF16_EviiT3_lPKT2_lT1_lS7_lS8_lS4_lPT4_lS8_li: ; @_ZL20rocblas_gemvn_kernelILi64ELi16EiPKDF16_fKPDF16_EviiT3_lPKT2_lT1_lS7_lS8_lS4_lPT4_lS8_li
; %bb.0:
	s_load_b64 s[4:5], s[0:1], 0x9c
	s_waitcnt lgkmcnt(0)
	s_lshr_b32 s3, s4, 16
	s_and_b32 s4, s4, 0xffff
	s_and_b32 s5, s5, 0xffff
	s_mul_i32 s3, s3, s4
	s_delay_alu instid0(SALU_CYCLE_1) | instskip(NEXT) | instid1(SALU_CYCLE_1)
	s_mul_i32 s3, s3, s5
	s_cmpk_lg_i32 s3, 0x400
	s_cbranch_scc1 .LBB436_57
; %bb.1:
	s_load_b128 s[4:7], s[0:1], 0x0
	s_waitcnt lgkmcnt(0)
	s_load_b32 s7, s[0:1], 0x58
	v_cmp_eq_f32_e64 s12, s6, 0
	s_waitcnt lgkmcnt(0)
	v_cmp_eq_f32_e64 s3, s7, 1.0
	s_delay_alu instid0(VALU_DEP_1) | instskip(NEXT) | instid1(SALU_CYCLE_1)
	s_and_b32 s3, s12, s3
	s_and_b32 vcc_lo, exec_lo, s3
	s_cbranch_vccnz .LBB436_57
; %bb.2:
	v_cmp_neq_f32_e64 s10, s6, 0
	s_mov_b32 s2, s15
	s_delay_alu instid0(VALU_DEP_1)
	s_and_b32 vcc_lo, exec_lo, s10
	s_cbranch_vccnz .LBB436_4
; %bb.3:
	s_mov_b32 s3, 0
	s_mov_b64 s[8:9], 0
	s_cbranch_execz .LBB436_5
	s_branch .LBB436_6
.LBB436_4:
	s_mov_b32 s3, -1
                                        ; implicit-def: $sgpr8_sgpr9
.LBB436_5:
	s_load_b128 s[16:19], s[0:1], 0x18
	s_mov_b32 s3, 0
	s_delay_alu instid0(SALU_CYCLE_1)
	s_lshl_b64 s[8:9], s[2:3], 3
	s_waitcnt lgkmcnt(0)
	s_add_u32 s8, s16, s8
	s_addc_u32 s9, s17, s9
	s_lshl_b64 s[16:17], s[18:19], 1
	s_load_b64 s[8:9], s[8:9], 0x0
	s_waitcnt lgkmcnt(0)
	s_add_u32 s8, s8, s16
	s_addc_u32 s9, s9, s17
.LBB436_6:
	s_and_not1_b32 vcc_lo, exec_lo, s10
	s_cbranch_vccnz .LBB436_8
; %bb.7:
	s_load_b128 s[16:19], s[0:1], 0x38
	s_lshl_b64 s[10:11], s[2:3], 3
	s_waitcnt lgkmcnt(0)
	s_add_u32 s10, s16, s10
	s_addc_u32 s11, s17, s11
	s_lshl_b64 s[16:17], s[18:19], 1
	s_load_b64 s[10:11], s[10:11], 0x0
	s_waitcnt lgkmcnt(0)
	s_add_u32 s10, s10, s16
	s_addc_u32 s11, s11, s17
	s_branch .LBB436_9
.LBB436_8:
	s_mov_b64 s[10:11], 0
.LBB436_9:
	s_clause 0x1
	s_load_b128 s[20:23], s[0:1], 0x68
	s_load_b32 s16, s[0:1], 0x78
	s_lshl_b64 s[2:3], s[2:3], 3
	v_and_b32_e32 v1, 0x3ff, v0
	v_bfe_u32 v13, v0, 10, 10
	s_delay_alu instid0(VALU_DEP_1)
	v_lshl_add_u32 v0, v13, 6, v1
	s_waitcnt lgkmcnt(0)
	s_add_u32 s2, s20, s2
	s_addc_u32 s3, s21, s3
	s_lshl_b64 s[20:21], s[22:23], 1
	s_load_b64 s[18:19], s[2:3], 0x0
	v_cmp_gt_u32_e64 s2, 0x100, v0
	s_waitcnt lgkmcnt(0)
	s_add_u32 s13, s18, s20
	s_addc_u32 s15, s19, s21
	s_and_not1_b32 vcc_lo, exec_lo, s12
	s_cbranch_vccnz .LBB436_14
; %bb.10:
	s_mov_b32 s3, 0
	s_mov_b32 s17, 0
                                        ; implicit-def: $vgpr5
                                        ; implicit-def: $vgpr2_vgpr3
	s_and_saveexec_b32 s12, s2
	s_cbranch_execz .LBB436_15
; %bb.11:
	v_lshl_or_b32 v4, s14, 8, v0
	v_mov_b32_e32 v5, 0
	s_ashr_i32 s19, s4, 31
	s_mov_b32 s18, s4
                                        ; implicit-def: $vgpr2_vgpr3
	s_delay_alu instid0(VALU_DEP_1) | instid1(SALU_CYCLE_1)
	v_cmp_gt_i64_e32 vcc_lo, s[18:19], v[4:5]
                                        ; implicit-def: $vgpr5
	s_and_saveexec_b32 s2, vcc_lo
	s_cbranch_execz .LBB436_17
; %bb.12:
	v_mad_u64_u32 v[2:3], null, s16, v4, 0
	s_ashr_i32 s17, s16, 31
	s_delay_alu instid0(VALU_DEP_1) | instid1(SALU_CYCLE_1)
	v_mad_u64_u32 v[5:6], null, s17, v4, v[3:4]
	v_cmp_eq_f32_e64 s17, s7, 0
	s_delay_alu instid0(VALU_DEP_1) | instskip(NEXT) | instid1(VALU_DEP_2)
	s_and_b32 vcc_lo, exec_lo, s17
	v_mov_b32_e32 v3, v5
	s_cbranch_vccnz .LBB436_16
; %bb.13:
	s_delay_alu instid0(VALU_DEP_1) | instskip(SKIP_1) | instid1(VALU_DEP_1)
	v_lshlrev_b64 v[4:5], 1, v[2:3]
	s_mov_b32 s17, exec_lo
	v_add_co_u32 v4, vcc_lo, s13, v4
	s_delay_alu instid0(VALU_DEP_2)
	v_add_co_ci_u32_e32 v5, vcc_lo, s15, v5, vcc_lo
	global_load_u16 v4, v[4:5], off
	s_waitcnt vmcnt(0)
	v_fma_mixlo_f16 v5, v4, s7, 0 op_sel_hi:[1,0,0]
	s_branch .LBB436_17
.LBB436_14:
	s_mov_b32 s17, 0
                                        ; implicit-def: $vgpr5
                                        ; implicit-def: $vgpr2_vgpr3
	s_cbranch_execnz .LBB436_18
	s_branch .LBB436_55
.LBB436_15:
	s_or_b32 exec_lo, exec_lo, s12
	s_delay_alu instid0(SALU_CYCLE_1)
	s_and_b32 vcc_lo, exec_lo, s3
	s_cbranch_vccnz .LBB436_18
	s_branch .LBB436_55
.LBB436_16:
	v_mov_b32_e32 v5, 0
	s_mov_b32 s17, exec_lo
.LBB436_17:
	s_or_b32 exec_lo, exec_lo, s2
	s_delay_alu instid0(SALU_CYCLE_1) | instskip(SKIP_1) | instid1(SALU_CYCLE_1)
	s_and_b32 s17, s17, exec_lo
	s_or_b32 exec_lo, exec_lo, s12
	s_and_b32 vcc_lo, exec_lo, s3
	s_cbranch_vccz .LBB436_55
.LBB436_18:
	s_clause 0x1
	s_load_b32 s18, s[0:1], 0x28
	s_load_b32 s12, s[0:1], 0x48
	s_ashr_i32 s0, s5, 31
	s_lshl_b32 s14, s14, 8
	s_lshr_b32 s0, s0, 26
	v_dual_mov_b32 v18, 0 :: v_dual_lshlrev_b32 v19, 2, v13
	v_dual_mov_b32 v16, 0 :: v_dual_add_nc_u32 v15, s14, v1
	v_dual_mov_b32 v17, 0 :: v_dual_mov_b32 v14, 0
	s_add_i32 s19, s5, s0
	s_mov_b32 s20, exec_lo
	s_and_not1_b32 s19, s19, 63
	s_delay_alu instid0(SALU_CYCLE_1)
	v_cmpx_gt_i32_e64 s19, v19
	s_cbranch_execz .LBB436_30
; %bb.19:
	s_waitcnt lgkmcnt(0)
	v_mul_lo_u32 v3, s18, v19
	v_dual_mov_b32 v17, 0 :: v_dual_add_nc_u32 v2, 64, v15
	v_add_nc_u32_e32 v6, 2, v19
	v_dual_mov_b32 v18, 0 :: v_dual_add_nc_u32 v5, 0xc0, v15
	s_delay_alu instid0(VALU_DEP_3)
	v_cmp_gt_i32_e64 s0, s4, v2
	v_add_nc_u32_e32 v4, 0x80, v15
	v_add3_u32 v20, v3, s18, v1
	v_mad_u64_u32 v[2:3], null, s18, v6, v[1:2]
	v_cmp_gt_i32_e64 s2, s4, v5
	v_mul_lo_u32 v5, v13, s18
	v_dual_mov_b32 v16, 0 :: v_dual_add_nc_u32 v7, 3, v19
	v_mul_lo_u32 v8, v13, s12
	v_cmp_gt_i32_e64 s1, s4, v4
	v_mul_lo_u32 v22, s12, v6
	s_delay_alu instid0(VALU_DEP_4)
	v_mad_u64_u32 v[3:4], null, s18, v7, v[1:2]
	v_lshl_add_u32 v21, v5, 2, v1
	v_mad_u64_u32 v[4:5], null, s12, v19, s[12:13]
	v_mul_lo_u32 v23, s12, v7
	v_cmp_gt_i32_e32 vcc_lo, s4, v15
	v_lshlrev_b32_e32 v24, 2, v8
	v_mov_b32_e32 v14, 0
	s_lshl_b32 s21, s18, 6
	s_lshl_b32 s23, s12, 6
	s_mov_b32 s22, 0
	s_mov_b32 s24, 0
	s_branch .LBB436_24
.LBB436_20:                             ;   in Loop: Header=BB436_24 Depth=1
	s_or_b32 exec_lo, exec_lo, s27
	s_waitcnt vmcnt(3) lgkmcnt(3)
	v_fma_mix_f32 v5, v37, v41, v16 op_sel_hi:[0,1,0]
	s_waitcnt vmcnt(2) lgkmcnt(2)
	s_delay_alu instid0(VALU_DEP_1) | instskip(SKIP_1) | instid1(VALU_DEP_1)
	v_fma_mix_f32 v5, v38, v42, v5 op_sel_hi:[0,1,0]
	s_waitcnt vmcnt(1) lgkmcnt(1)
	v_fma_mix_f32 v5, v39, v43, v5 op_sel_hi:[0,1,0]
	s_waitcnt vmcnt(0) lgkmcnt(0)
	s_delay_alu instid0(VALU_DEP_1)
	v_fma_mix_f32 v16, v40, v44, v5 op_sel_hi:[0,1,0]
.LBB436_21:                             ;   in Loop: Header=BB436_24 Depth=1
	s_or_b32 exec_lo, exec_lo, s26
	s_waitcnt vmcnt(3) lgkmcnt(3)
	v_fma_mix_f32 v5, v37, v33, v17 op_sel_hi:[0,1,0]
	s_waitcnt vmcnt(2) lgkmcnt(2)
	s_delay_alu instid0(VALU_DEP_1) | instskip(SKIP_1) | instid1(VALU_DEP_1)
	v_fma_mix_f32 v5, v38, v34, v5 op_sel_hi:[0,1,0]
	s_waitcnt vmcnt(1) lgkmcnt(1)
	v_fma_mix_f32 v5, v39, v35, v5 op_sel_hi:[0,1,0]
	s_waitcnt vmcnt(0) lgkmcnt(0)
	s_delay_alu instid0(VALU_DEP_1)
	v_fma_mix_f32 v17, v40, v36, v5 op_sel_hi:[0,1,0]
.LBB436_22:                             ;   in Loop: Header=BB436_24 Depth=1
	s_or_b32 exec_lo, exec_lo, s3
	s_waitcnt vmcnt(3) lgkmcnt(3)
	v_fma_mix_f32 v5, v25, v29, v18 op_sel_hi:[1,1,0]
	s_waitcnt vmcnt(2) lgkmcnt(2)
	s_delay_alu instid0(VALU_DEP_1) | instskip(SKIP_1) | instid1(VALU_DEP_1)
	v_fma_mix_f32 v5, v26, v30, v5 op_sel_hi:[1,1,0]
	s_waitcnt vmcnt(1) lgkmcnt(1)
	v_fma_mix_f32 v5, v27, v31, v5 op_sel_hi:[1,1,0]
	s_waitcnt vmcnt(0) lgkmcnt(0)
	s_delay_alu instid0(VALU_DEP_1)
	v_fma_mix_f32 v18, v28, v32, v5 op_sel_hi:[1,1,0]
.LBB436_23:                             ;   in Loop: Header=BB436_24 Depth=1
	s_or_b32 exec_lo, exec_lo, s25
	v_add_nc_u32_e32 v19, 64, v19
	v_add_nc_u32_e32 v20, s21, v20
	;; [unrolled: 1-line block ×5, first 2 shown]
	v_cmp_le_i32_e64 s3, s19, v19
	s_add_i32 s24, s24, s23
	s_delay_alu instid0(VALU_DEP_1) | instskip(NEXT) | instid1(SALU_CYCLE_1)
	s_or_b32 s22, s3, s22
	s_and_not1_b32 exec_lo, exec_lo, s22
	s_cbranch_execz .LBB436_29
.LBB436_24:                             ; =>This Inner Loop Header: Depth=1
	s_and_saveexec_b32 s25, vcc_lo
	s_cbranch_execz .LBB436_23
; %bb.25:                               ;   in Loop: Header=BB436_24 Depth=1
	v_add_nc_u32_e32 v5, s24, v24
	v_add_nc_u32_e32 v7, s24, v4
	;; [unrolled: 1-line block ×5, first 2 shown]
	v_ashrrev_i32_e32 v6, 31, v5
	v_ashrrev_i32_e32 v8, 31, v7
	;; [unrolled: 1-line block ×5, first 2 shown]
	v_lshlrev_b64 v[5:6], 1, v[5:6]
	v_lshlrev_b64 v[7:8], 1, v[7:8]
	v_lshlrev_b64 v[9:10], 1, v[9:10]
	s_delay_alu instid0(VALU_DEP_3) | instskip(NEXT) | instid1(VALU_DEP_1)
	v_add_co_u32 v27, s3, s10, v5
	v_add_co_ci_u32_e64 v28, s3, s11, v6, s3
	s_delay_alu instid0(VALU_DEP_4)
	v_add_co_u32 v29, s3, s10, v7
	v_add_nc_u32_e32 v7, s14, v20
	v_add_co_ci_u32_e64 v30, s3, s11, v8, s3
	v_lshlrev_b64 v[5:6], 1, v[11:12]
	v_add_co_u32 v31, s3, s10, v9
	v_add_nc_u32_e32 v11, s14, v2
	v_add_co_ci_u32_e64 v32, s3, s11, v10, s3
	v_lshlrev_b64 v[9:10], 1, v[25:26]
	v_ashrrev_i32_e32 v8, 31, v7
	v_add_nc_u32_e32 v25, s14, v3
	v_add_co_u32 v33, s3, s10, v5
	v_ashrrev_i32_e32 v12, 31, v11
	v_add_co_ci_u32_e64 v34, s3, s11, v6, s3
	v_lshlrev_b64 v[7:8], 1, v[7:8]
	v_add_co_u32 v5, s3, s8, v9
	v_ashrrev_i32_e32 v26, 31, v25
	v_add_co_ci_u32_e64 v6, s3, s9, v10, s3
	v_lshlrev_b64 v[9:10], 1, v[11:12]
	v_add_co_u32 v7, s3, s8, v7
	s_delay_alu instid0(VALU_DEP_4) | instskip(SKIP_1) | instid1(VALU_DEP_4)
	v_lshlrev_b64 v[11:12], 1, v[25:26]
	v_add_co_ci_u32_e64 v8, s3, s9, v8, s3
	v_add_co_u32 v9, s3, s8, v9
	s_delay_alu instid0(VALU_DEP_1) | instskip(NEXT) | instid1(VALU_DEP_4)
	v_add_co_ci_u32_e64 v10, s3, s9, v10, s3
	v_add_co_u32 v11, s3, s8, v11
	s_delay_alu instid0(VALU_DEP_1)
	v_add_co_ci_u32_e64 v12, s3, s9, v12, s3
	s_clause 0x3
	flat_load_u16 v25, v[27:28]
	flat_load_u16 v26, v[29:30]
	;; [unrolled: 1-line block ×4, first 2 shown]
	s_clause 0x3
	flat_load_u16 v29, v[5:6]
	flat_load_u16 v30, v[7:8]
	;; [unrolled: 1-line block ×4, first 2 shown]
	s_and_saveexec_b32 s3, s0
	s_cbranch_execz .LBB436_22
; %bb.26:                               ;   in Loop: Header=BB436_24 Depth=1
	s_clause 0x3
	flat_load_u16 v33, v[5:6] offset:128
	flat_load_u16 v34, v[7:8] offset:128
	flat_load_u16 v35, v[9:10] offset:128
	flat_load_u16 v36, v[11:12] offset:128
	s_waitcnt vmcnt(11) lgkmcnt(11)
	v_cvt_f32_f16_e32 v37, v25
	s_waitcnt vmcnt(10) lgkmcnt(10)
	v_cvt_f32_f16_e32 v38, v26
	;; [unrolled: 2-line block ×4, first 2 shown]
	s_and_saveexec_b32 s26, s1
	s_cbranch_execz .LBB436_21
; %bb.27:                               ;   in Loop: Header=BB436_24 Depth=1
	s_clause 0x3
	flat_load_u16 v41, v[5:6] offset:256
	flat_load_u16 v42, v[7:8] offset:256
	;; [unrolled: 1-line block ×4, first 2 shown]
	s_and_saveexec_b32 s27, s2
	s_cbranch_execz .LBB436_20
; %bb.28:                               ;   in Loop: Header=BB436_24 Depth=1
	s_clause 0x3
	flat_load_u16 v5, v[5:6] offset:384
	flat_load_u16 v6, v[7:8] offset:384
	;; [unrolled: 1-line block ×4, first 2 shown]
	s_waitcnt vmcnt(3) lgkmcnt(3)
	v_fma_mix_f32 v5, v37, v5, v14 op_sel_hi:[0,1,0]
	s_waitcnt vmcnt(2) lgkmcnt(2)
	s_delay_alu instid0(VALU_DEP_1) | instskip(SKIP_1) | instid1(VALU_DEP_1)
	v_fma_mix_f32 v5, v38, v6, v5 op_sel_hi:[0,1,0]
	s_waitcnt vmcnt(1) lgkmcnt(1)
	v_fma_mix_f32 v5, v39, v7, v5 op_sel_hi:[0,1,0]
	s_waitcnt vmcnt(0) lgkmcnt(0)
	s_delay_alu instid0(VALU_DEP_1)
	v_fma_mix_f32 v14, v40, v8, v5 op_sel_hi:[0,1,0]
	s_branch .LBB436_20
.LBB436_29:
	s_or_b32 exec_lo, exec_lo, s22
.LBB436_30:
	s_delay_alu instid0(SALU_CYCLE_1) | instskip(SKIP_1) | instid1(SALU_CYCLE_1)
	s_or_b32 exec_lo, exec_lo, s20
	s_sub_i32 s0, s5, s19
	s_cmp_lt_i32 s0, 1
	s_cbranch_scc1 .LBB436_48
; %bb.31:
	v_cmp_gt_i32_e32 vcc_lo, s5, v19
	v_dual_mov_b32 v10, 0 :: v_dual_mov_b32 v11, 0
	v_or_b32_e32 v2, 1, v19
	v_mov_b32_e32 v12, 0
	v_mov_b32_e32 v20, 0
	s_and_saveexec_b32 s1, vcc_lo
	s_cbranch_execz .LBB436_39
; %bb.32:
	s_waitcnt lgkmcnt(0)
	v_mul_lo_u32 v3, v19, s12
	v_dual_mov_b32 v12, 0 :: v_dual_mov_b32 v11, 0
	v_mov_b32_e32 v10, 0
	s_mov_b32 s2, exec_lo
	s_delay_alu instid0(VALU_DEP_3) | instskip(NEXT) | instid1(VALU_DEP_1)
	v_ashrrev_i32_e32 v4, 31, v3
	v_lshlrev_b64 v[3:4], 1, v[3:4]
	s_delay_alu instid0(VALU_DEP_1) | instskip(NEXT) | instid1(VALU_DEP_1)
	v_add_co_u32 v3, s0, s10, v3
	v_add_co_ci_u32_e64 v4, s0, s11, v4, s0
	flat_load_u16 v3, v[3:4]
	v_cmpx_gt_i32_e64 s5, v2
	s_cbranch_execz .LBB436_38
; %bb.33:
	v_mul_lo_u32 v4, v2, s12
	v_dual_mov_b32 v11, 0 :: v_dual_mov_b32 v10, 0
	s_mov_b32 s3, exec_lo
	s_delay_alu instid0(VALU_DEP_2) | instskip(NEXT) | instid1(VALU_DEP_1)
	v_ashrrev_i32_e32 v5, 31, v4
	v_lshlrev_b64 v[4:5], 1, v[4:5]
	s_delay_alu instid0(VALU_DEP_1) | instskip(NEXT) | instid1(VALU_DEP_1)
	v_add_co_u32 v4, s0, s10, v4
	v_add_co_ci_u32_e64 v5, s0, s11, v5, s0
	flat_load_u16 v4, v[4:5]
	v_or_b32_e32 v5, 2, v19
	s_delay_alu instid0(VALU_DEP_1)
	v_cmpx_gt_i32_e64 s5, v5
	s_cbranch_execz .LBB436_37
; %bb.34:
	v_mul_lo_u32 v5, v5, s12
	v_mov_b32_e32 v10, 0
	s_mov_b32 s19, exec_lo
	s_delay_alu instid0(VALU_DEP_2) | instskip(NEXT) | instid1(VALU_DEP_1)
	v_ashrrev_i32_e32 v6, 31, v5
	v_lshlrev_b64 v[5:6], 1, v[5:6]
	s_delay_alu instid0(VALU_DEP_1) | instskip(NEXT) | instid1(VALU_DEP_1)
	v_add_co_u32 v5, s0, s10, v5
	v_add_co_ci_u32_e64 v6, s0, s11, v6, s0
	flat_load_u16 v5, v[5:6]
	v_or_b32_e32 v6, 3, v19
	s_delay_alu instid0(VALU_DEP_1)
	v_cmpx_gt_i32_e64 s5, v6
	s_cbranch_execz .LBB436_36
; %bb.35:
	v_mul_lo_u32 v6, v6, s12
	s_delay_alu instid0(VALU_DEP_1) | instskip(NEXT) | instid1(VALU_DEP_1)
	v_ashrrev_i32_e32 v7, 31, v6
	v_lshlrev_b64 v[6:7], 1, v[6:7]
	s_delay_alu instid0(VALU_DEP_1) | instskip(NEXT) | instid1(VALU_DEP_1)
	v_add_co_u32 v6, s0, s10, v6
	v_add_co_ci_u32_e64 v7, s0, s11, v7, s0
	flat_load_u16 v6, v[6:7]
	s_waitcnt vmcnt(0) lgkmcnt(0)
	v_cvt_f32_f16_e32 v10, v6
.LBB436_36:
	s_or_b32 exec_lo, exec_lo, s19
	s_waitcnt vmcnt(0) lgkmcnt(0)
	v_cvt_f32_f16_e32 v11, v5
.LBB436_37:
	s_or_b32 exec_lo, exec_lo, s3
	s_waitcnt vmcnt(0) lgkmcnt(0)
	v_cvt_f32_f16_e32 v12, v4
.LBB436_38:
	s_or_b32 exec_lo, exec_lo, s2
	s_waitcnt vmcnt(0) lgkmcnt(0)
	v_cvt_f32_f16_e32 v20, v3
.LBB436_39:
	s_or_b32 exec_lo, exec_lo, s1
	s_delay_alu instid0(SALU_CYCLE_1)
	s_mov_b32 s1, exec_lo
	v_cmpx_gt_i32_e64 s4, v15
	s_cbranch_execz .LBB436_47
; %bb.40:
	s_waitcnt lgkmcnt(0)
	v_mul_lo_u32 v3, v19, s18
	v_or_b32_e32 v6, 3, v19
	v_or_b32_e32 v4, 2, v19
	v_mul_lo_u32 v5, v2, s18
	s_mov_b32 s0, exec_lo
	s_delay_alu instid0(VALU_DEP_3) | instskip(NEXT) | instid1(VALU_DEP_3)
	v_mul_lo_u32 v8, v6, s18
	v_mul_lo_u32 v7, v4, s18
	v_cndmask_b32_e32 v3, 0, v3, vcc_lo
	v_cmp_gt_i32_e32 vcc_lo, s5, v2
	v_cndmask_b32_e32 v5, 0, v5, vcc_lo
	v_cmp_gt_i32_e32 vcc_lo, s5, v4
	;; [unrolled: 2-line block ×3, first 2 shown]
	s_delay_alu instid0(VALU_DEP_2) | instskip(SKIP_3) | instid1(VALU_DEP_4)
	v_add_nc_u32_e32 v6, v7, v15
	v_cndmask_b32_e32 v8, 0, v8, vcc_lo
	v_add_nc_u32_e32 v2, v3, v15
	v_add_nc_u32_e32 v4, v5, v15
	v_ashrrev_i32_e32 v7, 31, v6
	s_delay_alu instid0(VALU_DEP_4) | instskip(NEXT) | instid1(VALU_DEP_4)
	v_add_nc_u32_e32 v8, v8, v15
	v_ashrrev_i32_e32 v3, 31, v2
	s_delay_alu instid0(VALU_DEP_4) | instskip(NEXT) | instid1(VALU_DEP_4)
	v_ashrrev_i32_e32 v5, 31, v4
	v_lshlrev_b64 v[6:7], 1, v[6:7]
	s_delay_alu instid0(VALU_DEP_4) | instskip(NEXT) | instid1(VALU_DEP_4)
	v_ashrrev_i32_e32 v9, 31, v8
	v_lshlrev_b64 v[2:3], 1, v[2:3]
	s_delay_alu instid0(VALU_DEP_4) | instskip(NEXT) | instid1(VALU_DEP_3)
	v_lshlrev_b64 v[4:5], 1, v[4:5]
	v_lshlrev_b64 v[8:9], 1, v[8:9]
	s_delay_alu instid0(VALU_DEP_3) | instskip(NEXT) | instid1(VALU_DEP_4)
	v_add_co_u32 v2, vcc_lo, s8, v2
	v_add_co_ci_u32_e32 v3, vcc_lo, s9, v3, vcc_lo
	s_delay_alu instid0(VALU_DEP_4)
	v_add_co_u32 v4, vcc_lo, s8, v4
	v_add_co_ci_u32_e32 v5, vcc_lo, s9, v5, vcc_lo
	flat_load_u16 v21, v[2:3]
	v_add_co_u32 v6, vcc_lo, s8, v6
	v_add_co_ci_u32_e32 v7, vcc_lo, s9, v7, vcc_lo
	s_clause 0x1
	flat_load_u16 v22, v[4:5]
	flat_load_u16 v23, v[6:7]
	v_add_co_u32 v8, vcc_lo, s8, v8
	v_add_co_ci_u32_e32 v9, vcc_lo, s9, v9, vcc_lo
	flat_load_u16 v19, v[8:9]
	s_waitcnt vmcnt(3) lgkmcnt(3)
	v_fma_mix_f32 v18, v20, v21, v18 op_sel_hi:[0,1,0]
	v_add_nc_u32_e32 v21, 64, v15
	s_waitcnt vmcnt(2) lgkmcnt(2)
	s_delay_alu instid0(VALU_DEP_2) | instskip(SKIP_1) | instid1(VALU_DEP_1)
	v_fma_mix_f32 v18, v12, v22, v18 op_sel_hi:[0,1,0]
	s_waitcnt vmcnt(1) lgkmcnt(1)
	v_fma_mix_f32 v18, v11, v23, v18 op_sel_hi:[0,1,0]
	v_cmpx_gt_i32_e64 s4, v21
	s_cbranch_execz .LBB436_46
; %bb.41:
	s_clause 0x3
	flat_load_u16 v22, v[2:3] offset:128
	flat_load_u16 v23, v[4:5] offset:128
	flat_load_u16 v24, v[6:7] offset:128
	flat_load_u16 v21, v[8:9] offset:128
	s_mov_b32 s2, exec_lo
	s_waitcnt vmcnt(3) lgkmcnt(3)
	v_fma_mix_f32 v17, v20, v22, v17 op_sel_hi:[0,1,0]
	v_add_nc_u32_e32 v22, 0x80, v15
	s_waitcnt vmcnt(2) lgkmcnt(2)
	s_delay_alu instid0(VALU_DEP_2) | instskip(SKIP_1) | instid1(VALU_DEP_1)
	v_fma_mix_f32 v17, v12, v23, v17 op_sel_hi:[0,1,0]
	s_waitcnt vmcnt(1) lgkmcnt(1)
	v_fma_mix_f32 v17, v11, v24, v17 op_sel_hi:[0,1,0]
	v_cmpx_gt_i32_e64 s4, v22
	s_cbranch_execz .LBB436_45
; %bb.42:
	s_clause 0x3
	flat_load_u16 v23, v[2:3] offset:256
	flat_load_u16 v24, v[4:5] offset:256
	;; [unrolled: 1-line block ×4, first 2 shown]
	s_mov_b32 s3, exec_lo
	s_waitcnt vmcnt(3) lgkmcnt(3)
	v_fma_mix_f32 v16, v20, v23, v16 op_sel_hi:[0,1,0]
	v_add_nc_u32_e32 v23, 0xc0, v15
	s_waitcnt vmcnt(2) lgkmcnt(2)
	s_delay_alu instid0(VALU_DEP_2) | instskip(SKIP_1) | instid1(VALU_DEP_1)
	v_fma_mix_f32 v16, v12, v24, v16 op_sel_hi:[0,1,0]
	s_waitcnt vmcnt(1) lgkmcnt(1)
	v_fma_mix_f32 v15, v11, v25, v16 op_sel_hi:[0,1,0]
	v_cmpx_gt_i32_e64 s4, v23
	s_cbranch_execz .LBB436_44
; %bb.43:
	s_clause 0x3
	flat_load_u16 v2, v[2:3] offset:384
	flat_load_u16 v3, v[4:5] offset:384
	;; [unrolled: 1-line block ×4, first 2 shown]
	s_waitcnt vmcnt(3) lgkmcnt(3)
	v_fma_mix_f32 v2, v20, v2, v14 op_sel_hi:[0,1,0]
	s_waitcnt vmcnt(2) lgkmcnt(2)
	s_delay_alu instid0(VALU_DEP_1) | instskip(SKIP_1) | instid1(VALU_DEP_1)
	v_fma_mix_f32 v2, v12, v3, v2 op_sel_hi:[0,1,0]
	s_waitcnt vmcnt(1) lgkmcnt(1)
	v_fma_mix_f32 v2, v11, v4, v2 op_sel_hi:[0,1,0]
	s_waitcnt vmcnt(0) lgkmcnt(0)
	s_delay_alu instid0(VALU_DEP_1)
	v_fma_mix_f32 v14, v10, v5, v2 op_sel_hi:[0,1,0]
.LBB436_44:
	s_or_b32 exec_lo, exec_lo, s3
	s_waitcnt vmcnt(0) lgkmcnt(0)
	v_fma_mix_f32 v16, v10, v22, v15 op_sel_hi:[0,1,0]
.LBB436_45:
	s_or_b32 exec_lo, exec_lo, s2
	s_waitcnt vmcnt(0) lgkmcnt(0)
	v_fma_mix_f32 v17, v10, v21, v17 op_sel_hi:[0,1,0]
.LBB436_46:
	s_or_b32 exec_lo, exec_lo, s0
	s_waitcnt vmcnt(0) lgkmcnt(0)
	v_fma_mix_f32 v18, v10, v19, v18 op_sel_hi:[0,1,0]
.LBB436_47:
	s_or_b32 exec_lo, exec_lo, s1
.LBB436_48:
	v_lshlrev_b32_e32 v2, 8, v13
	s_mov_b32 s0, exec_lo
                                        ; implicit-def: $vgpr5
	s_delay_alu instid0(VALU_DEP_1)
	v_add_lshl_u32 v1, v2, v1, 2
                                        ; implicit-def: $vgpr2_vgpr3
	ds_store_2addr_stride64_b32 v1, v18, v17 offset1:1
	ds_store_2addr_stride64_b32 v1, v16, v14 offset0:2 offset1:3
	s_waitcnt lgkmcnt(0)
	s_barrier
	buffer_gl0_inv
	v_cmpx_gt_u32_e32 0x100, v0
	s_cbranch_execz .LBB436_54
; %bb.49:
	v_lshlrev_b32_e32 v7, 2, v0
	s_mov_b32 s2, s17
	s_mov_b32 s1, exec_lo
	ds_load_2addr_stride64_b32 v[1:2], v7 offset1:4
	ds_load_2addr_stride64_b32 v[3:4], v7 offset0:8 offset1:12
	ds_load_2addr_stride64_b32 v[5:6], v7 offset0:16 offset1:20
	s_waitcnt lgkmcnt(2)
	v_add_f32_e32 v8, v1, v2
	ds_load_2addr_stride64_b32 v[1:2], v7 offset0:24 offset1:28
	s_waitcnt lgkmcnt(2)
	v_add_f32_e32 v3, v3, v8
	s_delay_alu instid0(VALU_DEP_1) | instskip(SKIP_3) | instid1(VALU_DEP_1)
	v_add_f32_e32 v8, v4, v3
	ds_load_2addr_stride64_b32 v[3:4], v7 offset0:32 offset1:36
	s_waitcnt lgkmcnt(2)
	v_add_f32_e32 v5, v5, v8
	v_add_f32_e32 v8, v6, v5
	ds_load_2addr_stride64_b32 v[5:6], v7 offset0:40 offset1:44
	s_waitcnt lgkmcnt(2)
	v_add_f32_e32 v1, v1, v8
	s_delay_alu instid0(VALU_DEP_1) | instskip(SKIP_1) | instid1(VALU_DEP_1)
	v_add_f32_e32 v1, v2, v1
	s_waitcnt lgkmcnt(1)
	v_add_f32_e32 v3, v3, v1
	ds_load_2addr_stride64_b32 v[1:2], v7 offset0:48 offset1:52
	v_add_f32_e32 v3, v4, v3
	s_waitcnt lgkmcnt(1)
	s_delay_alu instid0(VALU_DEP_1) | instskip(SKIP_3) | instid1(VALU_DEP_1)
	v_add_f32_e32 v5, v5, v3
	ds_load_2addr_stride64_b32 v[3:4], v7 offset0:56 offset1:60
	v_add_f32_e32 v5, v6, v5
	s_waitcnt lgkmcnt(1)
	v_add_f32_e32 v1, v1, v5
                                        ; implicit-def: $vgpr5
	s_delay_alu instid0(VALU_DEP_1) | instskip(SKIP_1) | instid1(VALU_DEP_1)
	v_add_f32_e32 v1, v2, v1
	s_waitcnt lgkmcnt(0)
	v_add_f32_e32 v2, v3, v1
	v_or_b32_e32 v1, s14, v0
	s_delay_alu instid0(VALU_DEP_2)
	v_add_f32_e32 v0, v4, v2
                                        ; implicit-def: $vgpr2_vgpr3
	ds_store_b32 v7, v0
	v_cmpx_gt_i32_e64 s4, v1
	s_cbranch_execz .LBB436_53
; %bb.50:
	v_mul_lo_u32 v2, v1, s16
	v_cmp_eq_f32_e64 s2, s7, 0
	v_mul_f32_e32 v0, s6, v0
	s_delay_alu instid0(VALU_DEP_2) | instskip(NEXT) | instid1(VALU_DEP_3)
	s_and_b32 vcc_lo, exec_lo, s2
	v_ashrrev_i32_e32 v3, 31, v2
	s_cbranch_vccnz .LBB436_52
; %bb.51:
	s_delay_alu instid0(VALU_DEP_1) | instskip(NEXT) | instid1(VALU_DEP_1)
	v_lshlrev_b64 v[4:5], 1, v[2:3]
	v_add_co_u32 v4, vcc_lo, s13, v4
	s_delay_alu instid0(VALU_DEP_2)
	v_add_co_ci_u32_e32 v5, vcc_lo, s15, v5, vcc_lo
	global_load_u16 v1, v[4:5], off
	s_waitcnt vmcnt(0)
	v_fma_mix_f32 v0, v1, s7, v0 op_sel_hi:[1,0,0]
.LBB436_52:
	s_delay_alu instid0(VALU_DEP_1)
	v_cvt_f16_f32_e32 v5, v0
	s_or_b32 s2, s17, exec_lo
.LBB436_53:
	s_or_b32 exec_lo, exec_lo, s1
	s_delay_alu instid0(SALU_CYCLE_1) | instskip(SKIP_1) | instid1(SALU_CYCLE_1)
	s_and_not1_b32 s1, s17, exec_lo
	s_and_b32 s2, s2, exec_lo
	s_or_b32 s17, s1, s2
.LBB436_54:
	s_or_b32 exec_lo, exec_lo, s0
.LBB436_55:
	s_and_saveexec_b32 s0, s17
	s_cbranch_execz .LBB436_57
; %bb.56:
	v_lshlrev_b64 v[0:1], 1, v[2:3]
	s_delay_alu instid0(VALU_DEP_1) | instskip(NEXT) | instid1(VALU_DEP_2)
	v_add_co_u32 v0, vcc_lo, s13, v0
	v_add_co_ci_u32_e32 v1, vcc_lo, s15, v1, vcc_lo
	global_store_b16 v[0:1], v5, off
.LBB436_57:
	s_nop 0
	s_sendmsg sendmsg(MSG_DEALLOC_VGPRS)
	s_endpgm
	.section	.rodata,"a",@progbits
	.p2align	6, 0x0
	.amdhsa_kernel _ZL20rocblas_gemvn_kernelILi64ELi16EiPKDF16_fKPDF16_EviiT3_lPKT2_lT1_lS7_lS8_lS4_lPT4_lS8_li
		.amdhsa_group_segment_fixed_size 16384
		.amdhsa_private_segment_fixed_size 0
		.amdhsa_kernarg_size 400
		.amdhsa_user_sgpr_count 14
		.amdhsa_user_sgpr_dispatch_ptr 0
		.amdhsa_user_sgpr_queue_ptr 0
		.amdhsa_user_sgpr_kernarg_segment_ptr 1
		.amdhsa_user_sgpr_dispatch_id 0
		.amdhsa_user_sgpr_private_segment_size 0
		.amdhsa_wavefront_size32 1
		.amdhsa_uses_dynamic_stack 0
		.amdhsa_enable_private_segment 0
		.amdhsa_system_sgpr_workgroup_id_x 1
		.amdhsa_system_sgpr_workgroup_id_y 0
		.amdhsa_system_sgpr_workgroup_id_z 1
		.amdhsa_system_sgpr_workgroup_info 0
		.amdhsa_system_vgpr_workitem_id 1
		.amdhsa_next_free_vgpr 45
		.amdhsa_next_free_sgpr 28
		.amdhsa_reserve_vcc 1
		.amdhsa_float_round_mode_32 0
		.amdhsa_float_round_mode_16_64 0
		.amdhsa_float_denorm_mode_32 3
		.amdhsa_float_denorm_mode_16_64 3
		.amdhsa_dx10_clamp 1
		.amdhsa_ieee_mode 1
		.amdhsa_fp16_overflow 0
		.amdhsa_workgroup_processor_mode 1
		.amdhsa_memory_ordered 1
		.amdhsa_forward_progress 0
		.amdhsa_shared_vgpr_count 0
		.amdhsa_exception_fp_ieee_invalid_op 0
		.amdhsa_exception_fp_denorm_src 0
		.amdhsa_exception_fp_ieee_div_zero 0
		.amdhsa_exception_fp_ieee_overflow 0
		.amdhsa_exception_fp_ieee_underflow 0
		.amdhsa_exception_fp_ieee_inexact 0
		.amdhsa_exception_int_div_zero 0
	.end_amdhsa_kernel
	.section	.text._ZL20rocblas_gemvn_kernelILi64ELi16EiPKDF16_fKPDF16_EviiT3_lPKT2_lT1_lS7_lS8_lS4_lPT4_lS8_li,"axG",@progbits,_ZL20rocblas_gemvn_kernelILi64ELi16EiPKDF16_fKPDF16_EviiT3_lPKT2_lT1_lS7_lS8_lS4_lPT4_lS8_li,comdat
.Lfunc_end436:
	.size	_ZL20rocblas_gemvn_kernelILi64ELi16EiPKDF16_fKPDF16_EviiT3_lPKT2_lT1_lS7_lS8_lS4_lPT4_lS8_li, .Lfunc_end436-_ZL20rocblas_gemvn_kernelILi64ELi16EiPKDF16_fKPDF16_EviiT3_lPKT2_lT1_lS7_lS8_lS4_lPT4_lS8_li
                                        ; -- End function
	.section	.AMDGPU.csdata,"",@progbits
; Kernel info:
; codeLenInByte = 3212
; NumSgprs: 30
; NumVgprs: 45
; ScratchSize: 0
; MemoryBound: 0
; FloatMode: 240
; IeeeMode: 1
; LDSByteSize: 16384 bytes/workgroup (compile time only)
; SGPRBlocks: 3
; VGPRBlocks: 5
; NumSGPRsForWavesPerEU: 30
; NumVGPRsForWavesPerEU: 45
; Occupancy: 16
; WaveLimiterHint : 1
; COMPUTE_PGM_RSRC2:SCRATCH_EN: 0
; COMPUTE_PGM_RSRC2:USER_SGPR: 14
; COMPUTE_PGM_RSRC2:TRAP_HANDLER: 0
; COMPUTE_PGM_RSRC2:TGID_X_EN: 1
; COMPUTE_PGM_RSRC2:TGID_Y_EN: 0
; COMPUTE_PGM_RSRC2:TGID_Z_EN: 1
; COMPUTE_PGM_RSRC2:TIDIG_COMP_CNT: 1
	.section	.text._ZL20rocblas_gemvn_kernelILi64ELi16ElPKDF16_fKPDF16_EviiT3_lPKT2_lT1_lS7_lS8_lS4_lPT4_lS8_li,"axG",@progbits,_ZL20rocblas_gemvn_kernelILi64ELi16ElPKDF16_fKPDF16_EviiT3_lPKT2_lT1_lS7_lS8_lS4_lPT4_lS8_li,comdat
	.globl	_ZL20rocblas_gemvn_kernelILi64ELi16ElPKDF16_fKPDF16_EviiT3_lPKT2_lT1_lS7_lS8_lS4_lPT4_lS8_li ; -- Begin function _ZL20rocblas_gemvn_kernelILi64ELi16ElPKDF16_fKPDF16_EviiT3_lPKT2_lT1_lS7_lS8_lS4_lPT4_lS8_li
	.p2align	8
	.type	_ZL20rocblas_gemvn_kernelILi64ELi16ElPKDF16_fKPDF16_EviiT3_lPKT2_lT1_lS7_lS8_lS4_lPT4_lS8_li,@function
_ZL20rocblas_gemvn_kernelILi64ELi16ElPKDF16_fKPDF16_EviiT3_lPKT2_lT1_lS7_lS8_lS4_lPT4_lS8_li: ; @_ZL20rocblas_gemvn_kernelILi64ELi16ElPKDF16_fKPDF16_EviiT3_lPKT2_lT1_lS7_lS8_lS4_lPT4_lS8_li
; %bb.0:
	s_load_b64 s[4:5], s[0:1], 0x9c
	s_waitcnt lgkmcnt(0)
	s_lshr_b32 s3, s4, 16
	s_and_b32 s4, s4, 0xffff
	s_and_b32 s5, s5, 0xffff
	s_mul_i32 s3, s3, s4
	s_delay_alu instid0(SALU_CYCLE_1) | instskip(NEXT) | instid1(SALU_CYCLE_1)
	s_mul_i32 s3, s3, s5
	s_cmpk_lg_i32 s3, 0x400
	s_cbranch_scc1 .LBB437_57
; %bb.1:
	s_load_b128 s[8:11], s[0:1], 0x0
	s_waitcnt lgkmcnt(0)
	s_load_b32 s11, s[0:1], 0x58
	s_mov_b32 s2, s15
	v_cmp_eq_f32_e64 s15, s10, 0
	s_waitcnt lgkmcnt(0)
	v_cmp_eq_f32_e64 s3, s11, 1.0
	s_delay_alu instid0(VALU_DEP_1) | instskip(NEXT) | instid1(SALU_CYCLE_1)
	s_and_b32 s3, s15, s3
	s_and_b32 vcc_lo, exec_lo, s3
	s_cbranch_vccnz .LBB437_57
; %bb.2:
	s_clause 0x1
	s_load_b128 s[4:7], s[0:1], 0x18
	s_load_b64 s[12:13], s[0:1], 0x28
	v_cmp_neq_f32_e64 s20, s10, 0
	s_delay_alu instid0(VALU_DEP_1)
	s_and_b32 vcc_lo, exec_lo, s20
	s_cbranch_vccnz .LBB437_4
; %bb.3:
	s_mov_b32 s3, 0
	s_mov_b64 s[16:17], 0
	s_cbranch_execz .LBB437_5
	s_branch .LBB437_6
.LBB437_4:
	s_mov_b32 s3, -1
                                        ; implicit-def: $sgpr16_sgpr17
.LBB437_5:
	s_mov_b32 s3, 0
	s_delay_alu instid0(SALU_CYCLE_1)
	s_lshl_b64 s[16:17], s[2:3], 3
	s_waitcnt lgkmcnt(0)
	s_add_u32 s4, s4, s16
	s_addc_u32 s5, s5, s17
	s_lshl_b64 s[6:7], s[6:7], 1
	s_load_b64 s[4:5], s[4:5], 0x0
	s_waitcnt lgkmcnt(0)
	s_add_u32 s16, s4, s6
	s_addc_u32 s17, s5, s7
.LBB437_6:
	s_waitcnt lgkmcnt(0)
	s_clause 0x1
	s_load_b128 s[4:7], s[0:1], 0x38
	s_load_b64 s[18:19], s[0:1], 0x48
	s_and_not1_b32 vcc_lo, exec_lo, s20
	s_cbranch_vccnz .LBB437_8
; %bb.7:
	s_lshl_b64 s[20:21], s[2:3], 3
	s_waitcnt lgkmcnt(0)
	s_add_u32 s4, s4, s20
	s_addc_u32 s5, s5, s21
	s_lshl_b64 s[6:7], s[6:7], 1
	s_load_b64 s[4:5], s[4:5], 0x0
	s_waitcnt lgkmcnt(0)
	s_add_u32 s20, s4, s6
	s_addc_u32 s21, s5, s7
	s_branch .LBB437_9
.LBB437_8:
	s_mov_b64 s[20:21], 0
.LBB437_9:
	s_load_b128 s[24:27], s[0:1], 0x68
	s_waitcnt lgkmcnt(0)
	s_load_b64 s[6:7], s[0:1], 0x78
	s_lshl_b64 s[2:3], s[2:3], 3
	v_and_b32_e32 v20, 0x3ff, v0
	v_bfe_u32 v21, v0, 10, 10
	s_delay_alu instid0(VALU_DEP_1)
	v_lshl_add_u32 v19, v21, 6, v20
	s_add_u32 s0, s24, s2
	s_addc_u32 s1, s25, s3
	s_lshl_b64 s[22:23], s[26:27], 1
	s_load_b64 s[2:3], s[0:1], 0x0
	v_cmp_gt_u32_e64 s0, 0x100, v19
	s_waitcnt lgkmcnt(0)
	s_add_u32 s5, s2, s22
	s_addc_u32 s26, s3, s23
	s_and_not1_b32 vcc_lo, exec_lo, s15
	s_cbranch_vccnz .LBB437_14
; %bb.10:
	s_mov_b32 s1, 0
	s_mov_b32 s27, 0
                                        ; implicit-def: $vgpr3
                                        ; implicit-def: $vgpr0_vgpr1
	s_and_saveexec_b32 s2, s0
	s_cbranch_execz .LBB437_15
; %bb.11:
	v_lshl_or_b32 v2, s14, 8, v19
	v_mov_b32_e32 v3, 0
	s_ashr_i32 s23, s8, 31
	s_mov_b32 s22, s8
	s_mov_b32 s3, 0
                                        ; implicit-def: $vgpr0_vgpr1
	s_delay_alu instid0(VALU_DEP_1)
	v_cmp_gt_i64_e32 vcc_lo, s[22:23], v[2:3]
                                        ; implicit-def: $vgpr3
	s_and_saveexec_b32 s0, vcc_lo
	s_cbranch_execz .LBB437_17
; %bb.12:
	v_mad_u64_u32 v[0:1], null, v2, s6, 0
	v_cmp_eq_f32_e64 s3, s11, 0
	s_delay_alu instid0(VALU_DEP_1) | instskip(NEXT) | instid1(VALU_DEP_2)
	s_and_b32 vcc_lo, exec_lo, s3
	v_mad_u64_u32 v[3:4], null, v2, s7, v[1:2]
	s_delay_alu instid0(VALU_DEP_1)
	v_mov_b32_e32 v1, v3
	s_cbranch_vccnz .LBB437_16
; %bb.13:
	s_delay_alu instid0(VALU_DEP_1) | instskip(SKIP_1) | instid1(VALU_DEP_1)
	v_lshlrev_b64 v[2:3], 1, v[0:1]
	s_mov_b32 s3, exec_lo
	v_add_co_u32 v2, vcc_lo, s5, v2
	s_delay_alu instid0(VALU_DEP_2)
	v_add_co_ci_u32_e32 v3, vcc_lo, s26, v3, vcc_lo
	global_load_u16 v2, v[2:3], off
	s_waitcnt vmcnt(0)
	v_fma_mixlo_f16 v3, v2, s11, 0 op_sel_hi:[1,0,0]
	s_branch .LBB437_17
.LBB437_14:
	s_mov_b32 s27, 0
                                        ; implicit-def: $vgpr3
                                        ; implicit-def: $vgpr0_vgpr1
	s_cbranch_execnz .LBB437_18
	s_branch .LBB437_55
.LBB437_15:
	s_or_b32 exec_lo, exec_lo, s2
	s_delay_alu instid0(SALU_CYCLE_1)
	s_and_b32 vcc_lo, exec_lo, s1
	s_cbranch_vccnz .LBB437_18
	s_branch .LBB437_55
.LBB437_16:
	v_mov_b32_e32 v3, 0
	s_mov_b32 s3, exec_lo
.LBB437_17:
	s_or_b32 exec_lo, exec_lo, s0
	s_delay_alu instid0(SALU_CYCLE_1) | instskip(SKIP_1) | instid1(SALU_CYCLE_1)
	s_and_b32 s27, s3, exec_lo
	s_or_b32 exec_lo, exec_lo, s2
	s_and_b32 vcc_lo, exec_lo, s1
	s_cbranch_vccz .LBB437_55
.LBB437_18:
	s_ashr_i32 s0, s9, 31
	s_lshl_b32 s28, s14, 8
	s_lshr_b32 s0, s0, 26
	v_dual_mov_b32 v26, 0 :: v_dual_lshlrev_b32 v23, 2, v21
	v_dual_mov_b32 v25, 0 :: v_dual_add_nc_u32 v0, s28, v20
	v_mov_b32_e32 v24, 0
	v_mov_b32_e32 v22, 0
	s_add_i32 s29, s9, s0
	s_mov_b32 s30, exec_lo
	s_and_not1_b32 s29, s29, 63
	s_delay_alu instid0(SALU_CYCLE_1)
	v_cmpx_gt_i32_e64 s29, v23
	s_cbranch_execz .LBB437_30
; %bb.19:
	v_lshlrev_b32_e32 v22, 2, v21
	v_mad_u64_u32 v[5:6], null, s18, v21, 0
	v_add_nc_u32_e32 v10, 0xc0, v0
	v_mad_u64_u32 v[7:8], null, s12, v21, 0
	s_delay_alu instid0(VALU_DEP_4) | instskip(SKIP_1) | instid1(VALU_DEP_4)
	v_or_b32_e32 v29, 3, v22
	v_or_b32_e32 v31, 2, v22
	v_cmp_gt_i32_e64 s2, s8, v10
	v_ashrrev_i32_e32 v1, 31, v0
	v_cmp_gt_i32_e32 vcc_lo, s8, v0
	v_mad_u64_u32 v[3:4], null, s12, v29, 0
	v_mad_u64_u32 v[16:17], null, s18, v29, 0
	v_add_nc_u32_e32 v2, 64, v0
	v_add_nc_u32_e32 v9, 0x80, v0
	v_mad_u64_u32 v[14:15], null, s12, v31, 0
	v_mad_u64_u32 v[35:36], null, s18, v31, 0
	s_delay_alu instid0(VALU_DEP_4)
	v_cmp_gt_i32_e64 s0, s8, v2
	v_mov_b32_e32 v2, v4
	v_mov_b32_e32 v4, v6
	v_cmp_gt_i32_e64 s1, s8, v9
	v_mov_b32_e32 v6, v8
	s_lshl_b64 s[14:15], s[12:13], 7
	v_mad_u64_u32 v[9:10], null, s13, v29, v[2:3]
	v_mad_u64_u32 v[10:11], null, s19, v21, v[4:5]
	s_delay_alu instid0(VALU_DEP_3) | instskip(SKIP_2) | instid1(VALU_DEP_4)
	v_mad_u64_u32 v[11:12], null, s13, v21, v[6:7]
	v_lshlrev_b64 v[1:2], 1, v[0:1]
	s_lshl_b64 s[22:23], s[18:19], 7
	v_mov_b32_e32 v4, v9
	s_mov_b32 s31, 0
	s_delay_alu instid0(VALU_DEP_4) | instskip(SKIP_1) | instid1(VALU_DEP_4)
	v_mov_b32_e32 v6, v10
	s_mov_b64 s[24:25], s[20:21]
	v_mov_b32_e32 v8, v11
	v_lshlrev_b64 v[9:10], 1, v[3:4]
	s_delay_alu instid0(VALU_DEP_3) | instskip(SKIP_2) | instid1(VALU_DEP_4)
	v_lshlrev_b64 v[3:4], 3, v[5:6]
	v_mov_b32_e32 v5, v15
	v_mad_u64_u32 v[12:13], null, s18, v22, s[18:19]
	v_add_co_u32 v27, s3, s16, v9
	s_delay_alu instid0(VALU_DEP_1) | instskip(SKIP_1) | instid1(VALU_DEP_4)
	v_add_co_ci_u32_e64 v28, s3, s17, v10, s3
	v_mad_u64_u32 v[9:10], null, s12, v22, s[12:13]
	v_mov_b32_e32 v6, v13
	v_lshlrev_b64 v[7:8], 3, v[7:8]
	s_delay_alu instid0(VALU_DEP_2) | instskip(SKIP_1) | instid1(VALU_DEP_3)
	v_mad_u64_u32 v[24:25], null, s13, v31, v[5:6]
	v_mov_b32_e32 v5, v17
	v_mad_u64_u32 v[17:18], null, s19, v22, v[6:7]
	s_delay_alu instid0(VALU_DEP_2) | instskip(SKIP_2) | instid1(VALU_DEP_4)
	v_mad_u64_u32 v[25:26], null, s19, v29, v[5:6]
	v_mov_b32_e32 v5, v10
	v_mov_b32_e32 v15, v24
	;; [unrolled: 1-line block ×3, first 2 shown]
	v_add_co_u32 v29, s3, s16, v7
	s_delay_alu instid0(VALU_DEP_4) | instskip(SKIP_4) | instid1(VALU_DEP_4)
	v_mad_u64_u32 v[10:11], null, s13, v22, v[5:6]
	v_mov_b32_e32 v5, v36
	v_mov_b32_e32 v17, v25
	v_lshlrev_b64 v[14:15], 1, v[14:15]
	v_add_co_ci_u32_e64 v30, s3, s17, v8, s3
	v_mad_u64_u32 v[24:25], null, s19, v31, v[5:6]
	v_mov_b32_e32 v25, 0
	v_lshlrev_b64 v[9:10], 1, v[9:10]
	v_add_co_u32 v31, s3, s16, v14
	s_delay_alu instid0(VALU_DEP_1) | instskip(SKIP_1) | instid1(VALU_DEP_4)
	v_add_co_ci_u32_e64 v32, s3, s17, v15, s3
	v_mov_b32_e32 v36, v24
	v_add_co_u32 v33, s3, s16, v9
	v_lshlrev_b64 v[5:6], 1, v[12:13]
	v_lshlrev_b64 v[7:8], 1, v[16:17]
	v_add_co_ci_u32_e64 v34, s3, s17, v10, s3
	v_lshlrev_b64 v[9:10], 1, v[35:36]
	v_mov_b32_e32 v26, 0
	v_mov_b32_e32 v24, 0
	;; [unrolled: 1-line block ×3, first 2 shown]
	s_branch .LBB437_24
.LBB437_20:                             ;   in Loop: Header=BB437_24 Depth=1
	s_or_b32 exec_lo, exec_lo, s34
	s_waitcnt vmcnt(3) lgkmcnt(3)
	v_fma_mix_f32 v11, v47, v51, v24 op_sel_hi:[0,1,0]
	s_waitcnt vmcnt(2) lgkmcnt(2)
	s_delay_alu instid0(VALU_DEP_1) | instskip(SKIP_1) | instid1(VALU_DEP_1)
	v_fma_mix_f32 v11, v48, v52, v11 op_sel_hi:[0,1,0]
	s_waitcnt vmcnt(1) lgkmcnt(1)
	v_fma_mix_f32 v11, v49, v53, v11 op_sel_hi:[0,1,0]
	s_waitcnt vmcnt(0) lgkmcnt(0)
	s_delay_alu instid0(VALU_DEP_1)
	v_fma_mix_f32 v24, v50, v54, v11 op_sel_hi:[0,1,0]
.LBB437_21:                             ;   in Loop: Header=BB437_24 Depth=1
	s_or_b32 exec_lo, exec_lo, s33
	s_waitcnt vmcnt(3) lgkmcnt(3)
	v_fma_mix_f32 v11, v47, v43, v25 op_sel_hi:[0,1,0]
	s_waitcnt vmcnt(2) lgkmcnt(2)
	s_delay_alu instid0(VALU_DEP_1) | instskip(SKIP_1) | instid1(VALU_DEP_1)
	v_fma_mix_f32 v11, v48, v44, v11 op_sel_hi:[0,1,0]
	s_waitcnt vmcnt(1) lgkmcnt(1)
	v_fma_mix_f32 v11, v49, v45, v11 op_sel_hi:[0,1,0]
	s_waitcnt vmcnt(0) lgkmcnt(0)
	s_delay_alu instid0(VALU_DEP_1)
	v_fma_mix_f32 v25, v50, v46, v11 op_sel_hi:[0,1,0]
.LBB437_22:                             ;   in Loop: Header=BB437_24 Depth=1
	s_or_b32 exec_lo, exec_lo, s3
	s_waitcnt vmcnt(3) lgkmcnt(3)
	v_fma_mix_f32 v11, v35, v39, v26 op_sel_hi:[1,1,0]
	s_waitcnt vmcnt(2) lgkmcnt(2)
	s_delay_alu instid0(VALU_DEP_1) | instskip(SKIP_1) | instid1(VALU_DEP_1)
	v_fma_mix_f32 v11, v36, v40, v11 op_sel_hi:[1,1,0]
	s_waitcnt vmcnt(1) lgkmcnt(1)
	v_fma_mix_f32 v11, v37, v41, v11 op_sel_hi:[1,1,0]
	s_waitcnt vmcnt(0) lgkmcnt(0)
	s_delay_alu instid0(VALU_DEP_1)
	v_fma_mix_f32 v26, v38, v42, v11 op_sel_hi:[1,1,0]
.LBB437_23:                             ;   in Loop: Header=BB437_24 Depth=1
	s_or_b32 exec_lo, exec_lo, s4
	v_add_co_u32 v27, s3, v27, s14
	s_delay_alu instid0(VALU_DEP_1) | instskip(SKIP_4) | instid1(VALU_DEP_1)
	v_add_co_ci_u32_e64 v28, s3, s15, v28, s3
	v_add_co_u32 v29, s3, v29, s14
	v_add_nc_u32_e32 v23, 64, v23
	v_add_co_ci_u32_e64 v30, s3, s15, v30, s3
	v_add_co_u32 v31, s3, v31, s14
	v_add_co_ci_u32_e64 v32, s3, s15, v32, s3
	s_delay_alu instid0(VALU_DEP_4) | instskip(SKIP_1) | instid1(VALU_DEP_1)
	v_cmp_le_i32_e64 s3, s29, v23
	v_add_co_u32 v33, s4, v33, s14
	v_add_co_ci_u32_e64 v34, s4, s15, v34, s4
	s_add_u32 s24, s24, s22
	s_addc_u32 s25, s25, s23
	s_or_b32 s31, s3, s31
	s_delay_alu instid0(SALU_CYCLE_1)
	s_and_not1_b32 exec_lo, exec_lo, s31
	s_cbranch_execz .LBB437_29
.LBB437_24:                             ; =>This Inner Loop Header: Depth=1
	s_and_saveexec_b32 s4, vcc_lo
	s_cbranch_execz .LBB437_23
; %bb.25:                               ;   in Loop: Header=BB437_24 Depth=1
	v_add_co_u32 v35, s3, s24, v3
	s_delay_alu instid0(VALU_DEP_1) | instskip(SKIP_1) | instid1(VALU_DEP_1)
	v_add_co_ci_u32_e64 v36, s3, s25, v4, s3
	v_add_co_u32 v37, s3, s24, v5
	v_add_co_ci_u32_e64 v38, s3, s25, v6, s3
	v_add_co_u32 v39, s3, s24, v9
	s_delay_alu instid0(VALU_DEP_1) | instskip(SKIP_1) | instid1(VALU_DEP_1)
	v_add_co_ci_u32_e64 v40, s3, s25, v10, s3
	v_add_co_u32 v41, s3, s24, v7
	v_add_co_ci_u32_e64 v42, s3, s25, v8, s3
	;; [unrolled: 5-line block ×4, first 2 shown]
	s_clause 0x3
	flat_load_u16 v35, v[35:36]
	flat_load_u16 v36, v[37:38]
	;; [unrolled: 1-line block ×8, first 2 shown]
	s_and_saveexec_b32 s3, s0
	s_cbranch_execz .LBB437_22
; %bb.26:                               ;   in Loop: Header=BB437_24 Depth=1
	flat_load_u16 v43, v[11:12] offset:128
	flat_load_u16 v44, v[13:14] offset:128
	;; [unrolled: 1-line block ×4, first 2 shown]
	s_waitcnt vmcnt(11) lgkmcnt(11)
	v_cvt_f32_f16_e32 v47, v35
	s_waitcnt vmcnt(10) lgkmcnt(10)
	v_cvt_f32_f16_e32 v48, v36
	;; [unrolled: 2-line block ×4, first 2 shown]
	s_and_saveexec_b32 s33, s1
	s_cbranch_execz .LBB437_21
; %bb.27:                               ;   in Loop: Header=BB437_24 Depth=1
	flat_load_u16 v51, v[11:12] offset:256
	flat_load_u16 v52, v[13:14] offset:256
	;; [unrolled: 1-line block ×4, first 2 shown]
	s_and_saveexec_b32 s34, s2
	s_cbranch_execz .LBB437_20
; %bb.28:                               ;   in Loop: Header=BB437_24 Depth=1
	flat_load_u16 v11, v[11:12] offset:384
	flat_load_u16 v12, v[13:14] offset:384
	;; [unrolled: 1-line block ×4, first 2 shown]
	s_waitcnt vmcnt(3) lgkmcnt(3)
	v_fma_mix_f32 v11, v47, v11, v22 op_sel_hi:[0,1,0]
	s_waitcnt vmcnt(2) lgkmcnt(2)
	s_delay_alu instid0(VALU_DEP_1) | instskip(SKIP_1) | instid1(VALU_DEP_1)
	v_fma_mix_f32 v11, v48, v12, v11 op_sel_hi:[0,1,0]
	s_waitcnt vmcnt(1) lgkmcnt(1)
	v_fma_mix_f32 v11, v49, v13, v11 op_sel_hi:[0,1,0]
	s_waitcnt vmcnt(0) lgkmcnt(0)
	s_delay_alu instid0(VALU_DEP_1)
	v_fma_mix_f32 v22, v50, v14, v11 op_sel_hi:[0,1,0]
	s_branch .LBB437_20
.LBB437_29:
	s_or_b32 exec_lo, exec_lo, s31
.LBB437_30:
	s_delay_alu instid0(SALU_CYCLE_1) | instskip(SKIP_1) | instid1(SALU_CYCLE_1)
	s_or_b32 exec_lo, exec_lo, s30
	s_sub_i32 s0, s9, s29
	s_cmp_lt_i32 s0, 1
	s_cbranch_scc1 .LBB437_48
; %bb.31:
	v_cmp_gt_i32_e32 vcc_lo, s9, v23
	v_dual_mov_b32 v9, 0 :: v_dual_mov_b32 v10, 0
	v_or_b32_e32 v2, 1, v23
	v_dual_mov_b32 v11, 0 :: v_dual_mov_b32 v12, 0
	s_and_saveexec_b32 s1, vcc_lo
	s_cbranch_execz .LBB437_39
; %bb.32:
	v_mad_u64_u32 v[3:4], null, v23, s18, 0
	v_mov_b32_e32 v11, 0
	v_mov_b32_e32 v9, 0
	s_mov_b32 s2, exec_lo
	s_delay_alu instid0(VALU_DEP_3) | instskip(NEXT) | instid1(VALU_DEP_1)
	v_dual_mov_b32 v10, 0 :: v_dual_mov_b32 v1, v4
	v_mad_u64_u32 v[4:5], null, v23, s19, v[1:2]
	s_delay_alu instid0(VALU_DEP_1) | instskip(NEXT) | instid1(VALU_DEP_1)
	v_lshlrev_b64 v[3:4], 1, v[3:4]
	v_add_co_u32 v3, s0, s20, v3
	s_delay_alu instid0(VALU_DEP_1)
	v_add_co_ci_u32_e64 v4, s0, s21, v4, s0
	flat_load_u16 v1, v[3:4]
	v_cmpx_gt_i32_e64 s9, v2
	s_cbranch_execz .LBB437_38
; %bb.33:
	v_mad_u64_u32 v[3:4], null, v2, s18, 0
	v_mov_b32_e32 v10, 0
	s_mov_b32 s3, exec_lo
	v_mov_b32_e32 v9, 0
	s_delay_alu instid0(VALU_DEP_3) | instskip(NEXT) | instid1(VALU_DEP_1)
	v_mad_u64_u32 v[5:6], null, v2, s19, v[4:5]
	v_mov_b32_e32 v4, v5
	s_delay_alu instid0(VALU_DEP_1) | instskip(NEXT) | instid1(VALU_DEP_1)
	v_lshlrev_b64 v[3:4], 1, v[3:4]
	v_add_co_u32 v3, s0, s20, v3
	s_delay_alu instid0(VALU_DEP_1) | instskip(SKIP_2) | instid1(VALU_DEP_1)
	v_add_co_ci_u32_e64 v4, s0, s21, v4, s0
	flat_load_u16 v3, v[3:4]
	v_or_b32_e32 v4, 2, v23
	v_cmpx_gt_i32_e64 s9, v4
	s_cbranch_execz .LBB437_37
; %bb.34:
	v_mad_u64_u32 v[5:6], null, v4, s18, 0
	s_mov_b32 s4, exec_lo
	v_mov_b32_e32 v9, 0
	s_delay_alu instid0(VALU_DEP_2) | instskip(NEXT) | instid1(VALU_DEP_1)
	v_mad_u64_u32 v[7:8], null, v4, s19, v[6:7]
	v_mov_b32_e32 v6, v7
	s_delay_alu instid0(VALU_DEP_1) | instskip(NEXT) | instid1(VALU_DEP_1)
	v_lshlrev_b64 v[4:5], 1, v[5:6]
	v_add_co_u32 v4, s0, s20, v4
	s_delay_alu instid0(VALU_DEP_1) | instskip(SKIP_2) | instid1(VALU_DEP_1)
	v_add_co_ci_u32_e64 v5, s0, s21, v5, s0
	flat_load_u16 v4, v[4:5]
	v_or_b32_e32 v5, 3, v23
	v_cmpx_gt_i32_e64 s9, v5
	s_cbranch_execz .LBB437_36
; %bb.35:
	v_mad_u64_u32 v[6:7], null, v5, s18, 0
	s_delay_alu instid0(VALU_DEP_1) | instskip(NEXT) | instid1(VALU_DEP_1)
	v_mad_u64_u32 v[8:9], null, v5, s19, v[7:8]
	v_mov_b32_e32 v7, v8
	s_delay_alu instid0(VALU_DEP_1) | instskip(NEXT) | instid1(VALU_DEP_1)
	v_lshlrev_b64 v[5:6], 1, v[6:7]
	v_add_co_u32 v5, s0, s20, v5
	s_delay_alu instid0(VALU_DEP_1)
	v_add_co_ci_u32_e64 v6, s0, s21, v6, s0
	flat_load_u16 v5, v[5:6]
	s_waitcnt vmcnt(0) lgkmcnt(0)
	v_cvt_f32_f16_e32 v9, v5
.LBB437_36:
	s_or_b32 exec_lo, exec_lo, s4
	s_waitcnt vmcnt(0) lgkmcnt(0)
	v_cvt_f32_f16_e32 v10, v4
.LBB437_37:
	s_or_b32 exec_lo, exec_lo, s3
	s_waitcnt vmcnt(0) lgkmcnt(0)
	v_cvt_f32_f16_e32 v11, v3
.LBB437_38:
	s_or_b32 exec_lo, exec_lo, s2
	s_waitcnt vmcnt(0) lgkmcnt(0)
	v_cvt_f32_f16_e32 v12, v1
.LBB437_39:
	s_or_b32 exec_lo, exec_lo, s1
	s_delay_alu instid0(SALU_CYCLE_1)
	s_mov_b32 s1, exec_lo
	v_cmpx_gt_i32_e64 s8, v0
	s_cbranch_execz .LBB437_47
; %bb.40:
	v_mad_u64_u32 v[3:4], null, v23, s12, 0
	v_mad_u64_u32 v[5:6], null, v2, s12, 0
	v_or_b32_e32 v29, 2, v23
	v_ashrrev_i32_e32 v1, 31, v0
	v_or_b32_e32 v30, 3, v23
	v_cndmask_b32_e32 v3, 0, v3, vcc_lo
	s_delay_alu instid0(VALU_DEP_4)
	v_cmp_gt_i32_e64 s0, s9, v29
	v_mad_u64_u32 v[13:14], null, v23, s13, v[4:5]
	v_mad_u64_u32 v[14:15], null, v29, s12, 0
	v_lshlrev_b64 v[7:8], 1, v[0:1]
	v_mov_b32_e32 v1, v6
	v_mad_u64_u32 v[16:17], null, v30, s12, 0
	v_cndmask_b32_e32 v4, 0, v13, vcc_lo
	v_cmp_gt_i32_e32 vcc_lo, s9, v2
	s_delay_alu instid0(VALU_DEP_4)
	v_mad_u64_u32 v[27:28], null, v2, s13, v[1:2]
	v_mov_b32_e32 v1, v15
	v_cndmask_b32_e64 v13, 0, v14, s0
	v_mov_b32_e32 v6, v17
	v_cndmask_b32_e32 v2, 0, v5, vcc_lo
	v_lshlrev_b64 v[4:5], 1, v[3:4]
	s_delay_alu instid0(VALU_DEP_2) | instskip(NEXT) | instid1(VALU_DEP_1)
	v_mad_u64_u32 v[17:18], null, v29, s13, v[1:2]
	v_cndmask_b32_e64 v14, 0, v17, s0
	v_mad_u64_u32 v[17:18], null, v30, s13, v[6:7]
	v_cndmask_b32_e32 v3, 0, v27, vcc_lo
	v_add_co_u32 v1, vcc_lo, s16, v4
	v_add_co_ci_u32_e32 v5, vcc_lo, s17, v5, vcc_lo
	s_delay_alu instid0(VALU_DEP_3) | instskip(NEXT) | instid1(VALU_DEP_3)
	v_lshlrev_b64 v[3:4], 1, v[2:3]
	v_add_co_u32 v1, vcc_lo, v1, v7
	s_delay_alu instid0(VALU_DEP_3) | instskip(SKIP_1) | instid1(VALU_DEP_4)
	v_add_co_ci_u32_e32 v2, vcc_lo, v5, v8, vcc_lo
	v_lshlrev_b64 v[5:6], 1, v[13:14]
	v_add_co_u32 v3, vcc_lo, s16, v3
	v_add_co_ci_u32_e32 v4, vcc_lo, s17, v4, vcc_lo
	s_mov_b32 s0, exec_lo
	s_delay_alu instid0(VALU_DEP_2) | instskip(NEXT) | instid1(VALU_DEP_2)
	v_add_co_u32 v3, vcc_lo, v3, v7
	v_add_co_ci_u32_e32 v4, vcc_lo, v4, v8, vcc_lo
	v_cmp_gt_i32_e32 vcc_lo, s9, v30
	s_clause 0x1
	flat_load_u16 v15, v[1:2]
	flat_load_u16 v18, v[3:4]
	v_dual_cndmask_b32 v14, 0, v17 :: v_dual_cndmask_b32 v13, 0, v16
	v_add_co_u32 v5, vcc_lo, s16, v5
	v_add_co_ci_u32_e32 v6, vcc_lo, s17, v6, vcc_lo
	s_delay_alu instid0(VALU_DEP_3) | instskip(NEXT) | instid1(VALU_DEP_3)
	v_lshlrev_b64 v[13:14], 1, v[13:14]
	v_add_co_u32 v5, vcc_lo, v5, v7
	s_delay_alu instid0(VALU_DEP_3) | instskip(NEXT) | instid1(VALU_DEP_3)
	v_add_co_ci_u32_e32 v6, vcc_lo, v6, v8, vcc_lo
	v_add_co_u32 v13, vcc_lo, s16, v13
	s_delay_alu instid0(VALU_DEP_4)
	v_add_co_ci_u32_e32 v14, vcc_lo, s17, v14, vcc_lo
	flat_load_u16 v16, v[5:6]
	v_add_co_u32 v7, vcc_lo, v13, v7
	v_add_co_ci_u32_e32 v8, vcc_lo, v14, v8, vcc_lo
	flat_load_u16 v13, v[7:8]
	s_waitcnt vmcnt(3) lgkmcnt(3)
	v_fma_mix_f32 v14, v12, v15, v26 op_sel_hi:[0,1,0]
	v_add_nc_u32_e32 v15, 64, v0
	s_waitcnt vmcnt(2) lgkmcnt(2)
	s_delay_alu instid0(VALU_DEP_2) | instskip(SKIP_1) | instid1(VALU_DEP_1)
	v_fma_mix_f32 v14, v11, v18, v14 op_sel_hi:[0,1,0]
	s_waitcnt vmcnt(1) lgkmcnt(1)
	v_fma_mix_f32 v14, v10, v16, v14 op_sel_hi:[0,1,0]
	v_cmpx_gt_i32_e64 s8, v15
	s_cbranch_execz .LBB437_46
; %bb.41:
	s_clause 0x3
	flat_load_u16 v16, v[1:2] offset:128
	flat_load_u16 v17, v[3:4] offset:128
	;; [unrolled: 1-line block ×4, first 2 shown]
	s_mov_b32 s2, exec_lo
	s_waitcnt vmcnt(3) lgkmcnt(3)
	v_fma_mix_f32 v16, v12, v16, v25 op_sel_hi:[0,1,0]
	s_waitcnt vmcnt(2) lgkmcnt(2)
	s_delay_alu instid0(VALU_DEP_1) | instskip(SKIP_2) | instid1(VALU_DEP_2)
	v_fma_mix_f32 v16, v11, v17, v16 op_sel_hi:[0,1,0]
	v_add_nc_u32_e32 v17, 0x80, v0
	s_waitcnt vmcnt(1) lgkmcnt(1)
	v_fma_mix_f32 v16, v10, v18, v16 op_sel_hi:[0,1,0]
	s_delay_alu instid0(VALU_DEP_2)
	v_cmpx_gt_i32_e64 s8, v17
	s_cbranch_execz .LBB437_45
; %bb.42:
	s_clause 0x3
	flat_load_u16 v18, v[1:2] offset:256
	flat_load_u16 v23, v[3:4] offset:256
	flat_load_u16 v25, v[5:6] offset:256
	flat_load_u16 v17, v[7:8] offset:256
	s_mov_b32 s3, exec_lo
	s_waitcnt vmcnt(3) lgkmcnt(3)
	v_fma_mix_f32 v18, v12, v18, v24 op_sel_hi:[0,1,0]
	s_waitcnt vmcnt(2) lgkmcnt(2)
	s_delay_alu instid0(VALU_DEP_1) | instskip(SKIP_2) | instid1(VALU_DEP_2)
	v_fma_mix_f32 v18, v11, v23, v18 op_sel_hi:[0,1,0]
	v_add_nc_u32_e32 v23, 0xc0, v0
	s_waitcnt vmcnt(1) lgkmcnt(1)
	v_fma_mix_f32 v0, v10, v25, v18 op_sel_hi:[0,1,0]
	s_delay_alu instid0(VALU_DEP_2)
	v_cmpx_gt_i32_e64 s8, v23
	s_cbranch_execz .LBB437_44
; %bb.43:
	s_clause 0x3
	flat_load_u16 v1, v[1:2] offset:384
	flat_load_u16 v2, v[3:4] offset:384
	;; [unrolled: 1-line block ×4, first 2 shown]
	s_waitcnt vmcnt(3) lgkmcnt(3)
	v_fma_mix_f32 v1, v12, v1, v22 op_sel_hi:[0,1,0]
	s_waitcnt vmcnt(2) lgkmcnt(2)
	s_delay_alu instid0(VALU_DEP_1) | instskip(SKIP_1) | instid1(VALU_DEP_1)
	v_fma_mix_f32 v1, v11, v2, v1 op_sel_hi:[0,1,0]
	s_waitcnt vmcnt(1) lgkmcnt(1)
	v_fma_mix_f32 v1, v10, v3, v1 op_sel_hi:[0,1,0]
	s_waitcnt vmcnt(0) lgkmcnt(0)
	s_delay_alu instid0(VALU_DEP_1)
	v_fma_mix_f32 v22, v9, v4, v1 op_sel_hi:[0,1,0]
.LBB437_44:
	s_or_b32 exec_lo, exec_lo, s3
	s_waitcnt vmcnt(0) lgkmcnt(0)
	v_fma_mix_f32 v24, v9, v17, v0 op_sel_hi:[0,1,0]
.LBB437_45:
	s_or_b32 exec_lo, exec_lo, s2
	s_waitcnt vmcnt(0) lgkmcnt(0)
	v_fma_mix_f32 v25, v9, v15, v16 op_sel_hi:[0,1,0]
.LBB437_46:
	s_or_b32 exec_lo, exec_lo, s0
	s_waitcnt vmcnt(0) lgkmcnt(0)
	v_fma_mix_f32 v26, v9, v13, v14 op_sel_hi:[0,1,0]
.LBB437_47:
	s_or_b32 exec_lo, exec_lo, s1
.LBB437_48:
	v_lshlrev_b32_e32 v0, 8, v21
	s_mov_b32 s0, exec_lo
                                        ; implicit-def: $vgpr3
	s_delay_alu instid0(VALU_DEP_1)
	v_add_lshl_u32 v0, v0, v20, 2
	ds_store_2addr_stride64_b32 v0, v26, v25 offset1:1
	ds_store_2addr_stride64_b32 v0, v24, v22 offset0:2 offset1:3
	s_waitcnt lgkmcnt(0)
	s_barrier
	buffer_gl0_inv
                                        ; implicit-def: $vgpr0_vgpr1
	v_cmpx_gt_u32_e32 0x100, v19
	s_cbranch_execz .LBB437_54
; %bb.49:
	v_lshlrev_b32_e32 v6, 2, v19
	s_mov_b32 s2, s27
	s_mov_b32 s1, exec_lo
	ds_load_2addr_stride64_b32 v[0:1], v6 offset1:4
	ds_load_2addr_stride64_b32 v[2:3], v6 offset0:8 offset1:12
	ds_load_2addr_stride64_b32 v[4:5], v6 offset0:16 offset1:20
	s_waitcnt lgkmcnt(2)
	v_add_f32_e32 v7, v0, v1
	ds_load_2addr_stride64_b32 v[0:1], v6 offset0:24 offset1:28
	s_waitcnt lgkmcnt(2)
	v_add_f32_e32 v2, v2, v7
	s_delay_alu instid0(VALU_DEP_1) | instskip(SKIP_3) | instid1(VALU_DEP_1)
	v_add_f32_e32 v7, v3, v2
	ds_load_2addr_stride64_b32 v[2:3], v6 offset0:32 offset1:36
	s_waitcnt lgkmcnt(2)
	v_add_f32_e32 v4, v4, v7
	v_add_f32_e32 v7, v5, v4
	ds_load_2addr_stride64_b32 v[4:5], v6 offset0:40 offset1:44
	s_waitcnt lgkmcnt(2)
	v_add_f32_e32 v0, v0, v7
	s_delay_alu instid0(VALU_DEP_1) | instskip(SKIP_1) | instid1(VALU_DEP_1)
	v_add_f32_e32 v0, v1, v0
	s_waitcnt lgkmcnt(1)
	v_add_f32_e32 v2, v2, v0
	ds_load_2addr_stride64_b32 v[0:1], v6 offset0:48 offset1:52
	v_add_f32_e32 v2, v3, v2
	s_waitcnt lgkmcnt(1)
	s_delay_alu instid0(VALU_DEP_1) | instskip(SKIP_3) | instid1(VALU_DEP_1)
	v_add_f32_e32 v4, v4, v2
	ds_load_2addr_stride64_b32 v[2:3], v6 offset0:56 offset1:60
	v_add_f32_e32 v4, v5, v4
	s_waitcnt lgkmcnt(1)
	v_add_f32_e32 v0, v0, v4
	v_or_b32_e32 v4, s28, v19
	s_delay_alu instid0(VALU_DEP_2) | instskip(SKIP_1) | instid1(VALU_DEP_1)
	v_add_f32_e32 v0, v1, v0
	s_waitcnt lgkmcnt(0)
	v_add_f32_e32 v0, v2, v0
	s_delay_alu instid0(VALU_DEP_1)
	v_add_f32_e32 v2, v3, v0
                                        ; implicit-def: $vgpr3
                                        ; implicit-def: $vgpr0_vgpr1
	ds_store_b32 v6, v2
	v_cmpx_gt_i32_e64 s8, v4
	s_cbranch_execz .LBB437_53
; %bb.50:
	v_ashrrev_i32_e32 v3, 31, v4
	v_mul_lo_u32 v5, v4, s7
	v_mad_u64_u32 v[0:1], null, v4, s6, 0
	v_cmp_eq_f32_e64 s2, s11, 0
	s_delay_alu instid0(VALU_DEP_4) | instskip(SKIP_1) | instid1(VALU_DEP_3)
	v_mul_lo_u32 v3, v3, s6
	v_mul_f32_e32 v2, s10, v2
	s_and_b32 vcc_lo, exec_lo, s2
	s_delay_alu instid0(VALU_DEP_2)
	v_add3_u32 v1, v1, v5, v3
	s_cbranch_vccnz .LBB437_52
; %bb.51:
	s_delay_alu instid0(VALU_DEP_1) | instskip(NEXT) | instid1(VALU_DEP_1)
	v_lshlrev_b64 v[3:4], 1, v[0:1]
	v_add_co_u32 v3, vcc_lo, s5, v3
	s_delay_alu instid0(VALU_DEP_2)
	v_add_co_ci_u32_e32 v4, vcc_lo, s26, v4, vcc_lo
	global_load_u16 v3, v[3:4], off
	s_waitcnt vmcnt(0)
	v_fma_mix_f32 v2, v3, s11, v2 op_sel_hi:[1,0,0]
.LBB437_52:
	s_delay_alu instid0(VALU_DEP_1)
	v_cvt_f16_f32_e32 v3, v2
	s_or_b32 s2, s27, exec_lo
.LBB437_53:
	s_or_b32 exec_lo, exec_lo, s1
	s_delay_alu instid0(SALU_CYCLE_1) | instskip(SKIP_1) | instid1(SALU_CYCLE_1)
	s_and_not1_b32 s1, s27, exec_lo
	s_and_b32 s2, s2, exec_lo
	s_or_b32 s27, s1, s2
.LBB437_54:
	s_or_b32 exec_lo, exec_lo, s0
.LBB437_55:
	s_and_saveexec_b32 s0, s27
	s_cbranch_execz .LBB437_57
; %bb.56:
	v_lshlrev_b64 v[0:1], 1, v[0:1]
	s_delay_alu instid0(VALU_DEP_1) | instskip(NEXT) | instid1(VALU_DEP_2)
	v_add_co_u32 v0, vcc_lo, s5, v0
	v_add_co_ci_u32_e32 v1, vcc_lo, s26, v1, vcc_lo
	global_store_b16 v[0:1], v3, off
.LBB437_57:
	s_nop 0
	s_sendmsg sendmsg(MSG_DEALLOC_VGPRS)
	s_endpgm
	.section	.rodata,"a",@progbits
	.p2align	6, 0x0
	.amdhsa_kernel _ZL20rocblas_gemvn_kernelILi64ELi16ElPKDF16_fKPDF16_EviiT3_lPKT2_lT1_lS7_lS8_lS4_lPT4_lS8_li
		.amdhsa_group_segment_fixed_size 16384
		.amdhsa_private_segment_fixed_size 0
		.amdhsa_kernarg_size 400
		.amdhsa_user_sgpr_count 14
		.amdhsa_user_sgpr_dispatch_ptr 0
		.amdhsa_user_sgpr_queue_ptr 0
		.amdhsa_user_sgpr_kernarg_segment_ptr 1
		.amdhsa_user_sgpr_dispatch_id 0
		.amdhsa_user_sgpr_private_segment_size 0
		.amdhsa_wavefront_size32 1
		.amdhsa_uses_dynamic_stack 0
		.amdhsa_enable_private_segment 0
		.amdhsa_system_sgpr_workgroup_id_x 1
		.amdhsa_system_sgpr_workgroup_id_y 0
		.amdhsa_system_sgpr_workgroup_id_z 1
		.amdhsa_system_sgpr_workgroup_info 0
		.amdhsa_system_vgpr_workitem_id 1
		.amdhsa_next_free_vgpr 55
		.amdhsa_next_free_sgpr 35
		.amdhsa_reserve_vcc 1
		.amdhsa_float_round_mode_32 0
		.amdhsa_float_round_mode_16_64 0
		.amdhsa_float_denorm_mode_32 3
		.amdhsa_float_denorm_mode_16_64 3
		.amdhsa_dx10_clamp 1
		.amdhsa_ieee_mode 1
		.amdhsa_fp16_overflow 0
		.amdhsa_workgroup_processor_mode 1
		.amdhsa_memory_ordered 1
		.amdhsa_forward_progress 0
		.amdhsa_shared_vgpr_count 0
		.amdhsa_exception_fp_ieee_invalid_op 0
		.amdhsa_exception_fp_denorm_src 0
		.amdhsa_exception_fp_ieee_div_zero 0
		.amdhsa_exception_fp_ieee_overflow 0
		.amdhsa_exception_fp_ieee_underflow 0
		.amdhsa_exception_fp_ieee_inexact 0
		.amdhsa_exception_int_div_zero 0
	.end_amdhsa_kernel
	.section	.text._ZL20rocblas_gemvn_kernelILi64ELi16ElPKDF16_fKPDF16_EviiT3_lPKT2_lT1_lS7_lS8_lS4_lPT4_lS8_li,"axG",@progbits,_ZL20rocblas_gemvn_kernelILi64ELi16ElPKDF16_fKPDF16_EviiT3_lPKT2_lT1_lS7_lS8_lS4_lPT4_lS8_li,comdat
.Lfunc_end437:
	.size	_ZL20rocblas_gemvn_kernelILi64ELi16ElPKDF16_fKPDF16_EviiT3_lPKT2_lT1_lS7_lS8_lS4_lPT4_lS8_li, .Lfunc_end437-_ZL20rocblas_gemvn_kernelILi64ELi16ElPKDF16_fKPDF16_EviiT3_lPKT2_lT1_lS7_lS8_lS4_lPT4_lS8_li
                                        ; -- End function
	.section	.AMDGPU.csdata,"",@progbits
; Kernel info:
; codeLenInByte = 3576
; NumSgprs: 37
; NumVgprs: 55
; ScratchSize: 0
; MemoryBound: 0
; FloatMode: 240
; IeeeMode: 1
; LDSByteSize: 16384 bytes/workgroup (compile time only)
; SGPRBlocks: 4
; VGPRBlocks: 6
; NumSGPRsForWavesPerEU: 37
; NumVGPRsForWavesPerEU: 55
; Occupancy: 16
; WaveLimiterHint : 1
; COMPUTE_PGM_RSRC2:SCRATCH_EN: 0
; COMPUTE_PGM_RSRC2:USER_SGPR: 14
; COMPUTE_PGM_RSRC2:TRAP_HANDLER: 0
; COMPUTE_PGM_RSRC2:TGID_X_EN: 1
; COMPUTE_PGM_RSRC2:TGID_Y_EN: 0
; COMPUTE_PGM_RSRC2:TGID_Z_EN: 1
; COMPUTE_PGM_RSRC2:TIDIG_COMP_CNT: 1
	.section	.text._ZL22rocblas_gemvtsm_kernelILb0ELi256EPKDF16_PKfKPDF16_EviiT2_lPKT1_lilS9_lilS6_lPT3_lil,"axG",@progbits,_ZL22rocblas_gemvtsm_kernelILb0ELi256EPKDF16_PKfKPDF16_EviiT2_lPKT1_lilS9_lilS6_lPT3_lil,comdat
	.globl	_ZL22rocblas_gemvtsm_kernelILb0ELi256EPKDF16_PKfKPDF16_EviiT2_lPKT1_lilS9_lilS6_lPT3_lil ; -- Begin function _ZL22rocblas_gemvtsm_kernelILb0ELi256EPKDF16_PKfKPDF16_EviiT2_lPKT1_lilS9_lilS6_lPT3_lil
	.p2align	8
	.type	_ZL22rocblas_gemvtsm_kernelILb0ELi256EPKDF16_PKfKPDF16_EviiT2_lPKT1_lilS9_lilS6_lPT3_lil,@function
_ZL22rocblas_gemvtsm_kernelILb0ELi256EPKDF16_PKfKPDF16_EviiT2_lPKT1_lilS9_lilS6_lPT3_lil: ; @_ZL22rocblas_gemvtsm_kernelILb0ELi256EPKDF16_PKfKPDF16_EviiT2_lPKT1_lilS9_lilS6_lPT3_lil
; %bb.0:
	s_mov_b32 s2, s15
	s_clause 0x1
	s_load_b256 s[12:19], s[0:1], 0x8
	s_load_b256 s[4:11], s[0:1], 0x58
	s_waitcnt lgkmcnt(0)
	s_mul_i32 s3, s2, s15
	s_mul_hi_u32 s15, s2, s14
	s_mul_i32 s14, s2, s14
	s_add_i32 s15, s15, s3
	s_mul_i32 s3, s2, s7
	s_lshl_b64 s[14:15], s[14:15], 2
	s_mul_hi_u32 s7, s2, s6
	s_add_u32 s12, s12, s14
	s_addc_u32 s13, s13, s15
	s_add_i32 s7, s7, s3
	s_mul_i32 s6, s2, s6
	s_delay_alu instid0(SALU_CYCLE_1) | instskip(NEXT) | instid1(SALU_CYCLE_1)
	s_lshl_b64 s[6:7], s[6:7], 2
	s_add_u32 s4, s4, s6
	s_addc_u32 s5, s5, s7
	s_load_b32 s21, s[12:13], 0x0
	s_load_b32 s20, s[4:5], 0x0
	s_waitcnt lgkmcnt(0)
	v_cmp_eq_f32_e64 s7, s21, 0
	v_cmp_eq_f32_e64 s3, s20, 1.0
	s_delay_alu instid0(VALU_DEP_1) | instskip(NEXT) | instid1(SALU_CYCLE_1)
	s_and_b32 s3, s7, s3
	s_and_b32 vcc_lo, exec_lo, s3
	s_mov_b32 s3, 0
	s_cbranch_vccnz .LBB438_38
; %bb.1:
	v_cmp_neq_f32_e64 s4, s21, 0
	s_mov_b64 s[14:15], 0
	s_and_b32 vcc_lo, exec_lo, s7
	s_mov_b64 s[12:13], 0
	s_cbranch_vccnz .LBB438_3
; %bb.2:
	s_lshl_b64 s[12:13], s[2:3], 3
	s_delay_alu instid0(SALU_CYCLE_1)
	s_add_u32 s12, s16, s12
	s_addc_u32 s13, s17, s13
	s_lshl_b64 s[16:17], s[18:19], 1
	s_load_b64 s[12:13], s[12:13], 0x0
	s_waitcnt lgkmcnt(0)
	s_add_u32 s12, s12, s16
	s_addc_u32 s13, s13, s17
.LBB438_3:
	s_and_not1_b32 vcc_lo, exec_lo, s4
	s_cbranch_vccnz .LBB438_5
; %bb.4:
	s_load_b128 s[16:19], s[0:1], 0x38
	s_lshl_b64 s[4:5], s[2:3], 3
	s_waitcnt lgkmcnt(0)
	s_add_u32 s4, s16, s4
	s_addc_u32 s5, s17, s5
	s_lshl_b64 s[14:15], s[18:19], 1
	s_load_b64 s[4:5], s[4:5], 0x0
	s_waitcnt lgkmcnt(0)
	s_add_u32 s14, s4, s14
	s_addc_u32 s15, s5, s15
.LBB438_5:
	s_lshl_b64 s[2:3], s[2:3], 3
	s_delay_alu instid0(SALU_CYCLE_1)
	s_add_u32 s2, s8, s2
	s_addc_u32 s3, s9, s3
	s_clause 0x1
	s_load_b64 s[4:5], s[0:1], 0x0
	s_load_b32 s6, s[0:1], 0x78
	s_load_b64 s[8:9], s[2:3], 0x0
	s_and_not1_b32 vcc_lo, exec_lo, s7
	s_mov_b32 s2, -1
	s_cbranch_vccnz .LBB438_20
; %bb.6:
	s_waitcnt lgkmcnt(0)
	s_cmp_gt_i32 s5, 0
	v_cmp_neq_f32_e64 s2, s20, 0
	s_cselect_b32 s16, -1, 0
	s_delay_alu instid0(SALU_CYCLE_1) | instskip(NEXT) | instid1(VALU_DEP_2)
	v_cndmask_b32_e64 v1, 0, 1, s16
	s_and_b32 vcc_lo, exec_lo, s2
	s_delay_alu instid0(VALU_DEP_1)
	v_cmp_ne_u32_e64 s2, 1, v1
	s_cbranch_vccnz .LBB438_13
; %bb.7:
	s_delay_alu instid0(VALU_DEP_1)
	s_and_b32 vcc_lo, exec_lo, s2
	s_cbranch_vccnz .LBB438_12
; %bb.8:
	v_mad_i64_i32 v[1:2], null, s6, v0, 0
	s_lshl_b64 s[2:3], s[10:11], 1
	s_ashr_i32 s7, s6, 31
	s_add_u32 s2, s8, s2
	s_addc_u32 s3, s9, s3
	v_mov_b32_e32 v3, 0
	s_delay_alu instid0(VALU_DEP_2) | instskip(NEXT) | instid1(VALU_DEP_1)
	v_lshlrev_b64 v[1:2], 1, v[1:2]
	v_add_co_u32 v1, vcc_lo, s2, v1
	s_delay_alu instid0(VALU_DEP_2)
	v_add_co_ci_u32_e32 v2, vcc_lo, s3, v2, vcc_lo
	s_lshl_b64 s[2:3], s[6:7], 9
	s_mov_b32 s7, 0
	s_branch .LBB438_10
.LBB438_9:                              ;   in Loop: Header=BB438_10 Depth=1
	s_or_b32 exec_lo, exec_lo, s17
	v_add_co_u32 v1, vcc_lo, v1, s2
	v_add_co_ci_u32_e32 v2, vcc_lo, s3, v2, vcc_lo
	s_addk_i32 s7, 0x100
	s_delay_alu instid0(SALU_CYCLE_1)
	s_cmp_ge_i32 s7, s5
	s_cbranch_scc1 .LBB438_12
.LBB438_10:                             ; =>This Inner Loop Header: Depth=1
	v_add_nc_u32_e32 v4, s7, v0
	s_mov_b32 s17, exec_lo
	s_delay_alu instid0(VALU_DEP_1)
	v_cmpx_gt_i32_e64 s5, v4
	s_cbranch_execz .LBB438_9
; %bb.11:                               ;   in Loop: Header=BB438_10 Depth=1
	global_store_b16 v[1:2], v3, off
	s_branch .LBB438_9
.LBB438_12:
	s_cbranch_execz .LBB438_14
	s_branch .LBB438_19
.LBB438_13:
.LBB438_14:
	s_and_not1_b32 vcc_lo, exec_lo, s16
	s_cbranch_vccnz .LBB438_19
; %bb.15:
	v_mad_i64_i32 v[1:2], null, s6, v0, 0
	s_lshl_b64 s[2:3], s[10:11], 1
	s_ashr_i32 s7, s6, 31
	s_add_u32 s2, s8, s2
	s_addc_u32 s3, s9, s3
	s_delay_alu instid0(VALU_DEP_1) | instskip(NEXT) | instid1(VALU_DEP_1)
	v_lshlrev_b64 v[1:2], 1, v[1:2]
	v_add_co_u32 v1, vcc_lo, s2, v1
	s_delay_alu instid0(VALU_DEP_2)
	v_add_co_ci_u32_e32 v2, vcc_lo, s3, v2, vcc_lo
	s_lshl_b64 s[2:3], s[6:7], 9
	s_mov_b32 s7, 0
	s_branch .LBB438_17
	.p2align	6
.LBB438_16:                             ;   in Loop: Header=BB438_17 Depth=1
	s_or_b32 exec_lo, exec_lo, s16
	v_add_co_u32 v1, vcc_lo, v1, s2
	v_add_co_ci_u32_e32 v2, vcc_lo, s3, v2, vcc_lo
	s_addk_i32 s7, 0x100
	s_delay_alu instid0(SALU_CYCLE_1)
	s_cmp_ge_i32 s7, s5
	s_cbranch_scc1 .LBB438_19
.LBB438_17:                             ; =>This Inner Loop Header: Depth=1
	v_add_nc_u32_e32 v3, s7, v0
	s_mov_b32 s16, exec_lo
	s_delay_alu instid0(VALU_DEP_1)
	v_cmpx_gt_i32_e64 s5, v3
	s_cbranch_execz .LBB438_16
; %bb.18:                               ;   in Loop: Header=BB438_17 Depth=1
	global_load_u16 v3, v[1:2], off
	s_waitcnt vmcnt(0)
	v_fma_mixlo_f16 v3, s20, v3, 0 op_sel_hi:[0,1,0]
	global_store_b16 v[1:2], v3, off
	s_branch .LBB438_16
.LBB438_19:
	s_mov_b32 s2, 0
.LBB438_20:
	s_delay_alu instid0(SALU_CYCLE_1)
	s_and_not1_b32 vcc_lo, exec_lo, s2
	s_cbranch_vccnz .LBB438_38
; %bb.21:
	s_mov_b32 s2, exec_lo
	s_waitcnt lgkmcnt(0)
	v_cmpx_gt_i32_e64 s4, v0
	s_cbranch_execz .LBB438_23
; %bb.22:
	s_load_b32 s3, s[0:1], 0x48
	s_waitcnt lgkmcnt(0)
	v_mad_i64_i32 v[1:2], null, s3, v0, 0
	s_delay_alu instid0(VALU_DEP_1) | instskip(NEXT) | instid1(VALU_DEP_1)
	v_lshlrev_b64 v[1:2], 1, v[1:2]
	v_add_co_u32 v1, vcc_lo, s14, v1
	s_delay_alu instid0(VALU_DEP_2) | instskip(SKIP_4) | instid1(VALU_DEP_1)
	v_add_co_ci_u32_e32 v2, vcc_lo, s15, v2, vcc_lo
	flat_load_u16 v1, v[1:2]
	v_lshlrev_b32_e32 v2, 2, v0
	s_waitcnt vmcnt(0) lgkmcnt(0)
	v_cvt_f32_f16_e32 v1, v1
	v_mul_f32_e32 v1, s21, v1
	ds_store_b32 v2, v1
.LBB438_23:
	s_or_b32 exec_lo, exec_lo, s2
	s_cmp_lt_i32 s5, 1
	s_waitcnt lgkmcnt(0)
	s_waitcnt_vscnt null, 0x0
	s_barrier
	buffer_gl0_inv
	s_cbranch_scc1 .LBB438_38
; %bb.24:
	s_load_b32 s0, s[0:1], 0x28
	s_lshl_b64 s[2:3], s[10:11], 1
	s_delay_alu instid0(SALU_CYCLE_1)
	s_add_u32 s2, s8, s2
	s_addc_u32 s3, s9, s3
	s_ashr_i32 s7, s6, 31
	v_cmp_neq_f32_e64 s8, s20, 0
	s_waitcnt lgkmcnt(0)
	v_mad_i64_i32 v[1:2], null, s0, v0, 0
	s_ashr_i32 s1, s0, 31
	s_cmp_gt_i32 s4, 0
	s_cselect_b32 s9, -1, 0
	s_and_b32 s10, s4, 7
	s_cmp_gt_u32 s4, 7
	s_delay_alu instid0(VALU_DEP_1) | instskip(SKIP_3) | instid1(VALU_DEP_1)
	v_lshlrev_b64 v[1:2], 1, v[1:2]
	s_cselect_b32 s11, -1, 0
	s_and_b32 s4, s4, 0x7ffffff8
	s_cmp_lg_u32 s10, 0
	v_add_co_u32 v1, vcc_lo, s12, v1
	s_delay_alu instid0(VALU_DEP_2)
	v_add_co_ci_u32_e32 v2, vcc_lo, s13, v2, vcc_lo
	s_cselect_b32 s12, -1, 0
	s_mov_b32 s13, 0
	s_lshl_b64 s[0:1], s[0:1], 9
	s_branch .LBB438_27
.LBB438_25:                             ;   in Loop: Header=BB438_27 Depth=1
	s_delay_alu instid0(VALU_DEP_2) | instskip(NEXT) | instid1(VALU_DEP_2)
	v_add_co_u32 v3, vcc_lo, s2, v3
	v_cvt_f16_f32_e32 v5, v7
	v_add_co_ci_u32_e32 v4, vcc_lo, s3, v4, vcc_lo
	global_store_b16 v[3:4], v5, off
.LBB438_26:                             ;   in Loop: Header=BB438_27 Depth=1
	s_or_b32 exec_lo, exec_lo, s14
	v_add_co_u32 v1, vcc_lo, v1, s0
	v_add_co_ci_u32_e32 v2, vcc_lo, s1, v2, vcc_lo
	s_addk_i32 s13, 0x100
	s_delay_alu instid0(SALU_CYCLE_1)
	s_cmp_ge_i32 s13, s5
	s_cbranch_scc1 .LBB438_38
.LBB438_27:                             ; =>This Loop Header: Depth=1
                                        ;     Child Loop BB438_33 Depth 2
                                        ;     Child Loop BB438_37 Depth 2
	v_add_nc_u32_e32 v3, s13, v0
	s_mov_b32 s14, exec_lo
	s_delay_alu instid0(VALU_DEP_1)
	v_cmpx_gt_i32_e64 s5, v3
	s_cbranch_execz .LBB438_26
; %bb.28:                               ;   in Loop: Header=BB438_27 Depth=1
	v_mad_u64_u32 v[4:5], null, v3, s6, 0
	s_and_not1_b32 vcc_lo, exec_lo, s8
	s_delay_alu instid0(VALU_DEP_1) | instskip(NEXT) | instid1(VALU_DEP_1)
	v_mad_u64_u32 v[6:7], null, v3, s7, v[5:6]
	v_mov_b32_e32 v5, v6
	s_delay_alu instid0(VALU_DEP_1)
	v_lshlrev_b64 v[3:4], 1, v[4:5]
	s_cbranch_vccnz .LBB438_30
; %bb.29:                               ;   in Loop: Header=BB438_27 Depth=1
	s_delay_alu instid0(VALU_DEP_1) | instskip(NEXT) | instid1(VALU_DEP_2)
	v_add_co_u32 v5, vcc_lo, s2, v3
	v_add_co_ci_u32_e32 v6, vcc_lo, s3, v4, vcc_lo
	global_load_u16 v5, v[5:6], off
	s_waitcnt vmcnt(0)
	v_cvt_f32_f16_e32 v5, v5
	s_delay_alu instid0(VALU_DEP_1)
	v_mul_f32_e32 v7, s20, v5
	s_and_not1_b32 vcc_lo, exec_lo, s9
	s_cbranch_vccz .LBB438_31
	s_branch .LBB438_25
.LBB438_30:                             ;   in Loop: Header=BB438_27 Depth=1
	v_mov_b32_e32 v7, 0
	s_and_not1_b32 vcc_lo, exec_lo, s9
	s_cbranch_vccnz .LBB438_25
.LBB438_31:                             ;   in Loop: Header=BB438_27 Depth=1
	s_and_not1_b32 vcc_lo, exec_lo, s11
	s_cbranch_vccnz .LBB438_35
; %bb.32:                               ;   in Loop: Header=BB438_27 Depth=1
	v_dual_mov_b32 v6, v2 :: v_dual_mov_b32 v5, v1
	s_mov_b32 s15, 0
	s_mov_b32 s16, 0
	.p2align	6
.LBB438_33:                             ;   Parent Loop BB438_27 Depth=1
                                        ; =>  This Inner Loop Header: Depth=2
	flat_load_b128 v[8:11], v[5:6]
	v_mov_b32_e32 v16, s15
	v_add_co_u32 v5, vcc_lo, v5, 16
	v_add_co_ci_u32_e32 v6, vcc_lo, 0, v6, vcc_lo
	ds_load_b128 v[12:15], v16
	ds_load_b128 v[16:19], v16 offset:16
	s_add_i32 s16, s16, 8
	s_add_i32 s15, s15, 32
	s_cmp_eq_u32 s4, s16
	s_waitcnt vmcnt(0) lgkmcnt(1)
	v_fma_mix_f32 v7, v12, v8, v7 op_sel_hi:[0,1,0]
	s_delay_alu instid0(VALU_DEP_1) | instskip(NEXT) | instid1(VALU_DEP_1)
	v_fma_mix_f32 v7, v13, v8, v7 op_sel:[0,1,0] op_sel_hi:[0,1,0]
	v_fma_mix_f32 v7, v14, v9, v7 op_sel_hi:[0,1,0]
	s_delay_alu instid0(VALU_DEP_1) | instskip(SKIP_1) | instid1(VALU_DEP_1)
	v_fma_mix_f32 v7, v15, v9, v7 op_sel:[0,1,0] op_sel_hi:[0,1,0]
	s_waitcnt lgkmcnt(0)
	v_fma_mix_f32 v7, v16, v10, v7 op_sel_hi:[0,1,0]
	s_delay_alu instid0(VALU_DEP_1) | instskip(NEXT) | instid1(VALU_DEP_1)
	v_fma_mix_f32 v7, v17, v10, v7 op_sel:[0,1,0] op_sel_hi:[0,1,0]
	v_fma_mix_f32 v7, v18, v11, v7 op_sel_hi:[0,1,0]
	s_delay_alu instid0(VALU_DEP_1)
	v_fma_mix_f32 v7, v19, v11, v7 op_sel:[0,1,0] op_sel_hi:[0,1,0]
	s_cbranch_scc0 .LBB438_33
; %bb.34:                               ;   in Loop: Header=BB438_27 Depth=1
	s_mov_b32 s15, s4
	s_and_not1_b32 vcc_lo, exec_lo, s12
	s_cbranch_vccz .LBB438_36
	s_branch .LBB438_25
.LBB438_35:                             ;   in Loop: Header=BB438_27 Depth=1
	s_mov_b32 s15, 0
	s_and_not1_b32 vcc_lo, exec_lo, s12
	s_cbranch_vccnz .LBB438_25
.LBB438_36:                             ;   in Loop: Header=BB438_27 Depth=1
	s_lshl_b32 s16, s15, 1
	s_lshl_b32 s15, s15, 2
	v_add_co_u32 v5, vcc_lo, v1, s16
	v_add_co_ci_u32_e32 v6, vcc_lo, 0, v2, vcc_lo
	s_mov_b32 s16, s10
.LBB438_37:                             ;   Parent Loop BB438_27 Depth=1
                                        ; =>  This Inner Loop Header: Depth=2
	flat_load_u16 v8, v[5:6]
	v_mov_b32_e32 v9, s15
	v_add_co_u32 v5, vcc_lo, v5, 2
	v_add_co_ci_u32_e32 v6, vcc_lo, 0, v6, vcc_lo
	ds_load_b32 v9, v9
	s_add_i32 s16, s16, -1
	s_add_i32 s15, s15, 4
	s_cmp_lg_u32 s16, 0
	s_waitcnt vmcnt(0) lgkmcnt(0)
	v_fma_mix_f32 v7, v9, v8, v7 op_sel_hi:[0,1,0]
	s_cbranch_scc1 .LBB438_37
	s_branch .LBB438_25
.LBB438_38:
	s_nop 0
	s_sendmsg sendmsg(MSG_DEALLOC_VGPRS)
	s_endpgm
	.section	.rodata,"a",@progbits
	.p2align	6, 0x0
	.amdhsa_kernel _ZL22rocblas_gemvtsm_kernelILb0ELi256EPKDF16_PKfKPDF16_EviiT2_lPKT1_lilS9_lilS6_lPT3_lil
		.amdhsa_group_segment_fixed_size 256
		.amdhsa_private_segment_fixed_size 0
		.amdhsa_kernarg_size 136
		.amdhsa_user_sgpr_count 15
		.amdhsa_user_sgpr_dispatch_ptr 0
		.amdhsa_user_sgpr_queue_ptr 0
		.amdhsa_user_sgpr_kernarg_segment_ptr 1
		.amdhsa_user_sgpr_dispatch_id 0
		.amdhsa_user_sgpr_private_segment_size 0
		.amdhsa_wavefront_size32 1
		.amdhsa_uses_dynamic_stack 0
		.amdhsa_enable_private_segment 0
		.amdhsa_system_sgpr_workgroup_id_x 1
		.amdhsa_system_sgpr_workgroup_id_y 0
		.amdhsa_system_sgpr_workgroup_id_z 0
		.amdhsa_system_sgpr_workgroup_info 0
		.amdhsa_system_vgpr_workitem_id 0
		.amdhsa_next_free_vgpr 20
		.amdhsa_next_free_sgpr 22
		.amdhsa_reserve_vcc 1
		.amdhsa_float_round_mode_32 0
		.amdhsa_float_round_mode_16_64 0
		.amdhsa_float_denorm_mode_32 3
		.amdhsa_float_denorm_mode_16_64 3
		.amdhsa_dx10_clamp 1
		.amdhsa_ieee_mode 1
		.amdhsa_fp16_overflow 0
		.amdhsa_workgroup_processor_mode 1
		.amdhsa_memory_ordered 1
		.amdhsa_forward_progress 0
		.amdhsa_shared_vgpr_count 0
		.amdhsa_exception_fp_ieee_invalid_op 0
		.amdhsa_exception_fp_denorm_src 0
		.amdhsa_exception_fp_ieee_div_zero 0
		.amdhsa_exception_fp_ieee_overflow 0
		.amdhsa_exception_fp_ieee_underflow 0
		.amdhsa_exception_fp_ieee_inexact 0
		.amdhsa_exception_int_div_zero 0
	.end_amdhsa_kernel
	.section	.text._ZL22rocblas_gemvtsm_kernelILb0ELi256EPKDF16_PKfKPDF16_EviiT2_lPKT1_lilS9_lilS6_lPT3_lil,"axG",@progbits,_ZL22rocblas_gemvtsm_kernelILb0ELi256EPKDF16_PKfKPDF16_EviiT2_lPKT1_lilS9_lilS6_lPT3_lil,comdat
.Lfunc_end438:
	.size	_ZL22rocblas_gemvtsm_kernelILb0ELi256EPKDF16_PKfKPDF16_EviiT2_lPKT1_lilS9_lilS6_lPT3_lil, .Lfunc_end438-_ZL22rocblas_gemvtsm_kernelILb0ELi256EPKDF16_PKfKPDF16_EviiT2_lPKT1_lilS9_lilS6_lPT3_lil
                                        ; -- End function
	.section	.AMDGPU.csdata,"",@progbits
; Kernel info:
; codeLenInByte = 1452
; NumSgprs: 24
; NumVgprs: 20
; ScratchSize: 0
; MemoryBound: 0
; FloatMode: 240
; IeeeMode: 1
; LDSByteSize: 256 bytes/workgroup (compile time only)
; SGPRBlocks: 2
; VGPRBlocks: 2
; NumSGPRsForWavesPerEU: 24
; NumVGPRsForWavesPerEU: 20
; Occupancy: 16
; WaveLimiterHint : 1
; COMPUTE_PGM_RSRC2:SCRATCH_EN: 0
; COMPUTE_PGM_RSRC2:USER_SGPR: 15
; COMPUTE_PGM_RSRC2:TRAP_HANDLER: 0
; COMPUTE_PGM_RSRC2:TGID_X_EN: 1
; COMPUTE_PGM_RSRC2:TGID_Y_EN: 0
; COMPUTE_PGM_RSRC2:TGID_Z_EN: 0
; COMPUTE_PGM_RSRC2:TIDIG_COMP_CNT: 0
	.section	.text._ZL22rocblas_gemvtsm_kernelILb0ELi256EPKDF16_fKPDF16_EviiT2_lPKT1_lilS7_lilS4_lPT3_lil,"axG",@progbits,_ZL22rocblas_gemvtsm_kernelILb0ELi256EPKDF16_fKPDF16_EviiT2_lPKT1_lilS7_lilS4_lPT3_lil,comdat
	.globl	_ZL22rocblas_gemvtsm_kernelILb0ELi256EPKDF16_fKPDF16_EviiT2_lPKT1_lilS7_lilS4_lPT3_lil ; -- Begin function _ZL22rocblas_gemvtsm_kernelILb0ELi256EPKDF16_fKPDF16_EviiT2_lPKT1_lilS7_lilS4_lPT3_lil
	.p2align	8
	.type	_ZL22rocblas_gemvtsm_kernelILb0ELi256EPKDF16_fKPDF16_EviiT2_lPKT1_lilS7_lilS4_lPT3_lil,@function
_ZL22rocblas_gemvtsm_kernelILb0ELi256EPKDF16_fKPDF16_EviiT2_lPKT1_lilS7_lilS4_lPT3_lil: ; @_ZL22rocblas_gemvtsm_kernelILb0ELi256EPKDF16_fKPDF16_EviiT2_lPKT1_lilS7_lilS4_lPT3_lil
; %bb.0:
	s_load_b128 s[4:7], s[0:1], 0x0
	s_waitcnt lgkmcnt(0)
	s_load_b32 s7, s[0:1], 0x58
	v_cmp_eq_f32_e64 s13, s6, 0
	s_waitcnt lgkmcnt(0)
	v_cmp_eq_f32_e64 s3, s7, 1.0
	s_delay_alu instid0(VALU_DEP_1) | instskip(NEXT) | instid1(SALU_CYCLE_1)
	s_and_b32 s3, s13, s3
	s_and_b32 vcc_lo, exec_lo, s3
	s_cbranch_vccnz .LBB439_41
; %bb.1:
	v_cmp_neq_f32_e64 s8, s6, 0
	s_mov_b32 s2, s15
	s_delay_alu instid0(VALU_DEP_1)
	s_and_b32 vcc_lo, exec_lo, s8
	s_cbranch_vccnz .LBB439_3
; %bb.2:
	s_mov_b32 s3, 0
	s_mov_b64 s[14:15], 0
	s_cbranch_execz .LBB439_4
	s_branch .LBB439_5
.LBB439_3:
	s_mov_b32 s3, -1
                                        ; implicit-def: $sgpr14_sgpr15
.LBB439_4:
	s_load_b128 s[16:19], s[0:1], 0x18
	s_mov_b32 s3, 0
	s_delay_alu instid0(SALU_CYCLE_1)
	s_lshl_b64 s[10:11], s[2:3], 3
	s_waitcnt lgkmcnt(0)
	s_add_u32 s10, s16, s10
	s_addc_u32 s11, s17, s11
	s_lshl_b64 s[14:15], s[18:19], 1
	s_load_b64 s[10:11], s[10:11], 0x0
	s_waitcnt lgkmcnt(0)
	s_add_u32 s14, s10, s14
	s_addc_u32 s15, s11, s15
.LBB439_5:
	s_and_not1_b32 vcc_lo, exec_lo, s8
	s_cbranch_vccnz .LBB439_7
; %bb.6:
	s_load_b128 s[8:11], s[0:1], 0x38
	s_lshl_b64 s[16:17], s[2:3], 3
	s_waitcnt lgkmcnt(0)
	s_add_u32 s8, s8, s16
	s_addc_u32 s9, s9, s17
	s_lshl_b64 s[10:11], s[10:11], 1
	s_load_b64 s[8:9], s[8:9], 0x0
	s_waitcnt lgkmcnt(0)
	s_add_u32 s16, s8, s10
	s_addc_u32 s17, s9, s11
	s_branch .LBB439_8
.LBB439_7:
	s_mov_b64 s[16:17], 0
.LBB439_8:
	s_clause 0x1
	s_load_b128 s[8:11], s[0:1], 0x68
	s_load_b32 s12, s[0:1], 0x78
	s_lshl_b64 s[2:3], s[2:3], 3
	s_waitcnt lgkmcnt(0)
	s_add_u32 s2, s8, s2
	s_addc_u32 s3, s9, s3
	s_and_not1_b32 vcc_lo, exec_lo, s13
	s_load_b64 s[8:9], s[2:3], 0x0
	s_mov_b32 s2, -1
	s_cbranch_vccnz .LBB439_23
; %bb.9:
	s_cmp_gt_i32 s5, 0
	v_cmp_neq_f32_e64 s2, s7, 0
	s_cselect_b32 s18, -1, 0
	s_delay_alu instid0(SALU_CYCLE_1) | instskip(NEXT) | instid1(VALU_DEP_2)
	v_cndmask_b32_e64 v1, 0, 1, s18
	s_and_b32 vcc_lo, exec_lo, s2
	s_delay_alu instid0(VALU_DEP_1)
	v_cmp_ne_u32_e64 s2, 1, v1
	s_cbranch_vccnz .LBB439_16
; %bb.10:
	s_delay_alu instid0(VALU_DEP_1)
	s_and_b32 vcc_lo, exec_lo, s2
	s_cbranch_vccnz .LBB439_15
; %bb.11:
	v_mad_i64_i32 v[1:2], null, s12, v0, 0
	s_lshl_b64 s[2:3], s[10:11], 1
	s_ashr_i32 s13, s12, 31
	s_waitcnt lgkmcnt(0)
	s_add_u32 s2, s8, s2
	s_addc_u32 s3, s9, s3
	v_mov_b32_e32 v3, 0
	s_delay_alu instid0(VALU_DEP_2) | instskip(NEXT) | instid1(VALU_DEP_1)
	v_lshlrev_b64 v[1:2], 1, v[1:2]
	v_add_co_u32 v1, vcc_lo, s2, v1
	s_delay_alu instid0(VALU_DEP_2)
	v_add_co_ci_u32_e32 v2, vcc_lo, s3, v2, vcc_lo
	s_lshl_b64 s[2:3], s[12:13], 9
	s_mov_b32 s13, 0
	s_branch .LBB439_13
.LBB439_12:                             ;   in Loop: Header=BB439_13 Depth=1
	s_or_b32 exec_lo, exec_lo, s19
	v_add_co_u32 v1, vcc_lo, v1, s2
	v_add_co_ci_u32_e32 v2, vcc_lo, s3, v2, vcc_lo
	s_addk_i32 s13, 0x100
	s_delay_alu instid0(SALU_CYCLE_1)
	s_cmp_ge_i32 s13, s5
	s_cbranch_scc1 .LBB439_15
.LBB439_13:                             ; =>This Inner Loop Header: Depth=1
	v_add_nc_u32_e32 v4, s13, v0
	s_mov_b32 s19, exec_lo
	s_delay_alu instid0(VALU_DEP_1)
	v_cmpx_gt_i32_e64 s5, v4
	s_cbranch_execz .LBB439_12
; %bb.14:                               ;   in Loop: Header=BB439_13 Depth=1
	global_store_b16 v[1:2], v3, off
	s_branch .LBB439_12
.LBB439_15:
	s_cbranch_execz .LBB439_17
	s_branch .LBB439_22
.LBB439_16:
.LBB439_17:
	s_and_not1_b32 vcc_lo, exec_lo, s18
	s_cbranch_vccnz .LBB439_22
; %bb.18:
	v_mad_i64_i32 v[1:2], null, s12, v0, 0
	s_lshl_b64 s[2:3], s[10:11], 1
	s_ashr_i32 s13, s12, 31
	s_waitcnt lgkmcnt(0)
	s_add_u32 s2, s8, s2
	s_addc_u32 s3, s9, s3
	s_delay_alu instid0(VALU_DEP_1) | instskip(NEXT) | instid1(VALU_DEP_1)
	v_lshlrev_b64 v[1:2], 1, v[1:2]
	v_add_co_u32 v1, vcc_lo, s2, v1
	s_delay_alu instid0(VALU_DEP_2)
	v_add_co_ci_u32_e32 v2, vcc_lo, s3, v2, vcc_lo
	s_lshl_b64 s[2:3], s[12:13], 9
	s_mov_b32 s13, 0
	s_branch .LBB439_20
	.p2align	6
.LBB439_19:                             ;   in Loop: Header=BB439_20 Depth=1
	s_or_b32 exec_lo, exec_lo, s18
	v_add_co_u32 v1, vcc_lo, v1, s2
	v_add_co_ci_u32_e32 v2, vcc_lo, s3, v2, vcc_lo
	s_addk_i32 s13, 0x100
	s_delay_alu instid0(SALU_CYCLE_1)
	s_cmp_ge_i32 s13, s5
	s_cbranch_scc1 .LBB439_22
.LBB439_20:                             ; =>This Inner Loop Header: Depth=1
	v_add_nc_u32_e32 v3, s13, v0
	s_mov_b32 s18, exec_lo
	s_delay_alu instid0(VALU_DEP_1)
	v_cmpx_gt_i32_e64 s5, v3
	s_cbranch_execz .LBB439_19
; %bb.21:                               ;   in Loop: Header=BB439_20 Depth=1
	global_load_u16 v3, v[1:2], off
	s_waitcnt vmcnt(0)
	v_fma_mixlo_f16 v3, v3, s7, 0 op_sel_hi:[1,0,0]
	global_store_b16 v[1:2], v3, off
	s_branch .LBB439_19
.LBB439_22:
	s_mov_b32 s2, 0
.LBB439_23:
	s_delay_alu instid0(SALU_CYCLE_1)
	s_and_not1_b32 vcc_lo, exec_lo, s2
	s_cbranch_vccnz .LBB439_41
; %bb.24:
	s_mov_b32 s2, exec_lo
	v_cmpx_gt_i32_e64 s4, v0
	s_cbranch_execz .LBB439_26
; %bb.25:
	s_load_b32 s3, s[0:1], 0x48
	s_waitcnt lgkmcnt(0)
	v_mad_i64_i32 v[1:2], null, s3, v0, 0
	s_delay_alu instid0(VALU_DEP_1) | instskip(NEXT) | instid1(VALU_DEP_1)
	v_lshlrev_b64 v[1:2], 1, v[1:2]
	v_add_co_u32 v1, vcc_lo, s16, v1
	s_delay_alu instid0(VALU_DEP_2) | instskip(SKIP_4) | instid1(VALU_DEP_1)
	v_add_co_ci_u32_e32 v2, vcc_lo, s17, v2, vcc_lo
	flat_load_u16 v1, v[1:2]
	v_lshlrev_b32_e32 v2, 2, v0
	s_waitcnt vmcnt(0) lgkmcnt(0)
	v_cvt_f32_f16_e32 v1, v1
	v_mul_f32_e32 v1, s6, v1
	ds_store_b32 v2, v1
.LBB439_26:
	s_or_b32 exec_lo, exec_lo, s2
	s_cmp_lt_i32 s5, 1
	s_waitcnt lgkmcnt(0)
	s_waitcnt_vscnt null, 0x0
	s_barrier
	buffer_gl0_inv
	s_cbranch_scc1 .LBB439_41
; %bb.27:
	s_load_b32 s0, s[0:1], 0x28
	s_lshl_b64 s[2:3], s[10:11], 1
	s_delay_alu instid0(SALU_CYCLE_1)
	s_add_u32 s2, s8, s2
	s_addc_u32 s3, s9, s3
	s_ashr_i32 s6, s12, 31
	v_cmp_neq_f32_e64 s8, s7, 0
	s_waitcnt lgkmcnt(0)
	v_mad_i64_i32 v[1:2], null, s0, v0, 0
	s_ashr_i32 s1, s0, 31
	s_cmp_gt_i32 s4, 0
	s_cselect_b32 s9, -1, 0
	s_and_b32 s10, s4, 7
	s_cmp_gt_u32 s4, 7
	s_delay_alu instid0(VALU_DEP_1) | instskip(SKIP_4) | instid1(VALU_DEP_1)
	v_lshlrev_b64 v[1:2], 1, v[1:2]
	s_cselect_b32 s11, -1, 0
	s_and_b32 s4, s4, 0x7ffffff8
	s_cmp_lg_u32 s10, 0
	s_cselect_b32 s13, -1, 0
	v_add_co_u32 v1, vcc_lo, s14, v1
	v_add_co_ci_u32_e32 v2, vcc_lo, s15, v2, vcc_lo
	s_mov_b32 s14, 0
	s_lshl_b64 s[0:1], s[0:1], 9
	s_branch .LBB439_30
.LBB439_28:                             ;   in Loop: Header=BB439_30 Depth=1
	s_delay_alu instid0(VALU_DEP_2) | instskip(NEXT) | instid1(VALU_DEP_2)
	v_add_co_u32 v3, vcc_lo, s2, v3
	v_cvt_f16_f32_e32 v5, v7
	v_add_co_ci_u32_e32 v4, vcc_lo, s3, v4, vcc_lo
	global_store_b16 v[3:4], v5, off
.LBB439_29:                             ;   in Loop: Header=BB439_30 Depth=1
	s_or_b32 exec_lo, exec_lo, s15
	v_add_co_u32 v1, vcc_lo, v1, s0
	v_add_co_ci_u32_e32 v2, vcc_lo, s1, v2, vcc_lo
	s_addk_i32 s14, 0x100
	s_delay_alu instid0(SALU_CYCLE_1)
	s_cmp_ge_i32 s14, s5
	s_cbranch_scc1 .LBB439_41
.LBB439_30:                             ; =>This Loop Header: Depth=1
                                        ;     Child Loop BB439_36 Depth 2
                                        ;     Child Loop BB439_40 Depth 2
	v_add_nc_u32_e32 v3, s14, v0
	s_mov_b32 s15, exec_lo
	s_delay_alu instid0(VALU_DEP_1)
	v_cmpx_gt_i32_e64 s5, v3
	s_cbranch_execz .LBB439_29
; %bb.31:                               ;   in Loop: Header=BB439_30 Depth=1
	v_mad_u64_u32 v[4:5], null, v3, s12, 0
	s_and_not1_b32 vcc_lo, exec_lo, s8
	s_delay_alu instid0(VALU_DEP_1) | instskip(NEXT) | instid1(VALU_DEP_1)
	v_mad_u64_u32 v[6:7], null, v3, s6, v[5:6]
	v_mov_b32_e32 v5, v6
	s_delay_alu instid0(VALU_DEP_1)
	v_lshlrev_b64 v[3:4], 1, v[4:5]
	s_cbranch_vccnz .LBB439_33
; %bb.32:                               ;   in Loop: Header=BB439_30 Depth=1
	s_delay_alu instid0(VALU_DEP_1) | instskip(NEXT) | instid1(VALU_DEP_2)
	v_add_co_u32 v5, vcc_lo, s2, v3
	v_add_co_ci_u32_e32 v6, vcc_lo, s3, v4, vcc_lo
	global_load_u16 v5, v[5:6], off
	s_waitcnt vmcnt(0)
	v_cvt_f32_f16_e32 v5, v5
	s_delay_alu instid0(VALU_DEP_1)
	v_mul_f32_e32 v7, s7, v5
	s_and_not1_b32 vcc_lo, exec_lo, s9
	s_cbranch_vccz .LBB439_34
	s_branch .LBB439_28
.LBB439_33:                             ;   in Loop: Header=BB439_30 Depth=1
	v_mov_b32_e32 v7, 0
	s_and_not1_b32 vcc_lo, exec_lo, s9
	s_cbranch_vccnz .LBB439_28
.LBB439_34:                             ;   in Loop: Header=BB439_30 Depth=1
	s_and_not1_b32 vcc_lo, exec_lo, s11
	s_cbranch_vccnz .LBB439_38
; %bb.35:                               ;   in Loop: Header=BB439_30 Depth=1
	v_dual_mov_b32 v6, v2 :: v_dual_mov_b32 v5, v1
	s_mov_b32 s16, 0
	s_mov_b32 s17, 0
	.p2align	6
.LBB439_36:                             ;   Parent Loop BB439_30 Depth=1
                                        ; =>  This Inner Loop Header: Depth=2
	flat_load_b128 v[8:11], v[5:6]
	v_mov_b32_e32 v16, s16
	v_add_co_u32 v5, vcc_lo, v5, 16
	v_add_co_ci_u32_e32 v6, vcc_lo, 0, v6, vcc_lo
	ds_load_b128 v[12:15], v16
	ds_load_b128 v[16:19], v16 offset:16
	s_add_i32 s17, s17, 8
	s_add_i32 s16, s16, 32
	s_cmp_eq_u32 s4, s17
	s_waitcnt vmcnt(0) lgkmcnt(1)
	v_fma_mix_f32 v7, v12, v8, v7 op_sel_hi:[0,1,0]
	s_delay_alu instid0(VALU_DEP_1) | instskip(NEXT) | instid1(VALU_DEP_1)
	v_fma_mix_f32 v7, v13, v8, v7 op_sel:[0,1,0] op_sel_hi:[0,1,0]
	v_fma_mix_f32 v7, v14, v9, v7 op_sel_hi:[0,1,0]
	s_delay_alu instid0(VALU_DEP_1) | instskip(SKIP_1) | instid1(VALU_DEP_1)
	v_fma_mix_f32 v7, v15, v9, v7 op_sel:[0,1,0] op_sel_hi:[0,1,0]
	s_waitcnt lgkmcnt(0)
	v_fma_mix_f32 v7, v16, v10, v7 op_sel_hi:[0,1,0]
	s_delay_alu instid0(VALU_DEP_1) | instskip(NEXT) | instid1(VALU_DEP_1)
	v_fma_mix_f32 v7, v17, v10, v7 op_sel:[0,1,0] op_sel_hi:[0,1,0]
	v_fma_mix_f32 v7, v18, v11, v7 op_sel_hi:[0,1,0]
	s_delay_alu instid0(VALU_DEP_1)
	v_fma_mix_f32 v7, v19, v11, v7 op_sel:[0,1,0] op_sel_hi:[0,1,0]
	s_cbranch_scc0 .LBB439_36
; %bb.37:                               ;   in Loop: Header=BB439_30 Depth=1
	s_mov_b32 s16, s4
	s_and_not1_b32 vcc_lo, exec_lo, s13
	s_cbranch_vccz .LBB439_39
	s_branch .LBB439_28
.LBB439_38:                             ;   in Loop: Header=BB439_30 Depth=1
	s_mov_b32 s16, 0
	s_and_not1_b32 vcc_lo, exec_lo, s13
	s_cbranch_vccnz .LBB439_28
.LBB439_39:                             ;   in Loop: Header=BB439_30 Depth=1
	s_lshl_b32 s17, s16, 1
	s_lshl_b32 s16, s16, 2
	v_add_co_u32 v5, vcc_lo, v1, s17
	v_add_co_ci_u32_e32 v6, vcc_lo, 0, v2, vcc_lo
	s_mov_b32 s17, s10
.LBB439_40:                             ;   Parent Loop BB439_30 Depth=1
                                        ; =>  This Inner Loop Header: Depth=2
	flat_load_u16 v8, v[5:6]
	v_mov_b32_e32 v9, s16
	v_add_co_u32 v5, vcc_lo, v5, 2
	v_add_co_ci_u32_e32 v6, vcc_lo, 0, v6, vcc_lo
	ds_load_b32 v9, v9
	s_add_i32 s17, s17, -1
	s_add_i32 s16, s16, 4
	s_cmp_lg_u32 s17, 0
	s_waitcnt vmcnt(0) lgkmcnt(0)
	v_fma_mix_f32 v7, v9, v8, v7 op_sel_hi:[0,1,0]
	s_cbranch_scc1 .LBB439_40
	s_branch .LBB439_28
.LBB439_41:
	s_nop 0
	s_sendmsg sendmsg(MSG_DEALLOC_VGPRS)
	s_endpgm
	.section	.rodata,"a",@progbits
	.p2align	6, 0x0
	.amdhsa_kernel _ZL22rocblas_gemvtsm_kernelILb0ELi256EPKDF16_fKPDF16_EviiT2_lPKT1_lilS7_lilS4_lPT3_lil
		.amdhsa_group_segment_fixed_size 256
		.amdhsa_private_segment_fixed_size 0
		.amdhsa_kernarg_size 136
		.amdhsa_user_sgpr_count 15
		.amdhsa_user_sgpr_dispatch_ptr 0
		.amdhsa_user_sgpr_queue_ptr 0
		.amdhsa_user_sgpr_kernarg_segment_ptr 1
		.amdhsa_user_sgpr_dispatch_id 0
		.amdhsa_user_sgpr_private_segment_size 0
		.amdhsa_wavefront_size32 1
		.amdhsa_uses_dynamic_stack 0
		.amdhsa_enable_private_segment 0
		.amdhsa_system_sgpr_workgroup_id_x 1
		.amdhsa_system_sgpr_workgroup_id_y 0
		.amdhsa_system_sgpr_workgroup_id_z 0
		.amdhsa_system_sgpr_workgroup_info 0
		.amdhsa_system_vgpr_workitem_id 0
		.amdhsa_next_free_vgpr 20
		.amdhsa_next_free_sgpr 20
		.amdhsa_reserve_vcc 1
		.amdhsa_float_round_mode_32 0
		.amdhsa_float_round_mode_16_64 0
		.amdhsa_float_denorm_mode_32 3
		.amdhsa_float_denorm_mode_16_64 3
		.amdhsa_dx10_clamp 1
		.amdhsa_ieee_mode 1
		.amdhsa_fp16_overflow 0
		.amdhsa_workgroup_processor_mode 1
		.amdhsa_memory_ordered 1
		.amdhsa_forward_progress 0
		.amdhsa_shared_vgpr_count 0
		.amdhsa_exception_fp_ieee_invalid_op 0
		.amdhsa_exception_fp_denorm_src 0
		.amdhsa_exception_fp_ieee_div_zero 0
		.amdhsa_exception_fp_ieee_overflow 0
		.amdhsa_exception_fp_ieee_underflow 0
		.amdhsa_exception_fp_ieee_inexact 0
		.amdhsa_exception_int_div_zero 0
	.end_amdhsa_kernel
	.section	.text._ZL22rocblas_gemvtsm_kernelILb0ELi256EPKDF16_fKPDF16_EviiT2_lPKT1_lilS7_lilS4_lPT3_lil,"axG",@progbits,_ZL22rocblas_gemvtsm_kernelILb0ELi256EPKDF16_fKPDF16_EviiT2_lPKT1_lilS7_lilS4_lPT3_lil,comdat
.Lfunc_end439:
	.size	_ZL22rocblas_gemvtsm_kernelILb0ELi256EPKDF16_fKPDF16_EviiT2_lPKT1_lilS7_lilS4_lPT3_lil, .Lfunc_end439-_ZL22rocblas_gemvtsm_kernelILb0ELi256EPKDF16_fKPDF16_EviiT2_lPKT1_lilS7_lilS4_lPT3_lil
                                        ; -- End function
	.section	.AMDGPU.csdata,"",@progbits
; Kernel info:
; codeLenInByte = 1404
; NumSgprs: 22
; NumVgprs: 20
; ScratchSize: 0
; MemoryBound: 0
; FloatMode: 240
; IeeeMode: 1
; LDSByteSize: 256 bytes/workgroup (compile time only)
; SGPRBlocks: 2
; VGPRBlocks: 2
; NumSGPRsForWavesPerEU: 22
; NumVGPRsForWavesPerEU: 20
; Occupancy: 16
; WaveLimiterHint : 1
; COMPUTE_PGM_RSRC2:SCRATCH_EN: 0
; COMPUTE_PGM_RSRC2:USER_SGPR: 15
; COMPUTE_PGM_RSRC2:TRAP_HANDLER: 0
; COMPUTE_PGM_RSRC2:TGID_X_EN: 1
; COMPUTE_PGM_RSRC2:TGID_Y_EN: 0
; COMPUTE_PGM_RSRC2:TGID_Z_EN: 0
; COMPUTE_PGM_RSRC2:TIDIG_COMP_CNT: 0
	.section	.text._ZL23rocblas_gemvt_sn_kernelILb0ELi256ELi4EiPKDF16_PKffEviiT4_lPKT3_lilS7_lilPT5_i,"axG",@progbits,_ZL23rocblas_gemvt_sn_kernelILb0ELi256ELi4EiPKDF16_PKffEviiT4_lPKT3_lilS7_lilPT5_i,comdat
	.globl	_ZL23rocblas_gemvt_sn_kernelILb0ELi256ELi4EiPKDF16_PKffEviiT4_lPKT3_lilS7_lilPT5_i ; -- Begin function _ZL23rocblas_gemvt_sn_kernelILb0ELi256ELi4EiPKDF16_PKffEviiT4_lPKT3_lilS7_lilPT5_i
	.p2align	8
	.type	_ZL23rocblas_gemvt_sn_kernelILb0ELi256ELi4EiPKDF16_PKffEviiT4_lPKT3_lilS7_lilPT5_i,@function
_ZL23rocblas_gemvt_sn_kernelILb0ELi256ELi4EiPKDF16_PKffEviiT4_lPKT3_lilS7_lilPT5_i: ; @_ZL23rocblas_gemvt_sn_kernelILb0ELi256ELi4EiPKDF16_PKffEviiT4_lPKT3_lilS7_lilPT5_i
; %bb.0:
	s_load_b256 s[4:11], s[0:1], 0x8
	s_mov_b32 s16, s15
	s_mov_b32 s17, 0
	s_mov_b64 s[12:13], 0
	s_waitcnt lgkmcnt(0)
	s_mul_i32 s2, s15, s7
	s_mul_hi_u32 s3, s15, s6
	s_delay_alu instid0(SALU_CYCLE_1) | instskip(SKIP_1) | instid1(SALU_CYCLE_1)
	s_add_i32 s3, s3, s2
	s_mul_i32 s2, s15, s6
	s_lshl_b64 s[2:3], s[2:3], 2
	s_delay_alu instid0(SALU_CYCLE_1)
	s_add_u32 s2, s4, s2
	s_addc_u32 s3, s5, s3
	s_load_b32 s28, s[2:3], 0x0
	s_mov_b64 s[2:3], 0
	s_waitcnt lgkmcnt(0)
	v_cmp_eq_f32_e64 s4, s28, 0
	v_cmp_neq_f32_e64 s5, s28, 0
	s_delay_alu instid0(VALU_DEP_2)
	s_and_b32 vcc_lo, exec_lo, s4
	s_cbranch_vccnz .LBB440_2
; %bb.1:
	s_lshl_b64 s[2:3], s[16:17], 3
	s_delay_alu instid0(SALU_CYCLE_1)
	s_add_u32 s2, s8, s2
	s_addc_u32 s3, s9, s3
	s_lshl_b64 s[6:7], s[10:11], 1
	s_load_b64 s[2:3], s[2:3], 0x0
	s_waitcnt lgkmcnt(0)
	s_add_u32 s2, s2, s6
	s_addc_u32 s3, s3, s7
.LBB440_2:
	s_delay_alu instid0(VALU_DEP_1)
	s_and_not1_b32 vcc_lo, exec_lo, s5
	s_cbranch_vccnz .LBB440_4
; %bb.3:
	s_load_b128 s[8:11], s[0:1], 0x38
	s_lshl_b64 s[6:7], s[16:17], 3
	s_waitcnt lgkmcnt(0)
	s_add_u32 s6, s8, s6
	s_addc_u32 s7, s9, s7
	s_lshl_b64 s[8:9], s[10:11], 1
	s_load_b64 s[6:7], s[6:7], 0x0
	s_waitcnt lgkmcnt(0)
	s_add_u32 s12, s6, s8
	s_addc_u32 s13, s7, s9
.LBB440_4:
	s_clause 0x2
	s_load_b64 s[8:9], s[0:1], 0x0
	s_load_b32 s10, s[0:1], 0x68
	s_load_b64 s[6:7], s[0:1], 0x58
	s_waitcnt lgkmcnt(0)
	s_ashr_i32 s17, s9, 31
	s_mul_hi_u32 s5, s9, s16
	s_mul_i32 s11, s17, s16
	s_mul_i32 s15, s9, s16
	s_add_i32 s5, s5, s11
	s_mul_hi_u32 s11, s15, s10
	s_mul_i32 s5, s5, s10
	s_mul_i32 s18, s15, s10
	s_add_i32 s19, s11, s5
	s_mov_b32 s11, 0
	s_lshl_b64 s[18:19], s[18:19], 2
	s_delay_alu instid0(SALU_CYCLE_1)
	s_add_u32 s30, s6, s18
	s_addc_u32 s31, s7, s19
	s_and_not1_b32 vcc_lo, exec_lo, s4
	s_mov_b32 s4, -1
	s_cbranch_vccnz .LBB440_9
; %bb.5:
	v_cmp_eq_u32_e32 vcc_lo, 0, v0
	s_cmp_gt_i32 s9, 0
	s_cselect_b32 s4, -1, 0
	s_delay_alu instid0(SALU_CYCLE_1) | instskip(NEXT) | instid1(SALU_CYCLE_1)
	s_and_b32 s4, vcc_lo, s4
	s_and_saveexec_b32 s16, s4
	s_cbranch_execz .LBB440_8
; %bb.6:
	s_mov_b32 s15, 0
	v_mov_b32_e32 v1, 0
	s_lshl_b64 s[4:5], s[14:15], 2
	s_delay_alu instid0(SALU_CYCLE_1)
	s_add_u32 s4, s30, s4
	s_addc_u32 s5, s31, s5
	s_lshl_b64 s[6:7], s[10:11], 2
	s_mov_b32 s11, s9
.LBB440_7:                              ; =>This Inner Loop Header: Depth=1
	s_delay_alu instid0(SALU_CYCLE_1)
	s_add_i32 s11, s11, -1
	global_store_b32 v1, v1, s[4:5]
	s_add_u32 s4, s4, s6
	s_addc_u32 s5, s5, s7
	s_cmp_eq_u32 s11, 0
	s_cbranch_scc0 .LBB440_7
.LBB440_8:
	s_or_b32 exec_lo, exec_lo, s16
	s_mov_b32 s4, 0
.LBB440_9:
	s_delay_alu instid0(SALU_CYCLE_1)
	s_and_not1_b32 vcc_lo, exec_lo, s4
	s_cbranch_vccnz .LBB440_83
; %bb.10:
	s_clause 0x1
	s_load_b32 s16, s[0:1], 0x28
	s_load_b32 s11, s[0:1], 0x48
	s_lshl_b32 s4, s14, 10
	s_ashr_i32 s0, s8, 31
	v_lshl_or_b32 v1, v0, 2, s4
	s_lshr_b32 s0, s0, 30
	s_lshr_b32 s1, s17, 30
	s_add_i32 s0, s8, s0
	s_add_i32 s1, s9, s1
	v_ashrrev_i32_e32 v2, 31, v1
	s_and_b32 s0, s0, -4
	s_and_b32 s15, s1, -4
	s_sub_i32 s29, s8, s0
	v_add_nc_u32_e32 v22, 4, v1
	v_lshlrev_b64 v[2:3], 1, v[1:2]
	v_add_nc_u32_e32 v23, s29, v1
	v_and_b32_e32 v19, 31, v0
	v_cmp_gt_u32_e64 s0, 32, v0
	v_mbcnt_lo_u32_b32 v21, -1, 0
	v_cmp_gt_u32_e64 s1, 8, v0
	v_add_co_u32 v17, vcc_lo, s2, v2
	s_waitcnt lgkmcnt(0)
	v_mul_lo_u32 v5, v1, s11
	v_add_co_ci_u32_e32 v18, vcc_lo, s3, v3, vcc_lo
	v_lshrrev_b32_e32 v20, 3, v0
	v_cmp_eq_u32_e64 s2, 0, v0
	s_cmp_lt_i32 s15, 1
	s_cbranch_scc1 .LBB440_58
; %bb.11:
	v_cmp_gt_u32_e32 vcc_lo, 16, v21
	v_mul_lo_u32 v6, v1, s11
	s_mov_b32 s19, 0
	s_cmp_gt_i32 s29, 0
	v_cmp_ge_i32_e64 s3, s8, v22
	v_cndmask_b32_e64 v2, 0, 1, vcc_lo
	v_cmp_gt_u32_e32 vcc_lo, 24, v21
	v_cmp_ge_i32_e64 s4, s8, v23
	v_cmp_eq_u32_e64 s5, 0, v19
	v_lshlrev_b32_e32 v29, 2, v19
	v_dual_mov_b32 v31, 0 :: v_dual_lshlrev_b32 v2, 4, v2
	v_cndmask_b32_e64 v3, 0, 1, vcc_lo
	v_cmp_gt_u32_e32 vcc_lo, 28, v21
	v_and_b32_e32 v30, 28, v20
	s_delay_alu instid0(VALU_DEP_4)
	v_add_lshl_u32 v24, v2, v21, 2
	s_mov_b32 s17, s19
	v_lshlrev_b32_e32 v2, 3, v3
	v_cndmask_b32_e64 v4, 0, 1, vcc_lo
	v_cmp_gt_u32_e32 vcc_lo, 30, v21
	s_cselect_b32 s33, -1, 0
	s_lshl_b32 s18, s16, 1
	v_add_lshl_u32 v25, v2, v21, 2
	v_lshlrev_b32_e32 v1, 2, v4
	v_cndmask_b32_e64 v7, 0, 1, vcc_lo
	v_cmp_ne_u32_e32 vcc_lo, 31, v21
	s_lshl_b32 s34, s16, 2
	s_mul_i32 s35, s16, 3
	v_add_lshl_u32 v26, v1, v21, 2
	v_lshlrev_b32_e32 v3, 1, v7
	v_add_nc_u32_e32 v1, s11, v6
	v_ashrrev_i32_e32 v7, 31, v6
	v_add_co_ci_u32_e32 v4, vcc_lo, 0, v21, vcc_lo
	s_delay_alu instid0(VALU_DEP_4) | instskip(NEXT) | instid1(VALU_DEP_4)
	v_add_lshl_u32 v27, v3, v21, 2
	v_add_nc_u32_e32 v3, s11, v1
	v_ashrrev_i32_e32 v2, 31, v1
	v_lshlrev_b64 v[7:8], 1, v[6:7]
	v_lshlrev_b32_e32 v28, 2, v4
	s_mov_b32 s36, s19
	v_add_nc_u32_e32 v11, s11, v3
	v_lshlrev_b64 v[1:2], 1, v[1:2]
	v_ashrrev_i32_e32 v4, 31, v3
	v_add_co_u32 v7, vcc_lo, s12, v7
	s_delay_alu instid0(VALU_DEP_4) | instskip(SKIP_1) | instid1(VALU_DEP_4)
	v_ashrrev_i32_e32 v12, 31, v11
	v_add_co_ci_u32_e32 v8, vcc_lo, s13, v8, vcc_lo
	v_lshlrev_b64 v[3:4], 1, v[3:4]
	v_add_co_u32 v9, vcc_lo, s12, v1
	v_add_co_ci_u32_e32 v10, vcc_lo, s13, v2, vcc_lo
	v_lshlrev_b64 v[1:2], 1, v[11:12]
	s_delay_alu instid0(VALU_DEP_4) | instskip(SKIP_2) | instid1(VALU_DEP_3)
	v_add_co_u32 v11, vcc_lo, s12, v3
	v_add_co_ci_u32_e32 v12, vcc_lo, s13, v4, vcc_lo
	s_mov_b32 s20, s19
	v_add_co_u32 v13, vcc_lo, s12, v1
	s_delay_alu instid0(VALU_DEP_4)
	v_add_co_ci_u32_e32 v14, vcc_lo, s13, v2, vcc_lo
	s_mov_b64 s[22:23], s[18:19]
	s_mov_b64 s[24:25], s[16:17]
	s_mov_b32 s17, 0
                                        ; implicit-def: $vgpr1_vgpr2_vgpr3_vgpr4
	s_branch .LBB440_13
.LBB440_12:                             ;   in Loop: Header=BB440_13 Depth=1
	s_or_b32 exec_lo, exec_lo, s6
	s_add_i32 s17, s17, 4
	s_add_u32 s24, s24, s34
	s_addc_u32 s25, s25, 0
	s_add_u32 s22, s22, s34
	s_addc_u32 s23, s23, 0
	;; [unrolled: 2-line block ×3, first 2 shown]
	s_add_i32 s20, s20, s34
	s_cmp_ge_i32 s17, s15
	s_cbranch_scc1 .LBB440_59
.LBB440_13:                             ; =>This Loop Header: Depth=1
                                        ;     Child Loop BB440_44 Depth 2
                                        ;     Child Loop BB440_47 Depth 2
                                        ; implicit-def: $vgpr32
                                        ; implicit-def: $vgpr33
                                        ; implicit-def: $vgpr34
                                        ; implicit-def: $vgpr35
	s_and_saveexec_b32 s6, s3
	s_delay_alu instid0(SALU_CYCLE_1)
	s_xor_b32 s6, exec_lo, s6
	s_cbranch_execnz .LBB440_40
; %bb.14:                               ;   in Loop: Header=BB440_13 Depth=1
	s_and_not1_saveexec_b32 s18, s6
	s_cbranch_execnz .LBB440_41
.LBB440_15:                             ;   in Loop: Header=BB440_13 Depth=1
	s_or_b32 exec_lo, exec_lo, s18
	s_and_saveexec_b32 s6, s0
	s_cbranch_execz .LBB440_17
.LBB440_16:                             ;   in Loop: Header=BB440_13 Depth=1
	ds_store_b32 v29, v31
.LBB440_17:                             ;   in Loop: Header=BB440_13 Depth=1
	s_or_b32 exec_lo, exec_lo, s6
	ds_bpermute_b32 v15, v24, v35
	s_waitcnt lgkmcnt(0)
	s_waitcnt_vscnt null, 0x0
	s_barrier
	buffer_gl0_inv
	v_add_f32_e32 v15, v35, v15
	ds_bpermute_b32 v16, v25, v15
	s_waitcnt lgkmcnt(0)
	v_add_f32_e32 v15, v15, v16
	ds_bpermute_b32 v16, v26, v15
	s_waitcnt lgkmcnt(0)
	;; [unrolled: 3-line block ×3, first 2 shown]
	v_add_f32_e32 v15, v15, v16
	ds_bpermute_b32 v16, v28, v15
	s_and_saveexec_b32 s6, s5
	s_cbranch_execz .LBB440_19
; %bb.18:                               ;   in Loop: Header=BB440_13 Depth=1
	s_waitcnt lgkmcnt(0)
	v_add_f32_e32 v15, v15, v16
	ds_store_b32 v30, v15
.LBB440_19:                             ;   in Loop: Header=BB440_13 Depth=1
	s_or_b32 exec_lo, exec_lo, s6
	v_mov_b32_e32 v15, 0
	s_waitcnt lgkmcnt(0)
	s_barrier
	buffer_gl0_inv
	s_and_saveexec_b32 s6, s1
	s_cbranch_execnz .LBB440_49
; %bb.20:                               ;   in Loop: Header=BB440_13 Depth=1
	s_or_b32 exec_lo, exec_lo, s6
	s_and_saveexec_b32 s6, s0
	s_cbranch_execnz .LBB440_50
.LBB440_21:                             ;   in Loop: Header=BB440_13 Depth=1
	s_or_b32 exec_lo, exec_lo, s6
	s_and_saveexec_b32 s6, s0
	s_cbranch_execz .LBB440_23
.LBB440_22:                             ;   in Loop: Header=BB440_13 Depth=1
	ds_store_b32 v29, v31
.LBB440_23:                             ;   in Loop: Header=BB440_13 Depth=1
	s_or_b32 exec_lo, exec_lo, s6
	ds_bpermute_b32 v16, v24, v34
	s_waitcnt lgkmcnt(0)
	s_barrier
	buffer_gl0_inv
	v_add_f32_e32 v16, v34, v16
	ds_bpermute_b32 v34, v25, v16
	s_waitcnt lgkmcnt(0)
	v_add_f32_e32 v16, v16, v34
	ds_bpermute_b32 v34, v26, v16
	s_waitcnt lgkmcnt(0)
	;; [unrolled: 3-line block ×3, first 2 shown]
	v_add_f32_e32 v16, v16, v34
	ds_bpermute_b32 v34, v28, v16
	s_and_saveexec_b32 s6, s5
	s_cbranch_execz .LBB440_25
; %bb.24:                               ;   in Loop: Header=BB440_13 Depth=1
	s_waitcnt lgkmcnt(0)
	v_add_f32_e32 v16, v16, v34
	ds_store_b32 v30, v16
.LBB440_25:                             ;   in Loop: Header=BB440_13 Depth=1
	s_or_b32 exec_lo, exec_lo, s6
	v_mov_b32_e32 v16, 0
	s_waitcnt lgkmcnt(0)
	s_barrier
	buffer_gl0_inv
	s_and_saveexec_b32 s6, s1
	s_cbranch_execnz .LBB440_51
; %bb.26:                               ;   in Loop: Header=BB440_13 Depth=1
	s_or_b32 exec_lo, exec_lo, s6
	s_and_saveexec_b32 s6, s0
	s_cbranch_execnz .LBB440_52
.LBB440_27:                             ;   in Loop: Header=BB440_13 Depth=1
	s_or_b32 exec_lo, exec_lo, s6
	s_and_saveexec_b32 s6, s0
	s_cbranch_execz .LBB440_29
.LBB440_28:                             ;   in Loop: Header=BB440_13 Depth=1
	ds_store_b32 v29, v31
.LBB440_29:                             ;   in Loop: Header=BB440_13 Depth=1
	s_or_b32 exec_lo, exec_lo, s6
	ds_bpermute_b32 v34, v24, v33
	s_waitcnt lgkmcnt(0)
	s_barrier
	buffer_gl0_inv
	v_add_f32_e32 v33, v33, v34
	ds_bpermute_b32 v34, v25, v33
	s_waitcnt lgkmcnt(0)
	v_add_f32_e32 v33, v33, v34
	ds_bpermute_b32 v34, v26, v33
	s_waitcnt lgkmcnt(0)
	;; [unrolled: 3-line block ×3, first 2 shown]
	v_add_f32_e32 v33, v33, v34
	ds_bpermute_b32 v34, v28, v33
	s_and_saveexec_b32 s6, s5
	s_cbranch_execz .LBB440_31
; %bb.30:                               ;   in Loop: Header=BB440_13 Depth=1
	s_waitcnt lgkmcnt(0)
	v_add_f32_e32 v33, v33, v34
	ds_store_b32 v30, v33
.LBB440_31:                             ;   in Loop: Header=BB440_13 Depth=1
	s_or_b32 exec_lo, exec_lo, s6
	v_mov_b32_e32 v33, 0
	s_waitcnt lgkmcnt(0)
	s_barrier
	buffer_gl0_inv
	s_and_saveexec_b32 s6, s1
	s_cbranch_execnz .LBB440_53
; %bb.32:                               ;   in Loop: Header=BB440_13 Depth=1
	s_or_b32 exec_lo, exec_lo, s6
	s_and_saveexec_b32 s6, s0
	s_cbranch_execnz .LBB440_54
.LBB440_33:                             ;   in Loop: Header=BB440_13 Depth=1
	s_or_b32 exec_lo, exec_lo, s6
	s_and_saveexec_b32 s6, s0
	s_cbranch_execz .LBB440_35
.LBB440_34:                             ;   in Loop: Header=BB440_13 Depth=1
	ds_store_b32 v29, v31
.LBB440_35:                             ;   in Loop: Header=BB440_13 Depth=1
	s_or_b32 exec_lo, exec_lo, s6
	ds_bpermute_b32 v34, v24, v32
	s_waitcnt lgkmcnt(0)
	s_barrier
	buffer_gl0_inv
	v_add_f32_e32 v32, v32, v34
	ds_bpermute_b32 v34, v25, v32
	s_waitcnt lgkmcnt(0)
	v_add_f32_e32 v32, v32, v34
	ds_bpermute_b32 v34, v26, v32
	s_waitcnt lgkmcnt(0)
	;; [unrolled: 3-line block ×3, first 2 shown]
	v_add_f32_e32 v32, v32, v34
	ds_bpermute_b32 v34, v28, v32
	s_and_saveexec_b32 s6, s5
	s_cbranch_execz .LBB440_37
; %bb.36:                               ;   in Loop: Header=BB440_13 Depth=1
	s_waitcnt lgkmcnt(0)
	v_add_f32_e32 v32, v32, v34
	ds_store_b32 v30, v32
.LBB440_37:                             ;   in Loop: Header=BB440_13 Depth=1
	s_or_b32 exec_lo, exec_lo, s6
	v_mov_b32_e32 v32, 0
	s_waitcnt lgkmcnt(0)
	s_barrier
	buffer_gl0_inv
	s_and_saveexec_b32 s6, s1
	s_cbranch_execnz .LBB440_55
; %bb.38:                               ;   in Loop: Header=BB440_13 Depth=1
	s_or_b32 exec_lo, exec_lo, s6
	s_and_saveexec_b32 s6, s0
	s_cbranch_execnz .LBB440_56
.LBB440_39:                             ;   in Loop: Header=BB440_13 Depth=1
	s_or_b32 exec_lo, exec_lo, s6
	s_and_saveexec_b32 s6, s2
	s_cbranch_execz .LBB440_12
	s_branch .LBB440_57
.LBB440_40:                             ;   in Loop: Header=BB440_13 Depth=1
	s_mul_i32 s26, s17, s16
	s_delay_alu instid0(SALU_CYCLE_1)
	s_ashr_i32 s27, s26, 31
	s_add_i32 s38, s26, s16
	s_lshl_b64 s[26:27], s[26:27], 1
	s_ashr_i32 s39, s38, 31
	v_add_co_u32 v1, vcc_lo, v17, s26
	v_add_co_ci_u32_e32 v2, vcc_lo, s27, v18, vcc_lo
	s_lshl_b64 s[26:27], s[38:39], 1
	s_add_i32 s38, s38, s16
	v_add_co_u32 v3, vcc_lo, v17, s26
	s_ashr_i32 s39, s38, 31
	s_add_i32 s26, s38, s16
	s_lshl_b64 s[38:39], s[38:39], 1
	v_add_co_ci_u32_e32 v4, vcc_lo, s27, v18, vcc_lo
	s_ashr_i32 s27, s26, 31
	v_add_co_u32 v15, vcc_lo, v17, s38
	s_lshl_b64 s[26:27], s[26:27], 1
	v_add_co_ci_u32_e32 v16, vcc_lo, s39, v18, vcc_lo
	s_waitcnt lgkmcnt(0)
	v_add_co_u32 v32, vcc_lo, v17, s26
	v_add_co_ci_u32_e32 v33, vcc_lo, s27, v18, vcc_lo
	flat_load_u16 v40, v[7:8]
	s_clause 0x3
	flat_load_b64 v[34:35], v[1:2]
	flat_load_b64 v[36:37], v[3:4]
	;; [unrolled: 1-line block ×4, first 2 shown]
	s_clause 0x2
	flat_load_u16 v3, v[9:10]
	flat_load_u16 v4, v[11:12]
	;; [unrolled: 1-line block ×3, first 2 shown]
	s_waitcnt vmcnt(7) lgkmcnt(7)
	v_cvt_f32_f16_e32 v1, v40
	s_waitcnt vmcnt(6) lgkmcnt(6)
	v_fma_mix_f32 v33, v40, v34, 0 op_sel_hi:[1,1,0]
	s_waitcnt vmcnt(5) lgkmcnt(5)
	v_fma_mix_f32 v41, v40, v36, 0 op_sel_hi:[1,1,0]
	s_waitcnt vmcnt(4) lgkmcnt(4)
	v_fma_mix_f32 v42, v40, v15, 0 op_sel_hi:[1,1,0]
	s_waitcnt vmcnt(3) lgkmcnt(3)
	v_fma_mix_f32 v40, v40, v38, 0 op_sel_hi:[1,1,0]
	s_waitcnt vmcnt(2) lgkmcnt(2)
	v_cvt_f32_f16_e32 v2, v3
	v_fma_mix_f32 v33, v3, v34, v33 op_sel:[0,1,0] op_sel_hi:[1,1,0]
	v_fma_mix_f32 v34, v3, v36, v41 op_sel:[0,1,0] op_sel_hi:[1,1,0]
	v_fma_mix_f32 v15, v3, v15, v42 op_sel:[0,1,0] op_sel_hi:[1,1,0]
	v_fma_mix_f32 v36, v3, v38, v40 op_sel:[0,1,0] op_sel_hi:[1,1,0]
	s_waitcnt vmcnt(1) lgkmcnt(1)
	v_cvt_f32_f16_e32 v3, v4
	v_fma_mix_f32 v33, v4, v35, v33 op_sel_hi:[1,1,0]
	v_fma_mix_f32 v34, v4, v37, v34 op_sel_hi:[1,1,0]
	;; [unrolled: 1-line block ×4, first 2 shown]
	s_waitcnt vmcnt(0) lgkmcnt(0)
	v_cvt_f32_f16_e32 v4, v32
	v_fma_mix_f32 v35, v32, v35, v33 op_sel:[0,1,0] op_sel_hi:[1,1,0]
	v_fma_mix_f32 v34, v32, v37, v34 op_sel:[0,1,0] op_sel_hi:[1,1,0]
	;; [unrolled: 1-line block ×4, first 2 shown]
	s_and_not1_saveexec_b32 s18, s6
	s_cbranch_execz .LBB440_15
.LBB440_41:                             ;   in Loop: Header=BB440_13 Depth=1
	s_waitcnt lgkmcnt(0)
	v_dual_mov_b32 v32, 0 :: v_dual_mov_b32 v33, 0
	v_dual_mov_b32 v34, 0 :: v_dual_mov_b32 v35, 0
	s_and_saveexec_b32 s37, s4
	s_cbranch_execz .LBB440_48
; %bb.42:                               ;   in Loop: Header=BB440_13 Depth=1
	s_and_not1_b32 vcc_lo, exec_lo, s33
	s_cbranch_vccnz .LBB440_45
; %bb.43:                               ;   in Loop: Header=BB440_13 Depth=1
	v_mov_b32_e32 v15, v6
	s_mov_b64 s[26:27], 0
	.p2align	6
.LBB440_44:                             ;   Parent Loop BB440_13 Depth=1
                                        ; =>  This Inner Loop Header: Depth=2
	s_delay_alu instid0(VALU_DEP_1) | instskip(SKIP_1) | instid1(VALU_DEP_1)
	v_ashrrev_i32_e32 v16, 31, v15
	s_cmp_eq_u32 s26, 3
	v_lshlrev_b64 v[32:33], 1, v[15:16]
	s_delay_alu instid0(VALU_DEP_1) | instskip(NEXT) | instid1(VALU_DEP_2)
	v_add_co_u32 v32, vcc_lo, s12, v32
	v_add_co_ci_u32_e32 v33, vcc_lo, s13, v33, vcc_lo
	s_cselect_b32 vcc_lo, -1, 0
	s_cmp_eq_u32 s26, 2
	s_cselect_b32 s6, -1, 0
	flat_load_u16 v16, v[32:33]
	s_cmp_eq_u32 s26, 1
	s_cselect_b32 s7, -1, 0
	s_cmp_eq_u32 s26, 0
	s_waitcnt vmcnt(0) lgkmcnt(0)
	v_cvt_f32_f16_e32 v16, v16
	s_delay_alu instid0(VALU_DEP_1)
	v_dual_cndmask_b32 v4, v4, v16 :: v_dual_add_nc_u32 v15, s11, v15
	s_cselect_b32 vcc_lo, -1, 0
	v_cndmask_b32_e64 v3, v3, v16, s6
	v_cndmask_b32_e64 v2, v2, v16, s7
	v_cndmask_b32_e32 v1, v1, v16, vcc_lo
	s_add_u32 s26, s26, 1
	s_addc_u32 s27, s27, 0
	s_cmp_eq_u32 s29, s26
	s_cbranch_scc0 .LBB440_44
.LBB440_45:                             ;   in Loop: Header=BB440_13 Depth=1
	v_dual_mov_b32 v32, 0 :: v_dual_mov_b32 v33, 0
	v_dual_mov_b32 v34, 0 :: v_dual_mov_b32 v35, 0
	s_and_not1_b32 vcc_lo, exec_lo, s33
	s_cbranch_vccnz .LBB440_48
; %bb.46:                               ;   in Loop: Header=BB440_13 Depth=1
	s_ashr_i32 s21, s20, 31
	v_dual_mov_b32 v35, 0 :: v_dual_mov_b32 v34, 0
	s_lshl_b64 s[6:7], s[20:21], 1
	v_dual_mov_b32 v33, 0 :: v_dual_mov_b32 v32, 0
	v_add_co_u32 v15, vcc_lo, v17, s6
	v_add_co_ci_u32_e32 v16, vcc_lo, s7, v18, vcc_lo
	s_mov_b64 s[26:27], 0
.LBB440_47:                             ;   Parent Loop BB440_13 Depth=1
                                        ; =>  This Inner Loop Header: Depth=2
	s_delay_alu instid0(SALU_CYCLE_1)
	s_cmp_eq_u32 s26, 1
	s_cselect_b32 vcc_lo, -1, 0
	s_cmp_eq_u32 s26, 2
	v_cndmask_b32_e32 v36, v1, v2, vcc_lo
	s_cselect_b32 vcc_lo, -1, 0
	s_cmp_eq_u32 s26, 3
	s_delay_alu instid0(VALU_DEP_1)
	v_cndmask_b32_e32 v42, v36, v3, vcc_lo
	s_cselect_b32 vcc_lo, -1, 0
	s_add_i32 s6, s24, s26
	s_add_i32 s38, s22, s26
	s_ashr_i32 s7, s6, 31
	s_ashr_i32 s39, s38, 31
	s_lshl_b64 s[6:7], s[6:7], 1
	s_add_i32 s40, s35, s26
	v_add_co_u32 v36, s6, v17, s6
	s_lshl_b64 s[38:39], s[38:39], 1
	s_ashr_i32 s41, s40, 31
	v_add_co_ci_u32_e64 v37, s6, s7, v18, s6
	v_add_co_u32 v38, s6, v17, s38
	s_lshl_b64 s[40:41], s[40:41], 1
	v_add_co_ci_u32_e64 v39, s6, s39, v18, s6
	v_add_co_u32 v40, s6, v17, s40
	s_delay_alu instid0(VALU_DEP_1)
	v_add_co_ci_u32_e64 v41, s6, s41, v18, s6
	flat_load_u16 v43, v[15:16]
	s_clause 0x2
	flat_load_u16 v36, v[36:37]
	flat_load_u16 v37, v[38:39]
	;; [unrolled: 1-line block ×3, first 2 shown]
	v_cndmask_b32_e32 v39, v42, v4, vcc_lo
	v_add_co_u32 v15, s6, v15, 2
	s_delay_alu instid0(VALU_DEP_1)
	v_add_co_ci_u32_e64 v16, s6, 0, v16, s6
	s_add_u32 s26, s26, 1
	s_addc_u32 s27, s27, 0
	s_cmp_lg_u32 s29, s26
	s_waitcnt vmcnt(3) lgkmcnt(3)
	v_fma_mix_f32 v35, v39, v43, v35 op_sel_hi:[0,1,0]
	s_waitcnt vmcnt(2) lgkmcnt(2)
	v_fma_mix_f32 v34, v39, v36, v34 op_sel_hi:[0,1,0]
	;; [unrolled: 2-line block ×4, first 2 shown]
	s_cbranch_scc1 .LBB440_47
.LBB440_48:                             ;   in Loop: Header=BB440_13 Depth=1
	s_or_b32 exec_lo, exec_lo, s37
	s_delay_alu instid0(SALU_CYCLE_1)
	s_or_b32 exec_lo, exec_lo, s18
	s_and_saveexec_b32 s6, s0
	s_cbranch_execnz .LBB440_16
	s_branch .LBB440_17
.LBB440_49:                             ;   in Loop: Header=BB440_13 Depth=1
	ds_load_b32 v15, v29
	s_or_b32 exec_lo, exec_lo, s6
	s_and_saveexec_b32 s6, s0
	s_cbranch_execz .LBB440_21
.LBB440_50:                             ;   in Loop: Header=BB440_13 Depth=1
	s_waitcnt lgkmcnt(0)
	ds_bpermute_b32 v16, v26, v15
	s_waitcnt lgkmcnt(0)
	v_add_f32_e32 v15, v15, v16
	ds_bpermute_b32 v16, v27, v15
	s_waitcnt lgkmcnt(0)
	v_add_f32_e32 v15, v15, v16
	;; [unrolled: 3-line block ×3, first 2 shown]
	s_or_b32 exec_lo, exec_lo, s6
	s_and_saveexec_b32 s6, s0
	s_cbranch_execnz .LBB440_22
	s_branch .LBB440_23
.LBB440_51:                             ;   in Loop: Header=BB440_13 Depth=1
	ds_load_b32 v16, v29
	s_or_b32 exec_lo, exec_lo, s6
	s_and_saveexec_b32 s6, s0
	s_cbranch_execz .LBB440_27
.LBB440_52:                             ;   in Loop: Header=BB440_13 Depth=1
	s_waitcnt lgkmcnt(0)
	ds_bpermute_b32 v34, v26, v16
	s_waitcnt lgkmcnt(0)
	v_add_f32_e32 v16, v16, v34
	ds_bpermute_b32 v34, v27, v16
	s_waitcnt lgkmcnt(0)
	v_add_f32_e32 v16, v16, v34
	;; [unrolled: 3-line block ×3, first 2 shown]
	s_or_b32 exec_lo, exec_lo, s6
	s_and_saveexec_b32 s6, s0
	s_cbranch_execnz .LBB440_28
	s_branch .LBB440_29
.LBB440_53:                             ;   in Loop: Header=BB440_13 Depth=1
	ds_load_b32 v33, v29
	s_or_b32 exec_lo, exec_lo, s6
	s_and_saveexec_b32 s6, s0
	s_cbranch_execz .LBB440_33
.LBB440_54:                             ;   in Loop: Header=BB440_13 Depth=1
	s_waitcnt lgkmcnt(0)
	ds_bpermute_b32 v34, v26, v33
	s_waitcnt lgkmcnt(0)
	v_add_f32_e32 v33, v33, v34
	ds_bpermute_b32 v34, v27, v33
	s_waitcnt lgkmcnt(0)
	v_add_f32_e32 v33, v33, v34
	;; [unrolled: 3-line block ×3, first 2 shown]
	s_or_b32 exec_lo, exec_lo, s6
	s_and_saveexec_b32 s6, s0
	s_cbranch_execnz .LBB440_34
	s_branch .LBB440_35
.LBB440_55:                             ;   in Loop: Header=BB440_13 Depth=1
	ds_load_b32 v32, v29
	s_or_b32 exec_lo, exec_lo, s6
	s_and_saveexec_b32 s6, s0
	s_cbranch_execz .LBB440_39
.LBB440_56:                             ;   in Loop: Header=BB440_13 Depth=1
	s_waitcnt lgkmcnt(0)
	ds_bpermute_b32 v34, v26, v32
	s_waitcnt lgkmcnt(0)
	v_add_f32_e32 v32, v32, v34
	ds_bpermute_b32 v34, v27, v32
	s_waitcnt lgkmcnt(0)
	v_add_f32_e32 v32, v32, v34
	ds_bpermute_b32 v34, v28, v32
	s_waitcnt lgkmcnt(0)
	v_add_f32_e32 v32, v32, v34
	s_or_b32 exec_lo, exec_lo, s6
	s_and_saveexec_b32 s6, s2
	s_cbranch_execz .LBB440_12
.LBB440_57:                             ;   in Loop: Header=BB440_13 Depth=1
	s_mul_i32 s7, s17, s10
	v_dual_mul_f32 v15, s28, v15 :: v_dual_mul_f32 v16, s28, v16
	s_add_i32 s18, s7, s14
	v_mul_f32_e32 v33, s28, v33
	s_lshl_b64 s[26:27], s[18:19], 2
	s_delay_alu instid0(SALU_CYCLE_1)
	s_add_u32 s26, s30, s26
	s_addc_u32 s27, s31, s27
	s_add_i32 s18, s18, s10
	global_store_b32 v31, v15, s[26:27]
	s_lshl_b64 s[38:39], s[18:19], 2
	s_waitcnt lgkmcnt(0)
	v_mul_f32_e32 v15, s28, v32
	s_add_u32 s38, s30, s38
	s_addc_u32 s39, s31, s39
	s_add_i32 s18, s18, s10
	global_store_b32 v31, v16, s[38:39]
	s_lshl_b64 s[40:41], s[18:19], 2
	s_delay_alu instid0(SALU_CYCLE_1) | instskip(SKIP_2) | instid1(SALU_CYCLE_1)
	s_add_u32 s26, s30, s40
	s_addc_u32 s27, s31, s41
	s_add_i32 s18, s18, s10
	s_lshl_b64 s[40:41], s[18:19], 2
	s_delay_alu instid0(SALU_CYCLE_1)
	s_add_u32 s38, s30, s40
	s_addc_u32 s39, s31, s41
	s_clause 0x1
	global_store_b32 v31, v33, s[26:27]
	global_store_b32 v31, v15, s[38:39]
	s_branch .LBB440_12
.LBB440_58:
	s_mov_b32 s17, 0
                                        ; implicit-def: $vgpr1_vgpr2_vgpr3_vgpr4
.LBB440_59:
	s_delay_alu instid0(SALU_CYCLE_1)
	s_cmp_ge_i32 s17, s9
	s_cbranch_scc1 .LBB440_83
; %bb.60:
	v_cmp_gt_u32_e32 vcc_lo, 16, v21
	v_cmp_ge_i32_e64 s1, s8, v23
	v_cmp_gt_u32_e64 s2, 32, v0
	v_cmp_gt_u32_e64 s4, 8, v0
	v_cmp_eq_u32_e64 s5, 0, v0
	v_cndmask_b32_e64 v6, 0, 1, vcc_lo
	v_cmp_gt_u32_e32 vcc_lo, 24, v21
	v_cmp_ge_i32_e64 s0, s8, v22
	s_cmp_gt_i32 s29, 0
	s_mov_b32 s15, 0
	v_lshlrev_b32_e32 v6, 4, v6
	v_cndmask_b32_e64 v7, 0, 1, vcc_lo
	v_cmp_gt_u32_e32 vcc_lo, 28, v21
	s_cselect_b32 s8, -1, 0
	v_lshlrev_b32_e32 v16, 2, v19
	s_delay_alu instid0(VALU_DEP_3)
	v_dual_mov_b32 v0, 0 :: v_dual_lshlrev_b32 v7, 3, v7
	v_cndmask_b32_e64 v8, 0, 1, vcc_lo
	v_cmp_gt_u32_e32 vcc_lo, 30, v21
	v_add_lshl_u32 v22, v6, v21, 2
	v_ashrrev_i32_e32 v6, 31, v5
	v_add_lshl_u32 v23, v7, v21, 2
	v_lshlrev_b32_e32 v8, 2, v8
	v_cndmask_b32_e64 v9, 0, 1, vcc_lo
	v_cmp_ne_u32_e32 vcc_lo, 31, v21
	v_add_nc_u32_e32 v7, s11, v5
	v_lshlrev_b64 v[11:12], 1, v[5:6]
	v_add_lshl_u32 v24, v8, v21, 2
	v_lshlrev_b32_e32 v9, 1, v9
	v_add_co_ci_u32_e32 v10, vcc_lo, 0, v21, vcc_lo
	v_ashrrev_i32_e32 v8, 31, v7
	v_add_co_u32 v6, vcc_lo, s12, v11
	s_delay_alu instid0(VALU_DEP_4) | instskip(SKIP_4) | instid1(VALU_DEP_4)
	v_add_lshl_u32 v21, v9, v21, 2
	v_add_nc_u32_e32 v9, s11, v7
	v_lshlrev_b32_e32 v25, 2, v10
	v_lshlrev_b64 v[13:14], 1, v[7:8]
	v_add_co_ci_u32_e32 v7, vcc_lo, s13, v12, vcc_lo
	v_add_nc_u32_e32 v26, s11, v9
	v_ashrrev_i32_e32 v10, 31, v9
	v_cmp_eq_u32_e64 s3, 0, v19
	v_add_co_u32 v8, vcc_lo, s12, v13
	s_delay_alu instid0(VALU_DEP_4) | instskip(NEXT) | instid1(VALU_DEP_4)
	v_ashrrev_i32_e32 v27, 31, v26
	v_lshlrev_b64 v[10:11], 1, v[9:10]
	v_add_co_ci_u32_e32 v9, vcc_lo, s13, v14, vcc_lo
	v_and_b32_e32 v19, 28, v20
	s_delay_alu instid0(VALU_DEP_4) | instskip(SKIP_1) | instid1(VALU_DEP_4)
	v_lshlrev_b64 v[12:13], 1, v[26:27]
	s_lshl_b64 s[6:7], s[14:15], 2
	v_add_co_u32 v10, vcc_lo, s12, v10
	v_add_co_ci_u32_e32 v11, vcc_lo, s13, v11, vcc_lo
	s_delay_alu instid0(VALU_DEP_3) | instskip(NEXT) | instid1(VALU_DEP_4)
	v_add_co_u32 v12, vcc_lo, s12, v12
	v_add_co_ci_u32_e32 v13, vcc_lo, s13, v13, vcc_lo
	s_add_u32 s14, s30, s6
	s_addc_u32 s22, s31, s7
	s_mul_i32 s18, s17, s16
	s_branch .LBB440_62
.LBB440_61:                             ;   in Loop: Header=BB440_62 Depth=1
	s_or_b32 exec_lo, exec_lo, s6
	s_add_i32 s17, s17, 1
	s_add_i32 s18, s18, s16
	s_cmp_ge_i32 s17, s9
	s_cbranch_scc1 .LBB440_83
.LBB440_62:                             ; =>This Loop Header: Depth=1
                                        ;     Child Loop BB440_75 Depth 2
                                        ;     Child Loop BB440_78 Depth 2
	v_mov_b32_e32 v20, s15
	s_and_saveexec_b32 s6, s0
	s_delay_alu instid0(SALU_CYCLE_1)
	s_xor_b32 s6, exec_lo, s6
	s_cbranch_execnz .LBB440_71
; %bb.63:                               ;   in Loop: Header=BB440_62 Depth=1
	s_and_not1_saveexec_b32 s23, s6
	s_cbranch_execnz .LBB440_72
.LBB440_64:                             ;   in Loop: Header=BB440_62 Depth=1
	s_or_b32 exec_lo, exec_lo, s23
	s_and_saveexec_b32 s6, s2
	s_cbranch_execz .LBB440_66
.LBB440_65:                             ;   in Loop: Header=BB440_62 Depth=1
	ds_store_b32 v16, v0
.LBB440_66:                             ;   in Loop: Header=BB440_62 Depth=1
	s_or_b32 exec_lo, exec_lo, s6
	s_waitcnt lgkmcnt(0)
	ds_bpermute_b32 v14, v22, v20
	s_waitcnt lgkmcnt(0)
	s_waitcnt_vscnt null, 0x0
	s_barrier
	buffer_gl0_inv
	v_add_f32_e32 v14, v20, v14
	ds_bpermute_b32 v15, v23, v14
	s_waitcnt lgkmcnt(0)
	v_add_f32_e32 v14, v14, v15
	ds_bpermute_b32 v15, v24, v14
	s_waitcnt lgkmcnt(0)
	;; [unrolled: 3-line block ×3, first 2 shown]
	v_add_f32_e32 v14, v14, v15
	ds_bpermute_b32 v15, v25, v14
	s_and_saveexec_b32 s6, s3
	s_cbranch_execz .LBB440_68
; %bb.67:                               ;   in Loop: Header=BB440_62 Depth=1
	s_waitcnt lgkmcnt(0)
	v_add_f32_e32 v14, v14, v15
	ds_store_b32 v19, v14
.LBB440_68:                             ;   in Loop: Header=BB440_62 Depth=1
	s_or_b32 exec_lo, exec_lo, s6
	v_mov_b32_e32 v14, 0
	s_waitcnt lgkmcnt(0)
	s_barrier
	buffer_gl0_inv
	s_and_saveexec_b32 s6, s4
	s_cbranch_execnz .LBB440_80
; %bb.69:                               ;   in Loop: Header=BB440_62 Depth=1
	s_or_b32 exec_lo, exec_lo, s6
	s_and_saveexec_b32 s6, s2
	s_cbranch_execnz .LBB440_81
.LBB440_70:                             ;   in Loop: Header=BB440_62 Depth=1
	s_or_b32 exec_lo, exec_lo, s6
	s_and_saveexec_b32 s6, s5
	s_cbranch_execz .LBB440_61
	s_branch .LBB440_82
.LBB440_71:                             ;   in Loop: Header=BB440_62 Depth=1
	s_mul_i32 s20, s17, s16
	s_delay_alu instid0(SALU_CYCLE_1) | instskip(NEXT) | instid1(SALU_CYCLE_1)
	s_ashr_i32 s21, s20, 31
	s_lshl_b64 s[20:21], s[20:21], 1
	s_delay_alu instid0(SALU_CYCLE_1)
	v_add_co_u32 v1, vcc_lo, v17, s20
	v_add_co_ci_u32_e32 v2, vcc_lo, s21, v18, vcc_lo
	s_waitcnt lgkmcnt(0)
	flat_load_b64 v[14:15], v[1:2]
	s_clause 0x3
	flat_load_u16 v1, v[6:7]
	flat_load_u16 v2, v[8:9]
	;; [unrolled: 1-line block ×4, first 2 shown]
	s_waitcnt vmcnt(3) lgkmcnt(3)
	v_fma_mix_f32 v4, v1, v14, 0 op_sel_hi:[1,1,0]
	v_cvt_f32_f16_e32 v1, v1
	s_waitcnt vmcnt(2) lgkmcnt(2)
	s_delay_alu instid0(VALU_DEP_2) | instskip(SKIP_2) | instid1(VALU_DEP_2)
	v_fma_mix_f32 v4, v2, v14, v4 op_sel:[0,1,0] op_sel_hi:[1,1,0]
	v_cvt_f32_f16_e32 v2, v2
	s_waitcnt vmcnt(1) lgkmcnt(1)
	v_fma_mix_f32 v14, v3, v15, v4 op_sel_hi:[1,1,0]
	v_cvt_f32_f16_e32 v3, v3
	s_waitcnt vmcnt(0) lgkmcnt(0)
	v_cvt_f32_f16_e32 v4, v20
	s_delay_alu instid0(VALU_DEP_3)
	v_fma_mix_f32 v20, v20, v15, v14 op_sel:[0,1,0] op_sel_hi:[1,1,0]
	s_and_not1_saveexec_b32 s23, s6
	s_cbranch_execz .LBB440_64
.LBB440_72:                             ;   in Loop: Header=BB440_62 Depth=1
	s_and_saveexec_b32 s24, s1
	s_cbranch_execz .LBB440_79
; %bb.73:                               ;   in Loop: Header=BB440_62 Depth=1
	s_and_not1_b32 vcc_lo, exec_lo, s8
	s_cbranch_vccnz .LBB440_76
; %bb.74:                               ;   in Loop: Header=BB440_62 Depth=1
	s_waitcnt lgkmcnt(0)
	v_mov_b32_e32 v14, v5
	s_mov_b64 s[20:21], 0
	.p2align	6
.LBB440_75:                             ;   Parent Loop BB440_62 Depth=1
                                        ; =>  This Inner Loop Header: Depth=2
	s_delay_alu instid0(VALU_DEP_1) | instskip(SKIP_1) | instid1(VALU_DEP_1)
	v_ashrrev_i32_e32 v15, 31, v14
	s_cmp_eq_u32 s20, 3
	v_lshlrev_b64 v[26:27], 1, v[14:15]
	s_delay_alu instid0(VALU_DEP_1) | instskip(NEXT) | instid1(VALU_DEP_2)
	v_add_co_u32 v26, vcc_lo, s12, v26
	v_add_co_ci_u32_e32 v27, vcc_lo, s13, v27, vcc_lo
	s_cselect_b32 vcc_lo, -1, 0
	s_cmp_eq_u32 s20, 2
	s_cselect_b32 s6, -1, 0
	flat_load_u16 v15, v[26:27]
	s_cmp_eq_u32 s20, 1
	s_cselect_b32 s7, -1, 0
	s_cmp_eq_u32 s20, 0
	s_waitcnt vmcnt(0) lgkmcnt(0)
	v_cvt_f32_f16_e32 v15, v15
	s_delay_alu instid0(VALU_DEP_1)
	v_cndmask_b32_e32 v4, v4, v15, vcc_lo
	s_cselect_b32 vcc_lo, -1, 0
	v_dual_cndmask_b32 v1, v1, v15 :: v_dual_add_nc_u32 v14, s11, v14
	v_cndmask_b32_e64 v3, v3, v15, s6
	v_cndmask_b32_e64 v2, v2, v15, s7
	s_add_u32 s20, s20, 1
	s_addc_u32 s21, s21, 0
	s_cmp_eq_u32 s29, s20
	s_cbranch_scc0 .LBB440_75
.LBB440_76:                             ;   in Loop: Header=BB440_62 Depth=1
	s_and_not1_b32 vcc_lo, exec_lo, s8
	s_cbranch_vccnz .LBB440_79
; %bb.77:                               ;   in Loop: Header=BB440_62 Depth=1
	s_ashr_i32 s19, s18, 31
	s_delay_alu instid0(SALU_CYCLE_1)
	s_lshl_b64 s[6:7], s[18:19], 1
	s_waitcnt lgkmcnt(0)
	v_add_co_u32 v14, vcc_lo, v17, s6
	v_add_co_ci_u32_e32 v15, vcc_lo, s7, v18, vcc_lo
	s_mov_b64 s[6:7], 0
	.p2align	6
.LBB440_78:                             ;   Parent Loop BB440_62 Depth=1
                                        ; =>  This Inner Loop Header: Depth=2
	flat_load_u16 v26, v[14:15]
	s_cmp_eq_u32 s6, 1
	s_cselect_b32 vcc_lo, -1, 0
	s_cmp_eq_u32 s6, 2
	v_cndmask_b32_e32 v27, v1, v2, vcc_lo
	s_cselect_b32 vcc_lo, -1, 0
	s_cmp_eq_u32 s6, 3
	s_delay_alu instid0(VALU_DEP_1)
	v_cndmask_b32_e32 v27, v27, v3, vcc_lo
	s_cselect_b32 vcc_lo, -1, 0
	s_add_u32 s6, s6, 1
	s_addc_u32 s7, s7, 0
	s_cmp_lg_u32 s29, s6
	v_cndmask_b32_e32 v27, v27, v4, vcc_lo
	v_add_co_u32 v14, vcc_lo, v14, 2
	v_add_co_ci_u32_e32 v15, vcc_lo, 0, v15, vcc_lo
	s_waitcnt vmcnt(0) lgkmcnt(0)
	s_delay_alu instid0(VALU_DEP_3)
	v_fma_mix_f32 v20, v27, v26, v20 op_sel_hi:[0,1,0]
	s_cbranch_scc1 .LBB440_78
.LBB440_79:                             ;   in Loop: Header=BB440_62 Depth=1
	s_or_b32 exec_lo, exec_lo, s24
	s_delay_alu instid0(SALU_CYCLE_1)
	s_or_b32 exec_lo, exec_lo, s23
	s_and_saveexec_b32 s6, s2
	s_cbranch_execnz .LBB440_65
	s_branch .LBB440_66
.LBB440_80:                             ;   in Loop: Header=BB440_62 Depth=1
	ds_load_b32 v14, v16
	s_or_b32 exec_lo, exec_lo, s6
	s_and_saveexec_b32 s6, s2
	s_cbranch_execz .LBB440_70
.LBB440_81:                             ;   in Loop: Header=BB440_62 Depth=1
	s_waitcnt lgkmcnt(0)
	ds_bpermute_b32 v15, v24, v14
	s_waitcnt lgkmcnt(0)
	v_add_f32_e32 v14, v14, v15
	ds_bpermute_b32 v15, v21, v14
	s_waitcnt lgkmcnt(0)
	v_add_f32_e32 v14, v14, v15
	;; [unrolled: 3-line block ×3, first 2 shown]
	s_or_b32 exec_lo, exec_lo, s6
	s_and_saveexec_b32 s6, s5
	s_cbranch_execz .LBB440_61
.LBB440_82:                             ;   in Loop: Header=BB440_62 Depth=1
	s_mul_hi_u32 s21, s17, s10
	s_mul_i32 s20, s17, s10
	s_waitcnt lgkmcnt(0)
	v_mul_f32_e32 v14, s28, v14
	s_lshl_b64 s[20:21], s[20:21], 2
	s_delay_alu instid0(SALU_CYCLE_1)
	s_add_u32 s20, s14, s20
	s_addc_u32 s21, s22, s21
	global_store_b32 v0, v14, s[20:21]
	s_branch .LBB440_61
.LBB440_83:
	s_nop 0
	s_sendmsg sendmsg(MSG_DEALLOC_VGPRS)
	s_endpgm
	.section	.rodata,"a",@progbits
	.p2align	6, 0x0
	.amdhsa_kernel _ZL23rocblas_gemvt_sn_kernelILb0ELi256ELi4EiPKDF16_PKffEviiT4_lPKT3_lilS7_lilPT5_i
		.amdhsa_group_segment_fixed_size 128
		.amdhsa_private_segment_fixed_size 0
		.amdhsa_kernarg_size 360
		.amdhsa_user_sgpr_count 14
		.amdhsa_user_sgpr_dispatch_ptr 0
		.amdhsa_user_sgpr_queue_ptr 0
		.amdhsa_user_sgpr_kernarg_segment_ptr 1
		.amdhsa_user_sgpr_dispatch_id 0
		.amdhsa_user_sgpr_private_segment_size 0
		.amdhsa_wavefront_size32 1
		.amdhsa_uses_dynamic_stack 0
		.amdhsa_enable_private_segment 0
		.amdhsa_system_sgpr_workgroup_id_x 1
		.amdhsa_system_sgpr_workgroup_id_y 0
		.amdhsa_system_sgpr_workgroup_id_z 1
		.amdhsa_system_sgpr_workgroup_info 0
		.amdhsa_system_vgpr_workitem_id 0
		.amdhsa_next_free_vgpr 44
		.amdhsa_next_free_sgpr 42
		.amdhsa_reserve_vcc 1
		.amdhsa_float_round_mode_32 0
		.amdhsa_float_round_mode_16_64 0
		.amdhsa_float_denorm_mode_32 3
		.amdhsa_float_denorm_mode_16_64 3
		.amdhsa_dx10_clamp 1
		.amdhsa_ieee_mode 1
		.amdhsa_fp16_overflow 0
		.amdhsa_workgroup_processor_mode 1
		.amdhsa_memory_ordered 1
		.amdhsa_forward_progress 0
		.amdhsa_shared_vgpr_count 0
		.amdhsa_exception_fp_ieee_invalid_op 0
		.amdhsa_exception_fp_denorm_src 0
		.amdhsa_exception_fp_ieee_div_zero 0
		.amdhsa_exception_fp_ieee_overflow 0
		.amdhsa_exception_fp_ieee_underflow 0
		.amdhsa_exception_fp_ieee_inexact 0
		.amdhsa_exception_int_div_zero 0
	.end_amdhsa_kernel
	.section	.text._ZL23rocblas_gemvt_sn_kernelILb0ELi256ELi4EiPKDF16_PKffEviiT4_lPKT3_lilS7_lilPT5_i,"axG",@progbits,_ZL23rocblas_gemvt_sn_kernelILb0ELi256ELi4EiPKDF16_PKffEviiT4_lPKT3_lilS7_lilPT5_i,comdat
.Lfunc_end440:
	.size	_ZL23rocblas_gemvt_sn_kernelILb0ELi256ELi4EiPKDF16_PKffEviiT4_lPKT3_lilS7_lilPT5_i, .Lfunc_end440-_ZL23rocblas_gemvt_sn_kernelILb0ELi256ELi4EiPKDF16_PKffEviiT4_lPKT3_lilS7_lilPT5_i
                                        ; -- End function
	.section	.AMDGPU.csdata,"",@progbits
; Kernel info:
; codeLenInByte = 4260
; NumSgprs: 44
; NumVgprs: 44
; ScratchSize: 0
; MemoryBound: 0
; FloatMode: 240
; IeeeMode: 1
; LDSByteSize: 128 bytes/workgroup (compile time only)
; SGPRBlocks: 5
; VGPRBlocks: 5
; NumSGPRsForWavesPerEU: 44
; NumVGPRsForWavesPerEU: 44
; Occupancy: 16
; WaveLimiterHint : 0
; COMPUTE_PGM_RSRC2:SCRATCH_EN: 0
; COMPUTE_PGM_RSRC2:USER_SGPR: 14
; COMPUTE_PGM_RSRC2:TRAP_HANDLER: 0
; COMPUTE_PGM_RSRC2:TGID_X_EN: 1
; COMPUTE_PGM_RSRC2:TGID_Y_EN: 0
; COMPUTE_PGM_RSRC2:TGID_Z_EN: 1
; COMPUTE_PGM_RSRC2:TIDIG_COMP_CNT: 0
	.section	.text._ZL23rocblas_gemvt_sn_kernelILb0ELi256ELi4ElPKDF16_PKffEviiT4_lPKT3_lilS7_lilPT5_i,"axG",@progbits,_ZL23rocblas_gemvt_sn_kernelILb0ELi256ELi4ElPKDF16_PKffEviiT4_lPKT3_lilS7_lilPT5_i,comdat
	.globl	_ZL23rocblas_gemvt_sn_kernelILb0ELi256ELi4ElPKDF16_PKffEviiT4_lPKT3_lilS7_lilPT5_i ; -- Begin function _ZL23rocblas_gemvt_sn_kernelILb0ELi256ELi4ElPKDF16_PKffEviiT4_lPKT3_lilS7_lilPT5_i
	.p2align	8
	.type	_ZL23rocblas_gemvt_sn_kernelILb0ELi256ELi4ElPKDF16_PKffEviiT4_lPKT3_lilS7_lilPT5_i,@function
_ZL23rocblas_gemvt_sn_kernelILb0ELi256ELi4ElPKDF16_PKffEviiT4_lPKT3_lilS7_lilPT5_i: ; @_ZL23rocblas_gemvt_sn_kernelILb0ELi256ELi4ElPKDF16_PKffEviiT4_lPKT3_lilS7_lilPT5_i
; %bb.0:
	s_load_b256 s[4:11], s[0:1], 0x8
	s_mov_b32 s2, s15
	s_mov_b64 s[18:19], 0
	s_mov_b64 s[16:17], 0
	s_waitcnt lgkmcnt(0)
	s_mul_i32 s3, s15, s7
	s_mul_hi_u32 s7, s15, s6
	s_mul_i32 s6, s15, s6
	s_add_i32 s7, s7, s3
	s_mov_b32 s3, 0
	s_lshl_b64 s[6:7], s[6:7], 2
	s_delay_alu instid0(SALU_CYCLE_1)
	s_add_u32 s4, s4, s6
	s_addc_u32 s5, s5, s7
	s_load_b32 s33, s[4:5], 0x0
	s_waitcnt lgkmcnt(0)
	v_cmp_eq_f32_e64 s4, s33, 0
	v_cmp_neq_f32_e64 s5, s33, 0
	s_delay_alu instid0(VALU_DEP_2)
	s_and_b32 vcc_lo, exec_lo, s4
	s_cbranch_vccnz .LBB441_2
; %bb.1:
	s_lshl_b64 s[6:7], s[2:3], 3
	s_delay_alu instid0(SALU_CYCLE_1)
	s_add_u32 s6, s8, s6
	s_addc_u32 s7, s9, s7
	s_lshl_b64 s[8:9], s[10:11], 1
	s_load_b64 s[6:7], s[6:7], 0x0
	s_waitcnt lgkmcnt(0)
	s_add_u32 s16, s6, s8
	s_addc_u32 s17, s7, s9
.LBB441_2:
	s_delay_alu instid0(VALU_DEP_1)
	s_and_not1_b32 vcc_lo, exec_lo, s5
	s_cbranch_vccnz .LBB441_4
; %bb.3:
	s_load_b128 s[8:11], s[0:1], 0x38
	s_lshl_b64 s[6:7], s[2:3], 3
	s_waitcnt lgkmcnt(0)
	s_add_u32 s6, s8, s6
	s_addc_u32 s7, s9, s7
	s_lshl_b64 s[8:9], s[10:11], 1
	s_load_b64 s[6:7], s[6:7], 0x0
	s_waitcnt lgkmcnt(0)
	s_add_u32 s18, s6, s8
	s_addc_u32 s19, s7, s9
.LBB441_4:
	s_clause 0x2
	s_load_b64 s[8:9], s[0:1], 0x0
	s_load_b32 s10, s[0:1], 0x68
	s_load_b64 s[12:13], s[0:1], 0x58
	s_mov_b32 s11, 0
	s_waitcnt lgkmcnt(0)
	s_ashr_i32 s6, s9, 31
	s_mul_hi_u32 s3, s9, s2
	s_mul_i32 s5, s6, s2
	s_mul_i32 s2, s9, s2
	s_add_i32 s3, s3, s5
	s_mul_hi_u32 s5, s2, s10
	s_mul_i32 s3, s3, s10
	s_mul_i32 s2, s2, s10
	s_add_i32 s3, s5, s3
	s_delay_alu instid0(SALU_CYCLE_1) | instskip(NEXT) | instid1(SALU_CYCLE_1)
	s_lshl_b64 s[2:3], s[2:3], 2
	s_add_u32 s34, s12, s2
	s_addc_u32 s35, s13, s3
	s_and_not1_b32 vcc_lo, exec_lo, s4
	s_mov_b32 s2, -1
	s_cbranch_vccnz .LBB441_9
; %bb.5:
	v_cmp_eq_u32_e32 vcc_lo, 0, v0
	s_cmp_gt_i32 s9, 0
	s_cselect_b32 s2, -1, 0
	s_delay_alu instid0(SALU_CYCLE_1) | instskip(NEXT) | instid1(SALU_CYCLE_1)
	s_and_b32 s2, vcc_lo, s2
	s_and_saveexec_b32 s7, s2
	s_cbranch_execz .LBB441_8
; %bb.6:
	s_mov_b32 s15, 0
	v_mov_b32_e32 v1, 0
	s_lshl_b64 s[2:3], s[14:15], 2
	s_delay_alu instid0(SALU_CYCLE_1)
	s_add_u32 s2, s34, s2
	s_addc_u32 s3, s35, s3
	s_lshl_b64 s[4:5], s[10:11], 2
	s_mov_b32 s11, s9
.LBB441_7:                              ; =>This Inner Loop Header: Depth=1
	s_delay_alu instid0(SALU_CYCLE_1)
	s_add_i32 s11, s11, -1
	global_store_b32 v1, v1, s[2:3]
	s_add_u32 s2, s2, s4
	s_addc_u32 s3, s3, s5
	s_cmp_eq_u32 s11, 0
	s_cbranch_scc0 .LBB441_7
.LBB441_8:
	s_or_b32 exec_lo, exec_lo, s7
	s_mov_b32 s2, 0
.LBB441_9:
	s_delay_alu instid0(SALU_CYCLE_1)
	s_and_not1_b32 vcc_lo, exec_lo, s2
	s_cbranch_vccnz .LBB441_83
; %bb.10:
	s_lshl_b32 s2, s14, 10
	s_clause 0x1
	s_load_b32 s12, s[0:1], 0x28
	s_load_b32 s20, s[0:1], 0x48
	v_lshl_or_b32 v9, v0, 2, s2
	s_ashr_i32 s2, s8, 31
	s_lshr_b32 s1, s6, 30
	s_lshr_b32 s0, s2, 30
	s_add_i32 s1, s9, s1
	v_ashrrev_i32_e32 v10, 31, v9
	s_add_i32 s0, s8, s0
	s_and_b32 s36, s1, -4
	s_and_b32 s0, s0, -4
	v_add_nc_u32_e32 v28, 4, v9
	v_lshlrev_b64 v[7:8], 1, v[9:10]
	s_sub_i32 s11, s8, s0
	v_and_b32_e32 v25, 31, v0
	v_add_nc_u32_e32 v29, s11, v9
	v_cmp_gt_u32_e64 s0, 32, v0
	v_mbcnt_lo_u32_b32 v27, -1, 0
	v_add_co_u32 v5, vcc_lo, s16, v7
	v_add_co_ci_u32_e32 v6, vcc_lo, s17, v8, vcc_lo
	v_cmp_gt_u32_e64 s1, 8, v0
	v_lshrrev_b32_e32 v26, 3, v0
	v_cmp_eq_u32_e64 s2, 0, v0
	v_or_b32_e32 v24, 1, v9
	v_or_b32_e32 v23, 2, v9
	;; [unrolled: 1-line block ×3, first 2 shown]
	s_waitcnt lgkmcnt(0)
	s_ashr_i32 s13, s12, 31
	s_ashr_i32 s21, s20, 31
	s_cmp_lt_i32 s36, 1
	s_cbranch_scc1 .LBB441_58
; %bb.11:
	v_cmp_gt_u32_e32 vcc_lo, 16, v27
	v_mad_i64_i32 v[12:13], null, s20, v23, 0
	v_mad_i64_i32 v[14:15], null, s20, v22, 0
	v_cndmask_b32_e64 v1, 0, 1, vcc_lo
	v_cmp_gt_u32_e32 vcc_lo, 24, v27
	s_mov_b32 s15, 0
	s_cmp_gt_i32 s11, 0
	v_cmp_ge_i32_e64 s3, s8, v28
	v_lshlrev_b32_e32 v1, 4, v1
	v_cndmask_b32_e64 v2, 0, 1, vcc_lo
	v_cmp_gt_u32_e32 vcc_lo, 28, v27
	v_cmp_ge_i32_e64 s4, s8, v29
	s_cselect_b32 s37, -1, 0
	s_delay_alu instid0(VALU_DEP_3)
	v_dual_mov_b32 v37, 0 :: v_dual_lshlrev_b32 v2, 3, v2
	v_cndmask_b32_e64 v3, 0, 1, vcc_lo
	v_cmp_gt_u32_e32 vcc_lo, 30, v27
	v_cmp_eq_u32_e64 s5, 0, v25
	v_lshlrev_b32_e32 v35, 2, v25
	v_add_lshl_u32 v31, v2, v27, 2
	v_lshlrev_b32_e32 v3, 2, v3
	v_cndmask_b32_e64 v4, 0, 1, vcc_lo
	v_cmp_ne_u32_e32 vcc_lo, 31, v27
	v_dual_mov_b32 v19, v6 :: v_dual_mov_b32 v18, v5
	v_add_lshl_u32 v30, v1, v27, 2
	s_delay_alu instid0(VALU_DEP_4) | instskip(SKIP_3) | instid1(VALU_DEP_4)
	v_lshlrev_b32_e32 v4, 1, v4
	v_mad_i64_i32 v[1:2], null, s20, v9, 0
	v_add_lshl_u32 v32, v3, v27, 2
	v_add_co_ci_u32_e32 v10, vcc_lo, 0, v27, vcc_lo
	v_add_lshl_u32 v33, v4, v27, 2
	v_mad_i64_i32 v[3:4], null, s20, v24, 0
	v_lshlrev_b64 v[1:2], 1, v[1:2]
	s_delay_alu instid0(VALU_DEP_4) | instskip(SKIP_4) | instid1(VALU_DEP_4)
	v_lshlrev_b32_e32 v34, 2, v10
	s_lshl_b64 s[6:7], s[14:15], 2
	v_and_b32_e32 v36, 28, v26
	s_add_u32 s38, s34, s6
	s_addc_u32 s39, s35, s7
	v_lshlrev_b64 v[3:4], 1, v[3:4]
	v_add_co_u32 v10, vcc_lo, s18, v1
	v_add_co_ci_u32_e32 v11, vcc_lo, s19, v2, vcc_lo
	v_lshlrev_b64 v[1:2], 1, v[12:13]
	s_delay_alu instid0(VALU_DEP_4) | instskip(SKIP_2) | instid1(VALU_DEP_4)
	v_add_co_u32 v12, vcc_lo, s18, v3
	v_add_co_ci_u32_e32 v13, vcc_lo, s19, v4, vcc_lo
	v_lshlrev_b64 v[3:4], 1, v[14:15]
	v_add_co_u32 v14, vcc_lo, s18, v1
	v_add_co_ci_u32_e32 v15, vcc_lo, s19, v2, vcc_lo
	s_lshl_b64 s[22:23], s[20:21], 1
	s_delay_alu instid0(VALU_DEP_3) | instskip(NEXT) | instid1(VALU_DEP_4)
	v_add_co_u32 v16, vcc_lo, s18, v3
	v_add_co_ci_u32_e32 v17, vcc_lo, s19, v4, vcc_lo
	s_mul_hi_i32 s40, s12, 6
	s_mul_i32 s41, s12, 6
	s_lshl_b64 s[24:25], s[12:13], 3
	s_lshl_b64 s[26:27], s[12:13], 2
	;; [unrolled: 1-line block ×3, first 2 shown]
                                        ; implicit-def: $vgpr1_vgpr2_vgpr3_vgpr4
	s_branch .LBB441_13
.LBB441_12:                             ;   in Loop: Header=BB441_13 Depth=1
	s_or_b32 exec_lo, exec_lo, s6
	v_add_co_u32 v18, vcc_lo, v18, s24
	v_add_co_ci_u32_e32 v19, vcc_lo, s25, v19, vcc_lo
	s_add_i32 s15, s15, 4
	s_delay_alu instid0(SALU_CYCLE_1)
	s_cmp_ge_i32 s15, s36
	s_cbranch_scc1 .LBB441_59
.LBB441_13:                             ; =>This Loop Header: Depth=1
                                        ;     Child Loop BB441_44 Depth 2
                                        ;     Child Loop BB441_47 Depth 2
                                        ; implicit-def: $vgpr38
                                        ; implicit-def: $vgpr39
                                        ; implicit-def: $vgpr40
                                        ; implicit-def: $vgpr41
	s_and_saveexec_b32 s6, s3
	s_delay_alu instid0(SALU_CYCLE_1)
	s_xor_b32 s6, exec_lo, s6
	s_cbranch_execnz .LBB441_40
; %bb.14:                               ;   in Loop: Header=BB441_13 Depth=1
	s_and_not1_saveexec_b32 s42, s6
	s_cbranch_execnz .LBB441_41
.LBB441_15:                             ;   in Loop: Header=BB441_13 Depth=1
	s_or_b32 exec_lo, exec_lo, s42
	s_and_saveexec_b32 s6, s0
	s_cbranch_execz .LBB441_17
.LBB441_16:                             ;   in Loop: Header=BB441_13 Depth=1
	ds_store_b32 v35, v37
.LBB441_17:                             ;   in Loop: Header=BB441_13 Depth=1
	s_or_b32 exec_lo, exec_lo, s6
	ds_bpermute_b32 v20, v30, v41
	s_waitcnt lgkmcnt(0)
	s_waitcnt_vscnt null, 0x0
	s_barrier
	buffer_gl0_inv
	v_add_f32_e32 v20, v41, v20
	ds_bpermute_b32 v21, v31, v20
	s_waitcnt lgkmcnt(0)
	v_add_f32_e32 v20, v20, v21
	ds_bpermute_b32 v21, v32, v20
	s_waitcnt lgkmcnt(0)
	v_add_f32_e32 v20, v20, v21
	ds_bpermute_b32 v21, v33, v20
	s_waitcnt lgkmcnt(0)
	v_add_f32_e32 v20, v20, v21
	ds_bpermute_b32 v21, v34, v20
	s_and_saveexec_b32 s6, s5
	s_cbranch_execz .LBB441_19
; %bb.18:                               ;   in Loop: Header=BB441_13 Depth=1
	s_waitcnt lgkmcnt(0)
	v_add_f32_e32 v20, v20, v21
	ds_store_b32 v36, v20
.LBB441_19:                             ;   in Loop: Header=BB441_13 Depth=1
	s_or_b32 exec_lo, exec_lo, s6
	v_mov_b32_e32 v20, 0
	s_waitcnt lgkmcnt(0)
	s_barrier
	buffer_gl0_inv
	s_and_saveexec_b32 s6, s1
	s_cbranch_execnz .LBB441_49
; %bb.20:                               ;   in Loop: Header=BB441_13 Depth=1
	s_or_b32 exec_lo, exec_lo, s6
	s_and_saveexec_b32 s6, s0
	s_cbranch_execnz .LBB441_50
.LBB441_21:                             ;   in Loop: Header=BB441_13 Depth=1
	s_or_b32 exec_lo, exec_lo, s6
	s_and_saveexec_b32 s6, s0
	s_cbranch_execz .LBB441_23
.LBB441_22:                             ;   in Loop: Header=BB441_13 Depth=1
	ds_store_b32 v35, v37
.LBB441_23:                             ;   in Loop: Header=BB441_13 Depth=1
	s_or_b32 exec_lo, exec_lo, s6
	ds_bpermute_b32 v21, v30, v40
	s_waitcnt lgkmcnt(0)
	s_barrier
	buffer_gl0_inv
	v_add_f32_e32 v21, v40, v21
	ds_bpermute_b32 v40, v31, v21
	s_waitcnt lgkmcnt(0)
	v_add_f32_e32 v21, v21, v40
	ds_bpermute_b32 v40, v32, v21
	s_waitcnt lgkmcnt(0)
	;; [unrolled: 3-line block ×3, first 2 shown]
	v_add_f32_e32 v21, v21, v40
	ds_bpermute_b32 v40, v34, v21
	s_and_saveexec_b32 s6, s5
	s_cbranch_execz .LBB441_25
; %bb.24:                               ;   in Loop: Header=BB441_13 Depth=1
	s_waitcnt lgkmcnt(0)
	v_add_f32_e32 v21, v21, v40
	ds_store_b32 v36, v21
.LBB441_25:                             ;   in Loop: Header=BB441_13 Depth=1
	s_or_b32 exec_lo, exec_lo, s6
	v_mov_b32_e32 v21, 0
	s_waitcnt lgkmcnt(0)
	s_barrier
	buffer_gl0_inv
	s_and_saveexec_b32 s6, s1
	s_cbranch_execnz .LBB441_51
; %bb.26:                               ;   in Loop: Header=BB441_13 Depth=1
	s_or_b32 exec_lo, exec_lo, s6
	s_and_saveexec_b32 s6, s0
	s_cbranch_execnz .LBB441_52
.LBB441_27:                             ;   in Loop: Header=BB441_13 Depth=1
	s_or_b32 exec_lo, exec_lo, s6
	s_and_saveexec_b32 s6, s0
	s_cbranch_execz .LBB441_29
.LBB441_28:                             ;   in Loop: Header=BB441_13 Depth=1
	ds_store_b32 v35, v37
.LBB441_29:                             ;   in Loop: Header=BB441_13 Depth=1
	s_or_b32 exec_lo, exec_lo, s6
	ds_bpermute_b32 v40, v30, v39
	s_waitcnt lgkmcnt(0)
	s_barrier
	buffer_gl0_inv
	v_add_f32_e32 v39, v39, v40
	ds_bpermute_b32 v40, v31, v39
	s_waitcnt lgkmcnt(0)
	v_add_f32_e32 v39, v39, v40
	ds_bpermute_b32 v40, v32, v39
	s_waitcnt lgkmcnt(0)
	;; [unrolled: 3-line block ×3, first 2 shown]
	v_add_f32_e32 v39, v39, v40
	ds_bpermute_b32 v40, v34, v39
	s_and_saveexec_b32 s6, s5
	s_cbranch_execz .LBB441_31
; %bb.30:                               ;   in Loop: Header=BB441_13 Depth=1
	s_waitcnt lgkmcnt(0)
	v_add_f32_e32 v39, v39, v40
	ds_store_b32 v36, v39
.LBB441_31:                             ;   in Loop: Header=BB441_13 Depth=1
	s_or_b32 exec_lo, exec_lo, s6
	v_mov_b32_e32 v39, 0
	s_waitcnt lgkmcnt(0)
	s_barrier
	buffer_gl0_inv
	s_and_saveexec_b32 s6, s1
	s_cbranch_execnz .LBB441_53
; %bb.32:                               ;   in Loop: Header=BB441_13 Depth=1
	s_or_b32 exec_lo, exec_lo, s6
	s_and_saveexec_b32 s6, s0
	s_cbranch_execnz .LBB441_54
.LBB441_33:                             ;   in Loop: Header=BB441_13 Depth=1
	s_or_b32 exec_lo, exec_lo, s6
	s_and_saveexec_b32 s6, s0
	s_cbranch_execz .LBB441_35
.LBB441_34:                             ;   in Loop: Header=BB441_13 Depth=1
	ds_store_b32 v35, v37
.LBB441_35:                             ;   in Loop: Header=BB441_13 Depth=1
	s_or_b32 exec_lo, exec_lo, s6
	ds_bpermute_b32 v40, v30, v38
	s_waitcnt lgkmcnt(0)
	s_barrier
	buffer_gl0_inv
	v_add_f32_e32 v38, v38, v40
	ds_bpermute_b32 v40, v31, v38
	s_waitcnt lgkmcnt(0)
	v_add_f32_e32 v38, v38, v40
	ds_bpermute_b32 v40, v32, v38
	s_waitcnt lgkmcnt(0)
	;; [unrolled: 3-line block ×3, first 2 shown]
	v_add_f32_e32 v38, v38, v40
	ds_bpermute_b32 v40, v34, v38
	s_and_saveexec_b32 s6, s5
	s_cbranch_execz .LBB441_37
; %bb.36:                               ;   in Loop: Header=BB441_13 Depth=1
	s_waitcnt lgkmcnt(0)
	v_add_f32_e32 v38, v38, v40
	ds_store_b32 v36, v38
.LBB441_37:                             ;   in Loop: Header=BB441_13 Depth=1
	s_or_b32 exec_lo, exec_lo, s6
	v_mov_b32_e32 v38, 0
	s_waitcnt lgkmcnt(0)
	s_barrier
	buffer_gl0_inv
	s_and_saveexec_b32 s6, s1
	s_cbranch_execnz .LBB441_55
; %bb.38:                               ;   in Loop: Header=BB441_13 Depth=1
	s_or_b32 exec_lo, exec_lo, s6
	s_and_saveexec_b32 s6, s0
	s_cbranch_execnz .LBB441_56
.LBB441_39:                             ;   in Loop: Header=BB441_13 Depth=1
	s_or_b32 exec_lo, exec_lo, s6
	s_and_saveexec_b32 s6, s2
	s_cbranch_execz .LBB441_12
	s_branch .LBB441_57
.LBB441_40:                             ;   in Loop: Header=BB441_13 Depth=1
	s_mul_i32 s7, s15, s13
	s_mul_hi_u32 s30, s15, s12
	s_delay_alu instid0(SALU_CYCLE_1)
	s_add_i32 s31, s30, s7
	s_mul_i32 s30, s15, s12
	s_or_b32 s7, s15, 1
	s_lshl_b64 s[30:31], s[30:31], 1
	s_mul_i32 s42, s7, s13
	s_mul_hi_u32 s43, s7, s12
	v_add_co_u32 v1, vcc_lo, v5, s30
	v_add_co_ci_u32_e32 v2, vcc_lo, s31, v6, vcc_lo
	s_add_i32 s31, s43, s42
	s_mul_i32 s30, s7, s12
	s_or_b32 s7, s15, 2
	s_lshl_b64 s[30:31], s[30:31], 1
	s_mul_i32 s42, s7, s13
	s_mul_hi_u32 s43, s7, s12
	v_add_co_u32 v3, vcc_lo, v5, s30
	v_add_co_ci_u32_e32 v4, vcc_lo, s31, v6, vcc_lo
	s_add_i32 s31, s43, s42
	s_or_b32 s42, s15, 3
	s_mul_i32 s30, s7, s12
	s_mul_i32 s7, s42, s13
	s_mul_hi_u32 s43, s42, s12
	s_lshl_b64 s[30:31], s[30:31], 1
	s_add_i32 s43, s43, s7
	s_mul_i32 s42, s42, s12
	v_add_co_u32 v20, vcc_lo, v5, s30
	v_add_co_ci_u32_e32 v21, vcc_lo, s31, v6, vcc_lo
	s_lshl_b64 s[30:31], s[42:43], 1
	s_waitcnt lgkmcnt(0)
	v_add_co_u32 v38, vcc_lo, v5, s30
	v_add_co_ci_u32_e32 v39, vcc_lo, s31, v6, vcc_lo
	flat_load_u16 v46, v[10:11]
	s_clause 0x3
	flat_load_b64 v[40:41], v[1:2]
	flat_load_b64 v[42:43], v[3:4]
	;; [unrolled: 1-line block ×4, first 2 shown]
	s_clause 0x2
	flat_load_u16 v3, v[12:13]
	flat_load_u16 v4, v[14:15]
	;; [unrolled: 1-line block ×3, first 2 shown]
	s_waitcnt vmcnt(7) lgkmcnt(7)
	v_cvt_f32_f16_e32 v1, v46
	s_waitcnt vmcnt(6) lgkmcnt(6)
	v_fma_mix_f32 v39, v46, v40, 0 op_sel_hi:[1,1,0]
	s_waitcnt vmcnt(5) lgkmcnt(5)
	v_fma_mix_f32 v47, v46, v42, 0 op_sel_hi:[1,1,0]
	;; [unrolled: 2-line block ×4, first 2 shown]
	s_waitcnt vmcnt(2) lgkmcnt(2)
	v_cvt_f32_f16_e32 v2, v3
	v_fma_mix_f32 v39, v3, v40, v39 op_sel:[0,1,0] op_sel_hi:[1,1,0]
	v_fma_mix_f32 v40, v3, v42, v47 op_sel:[0,1,0] op_sel_hi:[1,1,0]
	v_fma_mix_f32 v20, v3, v20, v48 op_sel:[0,1,0] op_sel_hi:[1,1,0]
	v_fma_mix_f32 v42, v3, v44, v46 op_sel:[0,1,0] op_sel_hi:[1,1,0]
	s_waitcnt vmcnt(1) lgkmcnt(1)
	v_cvt_f32_f16_e32 v3, v4
	v_fma_mix_f32 v39, v4, v41, v39 op_sel_hi:[1,1,0]
	v_fma_mix_f32 v40, v4, v43, v40 op_sel_hi:[1,1,0]
	;; [unrolled: 1-line block ×4, first 2 shown]
	s_waitcnt vmcnt(0) lgkmcnt(0)
	v_cvt_f32_f16_e32 v4, v38
	v_fma_mix_f32 v41, v38, v41, v39 op_sel:[0,1,0] op_sel_hi:[1,1,0]
	v_fma_mix_f32 v40, v38, v43, v40 op_sel:[0,1,0] op_sel_hi:[1,1,0]
	;; [unrolled: 1-line block ×4, first 2 shown]
	s_and_not1_saveexec_b32 s42, s6
	s_cbranch_execz .LBB441_15
.LBB441_41:                             ;   in Loop: Header=BB441_13 Depth=1
	s_waitcnt lgkmcnt(0)
	v_dual_mov_b32 v38, 0 :: v_dual_mov_b32 v39, 0
	v_dual_mov_b32 v40, 0 :: v_dual_mov_b32 v41, 0
	s_and_saveexec_b32 s43, s4
	s_cbranch_execz .LBB441_48
; %bb.42:                               ;   in Loop: Header=BB441_13 Depth=1
	s_and_not1_b32 vcc_lo, exec_lo, s37
	s_cbranch_vccnz .LBB441_45
; %bb.43:                               ;   in Loop: Header=BB441_13 Depth=1
	v_dual_mov_b32 v21, v11 :: v_dual_mov_b32 v20, v10
	s_mov_b64 s[30:31], 0
	.p2align	6
.LBB441_44:                             ;   Parent Loop BB441_13 Depth=1
                                        ; =>  This Inner Loop Header: Depth=2
	flat_load_u16 v38, v[20:21]
	v_add_co_u32 v20, vcc_lo, v20, s22
	s_cmp_eq_u32 s30, 3
	v_add_co_ci_u32_e32 v21, vcc_lo, s23, v21, vcc_lo
	s_cselect_b32 vcc_lo, -1, 0
	s_cmp_eq_u32 s30, 2
	s_cselect_b32 s6, -1, 0
	s_cmp_eq_u32 s30, 1
	s_cselect_b32 s7, -1, 0
	s_cmp_eq_u32 s30, 0
	s_waitcnt vmcnt(0) lgkmcnt(0)
	v_cvt_f32_f16_e32 v38, v38
	s_delay_alu instid0(VALU_DEP_1)
	v_cndmask_b32_e32 v4, v4, v38, vcc_lo
	s_cselect_b32 vcc_lo, -1, 0
	v_cndmask_b32_e64 v3, v3, v38, s6
	v_cndmask_b32_e64 v2, v2, v38, s7
	v_cndmask_b32_e32 v1, v1, v38, vcc_lo
	s_add_u32 s30, s30, 1
	s_addc_u32 s31, s31, 0
	s_cmp_eq_u32 s11, s30
	s_cbranch_scc0 .LBB441_44
.LBB441_45:                             ;   in Loop: Header=BB441_13 Depth=1
	v_dual_mov_b32 v38, 0 :: v_dual_mov_b32 v39, 0
	v_dual_mov_b32 v40, 0 :: v_dual_mov_b32 v41, 0
	s_and_not1_b32 vcc_lo, exec_lo, s37
	s_cbranch_vccnz .LBB441_48
; %bb.46:                               ;   in Loop: Header=BB441_13 Depth=1
	v_dual_mov_b32 v21, v19 :: v_dual_mov_b32 v40, 0
	v_dual_mov_b32 v41, 0 :: v_dual_mov_b32 v20, v18
	;; [unrolled: 1-line block ×3, first 2 shown]
	s_mov_b64 s[30:31], 0
	s_set_inst_prefetch_distance 0x1
	.p2align	6
.LBB441_47:                             ;   Parent Loop BB441_13 Depth=1
                                        ; =>  This Inner Loop Header: Depth=2
	s_delay_alu instid0(VALU_DEP_2)
	v_add_co_u32 v42, vcc_lo, v20, s28
	v_add_co_ci_u32_e32 v43, vcc_lo, s29, v21, vcc_lo
	v_add_co_u32 v44, vcc_lo, v20, s26
	v_add_co_ci_u32_e32 v45, vcc_lo, s27, v21, vcc_lo
	;; [unrolled: 2-line block ×3, first 2 shown]
	s_clause 0x3
	flat_load_u16 v48, v[20:21]
	flat_load_u16 v42, v[42:43]
	;; [unrolled: 1-line block ×4, first 2 shown]
	s_cmp_eq_u32 s30, 1
	v_add_co_u32 v20, s6, v20, 2
	s_cselect_b32 vcc_lo, -1, 0
	s_cmp_eq_u32 s30, 2
	v_cndmask_b32_e32 v45, v1, v2, vcc_lo
	s_cselect_b32 vcc_lo, -1, 0
	s_cmp_eq_u32 s30, 3
	v_add_co_ci_u32_e64 v21, s6, 0, v21, s6
	s_delay_alu instid0(VALU_DEP_2)
	v_cndmask_b32_e32 v45, v45, v3, vcc_lo
	s_cselect_b32 vcc_lo, -1, 0
	s_add_u32 s30, s30, 1
	s_addc_u32 s31, s31, 0
	s_cmp_lg_u32 s11, s30
	v_cndmask_b32_e32 v45, v45, v4, vcc_lo
	s_waitcnt vmcnt(3) lgkmcnt(3)
	s_delay_alu instid0(VALU_DEP_1)
	v_fma_mix_f32 v41, v45, v48, v41 op_sel_hi:[0,1,0]
	s_waitcnt vmcnt(2) lgkmcnt(2)
	v_fma_mix_f32 v40, v45, v42, v40 op_sel_hi:[0,1,0]
	s_waitcnt vmcnt(1) lgkmcnt(1)
	;; [unrolled: 2-line block ×3, first 2 shown]
	v_fma_mix_f32 v38, v45, v44, v38 op_sel_hi:[0,1,0]
	s_cbranch_scc1 .LBB441_47
.LBB441_48:                             ;   in Loop: Header=BB441_13 Depth=1
	s_set_inst_prefetch_distance 0x2
	s_or_b32 exec_lo, exec_lo, s43
	s_delay_alu instid0(SALU_CYCLE_1)
	s_or_b32 exec_lo, exec_lo, s42
	s_and_saveexec_b32 s6, s0
	s_cbranch_execnz .LBB441_16
	s_branch .LBB441_17
.LBB441_49:                             ;   in Loop: Header=BB441_13 Depth=1
	ds_load_b32 v20, v35
	s_or_b32 exec_lo, exec_lo, s6
	s_and_saveexec_b32 s6, s0
	s_cbranch_execz .LBB441_21
.LBB441_50:                             ;   in Loop: Header=BB441_13 Depth=1
	s_waitcnt lgkmcnt(0)
	ds_bpermute_b32 v21, v32, v20
	s_waitcnt lgkmcnt(0)
	v_add_f32_e32 v20, v20, v21
	ds_bpermute_b32 v21, v33, v20
	s_waitcnt lgkmcnt(0)
	v_add_f32_e32 v20, v20, v21
	;; [unrolled: 3-line block ×3, first 2 shown]
	s_or_b32 exec_lo, exec_lo, s6
	s_and_saveexec_b32 s6, s0
	s_cbranch_execnz .LBB441_22
	s_branch .LBB441_23
.LBB441_51:                             ;   in Loop: Header=BB441_13 Depth=1
	ds_load_b32 v21, v35
	s_or_b32 exec_lo, exec_lo, s6
	s_and_saveexec_b32 s6, s0
	s_cbranch_execz .LBB441_27
.LBB441_52:                             ;   in Loop: Header=BB441_13 Depth=1
	s_waitcnt lgkmcnt(0)
	ds_bpermute_b32 v40, v32, v21
	s_waitcnt lgkmcnt(0)
	v_add_f32_e32 v21, v21, v40
	ds_bpermute_b32 v40, v33, v21
	s_waitcnt lgkmcnt(0)
	v_add_f32_e32 v21, v21, v40
	;; [unrolled: 3-line block ×3, first 2 shown]
	s_or_b32 exec_lo, exec_lo, s6
	s_and_saveexec_b32 s6, s0
	s_cbranch_execnz .LBB441_28
	s_branch .LBB441_29
.LBB441_53:                             ;   in Loop: Header=BB441_13 Depth=1
	ds_load_b32 v39, v35
	s_or_b32 exec_lo, exec_lo, s6
	s_and_saveexec_b32 s6, s0
	s_cbranch_execz .LBB441_33
.LBB441_54:                             ;   in Loop: Header=BB441_13 Depth=1
	s_waitcnt lgkmcnt(0)
	ds_bpermute_b32 v40, v32, v39
	s_waitcnt lgkmcnt(0)
	v_add_f32_e32 v39, v39, v40
	ds_bpermute_b32 v40, v33, v39
	s_waitcnt lgkmcnt(0)
	v_add_f32_e32 v39, v39, v40
	;; [unrolled: 3-line block ×3, first 2 shown]
	s_or_b32 exec_lo, exec_lo, s6
	s_and_saveexec_b32 s6, s0
	s_cbranch_execnz .LBB441_34
	s_branch .LBB441_35
.LBB441_55:                             ;   in Loop: Header=BB441_13 Depth=1
	ds_load_b32 v38, v35
	s_or_b32 exec_lo, exec_lo, s6
	s_and_saveexec_b32 s6, s0
	s_cbranch_execz .LBB441_39
.LBB441_56:                             ;   in Loop: Header=BB441_13 Depth=1
	s_waitcnt lgkmcnt(0)
	ds_bpermute_b32 v40, v32, v38
	s_waitcnt lgkmcnt(0)
	v_add_f32_e32 v38, v38, v40
	ds_bpermute_b32 v40, v33, v38
	s_waitcnt lgkmcnt(0)
	v_add_f32_e32 v38, v38, v40
	;; [unrolled: 3-line block ×3, first 2 shown]
	s_or_b32 exec_lo, exec_lo, s6
	s_and_saveexec_b32 s6, s2
	s_cbranch_execz .LBB441_12
.LBB441_57:                             ;   in Loop: Header=BB441_13 Depth=1
	s_mul_hi_u32 s31, s15, s10
	s_mul_i32 s30, s15, s10
	v_dual_mul_f32 v20, s33, v20 :: v_dual_mul_f32 v21, s33, v21
	s_lshl_b64 s[30:31], s[30:31], 2
	s_waitcnt lgkmcnt(0)
	v_mul_f32_e32 v38, s33, v38
	s_add_u32 s30, s38, s30
	s_addc_u32 s31, s39, s31
	s_or_b32 s7, s15, 1
	global_store_b32 v37, v20, s[30:31]
	s_mul_hi_u32 s43, s7, s10
	s_mul_i32 s42, s7, s10
	v_mul_f32_e32 v20, s33, v39
	s_lshl_b64 s[42:43], s[42:43], 2
	s_delay_alu instid0(SALU_CYCLE_1)
	s_add_u32 s42, s38, s42
	s_addc_u32 s43, s39, s43
	s_or_b32 s7, s15, 2
	global_store_b32 v37, v21, s[42:43]
	s_mul_hi_u32 s45, s7, s10
	s_mul_i32 s44, s7, s10
	s_delay_alu instid0(SALU_CYCLE_1) | instskip(NEXT) | instid1(SALU_CYCLE_1)
	s_lshl_b64 s[44:45], s[44:45], 2
	s_add_u32 s30, s38, s44
	s_addc_u32 s31, s39, s45
	s_or_b32 s7, s15, 3
	s_delay_alu instid0(SALU_CYCLE_1) | instskip(SKIP_1) | instid1(SALU_CYCLE_1)
	s_mul_hi_u32 s45, s7, s10
	s_mul_i32 s44, s7, s10
	s_lshl_b64 s[44:45], s[44:45], 2
	s_delay_alu instid0(SALU_CYCLE_1)
	s_add_u32 s42, s38, s44
	s_addc_u32 s43, s39, s45
	s_clause 0x1
	global_store_b32 v37, v20, s[30:31]
	global_store_b32 v37, v38, s[42:43]
	s_branch .LBB441_12
.LBB441_58:
	s_mov_b32 s15, 0
                                        ; implicit-def: $vgpr1_vgpr2_vgpr3_vgpr4
.LBB441_59:
	s_delay_alu instid0(SALU_CYCLE_1)
	s_cmp_ge_i32 s15, s9
	s_cbranch_scc1 .LBB441_83
; %bb.60:
	v_cmp_gt_u32_e32 vcc_lo, 16, v27
	v_cmp_ge_i32_e64 s0, s8, v28
	v_cmp_ge_i32_e64 s1, s8, v29
	v_mad_i64_i32 v[16:17], null, s20, v22, 0
	v_cndmask_b32_e64 v10, 0, 1, vcc_lo
	v_cmp_gt_u32_e32 vcc_lo, 24, v27
	s_cmp_gt_i32 s11, 0
	s_mov_b32 s23, 0
	s_mov_b32 s22, s14
	v_lshlrev_b32_e32 v10, 4, v10
	v_cndmask_b32_e64 v11, 0, 1, vcc_lo
	v_cmp_gt_u32_e32 vcc_lo, 28, v27
	s_cselect_b32 s8, -1, 0
	s_lshl_b64 s[6:7], s[22:23], 2
	v_add_lshl_u32 v20, v10, v27, 2
	v_lshlrev_b32_e32 v11, 3, v11
	v_cndmask_b32_e64 v12, 0, 1, vcc_lo
	v_cmp_gt_u32_e32 vcc_lo, 30, v27
	s_add_u32 s14, s34, s6
	s_addc_u32 s22, s35, s7
	v_add_lshl_u32 v21, v11, v27, 2
	v_lshlrev_b32_e32 v12, 2, v12
	v_cndmask_b32_e64 v13, 0, 1, vcc_lo
	v_cmp_ne_u32_e32 vcc_lo, 31, v27
	v_mad_i64_i32 v[10:11], null, s20, v9, 0
	s_delay_alu instid0(VALU_DEP_4) | instskip(NEXT) | instid1(VALU_DEP_4)
	v_add_lshl_u32 v28, v12, v27, 2
	v_lshlrev_b32_e32 v13, 1, v13
	v_add_co_ci_u32_e32 v14, vcc_lo, 0, v27, vcc_lo
	s_mul_i32 s6, s13, s15
	s_mul_hi_u32 s7, s12, s15
	s_delay_alu instid0(VALU_DEP_2)
	v_add_lshl_u32 v27, v13, v27, 2
	v_mad_i64_i32 v[12:13], null, s20, v24, 0
	v_lshlrev_b32_e32 v29, 2, v14
	v_mad_i64_i32 v[14:15], null, s20, v23, 0
	v_lshlrev_b64 v[9:10], 1, v[10:11]
	s_add_i32 s7, s7, s6
	s_mul_i32 s6, s12, s15
	s_delay_alu instid0(VALU_DEP_4)
	v_lshlrev_b64 v[11:12], 1, v[12:13]
	s_lshl_b64 s[6:7], s[6:7], 1
	v_cmp_gt_u32_e64 s2, 32, v0
	v_add_co_u32 v9, vcc_lo, s18, v9
	v_lshlrev_b64 v[13:14], 1, v[14:15]
	v_add_co_ci_u32_e32 v10, vcc_lo, s19, v10, vcc_lo
	v_add_co_u32 v11, vcc_lo, s18, v11
	v_lshlrev_b64 v[15:16], 1, v[16:17]
	v_add_co_ci_u32_e32 v12, vcc_lo, s19, v12, vcc_lo
	v_add_co_u32 v13, vcc_lo, s18, v13
	v_add_co_ci_u32_e32 v14, vcc_lo, s19, v14, vcc_lo
	s_delay_alu instid0(VALU_DEP_4)
	v_add_co_u32 v15, vcc_lo, s18, v15
	v_add_co_ci_u32_e32 v16, vcc_lo, s19, v16, vcc_lo
	s_lshl_b64 s[18:19], s[20:21], 1
	s_add_u32 s6, s16, s6
	s_addc_u32 s7, s17, s7
	v_add_co_u32 v7, vcc_lo, s6, v7
	v_lshlrev_b32_e32 v19, 2, v25
	v_cmp_eq_u32_e64 s3, 0, v25
	v_and_b32_e32 v25, 28, v26
	v_cmp_gt_u32_e64 s4, 8, v0
	v_cmp_eq_u32_e64 s5, 0, v0
	v_mov_b32_e32 v0, 0
	v_add_co_ci_u32_e32 v8, vcc_lo, s7, v8, vcc_lo
	s_lshl_b64 s[16:17], s[12:13], 1
	s_branch .LBB441_62
.LBB441_61:                             ;   in Loop: Header=BB441_62 Depth=1
	s_or_b32 exec_lo, exec_lo, s6
	v_add_co_u32 v7, vcc_lo, v7, s16
	v_add_co_ci_u32_e32 v8, vcc_lo, s17, v8, vcc_lo
	s_add_i32 s15, s15, 1
	s_delay_alu instid0(SALU_CYCLE_1)
	s_cmp_ge_i32 s15, s9
	s_cbranch_scc1 .LBB441_83
.LBB441_62:                             ; =>This Loop Header: Depth=1
                                        ;     Child Loop BB441_75 Depth 2
                                        ;     Child Loop BB441_78 Depth 2
	v_mov_b32_e32 v22, s23
	s_and_saveexec_b32 s6, s0
	s_delay_alu instid0(SALU_CYCLE_1)
	s_xor_b32 s6, exec_lo, s6
	s_cbranch_execnz .LBB441_71
; %bb.63:                               ;   in Loop: Header=BB441_62 Depth=1
	s_and_not1_saveexec_b32 s24, s6
	s_cbranch_execnz .LBB441_72
.LBB441_64:                             ;   in Loop: Header=BB441_62 Depth=1
	s_or_b32 exec_lo, exec_lo, s24
	s_and_saveexec_b32 s6, s2
	s_cbranch_execz .LBB441_66
.LBB441_65:                             ;   in Loop: Header=BB441_62 Depth=1
	ds_store_b32 v19, v0
.LBB441_66:                             ;   in Loop: Header=BB441_62 Depth=1
	s_or_b32 exec_lo, exec_lo, s6
	s_waitcnt lgkmcnt(0)
	ds_bpermute_b32 v17, v20, v22
	s_waitcnt lgkmcnt(0)
	s_waitcnt_vscnt null, 0x0
	s_barrier
	buffer_gl0_inv
	v_add_f32_e32 v17, v22, v17
	ds_bpermute_b32 v18, v21, v17
	s_waitcnt lgkmcnt(0)
	v_add_f32_e32 v17, v17, v18
	ds_bpermute_b32 v18, v28, v17
	s_waitcnt lgkmcnt(0)
	;; [unrolled: 3-line block ×3, first 2 shown]
	v_add_f32_e32 v17, v17, v18
	ds_bpermute_b32 v18, v29, v17
	s_and_saveexec_b32 s6, s3
	s_cbranch_execz .LBB441_68
; %bb.67:                               ;   in Loop: Header=BB441_62 Depth=1
	s_waitcnt lgkmcnt(0)
	v_add_f32_e32 v17, v17, v18
	ds_store_b32 v25, v17
.LBB441_68:                             ;   in Loop: Header=BB441_62 Depth=1
	s_or_b32 exec_lo, exec_lo, s6
	v_mov_b32_e32 v17, 0
	s_waitcnt lgkmcnt(0)
	s_barrier
	buffer_gl0_inv
	s_and_saveexec_b32 s6, s4
	s_cbranch_execnz .LBB441_80
; %bb.69:                               ;   in Loop: Header=BB441_62 Depth=1
	s_or_b32 exec_lo, exec_lo, s6
	s_and_saveexec_b32 s6, s2
	s_cbranch_execnz .LBB441_81
.LBB441_70:                             ;   in Loop: Header=BB441_62 Depth=1
	s_or_b32 exec_lo, exec_lo, s6
	s_and_saveexec_b32 s6, s5
	s_cbranch_execz .LBB441_61
	s_branch .LBB441_82
.LBB441_71:                             ;   in Loop: Header=BB441_62 Depth=1
	s_mul_i32 s7, s15, s13
	s_mul_hi_u32 s21, s15, s12
	s_mul_i32 s20, s15, s12
	s_add_i32 s21, s21, s7
	s_delay_alu instid0(SALU_CYCLE_1) | instskip(NEXT) | instid1(SALU_CYCLE_1)
	s_lshl_b64 s[20:21], s[20:21], 1
	v_add_co_u32 v1, vcc_lo, v5, s20
	v_add_co_ci_u32_e32 v2, vcc_lo, s21, v6, vcc_lo
	s_waitcnt lgkmcnt(0)
	flat_load_b64 v[17:18], v[1:2]
	s_clause 0x3
	flat_load_u16 v1, v[9:10]
	flat_load_u16 v2, v[11:12]
	;; [unrolled: 1-line block ×4, first 2 shown]
	s_waitcnt vmcnt(3) lgkmcnt(3)
	v_fma_mix_f32 v4, v1, v17, 0 op_sel_hi:[1,1,0]
	v_cvt_f32_f16_e32 v1, v1
	s_waitcnt vmcnt(2) lgkmcnt(2)
	s_delay_alu instid0(VALU_DEP_2) | instskip(SKIP_2) | instid1(VALU_DEP_2)
	v_fma_mix_f32 v4, v2, v17, v4 op_sel:[0,1,0] op_sel_hi:[1,1,0]
	v_cvt_f32_f16_e32 v2, v2
	s_waitcnt vmcnt(1) lgkmcnt(1)
	v_fma_mix_f32 v17, v3, v18, v4 op_sel_hi:[1,1,0]
	v_cvt_f32_f16_e32 v3, v3
	s_waitcnt vmcnt(0) lgkmcnt(0)
	v_cvt_f32_f16_e32 v4, v22
	s_delay_alu instid0(VALU_DEP_3)
	v_fma_mix_f32 v22, v22, v18, v17 op_sel:[0,1,0] op_sel_hi:[1,1,0]
	s_and_not1_saveexec_b32 s24, s6
	s_cbranch_execz .LBB441_64
.LBB441_72:                             ;   in Loop: Header=BB441_62 Depth=1
	s_and_saveexec_b32 s25, s1
	s_cbranch_execz .LBB441_79
; %bb.73:                               ;   in Loop: Header=BB441_62 Depth=1
	s_and_not1_b32 vcc_lo, exec_lo, s8
	s_cbranch_vccnz .LBB441_76
; %bb.74:                               ;   in Loop: Header=BB441_62 Depth=1
	s_waitcnt lgkmcnt(0)
	v_dual_mov_b32 v18, v10 :: v_dual_mov_b32 v17, v9
	s_mov_b64 s[20:21], 0
	.p2align	6
.LBB441_75:                             ;   Parent Loop BB441_62 Depth=1
                                        ; =>  This Inner Loop Header: Depth=2
	flat_load_u16 v23, v[17:18]
	v_add_co_u32 v17, vcc_lo, v17, s18
	s_cmp_eq_u32 s20, 3
	v_add_co_ci_u32_e32 v18, vcc_lo, s19, v18, vcc_lo
	s_cselect_b32 vcc_lo, -1, 0
	s_cmp_eq_u32 s20, 2
	s_cselect_b32 s6, -1, 0
	s_cmp_eq_u32 s20, 1
	s_cselect_b32 s7, -1, 0
	s_cmp_eq_u32 s20, 0
	s_waitcnt vmcnt(0) lgkmcnt(0)
	v_cvt_f32_f16_e32 v23, v23
	s_delay_alu instid0(VALU_DEP_1)
	v_cndmask_b32_e32 v4, v4, v23, vcc_lo
	s_cselect_b32 vcc_lo, -1, 0
	v_cndmask_b32_e64 v3, v3, v23, s6
	v_cndmask_b32_e64 v2, v2, v23, s7
	v_cndmask_b32_e32 v1, v1, v23, vcc_lo
	s_add_u32 s20, s20, 1
	s_addc_u32 s21, s21, 0
	s_cmp_eq_u32 s11, s20
	s_cbranch_scc0 .LBB441_75
.LBB441_76:                             ;   in Loop: Header=BB441_62 Depth=1
	s_and_not1_b32 vcc_lo, exec_lo, s8
	s_cbranch_vccnz .LBB441_79
; %bb.77:                               ;   in Loop: Header=BB441_62 Depth=1
	s_waitcnt lgkmcnt(0)
	v_dual_mov_b32 v18, v8 :: v_dual_mov_b32 v17, v7
	s_mov_b64 s[6:7], 0
	.p2align	6
.LBB441_78:                             ;   Parent Loop BB441_62 Depth=1
                                        ; =>  This Inner Loop Header: Depth=2
	flat_load_u16 v23, v[17:18]
	s_cmp_eq_u32 s6, 1
	s_cselect_b32 vcc_lo, -1, 0
	s_cmp_eq_u32 s6, 2
	v_cndmask_b32_e32 v24, v1, v2, vcc_lo
	s_cselect_b32 vcc_lo, -1, 0
	s_cmp_eq_u32 s6, 3
	s_delay_alu instid0(VALU_DEP_1)
	v_cndmask_b32_e32 v24, v24, v3, vcc_lo
	s_cselect_b32 vcc_lo, -1, 0
	s_add_u32 s6, s6, 1
	s_addc_u32 s7, s7, 0
	s_cmp_lg_u32 s11, s6
	v_cndmask_b32_e32 v24, v24, v4, vcc_lo
	v_add_co_u32 v17, vcc_lo, v17, 2
	v_add_co_ci_u32_e32 v18, vcc_lo, 0, v18, vcc_lo
	s_waitcnt vmcnt(0) lgkmcnt(0)
	s_delay_alu instid0(VALU_DEP_3)
	v_fma_mix_f32 v22, v24, v23, v22 op_sel_hi:[0,1,0]
	s_cbranch_scc1 .LBB441_78
.LBB441_79:                             ;   in Loop: Header=BB441_62 Depth=1
	s_or_b32 exec_lo, exec_lo, s25
	s_delay_alu instid0(SALU_CYCLE_1)
	s_or_b32 exec_lo, exec_lo, s24
	s_and_saveexec_b32 s6, s2
	s_cbranch_execnz .LBB441_65
	s_branch .LBB441_66
.LBB441_80:                             ;   in Loop: Header=BB441_62 Depth=1
	ds_load_b32 v17, v19
	s_or_b32 exec_lo, exec_lo, s6
	s_and_saveexec_b32 s6, s2
	s_cbranch_execz .LBB441_70
.LBB441_81:                             ;   in Loop: Header=BB441_62 Depth=1
	s_waitcnt lgkmcnt(0)
	ds_bpermute_b32 v18, v28, v17
	s_waitcnt lgkmcnt(0)
	v_add_f32_e32 v17, v17, v18
	ds_bpermute_b32 v18, v27, v17
	s_waitcnt lgkmcnt(0)
	v_add_f32_e32 v17, v17, v18
	;; [unrolled: 3-line block ×3, first 2 shown]
	s_or_b32 exec_lo, exec_lo, s6
	s_and_saveexec_b32 s6, s5
	s_cbranch_execz .LBB441_61
.LBB441_82:                             ;   in Loop: Header=BB441_62 Depth=1
	s_mul_hi_u32 s21, s15, s10
	s_mul_i32 s20, s15, s10
	s_waitcnt lgkmcnt(0)
	v_mul_f32_e32 v17, s33, v17
	s_lshl_b64 s[20:21], s[20:21], 2
	s_delay_alu instid0(SALU_CYCLE_1)
	s_add_u32 s20, s14, s20
	s_addc_u32 s21, s22, s21
	global_store_b32 v0, v17, s[20:21]
	s_branch .LBB441_61
.LBB441_83:
	s_nop 0
	s_sendmsg sendmsg(MSG_DEALLOC_VGPRS)
	s_endpgm
	.section	.rodata,"a",@progbits
	.p2align	6, 0x0
	.amdhsa_kernel _ZL23rocblas_gemvt_sn_kernelILb0ELi256ELi4ElPKDF16_PKffEviiT4_lPKT3_lilS7_lilPT5_i
		.amdhsa_group_segment_fixed_size 128
		.amdhsa_private_segment_fixed_size 0
		.amdhsa_kernarg_size 360
		.amdhsa_user_sgpr_count 14
		.amdhsa_user_sgpr_dispatch_ptr 0
		.amdhsa_user_sgpr_queue_ptr 0
		.amdhsa_user_sgpr_kernarg_segment_ptr 1
		.amdhsa_user_sgpr_dispatch_id 0
		.amdhsa_user_sgpr_private_segment_size 0
		.amdhsa_wavefront_size32 1
		.amdhsa_uses_dynamic_stack 0
		.amdhsa_enable_private_segment 0
		.amdhsa_system_sgpr_workgroup_id_x 1
		.amdhsa_system_sgpr_workgroup_id_y 0
		.amdhsa_system_sgpr_workgroup_id_z 1
		.amdhsa_system_sgpr_workgroup_info 0
		.amdhsa_system_vgpr_workitem_id 0
		.amdhsa_next_free_vgpr 49
		.amdhsa_next_free_sgpr 46
		.amdhsa_reserve_vcc 1
		.amdhsa_float_round_mode_32 0
		.amdhsa_float_round_mode_16_64 0
		.amdhsa_float_denorm_mode_32 3
		.amdhsa_float_denorm_mode_16_64 3
		.amdhsa_dx10_clamp 1
		.amdhsa_ieee_mode 1
		.amdhsa_fp16_overflow 0
		.amdhsa_workgroup_processor_mode 1
		.amdhsa_memory_ordered 1
		.amdhsa_forward_progress 0
		.amdhsa_shared_vgpr_count 0
		.amdhsa_exception_fp_ieee_invalid_op 0
		.amdhsa_exception_fp_denorm_src 0
		.amdhsa_exception_fp_ieee_div_zero 0
		.amdhsa_exception_fp_ieee_overflow 0
		.amdhsa_exception_fp_ieee_underflow 0
		.amdhsa_exception_fp_ieee_inexact 0
		.amdhsa_exception_int_div_zero 0
	.end_amdhsa_kernel
	.section	.text._ZL23rocblas_gemvt_sn_kernelILb0ELi256ELi4ElPKDF16_PKffEviiT4_lPKT3_lilS7_lilPT5_i,"axG",@progbits,_ZL23rocblas_gemvt_sn_kernelILb0ELi256ELi4ElPKDF16_PKffEviiT4_lPKT3_lilS7_lilPT5_i,comdat
.Lfunc_end441:
	.size	_ZL23rocblas_gemvt_sn_kernelILb0ELi256ELi4ElPKDF16_PKffEviiT4_lPKT3_lilS7_lilPT5_i, .Lfunc_end441-_ZL23rocblas_gemvt_sn_kernelILb0ELi256ELi4ElPKDF16_PKffEviiT4_lPKT3_lilS7_lilPT5_i
                                        ; -- End function
	.section	.AMDGPU.csdata,"",@progbits
; Kernel info:
; codeLenInByte = 4284
; NumSgprs: 48
; NumVgprs: 49
; ScratchSize: 0
; MemoryBound: 0
; FloatMode: 240
; IeeeMode: 1
; LDSByteSize: 128 bytes/workgroup (compile time only)
; SGPRBlocks: 5
; VGPRBlocks: 6
; NumSGPRsForWavesPerEU: 48
; NumVGPRsForWavesPerEU: 49
; Occupancy: 16
; WaveLimiterHint : 0
; COMPUTE_PGM_RSRC2:SCRATCH_EN: 0
; COMPUTE_PGM_RSRC2:USER_SGPR: 14
; COMPUTE_PGM_RSRC2:TRAP_HANDLER: 0
; COMPUTE_PGM_RSRC2:TGID_X_EN: 1
; COMPUTE_PGM_RSRC2:TGID_Y_EN: 0
; COMPUTE_PGM_RSRC2:TGID_Z_EN: 1
; COMPUTE_PGM_RSRC2:TIDIG_COMP_CNT: 0
	.section	.text._ZL23rocblas_gemvt_sn_reduceILi256ELi8EfPKfKPDF16_EviT2_lPT3_lilPT1_i,"axG",@progbits,_ZL23rocblas_gemvt_sn_reduceILi256ELi8EfPKfKPDF16_EviT2_lPT3_lilPT1_i,comdat
	.globl	_ZL23rocblas_gemvt_sn_reduceILi256ELi8EfPKfKPDF16_EviT2_lPT3_lilPT1_i ; -- Begin function _ZL23rocblas_gemvt_sn_reduceILi256ELi8EfPKfKPDF16_EviT2_lPT3_lilPT1_i
	.p2align	8
	.type	_ZL23rocblas_gemvt_sn_reduceILi256ELi8EfPKfKPDF16_EviT2_lPT3_lilPT1_i,@function
_ZL23rocblas_gemvt_sn_reduceILi256ELi8EfPKfKPDF16_EviT2_lPT3_lilPT1_i: ; @_ZL23rocblas_gemvt_sn_reduceILi256ELi8EfPKfKPDF16_EviT2_lPT3_lilPT1_i
; %bb.0:
	s_clause 0x1
	s_load_b32 s16, s[0:1], 0x0
	s_load_b256 s[4:11], s[0:1], 0x8
	s_mov_b32 s2, s15
	s_mov_b32 s3, 0
	s_load_b32 s17, s[0:1], 0x4c
	s_lshl_b64 s[12:13], s[2:3], 3
	v_dual_mov_b32 v3, 0 :: v_dual_lshlrev_b32 v4, 3, v0
	s_waitcnt lgkmcnt(0)
	s_ashr_i32 s18, s16, 31
	s_mul_i32 s7, s15, s7
	s_mul_hi_u32 s15, s15, s6
	s_add_u32 s8, s8, s12
	s_addc_u32 s9, s9, s13
	s_add_i32 s7, s15, s7
	s_mul_i32 s6, s2, s6
	s_delay_alu instid0(SALU_CYCLE_1)
	s_lshl_b64 s[12:13], s[6:7], 2
	s_load_b64 s[6:7], s[0:1], 0x38
	s_add_u32 s12, s4, s12
	s_addc_u32 s13, s5, s13
	s_load_b64 s[4:5], s[8:9], 0x0
	s_load_b32 s15, s[12:13], 0x0
	s_add_u32 s12, s0, 0x48
	s_mul_i32 s2, s17, s2
	s_addc_u32 s13, s1, 0
	s_lshr_b32 s8, s18, 29
	s_add_i32 s2, s2, s14
	s_add_i32 s8, s16, s8
	s_mul_i32 s9, s2, s18
	s_and_b32 s17, s8, -8
	s_mul_hi_u32 s8, s2, s16
	s_mov_b32 s18, exec_lo
	s_add_i32 s9, s8, s9
	s_mul_i32 s8, s2, s16
	v_cmpx_gt_i32_e64 s17, v4
	s_cbranch_execz .LBB442_4
; %bb.1:
	s_load_b32 s2, s[12:13], 0xc
	v_lshlrev_b32_e32 v1, 5, v0
	s_lshl_b64 s[20:21], s[8:9], 2
	v_mov_b32_e32 v3, 0
	s_waitcnt lgkmcnt(0)
	s_and_b32 s2, s2, 0xffff
	s_delay_alu instid0(SALU_CYCLE_1) | instskip(SKIP_3) | instid1(VALU_DEP_1)
	s_lshl_b32 s12, s2, 3
	s_add_u32 s13, s6, s20
	s_addc_u32 s19, s7, s21
	v_add_co_u32 v1, s13, s13, v1
	v_add_co_ci_u32_e64 v2, null, s19, 0, s13
	s_lshl_b32 s13, s2, 5
	s_delay_alu instid0(VALU_DEP_2) | instskip(NEXT) | instid1(VALU_DEP_2)
	v_add_co_u32 v1, vcc_lo, v1, 28
	v_add_co_ci_u32_e32 v2, vcc_lo, 0, v2, vcc_lo
	.p2align	6
.LBB442_2:                              ; =>This Inner Loop Header: Depth=1
	s_clause 0x1
	global_load_b128 v[5:8], v[1:2], off offset:-28
	global_load_b128 v[9:12], v[1:2], off offset:-12
	v_add_co_u32 v1, vcc_lo, v1, s13
	v_add_co_ci_u32_e32 v2, vcc_lo, 0, v2, vcc_lo
	v_add_nc_u32_e32 v4, s12, v4
	s_delay_alu instid0(VALU_DEP_1) | instskip(NEXT) | instid1(VALU_DEP_1)
	v_cmp_le_i32_e64 s2, s17, v4
	s_or_b32 s3, s2, s3
	s_waitcnt vmcnt(1)
	v_add_f32_e32 v3, v3, v5
	s_delay_alu instid0(VALU_DEP_1) | instskip(NEXT) | instid1(VALU_DEP_1)
	v_add_f32_e32 v3, v3, v6
	v_add_f32_e32 v3, v3, v7
	s_delay_alu instid0(VALU_DEP_1) | instskip(SKIP_1) | instid1(VALU_DEP_1)
	v_add_f32_e32 v3, v3, v8
	s_waitcnt vmcnt(0)
	v_add_f32_e32 v3, v3, v9
	s_delay_alu instid0(VALU_DEP_1) | instskip(NEXT) | instid1(VALU_DEP_1)
	v_add_f32_e32 v3, v3, v10
	v_add_f32_e32 v3, v3, v11
	s_delay_alu instid0(VALU_DEP_1)
	v_add_f32_e32 v3, v3, v12
	s_and_not1_b32 exec_lo, exec_lo, s3
	s_cbranch_execnz .LBB442_2
; %bb.3:
	s_or_b32 exec_lo, exec_lo, s3
.LBB442_4:
	s_delay_alu instid0(SALU_CYCLE_1) | instskip(SKIP_1) | instid1(SALU_CYCLE_1)
	s_or_b32 exec_lo, exec_lo, s18
	s_sub_i32 s2, s16, s17
	v_cmp_gt_u32_e32 vcc_lo, s2, v0
	s_and_saveexec_b32 s2, vcc_lo
	s_cbranch_execz .LBB442_6
; %bb.5:
	v_xad_u32 v1, v0, -1, s16
	v_mov_b32_e32 v2, 0
	s_lshl_b64 s[8:9], s[8:9], 2
	s_waitcnt lgkmcnt(0)
	s_add_u32 s3, s6, s8
	s_addc_u32 s6, s7, s9
	v_lshlrev_b64 v[1:2], 2, v[1:2]
	s_delay_alu instid0(VALU_DEP_1) | instskip(NEXT) | instid1(VALU_DEP_2)
	v_add_co_u32 v1, vcc_lo, s3, v1
	v_add_co_ci_u32_e32 v2, vcc_lo, s6, v2, vcc_lo
	global_load_b32 v1, v[1:2], off
	s_waitcnt vmcnt(0)
	v_add_f32_e32 v3, v3, v1
.LBB442_6:
	s_or_b32 exec_lo, exec_lo, s2
	v_and_b32_e32 v2, 31, v0
	v_cmp_gt_u32_e32 vcc_lo, 32, v0
	s_delay_alu instid0(VALU_DEP_2)
	v_lshlrev_b32_e32 v1, 2, v2
	s_and_saveexec_b32 s2, vcc_lo
	s_cbranch_execz .LBB442_8
; %bb.7:
	v_mov_b32_e32 v4, 0
	ds_store_b32 v1, v4
.LBB442_8:
	s_or_b32 exec_lo, exec_lo, s2
	v_mbcnt_lo_u32_b32 v5, -1, 0
	s_mov_b32 s3, exec_lo
	s_waitcnt lgkmcnt(0)
	s_barrier
	buffer_gl0_inv
	v_cmp_gt_u32_e64 s2, 16, v5
	s_delay_alu instid0(VALU_DEP_1) | instskip(SKIP_1) | instid1(VALU_DEP_2)
	v_cndmask_b32_e64 v4, 0, 1, s2
	v_cmp_gt_u32_e64 s2, 24, v5
	v_lshlrev_b32_e32 v4, 4, v4
	s_delay_alu instid0(VALU_DEP_2) | instskip(SKIP_1) | instid1(VALU_DEP_3)
	v_cndmask_b32_e64 v6, 0, 1, s2
	v_cmp_gt_u32_e64 s2, 28, v5
	v_add_lshl_u32 v4, v4, v5, 2
	s_delay_alu instid0(VALU_DEP_3)
	v_lshlrev_b32_e32 v6, 3, v6
	ds_bpermute_b32 v4, v4, v3
	v_add_lshl_u32 v6, v6, v5, 2
	s_waitcnt lgkmcnt(0)
	v_add_f32_e32 v4, v3, v4
	v_cndmask_b32_e64 v3, 0, 1, s2
	v_cmp_gt_u32_e64 s2, 30, v5
	s_delay_alu instid0(VALU_DEP_2)
	v_lshlrev_b32_e32 v3, 2, v3
	ds_bpermute_b32 v6, v6, v4
	v_add_lshl_u32 v3, v3, v5, 2
	s_waitcnt lgkmcnt(0)
	v_add_f32_e32 v6, v4, v6
	v_cndmask_b32_e64 v4, 0, 1, s2
	v_cmp_ne_u32_e64 s2, 31, v5
	s_delay_alu instid0(VALU_DEP_2) | instskip(NEXT) | instid1(VALU_DEP_1)
	v_lshlrev_b32_e32 v4, 1, v4
	v_add_lshl_u32 v4, v4, v5, 2
	s_delay_alu instid0(VALU_DEP_3) | instskip(NEXT) | instid1(VALU_DEP_1)
	v_add_co_ci_u32_e64 v5, s2, 0, v5, s2
	v_lshlrev_b32_e32 v5, 2, v5
	ds_bpermute_b32 v7, v3, v6
	s_waitcnt lgkmcnt(0)
	v_add_f32_e32 v6, v6, v7
	ds_bpermute_b32 v7, v4, v6
	s_waitcnt lgkmcnt(0)
	v_add_f32_e32 v6, v6, v7
	ds_bpermute_b32 v7, v5, v6
	v_cmpx_eq_u32_e32 0, v2
	s_cbranch_execz .LBB442_10
; %bb.9:
	v_lshrrev_b32_e32 v2, 3, v0
	s_waitcnt lgkmcnt(0)
	v_add_f32_e32 v6, v6, v7
	s_delay_alu instid0(VALU_DEP_2)
	v_and_b32_e32 v2, 28, v2
	ds_store_b32 v2, v6
.LBB442_10:
	s_or_b32 exec_lo, exec_lo, s3
	v_mov_b32_e32 v2, 0
	s_mov_b32 s3, exec_lo
	s_waitcnt lgkmcnt(0)
	s_barrier
	buffer_gl0_inv
	v_cmpx_gt_u32_e32 8, v0
	s_cbranch_execz .LBB442_12
; %bb.11:
	ds_load_b32 v2, v1
.LBB442_12:
	s_or_b32 exec_lo, exec_lo, s3
	s_and_saveexec_b32 s2, vcc_lo
	s_cbranch_execz .LBB442_14
; %bb.13:
	s_waitcnt lgkmcnt(0)
	ds_bpermute_b32 v1, v3, v2
	s_waitcnt lgkmcnt(0)
	v_add_f32_e32 v1, v2, v1
	ds_bpermute_b32 v2, v4, v1
	s_waitcnt lgkmcnt(0)
	v_add_f32_e32 v1, v1, v2
	;; [unrolled: 3-line block ×3, first 2 shown]
.LBB442_14:
	s_or_b32 exec_lo, exec_lo, s2
	s_delay_alu instid0(SALU_CYCLE_1)
	s_mov_b32 s2, exec_lo
	v_cmpx_eq_u32_e32 0, v0
	s_cbranch_execz .LBB442_18
; %bb.15:
	s_load_b32 s0, s[0:1], 0x28
	v_cmp_eq_f32_e64 s1, s15, 0
	s_lshl_b64 s[2:3], s[10:11], 1
	s_waitcnt lgkmcnt(0)
	s_ashr_i32 s6, s0, 31
	s_mul_hi_u32 s7, s0, s14
	s_mul_i32 s6, s6, s14
	s_add_u32 s2, s4, s2
	s_mul_i32 s0, s0, s14
	s_addc_u32 s3, s5, s3
	s_and_b32 vcc_lo, exec_lo, s1
	s_add_i32 s1, s7, s6
	s_cbranch_vccnz .LBB442_17
; %bb.16:
	s_lshl_b64 s[4:5], s[0:1], 1
	v_mov_b32_e32 v0, 0
	s_add_u32 s4, s2, s4
	s_addc_u32 s5, s3, s5
	global_load_u16 v0, v0, s[4:5]
	s_waitcnt vmcnt(0)
	v_fma_mix_f32 v2, s15, v0, v2 op_sel_hi:[0,1,0]
.LBB442_17:
	s_delay_alu instid0(VALU_DEP_1)
	v_cvt_f16_f32_e32 v0, v2
	s_lshl_b64 s[0:1], s[0:1], 1
	v_mov_b32_e32 v1, 0
	s_add_u32 s0, s2, s0
	s_addc_u32 s1, s3, s1
	global_store_b16 v1, v0, s[0:1]
.LBB442_18:
	s_nop 0
	s_sendmsg sendmsg(MSG_DEALLOC_VGPRS)
	s_endpgm
	.section	.rodata,"a",@progbits
	.p2align	6, 0x0
	.amdhsa_kernel _ZL23rocblas_gemvt_sn_reduceILi256ELi8EfPKfKPDF16_EviT2_lPT3_lilPT1_i
		.amdhsa_group_segment_fixed_size 128
		.amdhsa_private_segment_fixed_size 0
		.amdhsa_kernarg_size 328
		.amdhsa_user_sgpr_count 13
		.amdhsa_user_sgpr_dispatch_ptr 0
		.amdhsa_user_sgpr_queue_ptr 0
		.amdhsa_user_sgpr_kernarg_segment_ptr 1
		.amdhsa_user_sgpr_dispatch_id 0
		.amdhsa_user_sgpr_private_segment_size 0
		.amdhsa_wavefront_size32 1
		.amdhsa_uses_dynamic_stack 0
		.amdhsa_enable_private_segment 0
		.amdhsa_system_sgpr_workgroup_id_x 1
		.amdhsa_system_sgpr_workgroup_id_y 1
		.amdhsa_system_sgpr_workgroup_id_z 1
		.amdhsa_system_sgpr_workgroup_info 0
		.amdhsa_system_vgpr_workitem_id 0
		.amdhsa_next_free_vgpr 13
		.amdhsa_next_free_sgpr 22
		.amdhsa_reserve_vcc 1
		.amdhsa_float_round_mode_32 0
		.amdhsa_float_round_mode_16_64 0
		.amdhsa_float_denorm_mode_32 3
		.amdhsa_float_denorm_mode_16_64 3
		.amdhsa_dx10_clamp 1
		.amdhsa_ieee_mode 1
		.amdhsa_fp16_overflow 0
		.amdhsa_workgroup_processor_mode 1
		.amdhsa_memory_ordered 1
		.amdhsa_forward_progress 0
		.amdhsa_shared_vgpr_count 0
		.amdhsa_exception_fp_ieee_invalid_op 0
		.amdhsa_exception_fp_denorm_src 0
		.amdhsa_exception_fp_ieee_div_zero 0
		.amdhsa_exception_fp_ieee_overflow 0
		.amdhsa_exception_fp_ieee_underflow 0
		.amdhsa_exception_fp_ieee_inexact 0
		.amdhsa_exception_int_div_zero 0
	.end_amdhsa_kernel
	.section	.text._ZL23rocblas_gemvt_sn_reduceILi256ELi8EfPKfKPDF16_EviT2_lPT3_lilPT1_i,"axG",@progbits,_ZL23rocblas_gemvt_sn_reduceILi256ELi8EfPKfKPDF16_EviT2_lPT3_lilPT1_i,comdat
.Lfunc_end442:
	.size	_ZL23rocblas_gemvt_sn_reduceILi256ELi8EfPKfKPDF16_EviT2_lPT3_lilPT1_i, .Lfunc_end442-_ZL23rocblas_gemvt_sn_reduceILi256ELi8EfPKfKPDF16_EviT2_lPT3_lilPT1_i
                                        ; -- End function
	.section	.AMDGPU.csdata,"",@progbits
; Kernel info:
; codeLenInByte = 1084
; NumSgprs: 24
; NumVgprs: 13
; ScratchSize: 0
; MemoryBound: 0
; FloatMode: 240
; IeeeMode: 1
; LDSByteSize: 128 bytes/workgroup (compile time only)
; SGPRBlocks: 2
; VGPRBlocks: 1
; NumSGPRsForWavesPerEU: 24
; NumVGPRsForWavesPerEU: 13
; Occupancy: 16
; WaveLimiterHint : 1
; COMPUTE_PGM_RSRC2:SCRATCH_EN: 0
; COMPUTE_PGM_RSRC2:USER_SGPR: 13
; COMPUTE_PGM_RSRC2:TRAP_HANDLER: 0
; COMPUTE_PGM_RSRC2:TGID_X_EN: 1
; COMPUTE_PGM_RSRC2:TGID_Y_EN: 1
; COMPUTE_PGM_RSRC2:TGID_Z_EN: 1
; COMPUTE_PGM_RSRC2:TIDIG_COMP_CNT: 0
	.section	.text._ZL23rocblas_gemvt_sn_kernelILb0ELi256ELi4EiPKDF16_ffEviiT4_lPKT3_lilS5_lilPT5_i,"axG",@progbits,_ZL23rocblas_gemvt_sn_kernelILb0ELi256ELi4EiPKDF16_ffEviiT4_lPKT3_lilS5_lilPT5_i,comdat
	.globl	_ZL23rocblas_gemvt_sn_kernelILb0ELi256ELi4EiPKDF16_ffEviiT4_lPKT3_lilS5_lilPT5_i ; -- Begin function _ZL23rocblas_gemvt_sn_kernelILb0ELi256ELi4EiPKDF16_ffEviiT4_lPKT3_lilS5_lilPT5_i
	.p2align	8
	.type	_ZL23rocblas_gemvt_sn_kernelILb0ELi256ELi4EiPKDF16_ffEviiT4_lPKT3_lilS5_lilPT5_i,@function
_ZL23rocblas_gemvt_sn_kernelILb0ELi256ELi4EiPKDF16_ffEviiT4_lPKT3_lilS5_lilPT5_i: ; @_ZL23rocblas_gemvt_sn_kernelILb0ELi256ELi4EiPKDF16_ffEviiT4_lPKT3_lilS5_lilPT5_i
; %bb.0:
	s_load_b128 s[8:11], s[0:1], 0x0
	s_mov_b32 s4, s15
	s_mov_b32 s5, 0
	s_waitcnt lgkmcnt(0)
	v_cmp_neq_f32_e64 s7, s10, 0
	v_cmp_eq_f32_e64 s6, s10, 0
	s_delay_alu instid0(VALU_DEP_2)
	s_and_b32 vcc_lo, exec_lo, s7
	s_cbranch_vccnz .LBB443_2
; %bb.1:
	s_mov_b64 s[2:3], 0
	s_and_not1_b32 vcc_lo, exec_lo, s5
	s_cbranch_vccz .LBB443_3
	s_branch .LBB443_4
.LBB443_2:
	s_mov_b32 s5, -1
                                        ; implicit-def: $sgpr2_sgpr3
.LBB443_3:
	s_load_b128 s[16:19], s[0:1], 0x18
	s_mov_b32 s5, 0
	s_delay_alu instid0(SALU_CYCLE_1)
	s_lshl_b64 s[2:3], s[4:5], 3
	s_waitcnt lgkmcnt(0)
	s_add_u32 s2, s16, s2
	s_addc_u32 s3, s17, s3
	s_lshl_b64 s[12:13], s[18:19], 1
	s_load_b64 s[2:3], s[2:3], 0x0
	s_waitcnt lgkmcnt(0)
	s_add_u32 s2, s2, s12
	s_addc_u32 s3, s3, s13
.LBB443_4:
	s_and_not1_b32 vcc_lo, exec_lo, s7
	s_cbranch_vccnz .LBB443_6
; %bb.5:
	s_load_b128 s[16:19], s[0:1], 0x38
	s_lshl_b64 s[12:13], s[4:5], 3
	s_waitcnt lgkmcnt(0)
	s_add_u32 s12, s16, s12
	s_addc_u32 s13, s17, s13
	s_lshl_b64 s[16:17], s[18:19], 1
	s_load_b64 s[12:13], s[12:13], 0x0
	s_waitcnt lgkmcnt(0)
	s_add_u32 s12, s12, s16
	s_addc_u32 s13, s13, s17
	s_branch .LBB443_7
.LBB443_6:
	s_mov_b64 s[12:13], 0
.LBB443_7:
	s_clause 0x1
	s_load_b32 s16, s[0:1], 0x68
	s_load_b64 s[20:21], s[0:1], 0x58
	s_ashr_i32 s19, s9, 31
	s_mul_hi_u32 s7, s4, s9
	s_mul_i32 s11, s4, s19
	s_mul_i32 s5, s5, s9
	s_add_i32 s7, s7, s11
	s_mul_i32 s4, s4, s9
	s_add_i32 s5, s7, s5
	s_mov_b32 s17, 0
	s_waitcnt lgkmcnt(0)
	s_mul_i32 s5, s5, s16
	s_mul_hi_u32 s7, s4, s16
	s_mul_i32 s4, s4, s16
	s_add_i32 s5, s7, s5
	s_delay_alu instid0(SALU_CYCLE_1) | instskip(NEXT) | instid1(SALU_CYCLE_1)
	s_lshl_b64 s[4:5], s[4:5], 2
	s_add_u32 s30, s20, s4
	s_addc_u32 s31, s21, s5
	s_and_not1_b32 vcc_lo, exec_lo, s6
	s_mov_b32 s4, -1
	s_cbranch_vccnz .LBB443_12
; %bb.8:
	v_cmp_eq_u32_e32 vcc_lo, 0, v0
	s_cmp_gt_i32 s9, 0
	s_cselect_b32 s4, -1, 0
	s_delay_alu instid0(SALU_CYCLE_1) | instskip(NEXT) | instid1(SALU_CYCLE_1)
	s_and_b32 s4, vcc_lo, s4
	s_and_saveexec_b32 s11, s4
	s_cbranch_execz .LBB443_11
; %bb.9:
	s_mov_b32 s15, 0
	v_mov_b32_e32 v1, 0
	s_lshl_b64 s[4:5], s[14:15], 2
	s_mov_b32 s15, s9
	s_add_u32 s4, s30, s4
	s_addc_u32 s5, s31, s5
	s_lshl_b64 s[6:7], s[16:17], 2
.LBB443_10:                             ; =>This Inner Loop Header: Depth=1
	s_add_i32 s15, s15, -1
	global_store_b32 v1, v1, s[4:5]
	s_add_u32 s4, s4, s6
	s_addc_u32 s5, s5, s7
	s_cmp_eq_u32 s15, 0
	s_cbranch_scc0 .LBB443_10
.LBB443_11:
	s_or_b32 exec_lo, exec_lo, s11
	s_mov_b32 s4, 0
.LBB443_12:
	s_delay_alu instid0(SALU_CYCLE_1)
	s_and_not1_b32 vcc_lo, exec_lo, s4
	s_cbranch_vccnz .LBB443_86
; %bb.13:
	s_clause 0x1
	s_load_b32 s18, s[0:1], 0x28
	s_load_b32 s11, s[0:1], 0x48
	s_lshl_b32 s4, s14, 10
	s_ashr_i32 s0, s8, 31
	v_lshl_or_b32 v1, v0, 2, s4
	s_lshr_b32 s0, s0, 30
	s_lshr_b32 s1, s19, 30
	s_add_i32 s0, s8, s0
	s_add_i32 s1, s9, s1
	v_ashrrev_i32_e32 v2, 31, v1
	s_and_b32 s0, s0, -4
	s_and_b32 s15, s1, -4
	s_sub_i32 s17, s8, s0
	v_add_nc_u32_e32 v22, 4, v1
	v_lshlrev_b64 v[2:3], 1, v[1:2]
	v_add_nc_u32_e32 v23, s17, v1
	v_and_b32_e32 v19, 31, v0
	v_cmp_gt_u32_e64 s0, 32, v0
	v_mbcnt_lo_u32_b32 v21, -1, 0
	v_cmp_gt_u32_e64 s1, 8, v0
	v_add_co_u32 v17, vcc_lo, s2, v2
	s_waitcnt lgkmcnt(0)
	v_mul_lo_u32 v5, v1, s11
	v_add_co_ci_u32_e32 v18, vcc_lo, s3, v3, vcc_lo
	v_lshrrev_b32_e32 v20, 3, v0
	v_cmp_eq_u32_e64 s2, 0, v0
	s_cmp_lt_i32 s15, 1
	s_cbranch_scc1 .LBB443_61
; %bb.14:
	v_cmp_gt_u32_e32 vcc_lo, 16, v21
	v_mul_lo_u32 v6, v1, s11
	s_mov_b32 s21, 0
	s_cmp_gt_i32 s17, 0
	v_cmp_ge_i32_e64 s3, s8, v22
	v_cndmask_b32_e64 v2, 0, 1, vcc_lo
	v_cmp_gt_u32_e32 vcc_lo, 24, v21
	v_cmp_ge_i32_e64 s4, s8, v23
	v_cmp_eq_u32_e64 s5, 0, v19
	v_lshlrev_b32_e32 v29, 2, v19
	v_dual_mov_b32 v31, 0 :: v_dual_lshlrev_b32 v2, 4, v2
	v_cndmask_b32_e64 v3, 0, 1, vcc_lo
	v_cmp_gt_u32_e32 vcc_lo, 28, v21
	v_and_b32_e32 v30, 28, v20
	s_delay_alu instid0(VALU_DEP_4)
	v_add_lshl_u32 v24, v2, v21, 2
	s_mov_b32 s19, s21
	v_lshlrev_b32_e32 v2, 3, v3
	v_cndmask_b32_e64 v4, 0, 1, vcc_lo
	v_cmp_gt_u32_e32 vcc_lo, 30, v21
	s_cselect_b32 s33, -1, 0
	s_lshl_b32 s20, s18, 1
	v_add_lshl_u32 v25, v2, v21, 2
	v_lshlrev_b32_e32 v1, 2, v4
	v_cndmask_b32_e64 v7, 0, 1, vcc_lo
	v_cmp_ne_u32_e32 vcc_lo, 31, v21
	s_lshl_b32 s34, s18, 2
	s_mul_i32 s35, s18, 3
	v_add_lshl_u32 v26, v1, v21, 2
	v_lshlrev_b32_e32 v3, 1, v7
	v_add_nc_u32_e32 v1, s11, v6
	v_ashrrev_i32_e32 v7, 31, v6
	v_add_co_ci_u32_e32 v4, vcc_lo, 0, v21, vcc_lo
	s_delay_alu instid0(VALU_DEP_4) | instskip(NEXT) | instid1(VALU_DEP_4)
	v_add_lshl_u32 v27, v3, v21, 2
	v_add_nc_u32_e32 v3, s11, v1
	v_ashrrev_i32_e32 v2, 31, v1
	v_lshlrev_b64 v[7:8], 1, v[6:7]
	v_lshlrev_b32_e32 v28, 2, v4
	s_mov_b32 s36, s21
	v_add_nc_u32_e32 v11, s11, v3
	v_lshlrev_b64 v[1:2], 1, v[1:2]
	v_ashrrev_i32_e32 v4, 31, v3
	v_add_co_u32 v7, vcc_lo, s12, v7
	s_delay_alu instid0(VALU_DEP_4) | instskip(SKIP_1) | instid1(VALU_DEP_4)
	v_ashrrev_i32_e32 v12, 31, v11
	v_add_co_ci_u32_e32 v8, vcc_lo, s13, v8, vcc_lo
	v_lshlrev_b64 v[3:4], 1, v[3:4]
	v_add_co_u32 v9, vcc_lo, s12, v1
	v_add_co_ci_u32_e32 v10, vcc_lo, s13, v2, vcc_lo
	v_lshlrev_b64 v[1:2], 1, v[11:12]
	s_delay_alu instid0(VALU_DEP_4) | instskip(SKIP_2) | instid1(VALU_DEP_3)
	v_add_co_u32 v11, vcc_lo, s12, v3
	v_add_co_ci_u32_e32 v12, vcc_lo, s13, v4, vcc_lo
	s_mov_b32 s22, s21
	v_add_co_u32 v13, vcc_lo, s12, v1
	s_delay_alu instid0(VALU_DEP_4)
	v_add_co_ci_u32_e32 v14, vcc_lo, s13, v2, vcc_lo
	s_mov_b64 s[24:25], s[20:21]
	s_mov_b64 s[26:27], s[18:19]
	s_mov_b32 s19, 0
                                        ; implicit-def: $vgpr1_vgpr2_vgpr3_vgpr4
	s_branch .LBB443_16
.LBB443_15:                             ;   in Loop: Header=BB443_16 Depth=1
	s_or_b32 exec_lo, exec_lo, s6
	s_add_i32 s19, s19, 4
	s_add_u32 s26, s26, s34
	s_addc_u32 s27, s27, 0
	s_add_u32 s24, s24, s34
	s_addc_u32 s25, s25, 0
	;; [unrolled: 2-line block ×3, first 2 shown]
	s_add_i32 s22, s22, s34
	s_cmp_ge_i32 s19, s15
	s_cbranch_scc1 .LBB443_62
.LBB443_16:                             ; =>This Loop Header: Depth=1
                                        ;     Child Loop BB443_47 Depth 2
                                        ;     Child Loop BB443_50 Depth 2
                                        ; implicit-def: $vgpr32
                                        ; implicit-def: $vgpr33
                                        ; implicit-def: $vgpr34
                                        ; implicit-def: $vgpr35
	s_and_saveexec_b32 s6, s3
	s_delay_alu instid0(SALU_CYCLE_1)
	s_xor_b32 s6, exec_lo, s6
	s_cbranch_execnz .LBB443_43
; %bb.17:                               ;   in Loop: Header=BB443_16 Depth=1
	s_and_not1_saveexec_b32 s20, s6
	s_cbranch_execnz .LBB443_44
.LBB443_18:                             ;   in Loop: Header=BB443_16 Depth=1
	s_or_b32 exec_lo, exec_lo, s20
	s_and_saveexec_b32 s6, s0
	s_cbranch_execz .LBB443_20
.LBB443_19:                             ;   in Loop: Header=BB443_16 Depth=1
	ds_store_b32 v29, v31
.LBB443_20:                             ;   in Loop: Header=BB443_16 Depth=1
	s_or_b32 exec_lo, exec_lo, s6
	ds_bpermute_b32 v15, v24, v35
	s_waitcnt lgkmcnt(0)
	s_waitcnt_vscnt null, 0x0
	s_barrier
	buffer_gl0_inv
	v_add_f32_e32 v15, v35, v15
	ds_bpermute_b32 v16, v25, v15
	s_waitcnt lgkmcnt(0)
	v_add_f32_e32 v15, v15, v16
	ds_bpermute_b32 v16, v26, v15
	s_waitcnt lgkmcnt(0)
	v_add_f32_e32 v15, v15, v16
	ds_bpermute_b32 v16, v27, v15
	s_waitcnt lgkmcnt(0)
	v_add_f32_e32 v15, v15, v16
	ds_bpermute_b32 v16, v28, v15
	s_and_saveexec_b32 s6, s5
	s_cbranch_execz .LBB443_22
; %bb.21:                               ;   in Loop: Header=BB443_16 Depth=1
	s_waitcnt lgkmcnt(0)
	v_add_f32_e32 v15, v15, v16
	ds_store_b32 v30, v15
.LBB443_22:                             ;   in Loop: Header=BB443_16 Depth=1
	s_or_b32 exec_lo, exec_lo, s6
	v_mov_b32_e32 v15, 0
	s_waitcnt lgkmcnt(0)
	s_barrier
	buffer_gl0_inv
	s_and_saveexec_b32 s6, s1
	s_cbranch_execnz .LBB443_52
; %bb.23:                               ;   in Loop: Header=BB443_16 Depth=1
	s_or_b32 exec_lo, exec_lo, s6
	s_and_saveexec_b32 s6, s0
	s_cbranch_execnz .LBB443_53
.LBB443_24:                             ;   in Loop: Header=BB443_16 Depth=1
	s_or_b32 exec_lo, exec_lo, s6
	s_and_saveexec_b32 s6, s0
	s_cbranch_execz .LBB443_26
.LBB443_25:                             ;   in Loop: Header=BB443_16 Depth=1
	ds_store_b32 v29, v31
.LBB443_26:                             ;   in Loop: Header=BB443_16 Depth=1
	s_or_b32 exec_lo, exec_lo, s6
	ds_bpermute_b32 v16, v24, v34
	s_waitcnt lgkmcnt(0)
	s_barrier
	buffer_gl0_inv
	v_add_f32_e32 v16, v34, v16
	ds_bpermute_b32 v34, v25, v16
	s_waitcnt lgkmcnt(0)
	v_add_f32_e32 v16, v16, v34
	ds_bpermute_b32 v34, v26, v16
	s_waitcnt lgkmcnt(0)
	;; [unrolled: 3-line block ×3, first 2 shown]
	v_add_f32_e32 v16, v16, v34
	ds_bpermute_b32 v34, v28, v16
	s_and_saveexec_b32 s6, s5
	s_cbranch_execz .LBB443_28
; %bb.27:                               ;   in Loop: Header=BB443_16 Depth=1
	s_waitcnt lgkmcnt(0)
	v_add_f32_e32 v16, v16, v34
	ds_store_b32 v30, v16
.LBB443_28:                             ;   in Loop: Header=BB443_16 Depth=1
	s_or_b32 exec_lo, exec_lo, s6
	v_mov_b32_e32 v16, 0
	s_waitcnt lgkmcnt(0)
	s_barrier
	buffer_gl0_inv
	s_and_saveexec_b32 s6, s1
	s_cbranch_execnz .LBB443_54
; %bb.29:                               ;   in Loop: Header=BB443_16 Depth=1
	s_or_b32 exec_lo, exec_lo, s6
	s_and_saveexec_b32 s6, s0
	s_cbranch_execnz .LBB443_55
.LBB443_30:                             ;   in Loop: Header=BB443_16 Depth=1
	s_or_b32 exec_lo, exec_lo, s6
	s_and_saveexec_b32 s6, s0
	s_cbranch_execz .LBB443_32
.LBB443_31:                             ;   in Loop: Header=BB443_16 Depth=1
	ds_store_b32 v29, v31
.LBB443_32:                             ;   in Loop: Header=BB443_16 Depth=1
	s_or_b32 exec_lo, exec_lo, s6
	ds_bpermute_b32 v34, v24, v33
	s_waitcnt lgkmcnt(0)
	s_barrier
	buffer_gl0_inv
	v_add_f32_e32 v33, v33, v34
	ds_bpermute_b32 v34, v25, v33
	s_waitcnt lgkmcnt(0)
	v_add_f32_e32 v33, v33, v34
	ds_bpermute_b32 v34, v26, v33
	s_waitcnt lgkmcnt(0)
	;; [unrolled: 3-line block ×3, first 2 shown]
	v_add_f32_e32 v33, v33, v34
	ds_bpermute_b32 v34, v28, v33
	s_and_saveexec_b32 s6, s5
	s_cbranch_execz .LBB443_34
; %bb.33:                               ;   in Loop: Header=BB443_16 Depth=1
	s_waitcnt lgkmcnt(0)
	v_add_f32_e32 v33, v33, v34
	ds_store_b32 v30, v33
.LBB443_34:                             ;   in Loop: Header=BB443_16 Depth=1
	s_or_b32 exec_lo, exec_lo, s6
	v_mov_b32_e32 v33, 0
	s_waitcnt lgkmcnt(0)
	s_barrier
	buffer_gl0_inv
	s_and_saveexec_b32 s6, s1
	s_cbranch_execnz .LBB443_56
; %bb.35:                               ;   in Loop: Header=BB443_16 Depth=1
	s_or_b32 exec_lo, exec_lo, s6
	s_and_saveexec_b32 s6, s0
	s_cbranch_execnz .LBB443_57
.LBB443_36:                             ;   in Loop: Header=BB443_16 Depth=1
	s_or_b32 exec_lo, exec_lo, s6
	s_and_saveexec_b32 s6, s0
	s_cbranch_execz .LBB443_38
.LBB443_37:                             ;   in Loop: Header=BB443_16 Depth=1
	ds_store_b32 v29, v31
.LBB443_38:                             ;   in Loop: Header=BB443_16 Depth=1
	s_or_b32 exec_lo, exec_lo, s6
	ds_bpermute_b32 v34, v24, v32
	s_waitcnt lgkmcnt(0)
	s_barrier
	buffer_gl0_inv
	v_add_f32_e32 v32, v32, v34
	ds_bpermute_b32 v34, v25, v32
	s_waitcnt lgkmcnt(0)
	v_add_f32_e32 v32, v32, v34
	ds_bpermute_b32 v34, v26, v32
	s_waitcnt lgkmcnt(0)
	;; [unrolled: 3-line block ×3, first 2 shown]
	v_add_f32_e32 v32, v32, v34
	ds_bpermute_b32 v34, v28, v32
	s_and_saveexec_b32 s6, s5
	s_cbranch_execz .LBB443_40
; %bb.39:                               ;   in Loop: Header=BB443_16 Depth=1
	s_waitcnt lgkmcnt(0)
	v_add_f32_e32 v32, v32, v34
	ds_store_b32 v30, v32
.LBB443_40:                             ;   in Loop: Header=BB443_16 Depth=1
	s_or_b32 exec_lo, exec_lo, s6
	v_mov_b32_e32 v32, 0
	s_waitcnt lgkmcnt(0)
	s_barrier
	buffer_gl0_inv
	s_and_saveexec_b32 s6, s1
	s_cbranch_execnz .LBB443_58
; %bb.41:                               ;   in Loop: Header=BB443_16 Depth=1
	s_or_b32 exec_lo, exec_lo, s6
	s_and_saveexec_b32 s6, s0
	s_cbranch_execnz .LBB443_59
.LBB443_42:                             ;   in Loop: Header=BB443_16 Depth=1
	s_or_b32 exec_lo, exec_lo, s6
	s_and_saveexec_b32 s6, s2
	s_cbranch_execz .LBB443_15
	s_branch .LBB443_60
.LBB443_43:                             ;   in Loop: Header=BB443_16 Depth=1
	s_mul_i32 s28, s19, s18
	s_delay_alu instid0(SALU_CYCLE_1)
	s_ashr_i32 s29, s28, 31
	s_add_i32 s38, s28, s18
	s_lshl_b64 s[28:29], s[28:29], 1
	s_ashr_i32 s39, s38, 31
	v_add_co_u32 v1, vcc_lo, v17, s28
	v_add_co_ci_u32_e32 v2, vcc_lo, s29, v18, vcc_lo
	s_lshl_b64 s[28:29], s[38:39], 1
	s_add_i32 s38, s38, s18
	v_add_co_u32 v3, vcc_lo, v17, s28
	s_ashr_i32 s39, s38, 31
	s_add_i32 s28, s38, s18
	s_lshl_b64 s[38:39], s[38:39], 1
	v_add_co_ci_u32_e32 v4, vcc_lo, s29, v18, vcc_lo
	s_ashr_i32 s29, s28, 31
	v_add_co_u32 v15, vcc_lo, v17, s38
	s_lshl_b64 s[28:29], s[28:29], 1
	v_add_co_ci_u32_e32 v16, vcc_lo, s39, v18, vcc_lo
	s_waitcnt lgkmcnt(0)
	v_add_co_u32 v32, vcc_lo, v17, s28
	v_add_co_ci_u32_e32 v33, vcc_lo, s29, v18, vcc_lo
	flat_load_u16 v40, v[7:8]
	s_clause 0x3
	flat_load_b64 v[34:35], v[1:2]
	flat_load_b64 v[36:37], v[3:4]
	flat_load_b64 v[15:16], v[15:16]
	flat_load_b64 v[38:39], v[32:33]
	s_clause 0x2
	flat_load_u16 v3, v[9:10]
	flat_load_u16 v4, v[11:12]
	flat_load_u16 v32, v[13:14]
	s_waitcnt vmcnt(7) lgkmcnt(7)
	v_cvt_f32_f16_e32 v1, v40
	s_waitcnt vmcnt(6) lgkmcnt(6)
	v_fma_mix_f32 v33, v40, v34, 0 op_sel_hi:[1,1,0]
	s_waitcnt vmcnt(5) lgkmcnt(5)
	v_fma_mix_f32 v41, v40, v36, 0 op_sel_hi:[1,1,0]
	;; [unrolled: 2-line block ×4, first 2 shown]
	s_waitcnt vmcnt(2) lgkmcnt(2)
	v_cvt_f32_f16_e32 v2, v3
	v_fma_mix_f32 v33, v3, v34, v33 op_sel:[0,1,0] op_sel_hi:[1,1,0]
	v_fma_mix_f32 v34, v3, v36, v41 op_sel:[0,1,0] op_sel_hi:[1,1,0]
	v_fma_mix_f32 v15, v3, v15, v42 op_sel:[0,1,0] op_sel_hi:[1,1,0]
	v_fma_mix_f32 v36, v3, v38, v40 op_sel:[0,1,0] op_sel_hi:[1,1,0]
	s_waitcnt vmcnt(1) lgkmcnt(1)
	v_cvt_f32_f16_e32 v3, v4
	v_fma_mix_f32 v33, v4, v35, v33 op_sel_hi:[1,1,0]
	v_fma_mix_f32 v34, v4, v37, v34 op_sel_hi:[1,1,0]
	;; [unrolled: 1-line block ×4, first 2 shown]
	s_waitcnt vmcnt(0) lgkmcnt(0)
	v_cvt_f32_f16_e32 v4, v32
	v_fma_mix_f32 v35, v32, v35, v33 op_sel:[0,1,0] op_sel_hi:[1,1,0]
	v_fma_mix_f32 v34, v32, v37, v34 op_sel:[0,1,0] op_sel_hi:[1,1,0]
	v_fma_mix_f32 v33, v32, v16, v15 op_sel:[0,1,0] op_sel_hi:[1,1,0]
	v_fma_mix_f32 v32, v32, v39, v36 op_sel:[0,1,0] op_sel_hi:[1,1,0]
	s_and_not1_saveexec_b32 s20, s6
	s_cbranch_execz .LBB443_18
.LBB443_44:                             ;   in Loop: Header=BB443_16 Depth=1
	s_waitcnt lgkmcnt(0)
	v_dual_mov_b32 v32, 0 :: v_dual_mov_b32 v33, 0
	v_dual_mov_b32 v34, 0 :: v_dual_mov_b32 v35, 0
	s_and_saveexec_b32 s37, s4
	s_cbranch_execz .LBB443_51
; %bb.45:                               ;   in Loop: Header=BB443_16 Depth=1
	s_and_not1_b32 vcc_lo, exec_lo, s33
	s_cbranch_vccnz .LBB443_48
; %bb.46:                               ;   in Loop: Header=BB443_16 Depth=1
	v_mov_b32_e32 v15, v6
	s_mov_b64 s[28:29], 0
	.p2align	6
.LBB443_47:                             ;   Parent Loop BB443_16 Depth=1
                                        ; =>  This Inner Loop Header: Depth=2
	s_delay_alu instid0(VALU_DEP_1) | instskip(SKIP_1) | instid1(VALU_DEP_1)
	v_ashrrev_i32_e32 v16, 31, v15
	s_cmp_eq_u32 s28, 3
	v_lshlrev_b64 v[32:33], 1, v[15:16]
	s_delay_alu instid0(VALU_DEP_1) | instskip(NEXT) | instid1(VALU_DEP_2)
	v_add_co_u32 v32, vcc_lo, s12, v32
	v_add_co_ci_u32_e32 v33, vcc_lo, s13, v33, vcc_lo
	s_cselect_b32 vcc_lo, -1, 0
	s_cmp_eq_u32 s28, 2
	s_cselect_b32 s6, -1, 0
	flat_load_u16 v16, v[32:33]
	s_cmp_eq_u32 s28, 1
	s_cselect_b32 s7, -1, 0
	s_cmp_eq_u32 s28, 0
	s_waitcnt vmcnt(0) lgkmcnt(0)
	v_cvt_f32_f16_e32 v16, v16
	s_delay_alu instid0(VALU_DEP_1)
	v_dual_cndmask_b32 v4, v4, v16 :: v_dual_add_nc_u32 v15, s11, v15
	s_cselect_b32 vcc_lo, -1, 0
	v_cndmask_b32_e64 v3, v3, v16, s6
	v_cndmask_b32_e64 v2, v2, v16, s7
	v_cndmask_b32_e32 v1, v1, v16, vcc_lo
	s_add_u32 s28, s28, 1
	s_addc_u32 s29, s29, 0
	s_cmp_eq_u32 s17, s28
	s_cbranch_scc0 .LBB443_47
.LBB443_48:                             ;   in Loop: Header=BB443_16 Depth=1
	v_dual_mov_b32 v32, 0 :: v_dual_mov_b32 v33, 0
	v_dual_mov_b32 v34, 0 :: v_dual_mov_b32 v35, 0
	s_and_not1_b32 vcc_lo, exec_lo, s33
	s_cbranch_vccnz .LBB443_51
; %bb.49:                               ;   in Loop: Header=BB443_16 Depth=1
	s_ashr_i32 s23, s22, 31
	v_dual_mov_b32 v35, 0 :: v_dual_mov_b32 v34, 0
	s_lshl_b64 s[6:7], s[22:23], 1
	v_dual_mov_b32 v33, 0 :: v_dual_mov_b32 v32, 0
	v_add_co_u32 v15, vcc_lo, v17, s6
	v_add_co_ci_u32_e32 v16, vcc_lo, s7, v18, vcc_lo
	s_mov_b64 s[28:29], 0
.LBB443_50:                             ;   Parent Loop BB443_16 Depth=1
                                        ; =>  This Inner Loop Header: Depth=2
	s_delay_alu instid0(SALU_CYCLE_1)
	s_cmp_eq_u32 s28, 1
	s_cselect_b32 vcc_lo, -1, 0
	s_cmp_eq_u32 s28, 2
	v_cndmask_b32_e32 v36, v1, v2, vcc_lo
	s_cselect_b32 vcc_lo, -1, 0
	s_cmp_eq_u32 s28, 3
	s_delay_alu instid0(VALU_DEP_1)
	v_cndmask_b32_e32 v42, v36, v3, vcc_lo
	s_cselect_b32 vcc_lo, -1, 0
	s_add_i32 s6, s26, s28
	s_add_i32 s38, s24, s28
	s_ashr_i32 s7, s6, 31
	s_ashr_i32 s39, s38, 31
	s_lshl_b64 s[6:7], s[6:7], 1
	s_add_i32 s40, s35, s28
	v_add_co_u32 v36, s6, v17, s6
	s_lshl_b64 s[38:39], s[38:39], 1
	s_ashr_i32 s41, s40, 31
	v_add_co_ci_u32_e64 v37, s6, s7, v18, s6
	v_add_co_u32 v38, s6, v17, s38
	s_lshl_b64 s[40:41], s[40:41], 1
	v_add_co_ci_u32_e64 v39, s6, s39, v18, s6
	v_add_co_u32 v40, s6, v17, s40
	s_delay_alu instid0(VALU_DEP_1)
	v_add_co_ci_u32_e64 v41, s6, s41, v18, s6
	flat_load_u16 v43, v[15:16]
	s_clause 0x2
	flat_load_u16 v36, v[36:37]
	flat_load_u16 v37, v[38:39]
	flat_load_u16 v38, v[40:41]
	v_cndmask_b32_e32 v39, v42, v4, vcc_lo
	v_add_co_u32 v15, s6, v15, 2
	s_delay_alu instid0(VALU_DEP_1)
	v_add_co_ci_u32_e64 v16, s6, 0, v16, s6
	s_add_u32 s28, s28, 1
	s_addc_u32 s29, s29, 0
	s_cmp_lg_u32 s17, s28
	s_waitcnt vmcnt(3) lgkmcnt(3)
	v_fma_mix_f32 v35, v39, v43, v35 op_sel_hi:[0,1,0]
	s_waitcnt vmcnt(2) lgkmcnt(2)
	v_fma_mix_f32 v34, v39, v36, v34 op_sel_hi:[0,1,0]
	;; [unrolled: 2-line block ×4, first 2 shown]
	s_cbranch_scc1 .LBB443_50
.LBB443_51:                             ;   in Loop: Header=BB443_16 Depth=1
	s_or_b32 exec_lo, exec_lo, s37
	s_delay_alu instid0(SALU_CYCLE_1)
	s_or_b32 exec_lo, exec_lo, s20
	s_and_saveexec_b32 s6, s0
	s_cbranch_execnz .LBB443_19
	s_branch .LBB443_20
.LBB443_52:                             ;   in Loop: Header=BB443_16 Depth=1
	ds_load_b32 v15, v29
	s_or_b32 exec_lo, exec_lo, s6
	s_and_saveexec_b32 s6, s0
	s_cbranch_execz .LBB443_24
.LBB443_53:                             ;   in Loop: Header=BB443_16 Depth=1
	s_waitcnt lgkmcnt(0)
	ds_bpermute_b32 v16, v26, v15
	s_waitcnt lgkmcnt(0)
	v_add_f32_e32 v15, v15, v16
	ds_bpermute_b32 v16, v27, v15
	s_waitcnt lgkmcnt(0)
	v_add_f32_e32 v15, v15, v16
	;; [unrolled: 3-line block ×3, first 2 shown]
	s_or_b32 exec_lo, exec_lo, s6
	s_and_saveexec_b32 s6, s0
	s_cbranch_execnz .LBB443_25
	s_branch .LBB443_26
.LBB443_54:                             ;   in Loop: Header=BB443_16 Depth=1
	ds_load_b32 v16, v29
	s_or_b32 exec_lo, exec_lo, s6
	s_and_saveexec_b32 s6, s0
	s_cbranch_execz .LBB443_30
.LBB443_55:                             ;   in Loop: Header=BB443_16 Depth=1
	s_waitcnt lgkmcnt(0)
	ds_bpermute_b32 v34, v26, v16
	s_waitcnt lgkmcnt(0)
	v_add_f32_e32 v16, v16, v34
	ds_bpermute_b32 v34, v27, v16
	s_waitcnt lgkmcnt(0)
	v_add_f32_e32 v16, v16, v34
	;; [unrolled: 3-line block ×3, first 2 shown]
	s_or_b32 exec_lo, exec_lo, s6
	s_and_saveexec_b32 s6, s0
	s_cbranch_execnz .LBB443_31
	s_branch .LBB443_32
.LBB443_56:                             ;   in Loop: Header=BB443_16 Depth=1
	ds_load_b32 v33, v29
	s_or_b32 exec_lo, exec_lo, s6
	s_and_saveexec_b32 s6, s0
	s_cbranch_execz .LBB443_36
.LBB443_57:                             ;   in Loop: Header=BB443_16 Depth=1
	s_waitcnt lgkmcnt(0)
	ds_bpermute_b32 v34, v26, v33
	s_waitcnt lgkmcnt(0)
	v_add_f32_e32 v33, v33, v34
	ds_bpermute_b32 v34, v27, v33
	s_waitcnt lgkmcnt(0)
	v_add_f32_e32 v33, v33, v34
	;; [unrolled: 3-line block ×3, first 2 shown]
	s_or_b32 exec_lo, exec_lo, s6
	s_and_saveexec_b32 s6, s0
	s_cbranch_execnz .LBB443_37
	s_branch .LBB443_38
.LBB443_58:                             ;   in Loop: Header=BB443_16 Depth=1
	ds_load_b32 v32, v29
	s_or_b32 exec_lo, exec_lo, s6
	s_and_saveexec_b32 s6, s0
	s_cbranch_execz .LBB443_42
.LBB443_59:                             ;   in Loop: Header=BB443_16 Depth=1
	s_waitcnt lgkmcnt(0)
	ds_bpermute_b32 v34, v26, v32
	s_waitcnt lgkmcnt(0)
	v_add_f32_e32 v32, v32, v34
	ds_bpermute_b32 v34, v27, v32
	s_waitcnt lgkmcnt(0)
	v_add_f32_e32 v32, v32, v34
	;; [unrolled: 3-line block ×3, first 2 shown]
	s_or_b32 exec_lo, exec_lo, s6
	s_and_saveexec_b32 s6, s2
	s_cbranch_execz .LBB443_15
.LBB443_60:                             ;   in Loop: Header=BB443_16 Depth=1
	s_mul_i32 s7, s19, s16
	v_dual_mul_f32 v15, s10, v15 :: v_dual_mul_f32 v16, s10, v16
	s_add_i32 s20, s7, s14
	v_mul_f32_e32 v33, s10, v33
	s_lshl_b64 s[28:29], s[20:21], 2
	s_delay_alu instid0(SALU_CYCLE_1)
	s_add_u32 s28, s30, s28
	s_addc_u32 s29, s31, s29
	s_add_i32 s20, s20, s16
	global_store_b32 v31, v15, s[28:29]
	s_lshl_b64 s[38:39], s[20:21], 2
	s_waitcnt lgkmcnt(0)
	v_mul_f32_e32 v15, s10, v32
	s_add_u32 s38, s30, s38
	s_addc_u32 s39, s31, s39
	s_add_i32 s20, s20, s16
	global_store_b32 v31, v16, s[38:39]
	s_lshl_b64 s[40:41], s[20:21], 2
	s_delay_alu instid0(SALU_CYCLE_1) | instskip(SKIP_2) | instid1(SALU_CYCLE_1)
	s_add_u32 s28, s30, s40
	s_addc_u32 s29, s31, s41
	s_add_i32 s20, s20, s16
	s_lshl_b64 s[40:41], s[20:21], 2
	s_delay_alu instid0(SALU_CYCLE_1)
	s_add_u32 s38, s30, s40
	s_addc_u32 s39, s31, s41
	s_clause 0x1
	global_store_b32 v31, v33, s[28:29]
	global_store_b32 v31, v15, s[38:39]
	s_branch .LBB443_15
.LBB443_61:
	s_mov_b32 s19, 0
                                        ; implicit-def: $vgpr1_vgpr2_vgpr3_vgpr4
.LBB443_62:
	s_delay_alu instid0(SALU_CYCLE_1)
	s_cmp_ge_i32 s19, s9
	s_cbranch_scc1 .LBB443_86
; %bb.63:
	v_cmp_gt_u32_e32 vcc_lo, 16, v21
	v_cmp_ge_i32_e64 s1, s8, v23
	v_cmp_gt_u32_e64 s2, 32, v0
	v_cmp_gt_u32_e64 s4, 8, v0
	v_cmp_eq_u32_e64 s5, 0, v0
	v_cndmask_b32_e64 v6, 0, 1, vcc_lo
	v_cmp_gt_u32_e32 vcc_lo, 24, v21
	v_cmp_ge_i32_e64 s0, s8, v22
	s_cmp_gt_i32 s17, 0
	s_mov_b32 s15, 0
	v_lshlrev_b32_e32 v6, 4, v6
	v_cndmask_b32_e64 v7, 0, 1, vcc_lo
	v_cmp_gt_u32_e32 vcc_lo, 28, v21
	s_cselect_b32 s8, -1, 0
	v_lshlrev_b32_e32 v16, 2, v19
	s_delay_alu instid0(VALU_DEP_3)
	v_dual_mov_b32 v0, 0 :: v_dual_lshlrev_b32 v7, 3, v7
	v_cndmask_b32_e64 v8, 0, 1, vcc_lo
	v_cmp_gt_u32_e32 vcc_lo, 30, v21
	v_add_lshl_u32 v22, v6, v21, 2
	v_ashrrev_i32_e32 v6, 31, v5
	v_add_lshl_u32 v23, v7, v21, 2
	v_lshlrev_b32_e32 v8, 2, v8
	v_cndmask_b32_e64 v9, 0, 1, vcc_lo
	v_cmp_ne_u32_e32 vcc_lo, 31, v21
	v_add_nc_u32_e32 v7, s11, v5
	v_lshlrev_b64 v[11:12], 1, v[5:6]
	v_add_lshl_u32 v24, v8, v21, 2
	v_lshlrev_b32_e32 v9, 1, v9
	v_add_co_ci_u32_e32 v10, vcc_lo, 0, v21, vcc_lo
	v_ashrrev_i32_e32 v8, 31, v7
	v_add_co_u32 v6, vcc_lo, s12, v11
	s_delay_alu instid0(VALU_DEP_4) | instskip(SKIP_4) | instid1(VALU_DEP_4)
	v_add_lshl_u32 v21, v9, v21, 2
	v_add_nc_u32_e32 v9, s11, v7
	v_lshlrev_b32_e32 v25, 2, v10
	v_lshlrev_b64 v[13:14], 1, v[7:8]
	v_add_co_ci_u32_e32 v7, vcc_lo, s13, v12, vcc_lo
	v_add_nc_u32_e32 v26, s11, v9
	v_ashrrev_i32_e32 v10, 31, v9
	v_cmp_eq_u32_e64 s3, 0, v19
	v_add_co_u32 v8, vcc_lo, s12, v13
	s_delay_alu instid0(VALU_DEP_4) | instskip(NEXT) | instid1(VALU_DEP_4)
	v_ashrrev_i32_e32 v27, 31, v26
	v_lshlrev_b64 v[10:11], 1, v[9:10]
	v_add_co_ci_u32_e32 v9, vcc_lo, s13, v14, vcc_lo
	v_and_b32_e32 v19, 28, v20
	s_delay_alu instid0(VALU_DEP_4) | instskip(SKIP_1) | instid1(VALU_DEP_4)
	v_lshlrev_b64 v[12:13], 1, v[26:27]
	s_lshl_b64 s[6:7], s[14:15], 2
	v_add_co_u32 v10, vcc_lo, s12, v10
	v_add_co_ci_u32_e32 v11, vcc_lo, s13, v11, vcc_lo
	s_delay_alu instid0(VALU_DEP_3) | instskip(NEXT) | instid1(VALU_DEP_4)
	v_add_co_u32 v12, vcc_lo, s12, v12
	v_add_co_ci_u32_e32 v13, vcc_lo, s13, v13, vcc_lo
	s_add_u32 s14, s30, s6
	s_addc_u32 s24, s31, s7
	s_mul_i32 s20, s19, s18
	s_branch .LBB443_65
.LBB443_64:                             ;   in Loop: Header=BB443_65 Depth=1
	s_or_b32 exec_lo, exec_lo, s6
	s_add_i32 s19, s19, 1
	s_add_i32 s20, s20, s18
	s_cmp_ge_i32 s19, s9
	s_cbranch_scc1 .LBB443_86
.LBB443_65:                             ; =>This Loop Header: Depth=1
                                        ;     Child Loop BB443_78 Depth 2
                                        ;     Child Loop BB443_81 Depth 2
	v_mov_b32_e32 v20, s15
	s_and_saveexec_b32 s6, s0
	s_delay_alu instid0(SALU_CYCLE_1)
	s_xor_b32 s6, exec_lo, s6
	s_cbranch_execnz .LBB443_74
; %bb.66:                               ;   in Loop: Header=BB443_65 Depth=1
	s_and_not1_saveexec_b32 s25, s6
	s_cbranch_execnz .LBB443_75
.LBB443_67:                             ;   in Loop: Header=BB443_65 Depth=1
	s_or_b32 exec_lo, exec_lo, s25
	s_and_saveexec_b32 s6, s2
	s_cbranch_execz .LBB443_69
.LBB443_68:                             ;   in Loop: Header=BB443_65 Depth=1
	ds_store_b32 v16, v0
.LBB443_69:                             ;   in Loop: Header=BB443_65 Depth=1
	s_or_b32 exec_lo, exec_lo, s6
	s_waitcnt lgkmcnt(0)
	ds_bpermute_b32 v14, v22, v20
	s_waitcnt lgkmcnt(0)
	s_waitcnt_vscnt null, 0x0
	s_barrier
	buffer_gl0_inv
	v_add_f32_e32 v14, v20, v14
	ds_bpermute_b32 v15, v23, v14
	s_waitcnt lgkmcnt(0)
	v_add_f32_e32 v14, v14, v15
	ds_bpermute_b32 v15, v24, v14
	s_waitcnt lgkmcnt(0)
	;; [unrolled: 3-line block ×3, first 2 shown]
	v_add_f32_e32 v14, v14, v15
	ds_bpermute_b32 v15, v25, v14
	s_and_saveexec_b32 s6, s3
	s_cbranch_execz .LBB443_71
; %bb.70:                               ;   in Loop: Header=BB443_65 Depth=1
	s_waitcnt lgkmcnt(0)
	v_add_f32_e32 v14, v14, v15
	ds_store_b32 v19, v14
.LBB443_71:                             ;   in Loop: Header=BB443_65 Depth=1
	s_or_b32 exec_lo, exec_lo, s6
	v_mov_b32_e32 v14, 0
	s_waitcnt lgkmcnt(0)
	s_barrier
	buffer_gl0_inv
	s_and_saveexec_b32 s6, s4
	s_cbranch_execnz .LBB443_83
; %bb.72:                               ;   in Loop: Header=BB443_65 Depth=1
	s_or_b32 exec_lo, exec_lo, s6
	s_and_saveexec_b32 s6, s2
	s_cbranch_execnz .LBB443_84
.LBB443_73:                             ;   in Loop: Header=BB443_65 Depth=1
	s_or_b32 exec_lo, exec_lo, s6
	s_and_saveexec_b32 s6, s5
	s_cbranch_execz .LBB443_64
	s_branch .LBB443_85
.LBB443_74:                             ;   in Loop: Header=BB443_65 Depth=1
	s_mul_i32 s22, s19, s18
	s_delay_alu instid0(SALU_CYCLE_1) | instskip(NEXT) | instid1(SALU_CYCLE_1)
	s_ashr_i32 s23, s22, 31
	s_lshl_b64 s[22:23], s[22:23], 1
	s_delay_alu instid0(SALU_CYCLE_1)
	v_add_co_u32 v1, vcc_lo, v17, s22
	v_add_co_ci_u32_e32 v2, vcc_lo, s23, v18, vcc_lo
	s_waitcnt lgkmcnt(0)
	flat_load_b64 v[14:15], v[1:2]
	s_clause 0x3
	flat_load_u16 v1, v[6:7]
	flat_load_u16 v2, v[8:9]
	;; [unrolled: 1-line block ×4, first 2 shown]
	s_waitcnt vmcnt(3) lgkmcnt(3)
	v_fma_mix_f32 v4, v1, v14, 0 op_sel_hi:[1,1,0]
	v_cvt_f32_f16_e32 v1, v1
	s_waitcnt vmcnt(2) lgkmcnt(2)
	s_delay_alu instid0(VALU_DEP_2) | instskip(SKIP_2) | instid1(VALU_DEP_2)
	v_fma_mix_f32 v4, v2, v14, v4 op_sel:[0,1,0] op_sel_hi:[1,1,0]
	v_cvt_f32_f16_e32 v2, v2
	s_waitcnt vmcnt(1) lgkmcnt(1)
	v_fma_mix_f32 v14, v3, v15, v4 op_sel_hi:[1,1,0]
	v_cvt_f32_f16_e32 v3, v3
	s_waitcnt vmcnt(0) lgkmcnt(0)
	v_cvt_f32_f16_e32 v4, v20
	s_delay_alu instid0(VALU_DEP_3)
	v_fma_mix_f32 v20, v20, v15, v14 op_sel:[0,1,0] op_sel_hi:[1,1,0]
	s_and_not1_saveexec_b32 s25, s6
	s_cbranch_execz .LBB443_67
.LBB443_75:                             ;   in Loop: Header=BB443_65 Depth=1
	s_and_saveexec_b32 s26, s1
	s_cbranch_execz .LBB443_82
; %bb.76:                               ;   in Loop: Header=BB443_65 Depth=1
	s_and_not1_b32 vcc_lo, exec_lo, s8
	s_cbranch_vccnz .LBB443_79
; %bb.77:                               ;   in Loop: Header=BB443_65 Depth=1
	s_waitcnt lgkmcnt(0)
	v_mov_b32_e32 v14, v5
	s_mov_b64 s[22:23], 0
	.p2align	6
.LBB443_78:                             ;   Parent Loop BB443_65 Depth=1
                                        ; =>  This Inner Loop Header: Depth=2
	s_delay_alu instid0(VALU_DEP_1) | instskip(SKIP_1) | instid1(VALU_DEP_1)
	v_ashrrev_i32_e32 v15, 31, v14
	s_cmp_eq_u32 s22, 3
	v_lshlrev_b64 v[26:27], 1, v[14:15]
	s_delay_alu instid0(VALU_DEP_1) | instskip(NEXT) | instid1(VALU_DEP_2)
	v_add_co_u32 v26, vcc_lo, s12, v26
	v_add_co_ci_u32_e32 v27, vcc_lo, s13, v27, vcc_lo
	s_cselect_b32 vcc_lo, -1, 0
	s_cmp_eq_u32 s22, 2
	s_cselect_b32 s6, -1, 0
	flat_load_u16 v15, v[26:27]
	s_cmp_eq_u32 s22, 1
	s_cselect_b32 s7, -1, 0
	s_cmp_eq_u32 s22, 0
	s_waitcnt vmcnt(0) lgkmcnt(0)
	v_cvt_f32_f16_e32 v15, v15
	s_delay_alu instid0(VALU_DEP_1)
	v_cndmask_b32_e32 v4, v4, v15, vcc_lo
	s_cselect_b32 vcc_lo, -1, 0
	v_dual_cndmask_b32 v1, v1, v15 :: v_dual_add_nc_u32 v14, s11, v14
	v_cndmask_b32_e64 v3, v3, v15, s6
	v_cndmask_b32_e64 v2, v2, v15, s7
	s_add_u32 s22, s22, 1
	s_addc_u32 s23, s23, 0
	s_cmp_eq_u32 s17, s22
	s_cbranch_scc0 .LBB443_78
.LBB443_79:                             ;   in Loop: Header=BB443_65 Depth=1
	s_and_not1_b32 vcc_lo, exec_lo, s8
	s_cbranch_vccnz .LBB443_82
; %bb.80:                               ;   in Loop: Header=BB443_65 Depth=1
	s_ashr_i32 s21, s20, 31
	s_delay_alu instid0(SALU_CYCLE_1)
	s_lshl_b64 s[6:7], s[20:21], 1
	s_waitcnt lgkmcnt(0)
	v_add_co_u32 v14, vcc_lo, v17, s6
	v_add_co_ci_u32_e32 v15, vcc_lo, s7, v18, vcc_lo
	s_mov_b64 s[6:7], 0
	.p2align	6
.LBB443_81:                             ;   Parent Loop BB443_65 Depth=1
                                        ; =>  This Inner Loop Header: Depth=2
	flat_load_u16 v26, v[14:15]
	s_cmp_eq_u32 s6, 1
	s_cselect_b32 vcc_lo, -1, 0
	s_cmp_eq_u32 s6, 2
	v_cndmask_b32_e32 v27, v1, v2, vcc_lo
	s_cselect_b32 vcc_lo, -1, 0
	s_cmp_eq_u32 s6, 3
	s_delay_alu instid0(VALU_DEP_1)
	v_cndmask_b32_e32 v27, v27, v3, vcc_lo
	s_cselect_b32 vcc_lo, -1, 0
	s_add_u32 s6, s6, 1
	s_addc_u32 s7, s7, 0
	s_cmp_lg_u32 s17, s6
	v_cndmask_b32_e32 v27, v27, v4, vcc_lo
	v_add_co_u32 v14, vcc_lo, v14, 2
	v_add_co_ci_u32_e32 v15, vcc_lo, 0, v15, vcc_lo
	s_waitcnt vmcnt(0) lgkmcnt(0)
	s_delay_alu instid0(VALU_DEP_3)
	v_fma_mix_f32 v20, v27, v26, v20 op_sel_hi:[0,1,0]
	s_cbranch_scc1 .LBB443_81
.LBB443_82:                             ;   in Loop: Header=BB443_65 Depth=1
	s_or_b32 exec_lo, exec_lo, s26
	s_delay_alu instid0(SALU_CYCLE_1)
	s_or_b32 exec_lo, exec_lo, s25
	s_and_saveexec_b32 s6, s2
	s_cbranch_execnz .LBB443_68
	s_branch .LBB443_69
.LBB443_83:                             ;   in Loop: Header=BB443_65 Depth=1
	ds_load_b32 v14, v16
	s_or_b32 exec_lo, exec_lo, s6
	s_and_saveexec_b32 s6, s2
	s_cbranch_execz .LBB443_73
.LBB443_84:                             ;   in Loop: Header=BB443_65 Depth=1
	s_waitcnt lgkmcnt(0)
	ds_bpermute_b32 v15, v24, v14
	s_waitcnt lgkmcnt(0)
	v_add_f32_e32 v14, v14, v15
	ds_bpermute_b32 v15, v21, v14
	s_waitcnt lgkmcnt(0)
	v_add_f32_e32 v14, v14, v15
	;; [unrolled: 3-line block ×3, first 2 shown]
	s_or_b32 exec_lo, exec_lo, s6
	s_and_saveexec_b32 s6, s5
	s_cbranch_execz .LBB443_64
.LBB443_85:                             ;   in Loop: Header=BB443_65 Depth=1
	s_mul_hi_u32 s23, s19, s16
	s_mul_i32 s22, s19, s16
	s_waitcnt lgkmcnt(0)
	v_mul_f32_e32 v14, s10, v14
	s_lshl_b64 s[22:23], s[22:23], 2
	s_delay_alu instid0(SALU_CYCLE_1)
	s_add_u32 s22, s14, s22
	s_addc_u32 s23, s24, s23
	global_store_b32 v0, v14, s[22:23]
	s_branch .LBB443_64
.LBB443_86:
	s_nop 0
	s_sendmsg sendmsg(MSG_DEALLOC_VGPRS)
	s_endpgm
	.section	.rodata,"a",@progbits
	.p2align	6, 0x0
	.amdhsa_kernel _ZL23rocblas_gemvt_sn_kernelILb0ELi256ELi4EiPKDF16_ffEviiT4_lPKT3_lilS5_lilPT5_i
		.amdhsa_group_segment_fixed_size 128
		.amdhsa_private_segment_fixed_size 0
		.amdhsa_kernarg_size 360
		.amdhsa_user_sgpr_count 14
		.amdhsa_user_sgpr_dispatch_ptr 0
		.amdhsa_user_sgpr_queue_ptr 0
		.amdhsa_user_sgpr_kernarg_segment_ptr 1
		.amdhsa_user_sgpr_dispatch_id 0
		.amdhsa_user_sgpr_private_segment_size 0
		.amdhsa_wavefront_size32 1
		.amdhsa_uses_dynamic_stack 0
		.amdhsa_enable_private_segment 0
		.amdhsa_system_sgpr_workgroup_id_x 1
		.amdhsa_system_sgpr_workgroup_id_y 0
		.amdhsa_system_sgpr_workgroup_id_z 1
		.amdhsa_system_sgpr_workgroup_info 0
		.amdhsa_system_vgpr_workitem_id 0
		.amdhsa_next_free_vgpr 44
		.amdhsa_next_free_sgpr 42
		.amdhsa_reserve_vcc 1
		.amdhsa_float_round_mode_32 0
		.amdhsa_float_round_mode_16_64 0
		.amdhsa_float_denorm_mode_32 3
		.amdhsa_float_denorm_mode_16_64 3
		.amdhsa_dx10_clamp 1
		.amdhsa_ieee_mode 1
		.amdhsa_fp16_overflow 0
		.amdhsa_workgroup_processor_mode 1
		.amdhsa_memory_ordered 1
		.amdhsa_forward_progress 0
		.amdhsa_shared_vgpr_count 0
		.amdhsa_exception_fp_ieee_invalid_op 0
		.amdhsa_exception_fp_denorm_src 0
		.amdhsa_exception_fp_ieee_div_zero 0
		.amdhsa_exception_fp_ieee_overflow 0
		.amdhsa_exception_fp_ieee_underflow 0
		.amdhsa_exception_fp_ieee_inexact 0
		.amdhsa_exception_int_div_zero 0
	.end_amdhsa_kernel
	.section	.text._ZL23rocblas_gemvt_sn_kernelILb0ELi256ELi4EiPKDF16_ffEviiT4_lPKT3_lilS5_lilPT5_i,"axG",@progbits,_ZL23rocblas_gemvt_sn_kernelILb0ELi256ELi4EiPKDF16_ffEviiT4_lPKT3_lilS5_lilPT5_i,comdat
.Lfunc_end443:
	.size	_ZL23rocblas_gemvt_sn_kernelILb0ELi256ELi4EiPKDF16_ffEviiT4_lPKT3_lilS5_lilPT5_i, .Lfunc_end443-_ZL23rocblas_gemvt_sn_kernelILb0ELi256ELi4EiPKDF16_ffEviiT4_lPKT3_lilS5_lilPT5_i
                                        ; -- End function
	.section	.AMDGPU.csdata,"",@progbits
; Kernel info:
; codeLenInByte = 4236
; NumSgprs: 44
; NumVgprs: 44
; ScratchSize: 0
; MemoryBound: 0
; FloatMode: 240
; IeeeMode: 1
; LDSByteSize: 128 bytes/workgroup (compile time only)
; SGPRBlocks: 5
; VGPRBlocks: 5
; NumSGPRsForWavesPerEU: 44
; NumVGPRsForWavesPerEU: 44
; Occupancy: 16
; WaveLimiterHint : 0
; COMPUTE_PGM_RSRC2:SCRATCH_EN: 0
; COMPUTE_PGM_RSRC2:USER_SGPR: 14
; COMPUTE_PGM_RSRC2:TRAP_HANDLER: 0
; COMPUTE_PGM_RSRC2:TGID_X_EN: 1
; COMPUTE_PGM_RSRC2:TGID_Y_EN: 0
; COMPUTE_PGM_RSRC2:TGID_Z_EN: 1
; COMPUTE_PGM_RSRC2:TIDIG_COMP_CNT: 0
	.section	.text._ZL23rocblas_gemvt_sn_kernelILb0ELi256ELi4ElPKDF16_ffEviiT4_lPKT3_lilS5_lilPT5_i,"axG",@progbits,_ZL23rocblas_gemvt_sn_kernelILb0ELi256ELi4ElPKDF16_ffEviiT4_lPKT3_lilS5_lilPT5_i,comdat
	.globl	_ZL23rocblas_gemvt_sn_kernelILb0ELi256ELi4ElPKDF16_ffEviiT4_lPKT3_lilS5_lilPT5_i ; -- Begin function _ZL23rocblas_gemvt_sn_kernelILb0ELi256ELi4ElPKDF16_ffEviiT4_lPKT3_lilS5_lilPT5_i
	.p2align	8
	.type	_ZL23rocblas_gemvt_sn_kernelILb0ELi256ELi4ElPKDF16_ffEviiT4_lPKT3_lilS5_lilPT5_i,@function
_ZL23rocblas_gemvt_sn_kernelILb0ELi256ELi4ElPKDF16_ffEviiT4_lPKT3_lilS5_lilPT5_i: ; @_ZL23rocblas_gemvt_sn_kernelILb0ELi256ELi4ElPKDF16_ffEviiT4_lPKT3_lilS5_lilPT5_i
; %bb.0:
	s_load_b128 s[8:11], s[0:1], 0x0
	s_mov_b32 s2, s15
	s_mov_b32 s3, 0
	s_waitcnt lgkmcnt(0)
	v_cmp_neq_f32_e64 s5, s10, 0
	v_cmp_eq_f32_e64 s4, s10, 0
	s_delay_alu instid0(VALU_DEP_2)
	s_and_b32 vcc_lo, exec_lo, s5
	s_cbranch_vccnz .LBB444_2
; %bb.1:
	s_mov_b64 s[18:19], 0
	s_and_not1_b32 vcc_lo, exec_lo, s3
	s_cbranch_vccz .LBB444_3
	s_branch .LBB444_4
.LBB444_2:
	s_mov_b32 s3, -1
                                        ; implicit-def: $sgpr18_sgpr19
.LBB444_3:
	s_load_b128 s[16:19], s[0:1], 0x18
	s_mov_b32 s3, 0
	s_delay_alu instid0(SALU_CYCLE_1)
	s_lshl_b64 s[6:7], s[2:3], 3
	s_waitcnt lgkmcnt(0)
	s_add_u32 s6, s16, s6
	s_addc_u32 s7, s17, s7
	s_lshl_b64 s[12:13], s[18:19], 1
	s_load_b64 s[6:7], s[6:7], 0x0
	s_waitcnt lgkmcnt(0)
	s_add_u32 s18, s6, s12
	s_addc_u32 s19, s7, s13
.LBB444_4:
	s_and_not1_b32 vcc_lo, exec_lo, s5
	s_cbranch_vccnz .LBB444_6
; %bb.5:
	s_load_b128 s[20:23], s[0:1], 0x38
	s_lshl_b64 s[6:7], s[2:3], 3
	s_waitcnt lgkmcnt(0)
	s_add_u32 s6, s20, s6
	s_addc_u32 s7, s21, s7
	s_lshl_b64 s[12:13], s[22:23], 1
	s_load_b64 s[6:7], s[6:7], 0x0
	s_waitcnt lgkmcnt(0)
	s_add_u32 s20, s6, s12
	s_addc_u32 s21, s7, s13
	s_branch .LBB444_7
.LBB444_6:
	s_mov_b64 s[20:21], 0
.LBB444_7:
	s_clause 0x1
	s_load_b32 s12, s[0:1], 0x68
	s_load_b64 s[16:17], s[0:1], 0x58
	s_ashr_i32 s6, s9, 31
	s_mul_hi_u32 s5, s2, s9
	s_mul_i32 s7, s2, s6
	s_mul_i32 s3, s3, s9
	s_add_i32 s5, s5, s7
	s_mul_i32 s2, s2, s9
	s_add_i32 s3, s5, s3
	s_mov_b32 s13, 0
	s_waitcnt lgkmcnt(0)
	s_mul_i32 s3, s3, s12
	s_mul_hi_u32 s5, s2, s12
	s_mul_i32 s2, s2, s12
	s_add_i32 s3, s5, s3
	s_delay_alu instid0(SALU_CYCLE_1) | instskip(NEXT) | instid1(SALU_CYCLE_1)
	s_lshl_b64 s[2:3], s[2:3], 2
	s_add_u32 s33, s16, s2
	s_addc_u32 s36, s17, s3
	s_and_not1_b32 vcc_lo, exec_lo, s4
	s_mov_b32 s2, -1
	s_cbranch_vccnz .LBB444_12
; %bb.8:
	v_cmp_eq_u32_e32 vcc_lo, 0, v0
	s_cmp_gt_i32 s9, 0
	s_cselect_b32 s2, -1, 0
	s_delay_alu instid0(SALU_CYCLE_1) | instskip(NEXT) | instid1(SALU_CYCLE_1)
	s_and_b32 s2, vcc_lo, s2
	s_and_saveexec_b32 s7, s2
	s_cbranch_execz .LBB444_11
; %bb.9:
	s_mov_b32 s15, 0
	v_mov_b32_e32 v1, 0
	s_lshl_b64 s[2:3], s[14:15], 2
	s_mov_b32 s11, s9
	s_add_u32 s2, s33, s2
	s_addc_u32 s3, s36, s3
	s_lshl_b64 s[4:5], s[12:13], 2
.LBB444_10:                             ; =>This Inner Loop Header: Depth=1
	s_add_i32 s11, s11, -1
	global_store_b32 v1, v1, s[2:3]
	s_add_u32 s2, s2, s4
	s_addc_u32 s3, s3, s5
	s_cmp_eq_u32 s11, 0
	s_cbranch_scc0 .LBB444_10
.LBB444_11:
	s_or_b32 exec_lo, exec_lo, s7
	s_mov_b32 s2, 0
.LBB444_12:
	s_delay_alu instid0(SALU_CYCLE_1)
	s_and_not1_b32 vcc_lo, exec_lo, s2
	s_cbranch_vccnz .LBB444_86
; %bb.13:
	s_lshl_b32 s2, s14, 10
	s_clause 0x1
	s_load_b32 s16, s[0:1], 0x28
	s_load_b32 s22, s[0:1], 0x48
	v_lshl_or_b32 v9, v0, 2, s2
	s_ashr_i32 s2, s8, 31
	s_lshr_b32 s1, s6, 30
	s_lshr_b32 s0, s2, 30
	s_add_i32 s1, s9, s1
	v_ashrrev_i32_e32 v10, 31, v9
	s_add_i32 s0, s8, s0
	s_and_b32 s13, s1, -4
	s_and_b32 s0, s0, -4
	v_add_nc_u32_e32 v28, 4, v9
	v_lshlrev_b64 v[7:8], 1, v[9:10]
	s_sub_i32 s11, s8, s0
	v_and_b32_e32 v25, 31, v0
	v_add_nc_u32_e32 v29, s11, v9
	v_cmp_gt_u32_e64 s0, 32, v0
	v_mbcnt_lo_u32_b32 v27, -1, 0
	v_add_co_u32 v5, vcc_lo, s18, v7
	v_add_co_ci_u32_e32 v6, vcc_lo, s19, v8, vcc_lo
	v_cmp_gt_u32_e64 s1, 8, v0
	v_lshrrev_b32_e32 v26, 3, v0
	v_cmp_eq_u32_e64 s2, 0, v0
	v_or_b32_e32 v24, 1, v9
	v_or_b32_e32 v23, 2, v9
	;; [unrolled: 1-line block ×3, first 2 shown]
	s_waitcnt lgkmcnt(0)
	s_ashr_i32 s17, s16, 31
	s_ashr_i32 s23, s22, 31
	s_cmp_lt_i32 s13, 1
	s_cbranch_scc1 .LBB444_61
; %bb.14:
	v_cmp_gt_u32_e32 vcc_lo, 16, v27
	v_mad_i64_i32 v[12:13], null, s22, v23, 0
	v_mad_i64_i32 v[14:15], null, s22, v22, 0
	v_cndmask_b32_e64 v1, 0, 1, vcc_lo
	v_cmp_gt_u32_e32 vcc_lo, 24, v27
	s_mov_b32 s15, 0
	s_cmp_gt_i32 s11, 0
	v_cmp_ge_i32_e64 s3, s8, v28
	v_lshlrev_b32_e32 v1, 4, v1
	v_cndmask_b32_e64 v2, 0, 1, vcc_lo
	v_cmp_gt_u32_e32 vcc_lo, 28, v27
	v_cmp_ge_i32_e64 s4, s8, v29
	s_cselect_b32 s37, -1, 0
	s_delay_alu instid0(VALU_DEP_3)
	v_dual_mov_b32 v37, 0 :: v_dual_lshlrev_b32 v2, 3, v2
	v_cndmask_b32_e64 v3, 0, 1, vcc_lo
	v_cmp_gt_u32_e32 vcc_lo, 30, v27
	v_cmp_eq_u32_e64 s5, 0, v25
	v_lshlrev_b32_e32 v35, 2, v25
	v_add_lshl_u32 v31, v2, v27, 2
	v_lshlrev_b32_e32 v3, 2, v3
	v_cndmask_b32_e64 v4, 0, 1, vcc_lo
	v_cmp_ne_u32_e32 vcc_lo, 31, v27
	v_dual_mov_b32 v19, v6 :: v_dual_mov_b32 v18, v5
	v_add_lshl_u32 v30, v1, v27, 2
	s_delay_alu instid0(VALU_DEP_4) | instskip(SKIP_3) | instid1(VALU_DEP_4)
	v_lshlrev_b32_e32 v4, 1, v4
	v_mad_i64_i32 v[1:2], null, s22, v9, 0
	v_add_lshl_u32 v32, v3, v27, 2
	v_add_co_ci_u32_e32 v10, vcc_lo, 0, v27, vcc_lo
	v_add_lshl_u32 v33, v4, v27, 2
	v_mad_i64_i32 v[3:4], null, s22, v24, 0
	v_lshlrev_b64 v[1:2], 1, v[1:2]
	s_delay_alu instid0(VALU_DEP_4) | instskip(SKIP_4) | instid1(VALU_DEP_4)
	v_lshlrev_b32_e32 v34, 2, v10
	s_lshl_b64 s[6:7], s[14:15], 2
	v_and_b32_e32 v36, 28, v26
	s_add_u32 s38, s33, s6
	s_addc_u32 s39, s36, s7
	v_lshlrev_b64 v[3:4], 1, v[3:4]
	v_add_co_u32 v10, vcc_lo, s20, v1
	v_add_co_ci_u32_e32 v11, vcc_lo, s21, v2, vcc_lo
	v_lshlrev_b64 v[1:2], 1, v[12:13]
	s_delay_alu instid0(VALU_DEP_4) | instskip(SKIP_2) | instid1(VALU_DEP_4)
	v_add_co_u32 v12, vcc_lo, s20, v3
	v_add_co_ci_u32_e32 v13, vcc_lo, s21, v4, vcc_lo
	v_lshlrev_b64 v[3:4], 1, v[14:15]
	v_add_co_u32 v14, vcc_lo, s20, v1
	v_add_co_ci_u32_e32 v15, vcc_lo, s21, v2, vcc_lo
	s_lshl_b64 s[24:25], s[22:23], 1
	s_delay_alu instid0(VALU_DEP_3) | instskip(NEXT) | instid1(VALU_DEP_4)
	v_add_co_u32 v16, vcc_lo, s20, v3
	v_add_co_ci_u32_e32 v17, vcc_lo, s21, v4, vcc_lo
	s_mul_hi_i32 s40, s16, 6
	s_mul_i32 s41, s16, 6
	s_lshl_b64 s[26:27], s[16:17], 3
	s_lshl_b64 s[28:29], s[16:17], 2
	;; [unrolled: 1-line block ×3, first 2 shown]
                                        ; implicit-def: $vgpr1_vgpr2_vgpr3_vgpr4
	s_branch .LBB444_16
.LBB444_15:                             ;   in Loop: Header=BB444_16 Depth=1
	s_or_b32 exec_lo, exec_lo, s6
	v_add_co_u32 v18, vcc_lo, v18, s26
	v_add_co_ci_u32_e32 v19, vcc_lo, s27, v19, vcc_lo
	s_add_i32 s15, s15, 4
	s_delay_alu instid0(SALU_CYCLE_1)
	s_cmp_ge_i32 s15, s13
	s_cbranch_scc1 .LBB444_62
.LBB444_16:                             ; =>This Loop Header: Depth=1
                                        ;     Child Loop BB444_47 Depth 2
                                        ;     Child Loop BB444_50 Depth 2
                                        ; implicit-def: $vgpr38
                                        ; implicit-def: $vgpr39
                                        ; implicit-def: $vgpr40
                                        ; implicit-def: $vgpr41
	s_and_saveexec_b32 s6, s3
	s_delay_alu instid0(SALU_CYCLE_1)
	s_xor_b32 s6, exec_lo, s6
	s_cbranch_execnz .LBB444_43
; %bb.17:                               ;   in Loop: Header=BB444_16 Depth=1
	s_and_not1_saveexec_b32 s42, s6
	s_cbranch_execnz .LBB444_44
.LBB444_18:                             ;   in Loop: Header=BB444_16 Depth=1
	s_or_b32 exec_lo, exec_lo, s42
	s_and_saveexec_b32 s6, s0
	s_cbranch_execz .LBB444_20
.LBB444_19:                             ;   in Loop: Header=BB444_16 Depth=1
	ds_store_b32 v35, v37
.LBB444_20:                             ;   in Loop: Header=BB444_16 Depth=1
	s_or_b32 exec_lo, exec_lo, s6
	ds_bpermute_b32 v20, v30, v41
	s_waitcnt lgkmcnt(0)
	s_waitcnt_vscnt null, 0x0
	s_barrier
	buffer_gl0_inv
	v_add_f32_e32 v20, v41, v20
	ds_bpermute_b32 v21, v31, v20
	s_waitcnt lgkmcnt(0)
	v_add_f32_e32 v20, v20, v21
	ds_bpermute_b32 v21, v32, v20
	s_waitcnt lgkmcnt(0)
	;; [unrolled: 3-line block ×3, first 2 shown]
	v_add_f32_e32 v20, v20, v21
	ds_bpermute_b32 v21, v34, v20
	s_and_saveexec_b32 s6, s5
	s_cbranch_execz .LBB444_22
; %bb.21:                               ;   in Loop: Header=BB444_16 Depth=1
	s_waitcnt lgkmcnt(0)
	v_add_f32_e32 v20, v20, v21
	ds_store_b32 v36, v20
.LBB444_22:                             ;   in Loop: Header=BB444_16 Depth=1
	s_or_b32 exec_lo, exec_lo, s6
	v_mov_b32_e32 v20, 0
	s_waitcnt lgkmcnt(0)
	s_barrier
	buffer_gl0_inv
	s_and_saveexec_b32 s6, s1
	s_cbranch_execnz .LBB444_52
; %bb.23:                               ;   in Loop: Header=BB444_16 Depth=1
	s_or_b32 exec_lo, exec_lo, s6
	s_and_saveexec_b32 s6, s0
	s_cbranch_execnz .LBB444_53
.LBB444_24:                             ;   in Loop: Header=BB444_16 Depth=1
	s_or_b32 exec_lo, exec_lo, s6
	s_and_saveexec_b32 s6, s0
	s_cbranch_execz .LBB444_26
.LBB444_25:                             ;   in Loop: Header=BB444_16 Depth=1
	ds_store_b32 v35, v37
.LBB444_26:                             ;   in Loop: Header=BB444_16 Depth=1
	s_or_b32 exec_lo, exec_lo, s6
	ds_bpermute_b32 v21, v30, v40
	s_waitcnt lgkmcnt(0)
	s_barrier
	buffer_gl0_inv
	v_add_f32_e32 v21, v40, v21
	ds_bpermute_b32 v40, v31, v21
	s_waitcnt lgkmcnt(0)
	v_add_f32_e32 v21, v21, v40
	ds_bpermute_b32 v40, v32, v21
	s_waitcnt lgkmcnt(0)
	;; [unrolled: 3-line block ×3, first 2 shown]
	v_add_f32_e32 v21, v21, v40
	ds_bpermute_b32 v40, v34, v21
	s_and_saveexec_b32 s6, s5
	s_cbranch_execz .LBB444_28
; %bb.27:                               ;   in Loop: Header=BB444_16 Depth=1
	s_waitcnt lgkmcnt(0)
	v_add_f32_e32 v21, v21, v40
	ds_store_b32 v36, v21
.LBB444_28:                             ;   in Loop: Header=BB444_16 Depth=1
	s_or_b32 exec_lo, exec_lo, s6
	v_mov_b32_e32 v21, 0
	s_waitcnt lgkmcnt(0)
	s_barrier
	buffer_gl0_inv
	s_and_saveexec_b32 s6, s1
	s_cbranch_execnz .LBB444_54
; %bb.29:                               ;   in Loop: Header=BB444_16 Depth=1
	s_or_b32 exec_lo, exec_lo, s6
	s_and_saveexec_b32 s6, s0
	s_cbranch_execnz .LBB444_55
.LBB444_30:                             ;   in Loop: Header=BB444_16 Depth=1
	s_or_b32 exec_lo, exec_lo, s6
	s_and_saveexec_b32 s6, s0
	s_cbranch_execz .LBB444_32
.LBB444_31:                             ;   in Loop: Header=BB444_16 Depth=1
	ds_store_b32 v35, v37
.LBB444_32:                             ;   in Loop: Header=BB444_16 Depth=1
	s_or_b32 exec_lo, exec_lo, s6
	ds_bpermute_b32 v40, v30, v39
	s_waitcnt lgkmcnt(0)
	s_barrier
	buffer_gl0_inv
	v_add_f32_e32 v39, v39, v40
	ds_bpermute_b32 v40, v31, v39
	s_waitcnt lgkmcnt(0)
	v_add_f32_e32 v39, v39, v40
	ds_bpermute_b32 v40, v32, v39
	s_waitcnt lgkmcnt(0)
	;; [unrolled: 3-line block ×3, first 2 shown]
	v_add_f32_e32 v39, v39, v40
	ds_bpermute_b32 v40, v34, v39
	s_and_saveexec_b32 s6, s5
	s_cbranch_execz .LBB444_34
; %bb.33:                               ;   in Loop: Header=BB444_16 Depth=1
	s_waitcnt lgkmcnt(0)
	v_add_f32_e32 v39, v39, v40
	ds_store_b32 v36, v39
.LBB444_34:                             ;   in Loop: Header=BB444_16 Depth=1
	s_or_b32 exec_lo, exec_lo, s6
	v_mov_b32_e32 v39, 0
	s_waitcnt lgkmcnt(0)
	s_barrier
	buffer_gl0_inv
	s_and_saveexec_b32 s6, s1
	s_cbranch_execnz .LBB444_56
; %bb.35:                               ;   in Loop: Header=BB444_16 Depth=1
	s_or_b32 exec_lo, exec_lo, s6
	s_and_saveexec_b32 s6, s0
	s_cbranch_execnz .LBB444_57
.LBB444_36:                             ;   in Loop: Header=BB444_16 Depth=1
	s_or_b32 exec_lo, exec_lo, s6
	s_and_saveexec_b32 s6, s0
	s_cbranch_execz .LBB444_38
.LBB444_37:                             ;   in Loop: Header=BB444_16 Depth=1
	ds_store_b32 v35, v37
.LBB444_38:                             ;   in Loop: Header=BB444_16 Depth=1
	s_or_b32 exec_lo, exec_lo, s6
	ds_bpermute_b32 v40, v30, v38
	s_waitcnt lgkmcnt(0)
	s_barrier
	buffer_gl0_inv
	v_add_f32_e32 v38, v38, v40
	ds_bpermute_b32 v40, v31, v38
	s_waitcnt lgkmcnt(0)
	v_add_f32_e32 v38, v38, v40
	ds_bpermute_b32 v40, v32, v38
	s_waitcnt lgkmcnt(0)
	;; [unrolled: 3-line block ×3, first 2 shown]
	v_add_f32_e32 v38, v38, v40
	ds_bpermute_b32 v40, v34, v38
	s_and_saveexec_b32 s6, s5
	s_cbranch_execz .LBB444_40
; %bb.39:                               ;   in Loop: Header=BB444_16 Depth=1
	s_waitcnt lgkmcnt(0)
	v_add_f32_e32 v38, v38, v40
	ds_store_b32 v36, v38
.LBB444_40:                             ;   in Loop: Header=BB444_16 Depth=1
	s_or_b32 exec_lo, exec_lo, s6
	v_mov_b32_e32 v38, 0
	s_waitcnt lgkmcnt(0)
	s_barrier
	buffer_gl0_inv
	s_and_saveexec_b32 s6, s1
	s_cbranch_execnz .LBB444_58
; %bb.41:                               ;   in Loop: Header=BB444_16 Depth=1
	s_or_b32 exec_lo, exec_lo, s6
	s_and_saveexec_b32 s6, s0
	s_cbranch_execnz .LBB444_59
.LBB444_42:                             ;   in Loop: Header=BB444_16 Depth=1
	s_or_b32 exec_lo, exec_lo, s6
	s_and_saveexec_b32 s6, s2
	s_cbranch_execz .LBB444_15
	s_branch .LBB444_60
.LBB444_43:                             ;   in Loop: Header=BB444_16 Depth=1
	s_mul_i32 s7, s15, s17
	s_mul_hi_u32 s34, s15, s16
	s_delay_alu instid0(SALU_CYCLE_1)
	s_add_i32 s35, s34, s7
	s_mul_i32 s34, s15, s16
	s_or_b32 s7, s15, 1
	s_lshl_b64 s[34:35], s[34:35], 1
	s_mul_i32 s42, s7, s17
	s_mul_hi_u32 s43, s7, s16
	v_add_co_u32 v1, vcc_lo, v5, s34
	v_add_co_ci_u32_e32 v2, vcc_lo, s35, v6, vcc_lo
	s_add_i32 s35, s43, s42
	s_mul_i32 s34, s7, s16
	s_or_b32 s7, s15, 2
	s_lshl_b64 s[34:35], s[34:35], 1
	s_mul_i32 s42, s7, s17
	s_mul_hi_u32 s43, s7, s16
	v_add_co_u32 v3, vcc_lo, v5, s34
	v_add_co_ci_u32_e32 v4, vcc_lo, s35, v6, vcc_lo
	s_add_i32 s35, s43, s42
	s_or_b32 s42, s15, 3
	s_mul_i32 s34, s7, s16
	s_mul_i32 s7, s42, s17
	s_mul_hi_u32 s43, s42, s16
	s_lshl_b64 s[34:35], s[34:35], 1
	s_add_i32 s43, s43, s7
	s_mul_i32 s42, s42, s16
	v_add_co_u32 v20, vcc_lo, v5, s34
	v_add_co_ci_u32_e32 v21, vcc_lo, s35, v6, vcc_lo
	s_lshl_b64 s[34:35], s[42:43], 1
	s_waitcnt lgkmcnt(0)
	v_add_co_u32 v38, vcc_lo, v5, s34
	v_add_co_ci_u32_e32 v39, vcc_lo, s35, v6, vcc_lo
	flat_load_u16 v46, v[10:11]
	s_clause 0x3
	flat_load_b64 v[40:41], v[1:2]
	flat_load_b64 v[42:43], v[3:4]
	;; [unrolled: 1-line block ×4, first 2 shown]
	s_clause 0x2
	flat_load_u16 v3, v[12:13]
	flat_load_u16 v4, v[14:15]
	;; [unrolled: 1-line block ×3, first 2 shown]
	s_waitcnt vmcnt(7) lgkmcnt(7)
	v_cvt_f32_f16_e32 v1, v46
	s_waitcnt vmcnt(6) lgkmcnt(6)
	v_fma_mix_f32 v39, v46, v40, 0 op_sel_hi:[1,1,0]
	s_waitcnt vmcnt(5) lgkmcnt(5)
	v_fma_mix_f32 v47, v46, v42, 0 op_sel_hi:[1,1,0]
	;; [unrolled: 2-line block ×4, first 2 shown]
	s_waitcnt vmcnt(2) lgkmcnt(2)
	v_cvt_f32_f16_e32 v2, v3
	v_fma_mix_f32 v39, v3, v40, v39 op_sel:[0,1,0] op_sel_hi:[1,1,0]
	v_fma_mix_f32 v40, v3, v42, v47 op_sel:[0,1,0] op_sel_hi:[1,1,0]
	;; [unrolled: 1-line block ×4, first 2 shown]
	s_waitcnt vmcnt(1) lgkmcnt(1)
	v_cvt_f32_f16_e32 v3, v4
	v_fma_mix_f32 v39, v4, v41, v39 op_sel_hi:[1,1,0]
	v_fma_mix_f32 v40, v4, v43, v40 op_sel_hi:[1,1,0]
	;; [unrolled: 1-line block ×4, first 2 shown]
	s_waitcnt vmcnt(0) lgkmcnt(0)
	v_cvt_f32_f16_e32 v4, v38
	v_fma_mix_f32 v41, v38, v41, v39 op_sel:[0,1,0] op_sel_hi:[1,1,0]
	v_fma_mix_f32 v40, v38, v43, v40 op_sel:[0,1,0] op_sel_hi:[1,1,0]
	;; [unrolled: 1-line block ×4, first 2 shown]
	s_and_not1_saveexec_b32 s42, s6
	s_cbranch_execz .LBB444_18
.LBB444_44:                             ;   in Loop: Header=BB444_16 Depth=1
	s_waitcnt lgkmcnt(0)
	v_dual_mov_b32 v38, 0 :: v_dual_mov_b32 v39, 0
	v_dual_mov_b32 v40, 0 :: v_dual_mov_b32 v41, 0
	s_and_saveexec_b32 s43, s4
	s_cbranch_execz .LBB444_51
; %bb.45:                               ;   in Loop: Header=BB444_16 Depth=1
	s_and_not1_b32 vcc_lo, exec_lo, s37
	s_cbranch_vccnz .LBB444_48
; %bb.46:                               ;   in Loop: Header=BB444_16 Depth=1
	v_dual_mov_b32 v21, v11 :: v_dual_mov_b32 v20, v10
	s_mov_b64 s[34:35], 0
	.p2align	6
.LBB444_47:                             ;   Parent Loop BB444_16 Depth=1
                                        ; =>  This Inner Loop Header: Depth=2
	flat_load_u16 v38, v[20:21]
	v_add_co_u32 v20, vcc_lo, v20, s24
	s_cmp_eq_u32 s34, 3
	v_add_co_ci_u32_e32 v21, vcc_lo, s25, v21, vcc_lo
	s_cselect_b32 vcc_lo, -1, 0
	s_cmp_eq_u32 s34, 2
	s_cselect_b32 s6, -1, 0
	s_cmp_eq_u32 s34, 1
	s_cselect_b32 s7, -1, 0
	s_cmp_eq_u32 s34, 0
	s_waitcnt vmcnt(0) lgkmcnt(0)
	v_cvt_f32_f16_e32 v38, v38
	s_delay_alu instid0(VALU_DEP_1)
	v_cndmask_b32_e32 v4, v4, v38, vcc_lo
	s_cselect_b32 vcc_lo, -1, 0
	v_cndmask_b32_e64 v3, v3, v38, s6
	v_cndmask_b32_e64 v2, v2, v38, s7
	v_cndmask_b32_e32 v1, v1, v38, vcc_lo
	s_add_u32 s34, s34, 1
	s_addc_u32 s35, s35, 0
	s_cmp_eq_u32 s11, s34
	s_cbranch_scc0 .LBB444_47
.LBB444_48:                             ;   in Loop: Header=BB444_16 Depth=1
	v_dual_mov_b32 v38, 0 :: v_dual_mov_b32 v39, 0
	v_dual_mov_b32 v40, 0 :: v_dual_mov_b32 v41, 0
	s_and_not1_b32 vcc_lo, exec_lo, s37
	s_cbranch_vccnz .LBB444_51
; %bb.49:                               ;   in Loop: Header=BB444_16 Depth=1
	v_dual_mov_b32 v21, v19 :: v_dual_mov_b32 v40, 0
	v_dual_mov_b32 v41, 0 :: v_dual_mov_b32 v20, v18
	;; [unrolled: 1-line block ×3, first 2 shown]
	s_mov_b64 s[34:35], 0
	s_set_inst_prefetch_distance 0x1
	.p2align	6
.LBB444_50:                             ;   Parent Loop BB444_16 Depth=1
                                        ; =>  This Inner Loop Header: Depth=2
	s_delay_alu instid0(VALU_DEP_2)
	v_add_co_u32 v42, vcc_lo, v20, s30
	v_add_co_ci_u32_e32 v43, vcc_lo, s31, v21, vcc_lo
	v_add_co_u32 v44, vcc_lo, v20, s28
	v_add_co_ci_u32_e32 v45, vcc_lo, s29, v21, vcc_lo
	;; [unrolled: 2-line block ×3, first 2 shown]
	s_clause 0x3
	flat_load_u16 v48, v[20:21]
	flat_load_u16 v42, v[42:43]
	;; [unrolled: 1-line block ×4, first 2 shown]
	s_cmp_eq_u32 s34, 1
	v_add_co_u32 v20, s6, v20, 2
	s_cselect_b32 vcc_lo, -1, 0
	s_cmp_eq_u32 s34, 2
	v_cndmask_b32_e32 v45, v1, v2, vcc_lo
	s_cselect_b32 vcc_lo, -1, 0
	s_cmp_eq_u32 s34, 3
	v_add_co_ci_u32_e64 v21, s6, 0, v21, s6
	s_delay_alu instid0(VALU_DEP_2)
	v_cndmask_b32_e32 v45, v45, v3, vcc_lo
	s_cselect_b32 vcc_lo, -1, 0
	s_add_u32 s34, s34, 1
	s_addc_u32 s35, s35, 0
	s_cmp_lg_u32 s11, s34
	v_cndmask_b32_e32 v45, v45, v4, vcc_lo
	s_waitcnt vmcnt(3) lgkmcnt(3)
	s_delay_alu instid0(VALU_DEP_1)
	v_fma_mix_f32 v41, v45, v48, v41 op_sel_hi:[0,1,0]
	s_waitcnt vmcnt(2) lgkmcnt(2)
	v_fma_mix_f32 v40, v45, v42, v40 op_sel_hi:[0,1,0]
	s_waitcnt vmcnt(1) lgkmcnt(1)
	;; [unrolled: 2-line block ×3, first 2 shown]
	v_fma_mix_f32 v38, v45, v44, v38 op_sel_hi:[0,1,0]
	s_cbranch_scc1 .LBB444_50
.LBB444_51:                             ;   in Loop: Header=BB444_16 Depth=1
	s_set_inst_prefetch_distance 0x2
	s_or_b32 exec_lo, exec_lo, s43
	s_delay_alu instid0(SALU_CYCLE_1)
	s_or_b32 exec_lo, exec_lo, s42
	s_and_saveexec_b32 s6, s0
	s_cbranch_execnz .LBB444_19
	s_branch .LBB444_20
.LBB444_52:                             ;   in Loop: Header=BB444_16 Depth=1
	ds_load_b32 v20, v35
	s_or_b32 exec_lo, exec_lo, s6
	s_and_saveexec_b32 s6, s0
	s_cbranch_execz .LBB444_24
.LBB444_53:                             ;   in Loop: Header=BB444_16 Depth=1
	s_waitcnt lgkmcnt(0)
	ds_bpermute_b32 v21, v32, v20
	s_waitcnt lgkmcnt(0)
	v_add_f32_e32 v20, v20, v21
	ds_bpermute_b32 v21, v33, v20
	s_waitcnt lgkmcnt(0)
	v_add_f32_e32 v20, v20, v21
	;; [unrolled: 3-line block ×3, first 2 shown]
	s_or_b32 exec_lo, exec_lo, s6
	s_and_saveexec_b32 s6, s0
	s_cbranch_execnz .LBB444_25
	s_branch .LBB444_26
.LBB444_54:                             ;   in Loop: Header=BB444_16 Depth=1
	ds_load_b32 v21, v35
	s_or_b32 exec_lo, exec_lo, s6
	s_and_saveexec_b32 s6, s0
	s_cbranch_execz .LBB444_30
.LBB444_55:                             ;   in Loop: Header=BB444_16 Depth=1
	s_waitcnt lgkmcnt(0)
	ds_bpermute_b32 v40, v32, v21
	s_waitcnt lgkmcnt(0)
	v_add_f32_e32 v21, v21, v40
	ds_bpermute_b32 v40, v33, v21
	s_waitcnt lgkmcnt(0)
	v_add_f32_e32 v21, v21, v40
	;; [unrolled: 3-line block ×3, first 2 shown]
	s_or_b32 exec_lo, exec_lo, s6
	s_and_saveexec_b32 s6, s0
	s_cbranch_execnz .LBB444_31
	s_branch .LBB444_32
.LBB444_56:                             ;   in Loop: Header=BB444_16 Depth=1
	ds_load_b32 v39, v35
	s_or_b32 exec_lo, exec_lo, s6
	s_and_saveexec_b32 s6, s0
	s_cbranch_execz .LBB444_36
.LBB444_57:                             ;   in Loop: Header=BB444_16 Depth=1
	s_waitcnt lgkmcnt(0)
	ds_bpermute_b32 v40, v32, v39
	s_waitcnt lgkmcnt(0)
	v_add_f32_e32 v39, v39, v40
	ds_bpermute_b32 v40, v33, v39
	s_waitcnt lgkmcnt(0)
	v_add_f32_e32 v39, v39, v40
	ds_bpermute_b32 v40, v34, v39
	s_waitcnt lgkmcnt(0)
	v_add_f32_e32 v39, v39, v40
	s_or_b32 exec_lo, exec_lo, s6
	s_and_saveexec_b32 s6, s0
	s_cbranch_execnz .LBB444_37
	s_branch .LBB444_38
.LBB444_58:                             ;   in Loop: Header=BB444_16 Depth=1
	ds_load_b32 v38, v35
	s_or_b32 exec_lo, exec_lo, s6
	s_and_saveexec_b32 s6, s0
	s_cbranch_execz .LBB444_42
.LBB444_59:                             ;   in Loop: Header=BB444_16 Depth=1
	s_waitcnt lgkmcnt(0)
	ds_bpermute_b32 v40, v32, v38
	s_waitcnt lgkmcnt(0)
	v_add_f32_e32 v38, v38, v40
	ds_bpermute_b32 v40, v33, v38
	s_waitcnt lgkmcnt(0)
	v_add_f32_e32 v38, v38, v40
	;; [unrolled: 3-line block ×3, first 2 shown]
	s_or_b32 exec_lo, exec_lo, s6
	s_and_saveexec_b32 s6, s2
	s_cbranch_execz .LBB444_15
.LBB444_60:                             ;   in Loop: Header=BB444_16 Depth=1
	s_mul_hi_u32 s35, s15, s12
	s_mul_i32 s34, s15, s12
	v_dual_mul_f32 v20, s10, v20 :: v_dual_mul_f32 v21, s10, v21
	s_lshl_b64 s[34:35], s[34:35], 2
	s_waitcnt lgkmcnt(0)
	v_mul_f32_e32 v38, s10, v38
	s_add_u32 s34, s38, s34
	s_addc_u32 s35, s39, s35
	s_or_b32 s7, s15, 1
	global_store_b32 v37, v20, s[34:35]
	s_mul_hi_u32 s43, s7, s12
	s_mul_i32 s42, s7, s12
	v_mul_f32_e32 v20, s10, v39
	s_lshl_b64 s[42:43], s[42:43], 2
	s_delay_alu instid0(SALU_CYCLE_1)
	s_add_u32 s42, s38, s42
	s_addc_u32 s43, s39, s43
	s_or_b32 s7, s15, 2
	global_store_b32 v37, v21, s[42:43]
	s_mul_hi_u32 s45, s7, s12
	s_mul_i32 s44, s7, s12
	s_delay_alu instid0(SALU_CYCLE_1) | instskip(NEXT) | instid1(SALU_CYCLE_1)
	s_lshl_b64 s[44:45], s[44:45], 2
	s_add_u32 s34, s38, s44
	s_addc_u32 s35, s39, s45
	s_or_b32 s7, s15, 3
	s_delay_alu instid0(SALU_CYCLE_1) | instskip(SKIP_1) | instid1(SALU_CYCLE_1)
	s_mul_hi_u32 s45, s7, s12
	s_mul_i32 s44, s7, s12
	s_lshl_b64 s[44:45], s[44:45], 2
	s_delay_alu instid0(SALU_CYCLE_1)
	s_add_u32 s42, s38, s44
	s_addc_u32 s43, s39, s45
	s_clause 0x1
	global_store_b32 v37, v20, s[34:35]
	global_store_b32 v37, v38, s[42:43]
	s_branch .LBB444_15
.LBB444_61:
	s_mov_b32 s15, 0
                                        ; implicit-def: $vgpr1_vgpr2_vgpr3_vgpr4
.LBB444_62:
	s_delay_alu instid0(SALU_CYCLE_1)
	s_cmp_ge_i32 s15, s9
	s_cbranch_scc1 .LBB444_86
; %bb.63:
	v_cmp_gt_u32_e32 vcc_lo, 16, v27
	v_cmp_ge_i32_e64 s0, s8, v28
	v_cmp_ge_i32_e64 s1, s8, v29
	v_mad_i64_i32 v[16:17], null, s22, v22, 0
	v_cndmask_b32_e64 v10, 0, 1, vcc_lo
	v_cmp_gt_u32_e32 vcc_lo, 24, v27
	s_cmp_gt_i32 s11, 0
	s_mov_b32 s25, 0
	s_mov_b32 s24, s14
	v_lshlrev_b32_e32 v10, 4, v10
	v_cndmask_b32_e64 v11, 0, 1, vcc_lo
	v_cmp_gt_u32_e32 vcc_lo, 28, v27
	s_cselect_b32 s8, -1, 0
	s_lshl_b64 s[6:7], s[24:25], 2
	v_add_lshl_u32 v20, v10, v27, 2
	v_lshlrev_b32_e32 v11, 3, v11
	v_cndmask_b32_e64 v12, 0, 1, vcc_lo
	v_cmp_gt_u32_e32 vcc_lo, 30, v27
	s_add_u32 s13, s33, s6
	s_addc_u32 s14, s36, s7
	v_add_lshl_u32 v21, v11, v27, 2
	v_lshlrev_b32_e32 v12, 2, v12
	v_cndmask_b32_e64 v13, 0, 1, vcc_lo
	v_cmp_ne_u32_e32 vcc_lo, 31, v27
	v_mad_i64_i32 v[10:11], null, s22, v9, 0
	s_delay_alu instid0(VALU_DEP_4) | instskip(NEXT) | instid1(VALU_DEP_4)
	v_add_lshl_u32 v28, v12, v27, 2
	v_lshlrev_b32_e32 v13, 1, v13
	v_add_co_ci_u32_e32 v14, vcc_lo, 0, v27, vcc_lo
	s_mul_i32 s6, s17, s15
	s_mul_hi_u32 s7, s16, s15
	s_delay_alu instid0(VALU_DEP_2)
	v_add_lshl_u32 v27, v13, v27, 2
	v_mad_i64_i32 v[12:13], null, s22, v24, 0
	v_lshlrev_b32_e32 v29, 2, v14
	v_mad_i64_i32 v[14:15], null, s22, v23, 0
	v_lshlrev_b64 v[9:10], 1, v[10:11]
	s_add_i32 s7, s7, s6
	s_mul_i32 s6, s16, s15
	s_delay_alu instid0(VALU_DEP_4)
	v_lshlrev_b64 v[11:12], 1, v[12:13]
	s_lshl_b64 s[6:7], s[6:7], 1
	v_cmp_gt_u32_e64 s2, 32, v0
	v_add_co_u32 v9, vcc_lo, s20, v9
	v_lshlrev_b64 v[13:14], 1, v[14:15]
	v_add_co_ci_u32_e32 v10, vcc_lo, s21, v10, vcc_lo
	v_add_co_u32 v11, vcc_lo, s20, v11
	v_lshlrev_b64 v[15:16], 1, v[16:17]
	v_add_co_ci_u32_e32 v12, vcc_lo, s21, v12, vcc_lo
	v_add_co_u32 v13, vcc_lo, s20, v13
	v_add_co_ci_u32_e32 v14, vcc_lo, s21, v14, vcc_lo
	s_delay_alu instid0(VALU_DEP_4)
	v_add_co_u32 v15, vcc_lo, s20, v15
	v_add_co_ci_u32_e32 v16, vcc_lo, s21, v16, vcc_lo
	s_lshl_b64 s[20:21], s[22:23], 1
	s_add_u32 s6, s18, s6
	s_addc_u32 s7, s19, s7
	v_add_co_u32 v7, vcc_lo, s6, v7
	v_lshlrev_b32_e32 v19, 2, v25
	v_cmp_eq_u32_e64 s3, 0, v25
	v_and_b32_e32 v25, 28, v26
	v_cmp_gt_u32_e64 s4, 8, v0
	v_cmp_eq_u32_e64 s5, 0, v0
	v_mov_b32_e32 v0, 0
	v_add_co_ci_u32_e32 v8, vcc_lo, s7, v8, vcc_lo
	s_lshl_b64 s[18:19], s[16:17], 1
	s_branch .LBB444_65
.LBB444_64:                             ;   in Loop: Header=BB444_65 Depth=1
	s_or_b32 exec_lo, exec_lo, s6
	v_add_co_u32 v7, vcc_lo, v7, s18
	v_add_co_ci_u32_e32 v8, vcc_lo, s19, v8, vcc_lo
	s_add_i32 s15, s15, 1
	s_delay_alu instid0(SALU_CYCLE_1)
	s_cmp_ge_i32 s15, s9
	s_cbranch_scc1 .LBB444_86
.LBB444_65:                             ; =>This Loop Header: Depth=1
                                        ;     Child Loop BB444_78 Depth 2
                                        ;     Child Loop BB444_81 Depth 2
	v_mov_b32_e32 v22, s25
	s_and_saveexec_b32 s6, s0
	s_delay_alu instid0(SALU_CYCLE_1)
	s_xor_b32 s6, exec_lo, s6
	s_cbranch_execnz .LBB444_74
; %bb.66:                               ;   in Loop: Header=BB444_65 Depth=1
	s_and_not1_saveexec_b32 s24, s6
	s_cbranch_execnz .LBB444_75
.LBB444_67:                             ;   in Loop: Header=BB444_65 Depth=1
	s_or_b32 exec_lo, exec_lo, s24
	s_and_saveexec_b32 s6, s2
	s_cbranch_execz .LBB444_69
.LBB444_68:                             ;   in Loop: Header=BB444_65 Depth=1
	ds_store_b32 v19, v0
.LBB444_69:                             ;   in Loop: Header=BB444_65 Depth=1
	s_or_b32 exec_lo, exec_lo, s6
	s_waitcnt lgkmcnt(0)
	ds_bpermute_b32 v17, v20, v22
	s_waitcnt lgkmcnt(0)
	s_waitcnt_vscnt null, 0x0
	s_barrier
	buffer_gl0_inv
	v_add_f32_e32 v17, v22, v17
	ds_bpermute_b32 v18, v21, v17
	s_waitcnt lgkmcnt(0)
	v_add_f32_e32 v17, v17, v18
	ds_bpermute_b32 v18, v28, v17
	s_waitcnt lgkmcnt(0)
	;; [unrolled: 3-line block ×3, first 2 shown]
	v_add_f32_e32 v17, v17, v18
	ds_bpermute_b32 v18, v29, v17
	s_and_saveexec_b32 s6, s3
	s_cbranch_execz .LBB444_71
; %bb.70:                               ;   in Loop: Header=BB444_65 Depth=1
	s_waitcnt lgkmcnt(0)
	v_add_f32_e32 v17, v17, v18
	ds_store_b32 v25, v17
.LBB444_71:                             ;   in Loop: Header=BB444_65 Depth=1
	s_or_b32 exec_lo, exec_lo, s6
	v_mov_b32_e32 v17, 0
	s_waitcnt lgkmcnt(0)
	s_barrier
	buffer_gl0_inv
	s_and_saveexec_b32 s6, s4
	s_cbranch_execnz .LBB444_83
; %bb.72:                               ;   in Loop: Header=BB444_65 Depth=1
	s_or_b32 exec_lo, exec_lo, s6
	s_and_saveexec_b32 s6, s2
	s_cbranch_execnz .LBB444_84
.LBB444_73:                             ;   in Loop: Header=BB444_65 Depth=1
	s_or_b32 exec_lo, exec_lo, s6
	s_and_saveexec_b32 s6, s5
	s_cbranch_execz .LBB444_64
	s_branch .LBB444_85
.LBB444_74:                             ;   in Loop: Header=BB444_65 Depth=1
	s_mul_i32 s7, s15, s17
	s_mul_hi_u32 s23, s15, s16
	s_mul_i32 s22, s15, s16
	s_add_i32 s23, s23, s7
	s_delay_alu instid0(SALU_CYCLE_1) | instskip(NEXT) | instid1(SALU_CYCLE_1)
	s_lshl_b64 s[22:23], s[22:23], 1
	v_add_co_u32 v1, vcc_lo, v5, s22
	v_add_co_ci_u32_e32 v2, vcc_lo, s23, v6, vcc_lo
	s_waitcnt lgkmcnt(0)
	flat_load_b64 v[17:18], v[1:2]
	s_clause 0x3
	flat_load_u16 v1, v[9:10]
	flat_load_u16 v2, v[11:12]
	;; [unrolled: 1-line block ×4, first 2 shown]
	s_waitcnt vmcnt(3) lgkmcnt(3)
	v_fma_mix_f32 v4, v1, v17, 0 op_sel_hi:[1,1,0]
	v_cvt_f32_f16_e32 v1, v1
	s_waitcnt vmcnt(2) lgkmcnt(2)
	s_delay_alu instid0(VALU_DEP_2) | instskip(SKIP_2) | instid1(VALU_DEP_2)
	v_fma_mix_f32 v4, v2, v17, v4 op_sel:[0,1,0] op_sel_hi:[1,1,0]
	v_cvt_f32_f16_e32 v2, v2
	s_waitcnt vmcnt(1) lgkmcnt(1)
	v_fma_mix_f32 v17, v3, v18, v4 op_sel_hi:[1,1,0]
	v_cvt_f32_f16_e32 v3, v3
	s_waitcnt vmcnt(0) lgkmcnt(0)
	v_cvt_f32_f16_e32 v4, v22
	s_delay_alu instid0(VALU_DEP_3)
	v_fma_mix_f32 v22, v22, v18, v17 op_sel:[0,1,0] op_sel_hi:[1,1,0]
	s_and_not1_saveexec_b32 s24, s6
	s_cbranch_execz .LBB444_67
.LBB444_75:                             ;   in Loop: Header=BB444_65 Depth=1
	s_and_saveexec_b32 s26, s1
	s_cbranch_execz .LBB444_82
; %bb.76:                               ;   in Loop: Header=BB444_65 Depth=1
	s_and_not1_b32 vcc_lo, exec_lo, s8
	s_cbranch_vccnz .LBB444_79
; %bb.77:                               ;   in Loop: Header=BB444_65 Depth=1
	s_waitcnt lgkmcnt(0)
	v_dual_mov_b32 v18, v10 :: v_dual_mov_b32 v17, v9
	s_mov_b64 s[22:23], 0
	.p2align	6
.LBB444_78:                             ;   Parent Loop BB444_65 Depth=1
                                        ; =>  This Inner Loop Header: Depth=2
	flat_load_u16 v23, v[17:18]
	v_add_co_u32 v17, vcc_lo, v17, s20
	s_cmp_eq_u32 s22, 3
	v_add_co_ci_u32_e32 v18, vcc_lo, s21, v18, vcc_lo
	s_cselect_b32 vcc_lo, -1, 0
	s_cmp_eq_u32 s22, 2
	s_cselect_b32 s6, -1, 0
	s_cmp_eq_u32 s22, 1
	s_cselect_b32 s7, -1, 0
	s_cmp_eq_u32 s22, 0
	s_waitcnt vmcnt(0) lgkmcnt(0)
	v_cvt_f32_f16_e32 v23, v23
	s_delay_alu instid0(VALU_DEP_1)
	v_cndmask_b32_e32 v4, v4, v23, vcc_lo
	s_cselect_b32 vcc_lo, -1, 0
	v_cndmask_b32_e64 v3, v3, v23, s6
	v_cndmask_b32_e64 v2, v2, v23, s7
	v_cndmask_b32_e32 v1, v1, v23, vcc_lo
	s_add_u32 s22, s22, 1
	s_addc_u32 s23, s23, 0
	s_cmp_eq_u32 s11, s22
	s_cbranch_scc0 .LBB444_78
.LBB444_79:                             ;   in Loop: Header=BB444_65 Depth=1
	s_and_not1_b32 vcc_lo, exec_lo, s8
	s_cbranch_vccnz .LBB444_82
; %bb.80:                               ;   in Loop: Header=BB444_65 Depth=1
	s_waitcnt lgkmcnt(0)
	v_dual_mov_b32 v18, v8 :: v_dual_mov_b32 v17, v7
	s_mov_b64 s[6:7], 0
	.p2align	6
.LBB444_81:                             ;   Parent Loop BB444_65 Depth=1
                                        ; =>  This Inner Loop Header: Depth=2
	flat_load_u16 v23, v[17:18]
	s_cmp_eq_u32 s6, 1
	s_cselect_b32 vcc_lo, -1, 0
	s_cmp_eq_u32 s6, 2
	v_cndmask_b32_e32 v24, v1, v2, vcc_lo
	s_cselect_b32 vcc_lo, -1, 0
	s_cmp_eq_u32 s6, 3
	s_delay_alu instid0(VALU_DEP_1)
	v_cndmask_b32_e32 v24, v24, v3, vcc_lo
	s_cselect_b32 vcc_lo, -1, 0
	s_add_u32 s6, s6, 1
	s_addc_u32 s7, s7, 0
	s_cmp_lg_u32 s11, s6
	v_cndmask_b32_e32 v24, v24, v4, vcc_lo
	v_add_co_u32 v17, vcc_lo, v17, 2
	v_add_co_ci_u32_e32 v18, vcc_lo, 0, v18, vcc_lo
	s_waitcnt vmcnt(0) lgkmcnt(0)
	s_delay_alu instid0(VALU_DEP_3)
	v_fma_mix_f32 v22, v24, v23, v22 op_sel_hi:[0,1,0]
	s_cbranch_scc1 .LBB444_81
.LBB444_82:                             ;   in Loop: Header=BB444_65 Depth=1
	s_or_b32 exec_lo, exec_lo, s26
	s_delay_alu instid0(SALU_CYCLE_1)
	s_or_b32 exec_lo, exec_lo, s24
	s_and_saveexec_b32 s6, s2
	s_cbranch_execnz .LBB444_68
	s_branch .LBB444_69
.LBB444_83:                             ;   in Loop: Header=BB444_65 Depth=1
	ds_load_b32 v17, v19
	s_or_b32 exec_lo, exec_lo, s6
	s_and_saveexec_b32 s6, s2
	s_cbranch_execz .LBB444_73
.LBB444_84:                             ;   in Loop: Header=BB444_65 Depth=1
	s_waitcnt lgkmcnt(0)
	ds_bpermute_b32 v18, v28, v17
	s_waitcnt lgkmcnt(0)
	v_add_f32_e32 v17, v17, v18
	ds_bpermute_b32 v18, v27, v17
	s_waitcnt lgkmcnt(0)
	v_add_f32_e32 v17, v17, v18
	ds_bpermute_b32 v18, v29, v17
	s_waitcnt lgkmcnt(0)
	v_add_f32_e32 v17, v17, v18
	s_or_b32 exec_lo, exec_lo, s6
	s_and_saveexec_b32 s6, s5
	s_cbranch_execz .LBB444_64
.LBB444_85:                             ;   in Loop: Header=BB444_65 Depth=1
	s_mul_hi_u32 s23, s15, s12
	s_mul_i32 s22, s15, s12
	s_waitcnt lgkmcnt(0)
	v_mul_f32_e32 v17, s10, v17
	s_lshl_b64 s[22:23], s[22:23], 2
	s_delay_alu instid0(SALU_CYCLE_1)
	s_add_u32 s22, s13, s22
	s_addc_u32 s23, s14, s23
	global_store_b32 v0, v17, s[22:23]
	s_branch .LBB444_64
.LBB444_86:
	s_nop 0
	s_sendmsg sendmsg(MSG_DEALLOC_VGPRS)
	s_endpgm
	.section	.rodata,"a",@progbits
	.p2align	6, 0x0
	.amdhsa_kernel _ZL23rocblas_gemvt_sn_kernelILb0ELi256ELi4ElPKDF16_ffEviiT4_lPKT3_lilS5_lilPT5_i
		.amdhsa_group_segment_fixed_size 128
		.amdhsa_private_segment_fixed_size 0
		.amdhsa_kernarg_size 360
		.amdhsa_user_sgpr_count 14
		.amdhsa_user_sgpr_dispatch_ptr 0
		.amdhsa_user_sgpr_queue_ptr 0
		.amdhsa_user_sgpr_kernarg_segment_ptr 1
		.amdhsa_user_sgpr_dispatch_id 0
		.amdhsa_user_sgpr_private_segment_size 0
		.amdhsa_wavefront_size32 1
		.amdhsa_uses_dynamic_stack 0
		.amdhsa_enable_private_segment 0
		.amdhsa_system_sgpr_workgroup_id_x 1
		.amdhsa_system_sgpr_workgroup_id_y 0
		.amdhsa_system_sgpr_workgroup_id_z 1
		.amdhsa_system_sgpr_workgroup_info 0
		.amdhsa_system_vgpr_workitem_id 0
		.amdhsa_next_free_vgpr 49
		.amdhsa_next_free_sgpr 46
		.amdhsa_reserve_vcc 1
		.amdhsa_float_round_mode_32 0
		.amdhsa_float_round_mode_16_64 0
		.amdhsa_float_denorm_mode_32 3
		.amdhsa_float_denorm_mode_16_64 3
		.amdhsa_dx10_clamp 1
		.amdhsa_ieee_mode 1
		.amdhsa_fp16_overflow 0
		.amdhsa_workgroup_processor_mode 1
		.amdhsa_memory_ordered 1
		.amdhsa_forward_progress 0
		.amdhsa_shared_vgpr_count 0
		.amdhsa_exception_fp_ieee_invalid_op 0
		.amdhsa_exception_fp_denorm_src 0
		.amdhsa_exception_fp_ieee_div_zero 0
		.amdhsa_exception_fp_ieee_overflow 0
		.amdhsa_exception_fp_ieee_underflow 0
		.amdhsa_exception_fp_ieee_inexact 0
		.amdhsa_exception_int_div_zero 0
	.end_amdhsa_kernel
	.section	.text._ZL23rocblas_gemvt_sn_kernelILb0ELi256ELi4ElPKDF16_ffEviiT4_lPKT3_lilS5_lilPT5_i,"axG",@progbits,_ZL23rocblas_gemvt_sn_kernelILb0ELi256ELi4ElPKDF16_ffEviiT4_lPKT3_lilS5_lilPT5_i,comdat
.Lfunc_end444:
	.size	_ZL23rocblas_gemvt_sn_kernelILb0ELi256ELi4ElPKDF16_ffEviiT4_lPKT3_lilS5_lilPT5_i, .Lfunc_end444-_ZL23rocblas_gemvt_sn_kernelILb0ELi256ELi4ElPKDF16_ffEviiT4_lPKT3_lilS5_lilPT5_i
                                        ; -- End function
	.section	.AMDGPU.csdata,"",@progbits
; Kernel info:
; codeLenInByte = 4264
; NumSgprs: 48
; NumVgprs: 49
; ScratchSize: 0
; MemoryBound: 0
; FloatMode: 240
; IeeeMode: 1
; LDSByteSize: 128 bytes/workgroup (compile time only)
; SGPRBlocks: 5
; VGPRBlocks: 6
; NumSGPRsForWavesPerEU: 48
; NumVGPRsForWavesPerEU: 49
; Occupancy: 16
; WaveLimiterHint : 0
; COMPUTE_PGM_RSRC2:SCRATCH_EN: 0
; COMPUTE_PGM_RSRC2:USER_SGPR: 14
; COMPUTE_PGM_RSRC2:TRAP_HANDLER: 0
; COMPUTE_PGM_RSRC2:TGID_X_EN: 1
; COMPUTE_PGM_RSRC2:TGID_Y_EN: 0
; COMPUTE_PGM_RSRC2:TGID_Z_EN: 1
; COMPUTE_PGM_RSRC2:TIDIG_COMP_CNT: 0
	.section	.text._ZL23rocblas_gemvt_sn_reduceILi256ELi8EffKPDF16_EviT2_lPT3_lilPT1_i,"axG",@progbits,_ZL23rocblas_gemvt_sn_reduceILi256ELi8EffKPDF16_EviT2_lPT3_lilPT1_i,comdat
	.globl	_ZL23rocblas_gemvt_sn_reduceILi256ELi8EffKPDF16_EviT2_lPT3_lilPT1_i ; -- Begin function _ZL23rocblas_gemvt_sn_reduceILi256ELi8EffKPDF16_EviT2_lPT3_lilPT1_i
	.p2align	8
	.type	_ZL23rocblas_gemvt_sn_reduceILi256ELi8EffKPDF16_EviT2_lPT3_lilPT1_i,@function
_ZL23rocblas_gemvt_sn_reduceILi256ELi8EffKPDF16_EviT2_lPT3_lilPT1_i: ; @_ZL23rocblas_gemvt_sn_reduceILi256ELi8EffKPDF16_EviT2_lPT3_lilPT1_i
; %bb.0:
	s_clause 0x2
	s_load_b128 s[4:7], s[0:1], 0x10
	s_load_b64 s[8:9], s[0:1], 0x0
	s_load_b32 s12, s[0:1], 0x44
	s_mov_b32 s2, s15
	s_mov_b32 s3, 0
	v_dual_mov_b32 v3, 0 :: v_dual_lshlrev_b32 v4, 3, v0
	s_lshl_b64 s[10:11], s[2:3], 3
	s_mov_b32 s18, exec_lo
	s_waitcnt lgkmcnt(0)
	s_add_u32 s4, s4, s10
	s_addc_u32 s5, s5, s11
	s_load_b64 s[10:11], s[0:1], 0x30
	s_load_b64 s[4:5], s[4:5], 0x0
	s_ashr_i32 s13, s8, 31
	s_add_u32 s16, s0, 64
	s_mul_i32 s2, s12, s15
	s_addc_u32 s17, s1, 0
	s_lshr_b32 s12, s13, 29
	s_add_i32 s2, s2, s14
	s_add_i32 s12, s8, s12
	s_mul_i32 s13, s2, s13
	s_and_b32 s15, s12, -8
	s_mul_hi_u32 s12, s2, s8
	s_delay_alu instid0(SALU_CYCLE_1)
	s_add_i32 s13, s12, s13
	s_mul_i32 s12, s2, s8
	v_cmpx_gt_i32_e64 s15, v4
	s_cbranch_execz .LBB445_4
; %bb.1:
	s_load_b32 s2, s[16:17], 0xc
	v_lshlrev_b32_e32 v1, 5, v0
	s_lshl_b64 s[20:21], s[12:13], 2
	v_mov_b32_e32 v3, 0
	s_waitcnt lgkmcnt(0)
	s_and_b32 s2, s2, 0xffff
	s_delay_alu instid0(SALU_CYCLE_1) | instskip(SKIP_3) | instid1(VALU_DEP_1)
	s_lshl_b32 s16, s2, 3
	s_add_u32 s17, s10, s20
	s_addc_u32 s19, s11, s21
	v_add_co_u32 v1, s17, s17, v1
	v_add_co_ci_u32_e64 v2, null, s19, 0, s17
	s_lshl_b32 s17, s2, 5
	s_delay_alu instid0(VALU_DEP_2) | instskip(NEXT) | instid1(VALU_DEP_2)
	v_add_co_u32 v1, vcc_lo, v1, 28
	v_add_co_ci_u32_e32 v2, vcc_lo, 0, v2, vcc_lo
	.p2align	6
.LBB445_2:                              ; =>This Inner Loop Header: Depth=1
	s_clause 0x1
	global_load_b128 v[5:8], v[1:2], off offset:-28
	global_load_b128 v[9:12], v[1:2], off offset:-12
	v_add_co_u32 v1, vcc_lo, v1, s17
	v_add_co_ci_u32_e32 v2, vcc_lo, 0, v2, vcc_lo
	v_add_nc_u32_e32 v4, s16, v4
	s_delay_alu instid0(VALU_DEP_1) | instskip(NEXT) | instid1(VALU_DEP_1)
	v_cmp_le_i32_e64 s2, s15, v4
	s_or_b32 s3, s2, s3
	s_waitcnt vmcnt(1)
	v_add_f32_e32 v3, v3, v5
	s_delay_alu instid0(VALU_DEP_1) | instskip(NEXT) | instid1(VALU_DEP_1)
	v_add_f32_e32 v3, v3, v6
	v_add_f32_e32 v3, v3, v7
	s_delay_alu instid0(VALU_DEP_1) | instskip(SKIP_1) | instid1(VALU_DEP_1)
	v_add_f32_e32 v3, v3, v8
	s_waitcnt vmcnt(0)
	v_add_f32_e32 v3, v3, v9
	s_delay_alu instid0(VALU_DEP_1) | instskip(NEXT) | instid1(VALU_DEP_1)
	v_add_f32_e32 v3, v3, v10
	v_add_f32_e32 v3, v3, v11
	s_delay_alu instid0(VALU_DEP_1)
	v_add_f32_e32 v3, v3, v12
	s_and_not1_b32 exec_lo, exec_lo, s3
	s_cbranch_execnz .LBB445_2
; %bb.3:
	s_or_b32 exec_lo, exec_lo, s3
.LBB445_4:
	s_delay_alu instid0(SALU_CYCLE_1) | instskip(SKIP_1) | instid1(SALU_CYCLE_1)
	s_or_b32 exec_lo, exec_lo, s18
	s_sub_i32 s2, s8, s15
	v_cmp_gt_u32_e32 vcc_lo, s2, v0
	s_and_saveexec_b32 s2, vcc_lo
	s_cbranch_execz .LBB445_6
; %bb.5:
	v_xad_u32 v1, v0, -1, s8
	v_mov_b32_e32 v2, 0
	s_lshl_b64 s[12:13], s[12:13], 2
	s_waitcnt lgkmcnt(0)
	s_add_u32 s3, s10, s12
	s_addc_u32 s8, s11, s13
	v_lshlrev_b64 v[1:2], 2, v[1:2]
	s_delay_alu instid0(VALU_DEP_1) | instskip(NEXT) | instid1(VALU_DEP_2)
	v_add_co_u32 v1, vcc_lo, s3, v1
	v_add_co_ci_u32_e32 v2, vcc_lo, s8, v2, vcc_lo
	global_load_b32 v1, v[1:2], off
	s_waitcnt vmcnt(0)
	v_add_f32_e32 v3, v3, v1
.LBB445_6:
	s_or_b32 exec_lo, exec_lo, s2
	v_and_b32_e32 v2, 31, v0
	v_cmp_gt_u32_e32 vcc_lo, 32, v0
	s_delay_alu instid0(VALU_DEP_2)
	v_lshlrev_b32_e32 v1, 2, v2
	s_and_saveexec_b32 s2, vcc_lo
	s_cbranch_execz .LBB445_8
; %bb.7:
	v_mov_b32_e32 v4, 0
	ds_store_b32 v1, v4
.LBB445_8:
	s_or_b32 exec_lo, exec_lo, s2
	v_mbcnt_lo_u32_b32 v5, -1, 0
	s_mov_b32 s3, exec_lo
	s_waitcnt lgkmcnt(0)
	s_barrier
	buffer_gl0_inv
	v_cmp_gt_u32_e64 s2, 16, v5
	s_delay_alu instid0(VALU_DEP_1) | instskip(SKIP_1) | instid1(VALU_DEP_2)
	v_cndmask_b32_e64 v4, 0, 1, s2
	v_cmp_gt_u32_e64 s2, 24, v5
	v_lshlrev_b32_e32 v4, 4, v4
	s_delay_alu instid0(VALU_DEP_2) | instskip(SKIP_1) | instid1(VALU_DEP_3)
	v_cndmask_b32_e64 v6, 0, 1, s2
	v_cmp_gt_u32_e64 s2, 28, v5
	v_add_lshl_u32 v4, v4, v5, 2
	s_delay_alu instid0(VALU_DEP_3)
	v_lshlrev_b32_e32 v6, 3, v6
	ds_bpermute_b32 v4, v4, v3
	v_add_lshl_u32 v6, v6, v5, 2
	s_waitcnt lgkmcnt(0)
	v_add_f32_e32 v4, v3, v4
	v_cndmask_b32_e64 v3, 0, 1, s2
	v_cmp_gt_u32_e64 s2, 30, v5
	s_delay_alu instid0(VALU_DEP_2)
	v_lshlrev_b32_e32 v3, 2, v3
	ds_bpermute_b32 v6, v6, v4
	v_add_lshl_u32 v3, v3, v5, 2
	s_waitcnt lgkmcnt(0)
	v_add_f32_e32 v6, v4, v6
	v_cndmask_b32_e64 v4, 0, 1, s2
	v_cmp_ne_u32_e64 s2, 31, v5
	s_delay_alu instid0(VALU_DEP_2) | instskip(NEXT) | instid1(VALU_DEP_1)
	v_lshlrev_b32_e32 v4, 1, v4
	v_add_lshl_u32 v4, v4, v5, 2
	s_delay_alu instid0(VALU_DEP_3) | instskip(NEXT) | instid1(VALU_DEP_1)
	v_add_co_ci_u32_e64 v5, s2, 0, v5, s2
	v_lshlrev_b32_e32 v5, 2, v5
	ds_bpermute_b32 v7, v3, v6
	s_waitcnt lgkmcnt(0)
	v_add_f32_e32 v6, v6, v7
	ds_bpermute_b32 v7, v4, v6
	s_waitcnt lgkmcnt(0)
	v_add_f32_e32 v6, v6, v7
	ds_bpermute_b32 v7, v5, v6
	v_cmpx_eq_u32_e32 0, v2
	s_cbranch_execz .LBB445_10
; %bb.9:
	v_lshrrev_b32_e32 v2, 3, v0
	s_waitcnt lgkmcnt(0)
	v_add_f32_e32 v6, v6, v7
	s_delay_alu instid0(VALU_DEP_2)
	v_and_b32_e32 v2, 28, v2
	ds_store_b32 v2, v6
.LBB445_10:
	s_or_b32 exec_lo, exec_lo, s3
	v_mov_b32_e32 v2, 0
	s_mov_b32 s3, exec_lo
	s_waitcnt lgkmcnt(0)
	s_barrier
	buffer_gl0_inv
	v_cmpx_gt_u32_e32 8, v0
	s_cbranch_execz .LBB445_12
; %bb.11:
	ds_load_b32 v2, v1
.LBB445_12:
	s_or_b32 exec_lo, exec_lo, s3
	s_and_saveexec_b32 s2, vcc_lo
	s_cbranch_execz .LBB445_14
; %bb.13:
	s_waitcnt lgkmcnt(0)
	ds_bpermute_b32 v1, v3, v2
	s_waitcnt lgkmcnt(0)
	v_add_f32_e32 v1, v2, v1
	ds_bpermute_b32 v2, v4, v1
	s_waitcnt lgkmcnt(0)
	v_add_f32_e32 v1, v1, v2
	;; [unrolled: 3-line block ×3, first 2 shown]
.LBB445_14:
	s_or_b32 exec_lo, exec_lo, s2
	s_delay_alu instid0(SALU_CYCLE_1)
	s_mov_b32 s2, exec_lo
	v_cmpx_eq_u32_e32 0, v0
	s_cbranch_execz .LBB445_18
; %bb.15:
	s_load_b32 s0, s[0:1], 0x20
	v_cmp_eq_f32_e64 s1, s9, 0
	s_lshl_b64 s[2:3], s[6:7], 1
	s_waitcnt lgkmcnt(0)
	s_ashr_i32 s6, s0, 31
	s_mul_hi_u32 s7, s0, s14
	s_mul_i32 s6, s6, s14
	s_add_u32 s2, s4, s2
	s_mul_i32 s0, s0, s14
	s_addc_u32 s3, s5, s3
	s_and_b32 vcc_lo, exec_lo, s1
	s_add_i32 s1, s7, s6
	s_cbranch_vccnz .LBB445_17
; %bb.16:
	s_lshl_b64 s[4:5], s[0:1], 1
	v_mov_b32_e32 v0, 0
	s_add_u32 s4, s2, s4
	s_addc_u32 s5, s3, s5
	global_load_u16 v0, v0, s[4:5]
	s_waitcnt vmcnt(0)
	v_fma_mix_f32 v2, v0, s9, v2 op_sel_hi:[1,0,0]
.LBB445_17:
	s_delay_alu instid0(VALU_DEP_1)
	v_cvt_f16_f32_e32 v0, v2
	s_lshl_b64 s[0:1], s[0:1], 1
	v_mov_b32_e32 v1, 0
	s_add_u32 s0, s2, s0
	s_addc_u32 s1, s3, s1
	global_store_b16 v1, v0, s[0:1]
.LBB445_18:
	s_nop 0
	s_sendmsg sendmsg(MSG_DEALLOC_VGPRS)
	s_endpgm
	.section	.rodata,"a",@progbits
	.p2align	6, 0x0
	.amdhsa_kernel _ZL23rocblas_gemvt_sn_reduceILi256ELi8EffKPDF16_EviT2_lPT3_lilPT1_i
		.amdhsa_group_segment_fixed_size 128
		.amdhsa_private_segment_fixed_size 0
		.amdhsa_kernarg_size 320
		.amdhsa_user_sgpr_count 13
		.amdhsa_user_sgpr_dispatch_ptr 0
		.amdhsa_user_sgpr_queue_ptr 0
		.amdhsa_user_sgpr_kernarg_segment_ptr 1
		.amdhsa_user_sgpr_dispatch_id 0
		.amdhsa_user_sgpr_private_segment_size 0
		.amdhsa_wavefront_size32 1
		.amdhsa_uses_dynamic_stack 0
		.amdhsa_enable_private_segment 0
		.amdhsa_system_sgpr_workgroup_id_x 1
		.amdhsa_system_sgpr_workgroup_id_y 1
		.amdhsa_system_sgpr_workgroup_id_z 1
		.amdhsa_system_sgpr_workgroup_info 0
		.amdhsa_system_vgpr_workitem_id 0
		.amdhsa_next_free_vgpr 13
		.amdhsa_next_free_sgpr 22
		.amdhsa_reserve_vcc 1
		.amdhsa_float_round_mode_32 0
		.amdhsa_float_round_mode_16_64 0
		.amdhsa_float_denorm_mode_32 3
		.amdhsa_float_denorm_mode_16_64 3
		.amdhsa_dx10_clamp 1
		.amdhsa_ieee_mode 1
		.amdhsa_fp16_overflow 0
		.amdhsa_workgroup_processor_mode 1
		.amdhsa_memory_ordered 1
		.amdhsa_forward_progress 0
		.amdhsa_shared_vgpr_count 0
		.amdhsa_exception_fp_ieee_invalid_op 0
		.amdhsa_exception_fp_denorm_src 0
		.amdhsa_exception_fp_ieee_div_zero 0
		.amdhsa_exception_fp_ieee_overflow 0
		.amdhsa_exception_fp_ieee_underflow 0
		.amdhsa_exception_fp_ieee_inexact 0
		.amdhsa_exception_int_div_zero 0
	.end_amdhsa_kernel
	.section	.text._ZL23rocblas_gemvt_sn_reduceILi256ELi8EffKPDF16_EviT2_lPT3_lilPT1_i,"axG",@progbits,_ZL23rocblas_gemvt_sn_reduceILi256ELi8EffKPDF16_EviT2_lPT3_lilPT1_i,comdat
.Lfunc_end445:
	.size	_ZL23rocblas_gemvt_sn_reduceILi256ELi8EffKPDF16_EviT2_lPT3_lilPT1_i, .Lfunc_end445-_ZL23rocblas_gemvt_sn_reduceILi256ELi8EffKPDF16_EviT2_lPT3_lilPT1_i
                                        ; -- End function
	.section	.AMDGPU.csdata,"",@progbits
; Kernel info:
; codeLenInByte = 1044
; NumSgprs: 24
; NumVgprs: 13
; ScratchSize: 0
; MemoryBound: 0
; FloatMode: 240
; IeeeMode: 1
; LDSByteSize: 128 bytes/workgroup (compile time only)
; SGPRBlocks: 2
; VGPRBlocks: 1
; NumSGPRsForWavesPerEU: 24
; NumVGPRsForWavesPerEU: 13
; Occupancy: 16
; WaveLimiterHint : 1
; COMPUTE_PGM_RSRC2:SCRATCH_EN: 0
; COMPUTE_PGM_RSRC2:USER_SGPR: 13
; COMPUTE_PGM_RSRC2:TRAP_HANDLER: 0
; COMPUTE_PGM_RSRC2:TGID_X_EN: 1
; COMPUTE_PGM_RSRC2:TGID_Y_EN: 1
; COMPUTE_PGM_RSRC2:TGID_Z_EN: 1
; COMPUTE_PGM_RSRC2:TIDIG_COMP_CNT: 0
	.section	.text._ZL32rocblas_gemvt_warp_reduce_kernelILb0ELi256EiPKDF16_PKfKPDF16_EviiT3_lPKT2_lT1_lS9_lSA_lS6_lPT4_lSA_li,"axG",@progbits,_ZL32rocblas_gemvt_warp_reduce_kernelILb0ELi256EiPKDF16_PKfKPDF16_EviiT3_lPKT2_lT1_lS9_lSA_lS6_lPT4_lSA_li,comdat
	.globl	_ZL32rocblas_gemvt_warp_reduce_kernelILb0ELi256EiPKDF16_PKfKPDF16_EviiT3_lPKT2_lT1_lS9_lSA_lS6_lPT4_lSA_li ; -- Begin function _ZL32rocblas_gemvt_warp_reduce_kernelILb0ELi256EiPKDF16_PKfKPDF16_EviiT3_lPKT2_lT1_lS9_lSA_lS6_lPT4_lSA_li
	.p2align	8
	.type	_ZL32rocblas_gemvt_warp_reduce_kernelILb0ELi256EiPKDF16_PKfKPDF16_EviiT3_lPKT2_lT1_lS9_lSA_lS6_lPT4_lSA_li,@function
_ZL32rocblas_gemvt_warp_reduce_kernelILb0ELi256EiPKDF16_PKfKPDF16_EviiT3_lPKT2_lT1_lS9_lSA_lS6_lPT4_lSA_li: ; @_ZL32rocblas_gemvt_warp_reduce_kernelILb0ELi256EiPKDF16_PKfKPDF16_EviiT3_lPKT2_lT1_lS9_lSA_lS6_lPT4_lSA_li
; %bb.0:
	s_clause 0x1
	s_load_b256 s[16:23], s[0:1], 0x8
	s_load_b256 s[4:11], s[0:1], 0x58
	s_mov_b32 s2, s15
	s_waitcnt lgkmcnt(0)
	s_mul_i32 s3, s15, s19
	s_mul_hi_u32 s13, s15, s18
	s_mul_i32 s12, s15, s18
	s_add_i32 s13, s13, s3
	s_mul_i32 s3, s15, s7
	s_lshl_b64 s[12:13], s[12:13], 2
	s_mul_hi_u32 s7, s15, s6
	s_add_u32 s12, s16, s12
	s_addc_u32 s13, s17, s13
	s_add_i32 s7, s7, s3
	s_mul_i32 s6, s15, s6
	s_delay_alu instid0(SALU_CYCLE_1) | instskip(NEXT) | instid1(SALU_CYCLE_1)
	s_lshl_b64 s[6:7], s[6:7], 2
	s_add_u32 s4, s4, s6
	s_addc_u32 s5, s5, s7
	s_load_b32 s13, s[12:13], 0x0
	s_load_b32 s12, s[4:5], 0x0
	s_waitcnt lgkmcnt(0)
	v_cmp_eq_f32_e64 s15, s13, 0
	v_cmp_eq_f32_e64 s3, s12, 1.0
	s_delay_alu instid0(VALU_DEP_1) | instskip(NEXT) | instid1(SALU_CYCLE_1)
	s_and_b32 s3, s15, s3
	s_and_b32 vcc_lo, exec_lo, s3
	s_mov_b32 s3, 0
	s_cbranch_vccnz .LBB446_34
; %bb.1:
	v_cmp_neq_f32_e64 s16, s13, 0
	s_mov_b64 s[4:5], 0
	s_and_b32 vcc_lo, exec_lo, s15
	s_mov_b64 s[6:7], 0
	s_cbranch_vccnz .LBB446_3
; %bb.2:
	s_lshl_b64 s[6:7], s[2:3], 3
	s_delay_alu instid0(SALU_CYCLE_1)
	s_add_u32 s6, s20, s6
	s_addc_u32 s7, s21, s7
	s_lshl_b64 s[18:19], s[22:23], 1
	s_load_b64 s[6:7], s[6:7], 0x0
	s_waitcnt lgkmcnt(0)
	s_add_u32 s6, s6, s18
	s_addc_u32 s7, s7, s19
.LBB446_3:
	s_and_not1_b32 vcc_lo, exec_lo, s16
	s_cbranch_vccnz .LBB446_5
; %bb.4:
	s_load_b128 s[16:19], s[0:1], 0x38
	s_lshl_b64 s[4:5], s[2:3], 3
	s_waitcnt lgkmcnt(0)
	s_add_u32 s4, s16, s4
	s_addc_u32 s5, s17, s5
	s_lshl_b64 s[16:17], s[18:19], 1
	s_load_b64 s[4:5], s[4:5], 0x0
	s_waitcnt lgkmcnt(0)
	s_add_u32 s4, s4, s16
	s_addc_u32 s5, s5, s17
.LBB446_5:
	s_lshl_b64 s[2:3], s[2:3], 3
	s_delay_alu instid0(SALU_CYCLE_1)
	s_add_u32 s2, s8, s2
	s_addc_u32 s3, s9, s3
	s_lshl_b64 s[10:11], s[10:11], 1
	s_load_b64 s[8:9], s[2:3], 0x0
	s_load_b32 s16, s[0:1], 0x78
	v_cmp_eq_u32_e64 s2, 0, v0
	s_waitcnt lgkmcnt(0)
	s_add_u32 s10, s8, s10
	s_addc_u32 s11, s9, s11
	s_and_not1_b32 vcc_lo, exec_lo, s15
	s_cbranch_vccnz .LBB446_9
; %bb.6:
	s_mov_b32 s3, 0
	s_mov_b32 s15, 0
                                        ; implicit-def: $vgpr1
                                        ; implicit-def: $sgpr8_sgpr9
	s_and_saveexec_b32 s17, s2
	s_cbranch_execz .LBB446_10
; %bb.7:
	v_cmp_eq_f32_e64 s2, s12, 0
	s_mul_i32 s8, s14, s16
	s_delay_alu instid0(SALU_CYCLE_1) | instskip(NEXT) | instid1(VALU_DEP_1)
	s_ashr_i32 s9, s8, 31
	s_and_b32 vcc_lo, exec_lo, s2
	s_cbranch_vccnz .LBB446_11
; %bb.8:
	s_lshl_b64 s[18:19], s[8:9], 1
	v_mov_b32_e32 v1, 0
	s_add_u32 s18, s10, s18
	s_addc_u32 s19, s11, s19
	global_load_u16 v1, v1, s[18:19]
	s_waitcnt vmcnt(0)
	v_fma_mixlo_f16 v1, s12, v1, 0 op_sel_hi:[0,1,0]
	s_branch .LBB446_12
.LBB446_9:
	s_mov_b32 s15, 0
                                        ; implicit-def: $vgpr1
                                        ; implicit-def: $sgpr8_sgpr9
	s_cbranch_execnz .LBB446_13
	s_branch .LBB446_32
.LBB446_10:
	s_or_b32 exec_lo, exec_lo, s17
	s_delay_alu instid0(SALU_CYCLE_1)
	s_and_b32 vcc_lo, exec_lo, s3
	s_cbranch_vccnz .LBB446_13
	s_branch .LBB446_32
.LBB446_11:
	v_mov_b32_e32 v1, 0
.LBB446_12:
	s_mov_b32 s15, exec_lo
	s_or_b32 exec_lo, exec_lo, s17
	s_delay_alu instid0(SALU_CYCLE_1)
	s_and_b32 vcc_lo, exec_lo, s3
	s_cbranch_vccz .LBB446_32
.LBB446_13:
	s_clause 0x2
	s_load_b32 s2, s[0:1], 0x28
	s_load_b32 s3, s[0:1], 0x0
	;; [unrolled: 1-line block ×3, first 2 shown]
	v_mov_b32_e32 v7, 0
	s_waitcnt lgkmcnt(0)
	s_mul_i32 s8, s14, s2
	v_cmp_gt_i32_e32 vcc_lo, s3, v0
	s_ashr_i32 s9, s8, 31
	s_delay_alu instid0(SALU_CYCLE_1)
	s_lshl_b64 s[8:9], s[8:9], 1
	v_cndmask_b32_e32 v1, 0, v0, vcc_lo
	s_add_u32 s0, s8, s6
	s_addc_u32 s6, s9, s7
	s_ashr_i32 s2, s3, 31
	s_mov_b32 s7, 0
	v_lshlrev_b32_e32 v1, 1, v1
	s_lshr_b32 s2, s2, 24
	s_delay_alu instid0(SALU_CYCLE_1) | instskip(NEXT) | instid1(SALU_CYCLE_1)
	s_add_i32 s2, s3, s2
	s_and_b32 s2, s2, 0xffffff00
	s_delay_alu instid0(VALU_DEP_1) | instskip(NEXT) | instid1(VALU_DEP_1)
	v_add_co_u32 v1, s0, s0, v1
	v_add_co_ci_u32_e64 v2, null, s6, 0, s0
	s_mov_b32 s6, exec_lo
	v_cmpx_gt_i32_e64 s2, v0
	s_cbranch_execz .LBB446_17
; %bb.14:
	v_mul_lo_u32 v3, v0, s1
	v_dual_mov_b32 v7, 0 :: v_dual_mov_b32 v6, v2
	v_dual_mov_b32 v5, v1 :: v_dual_mov_b32 v8, v0
	s_lshl_b32 s8, s1, 8
	.p2align	6
.LBB446_15:                             ; =>This Inner Loop Header: Depth=1
	s_delay_alu instid0(VALU_DEP_3) | instskip(NEXT) | instid1(VALU_DEP_2)
	v_ashrrev_i32_e32 v4, 31, v3
	v_add_nc_u32_e32 v8, 0x100, v8
	s_delay_alu instid0(VALU_DEP_2) | instskip(NEXT) | instid1(VALU_DEP_2)
	v_lshlrev_b64 v[9:10], 1, v[3:4]
	v_cmp_le_i32_e64 s0, s2, v8
	v_add_nc_u32_e32 v3, s8, v3
	s_delay_alu instid0(VALU_DEP_2) | instskip(NEXT) | instid1(VALU_DEP_3)
	s_or_b32 s7, s0, s7
	v_add_co_u32 v9, vcc_lo, s4, v9
	s_delay_alu instid0(VALU_DEP_4)
	v_add_co_ci_u32_e32 v10, vcc_lo, s5, v10, vcc_lo
	flat_load_u16 v4, v[5:6]
	flat_load_u16 v9, v[9:10]
	v_add_co_u32 v5, vcc_lo, 0x200, v5
	v_add_co_ci_u32_e32 v6, vcc_lo, 0, v6, vcc_lo
	s_waitcnt vmcnt(0) lgkmcnt(0)
	v_mul_f16_e32 v4, v4, v9
	s_delay_alu instid0(VALU_DEP_1) | instskip(NEXT) | instid1(VALU_DEP_1)
	v_cvt_f32_f16_e32 v4, v4
	v_add_f32_e32 v7, v7, v4
	s_and_not1_b32 exec_lo, exec_lo, s7
	s_cbranch_execnz .LBB446_15
; %bb.16:
	s_or_b32 exec_lo, exec_lo, s7
.LBB446_17:
	s_delay_alu instid0(SALU_CYCLE_1) | instskip(SKIP_2) | instid1(VALU_DEP_1)
	s_or_b32 exec_lo, exec_lo, s6
	v_add_nc_u32_e32 v3, s2, v0
	s_mov_b32 s0, exec_lo
	v_cmpx_gt_i32_e64 s3, v3
	s_cbranch_execz .LBB446_19
; %bb.18:
	v_mul_lo_u32 v3, v3, s1
	s_ashr_i32 s3, s2, 31
	s_delay_alu instid0(SALU_CYCLE_1) | instskip(NEXT) | instid1(SALU_CYCLE_1)
	s_lshl_b64 s[2:3], s[2:3], 1
	v_add_co_u32 v1, vcc_lo, v1, s2
	v_add_co_ci_u32_e32 v2, vcc_lo, s3, v2, vcc_lo
	s_delay_alu instid0(VALU_DEP_3) | instskip(NEXT) | instid1(VALU_DEP_1)
	v_ashrrev_i32_e32 v4, 31, v3
	v_lshlrev_b64 v[3:4], 1, v[3:4]
	s_delay_alu instid0(VALU_DEP_1) | instskip(NEXT) | instid1(VALU_DEP_2)
	v_add_co_u32 v3, vcc_lo, s4, v3
	v_add_co_ci_u32_e32 v4, vcc_lo, s5, v4, vcc_lo
	flat_load_u16 v1, v[1:2]
	flat_load_u16 v2, v[3:4]
	s_waitcnt vmcnt(0) lgkmcnt(0)
	v_mul_f16_e32 v1, v1, v2
	s_delay_alu instid0(VALU_DEP_1) | instskip(NEXT) | instid1(VALU_DEP_1)
	v_cvt_f32_f16_e32 v1, v1
	v_add_f32_e32 v7, v7, v1
.LBB446_19:
	s_or_b32 exec_lo, exec_lo, s0
	v_and_b32_e32 v4, 31, v0
	v_cmp_gt_u32_e32 vcc_lo, 32, v0
	s_delay_alu instid0(VALU_DEP_2)
	v_lshlrev_b32_e32 v1, 2, v4
	s_and_saveexec_b32 s0, vcc_lo
	s_cbranch_execz .LBB446_21
; %bb.20:
	v_mov_b32_e32 v2, 0
	ds_store_b32 v1, v2
.LBB446_21:
	s_or_b32 exec_lo, exec_lo, s0
	v_mbcnt_lo_u32_b32 v5, -1, 0
	s_mov_b32 s1, exec_lo
	s_waitcnt lgkmcnt(0)
	s_barrier
	buffer_gl0_inv
	v_cmp_gt_u32_e64 s0, 16, v5
	s_delay_alu instid0(VALU_DEP_1) | instskip(SKIP_1) | instid1(VALU_DEP_2)
	v_cndmask_b32_e64 v2, 0, 1, s0
	v_cmp_gt_u32_e64 s0, 24, v5
	v_lshlrev_b32_e32 v2, 4, v2
	s_delay_alu instid0(VALU_DEP_2) | instskip(SKIP_1) | instid1(VALU_DEP_3)
	v_cndmask_b32_e64 v3, 0, 1, s0
	v_cmp_gt_u32_e64 s0, 28, v5
	v_add_lshl_u32 v2, v2, v5, 2
	ds_bpermute_b32 v2, v2, v7
	s_waitcnt lgkmcnt(0)
	v_dual_add_f32 v6, v7, v2 :: v_dual_lshlrev_b32 v3, 3, v3
	s_delay_alu instid0(VALU_DEP_1) | instskip(SKIP_4) | instid1(VALU_DEP_1)
	v_add_lshl_u32 v3, v3, v5, 2
	v_cndmask_b32_e64 v2, 0, 1, s0
	v_cmp_gt_u32_e64 s0, 30, v5
	ds_bpermute_b32 v3, v3, v6
	v_lshlrev_b32_e32 v2, 2, v2
	v_add_lshl_u32 v2, v2, v5, 2
	s_waitcnt lgkmcnt(0)
	v_add_f32_e32 v6, v6, v3
	v_cndmask_b32_e64 v3, 0, 1, s0
	v_cmp_ne_u32_e64 s0, 31, v5
	s_delay_alu instid0(VALU_DEP_2) | instskip(NEXT) | instid1(VALU_DEP_1)
	v_lshlrev_b32_e32 v3, 1, v3
	v_add_lshl_u32 v3, v3, v5, 2
	s_delay_alu instid0(VALU_DEP_3) | instskip(NEXT) | instid1(VALU_DEP_1)
	v_add_co_ci_u32_e64 v5, s0, 0, v5, s0
	v_lshlrev_b32_e32 v5, 2, v5
	ds_bpermute_b32 v7, v2, v6
	s_waitcnt lgkmcnt(0)
	v_add_f32_e32 v6, v6, v7
	ds_bpermute_b32 v7, v3, v6
	s_waitcnt lgkmcnt(0)
	v_add_f32_e32 v6, v6, v7
	ds_bpermute_b32 v7, v5, v6
	v_cmpx_eq_u32_e32 0, v4
	s_cbranch_execz .LBB446_23
; %bb.22:
	v_lshrrev_b32_e32 v4, 3, v0
	s_waitcnt lgkmcnt(0)
	v_add_f32_e32 v6, v6, v7
	s_delay_alu instid0(VALU_DEP_2)
	v_and_b32_e32 v4, 28, v4
	ds_store_b32 v4, v6
.LBB446_23:
	s_or_b32 exec_lo, exec_lo, s1
	v_mov_b32_e32 v4, 0
	s_mov_b32 s1, exec_lo
	s_waitcnt lgkmcnt(0)
	s_barrier
	buffer_gl0_inv
	v_cmpx_gt_u32_e32 8, v0
	s_cbranch_execz .LBB446_25
; %bb.24:
	ds_load_b32 v4, v1
.LBB446_25:
	s_or_b32 exec_lo, exec_lo, s1
	s_and_saveexec_b32 s0, vcc_lo
	s_cbranch_execz .LBB446_27
; %bb.26:
	s_waitcnt lgkmcnt(0)
	ds_bpermute_b32 v1, v2, v4
	s_waitcnt lgkmcnt(0)
	v_add_f32_e32 v1, v4, v1
	ds_bpermute_b32 v2, v3, v1
	s_waitcnt lgkmcnt(0)
	v_add_f32_e32 v1, v1, v2
	ds_bpermute_b32 v2, v5, v1
	s_waitcnt lgkmcnt(0)
	v_add_f32_e32 v4, v1, v2
.LBB446_27:
	s_or_b32 exec_lo, exec_lo, s0
	s_delay_alu instid0(SALU_CYCLE_1)
	s_mov_b32 s0, exec_lo
                                        ; implicit-def: $vgpr1
                                        ; implicit-def: $sgpr8_sgpr9
	v_cmpx_eq_u32_e32 0, v0
	s_cbranch_execz .LBB446_31
; %bb.28:
	v_cmp_eq_f32_e64 s1, s12, 0
	s_waitcnt lgkmcnt(0)
	v_mul_f32_e32 v0, s13, v4
	s_mul_i32 s8, s14, s16
	s_delay_alu instid0(SALU_CYCLE_1)
	s_ashr_i32 s9, s8, 31
	s_and_b32 vcc_lo, exec_lo, s1
	s_cbranch_vccnz .LBB446_30
; %bb.29:
	s_lshl_b64 s[2:3], s[8:9], 1
	v_mov_b32_e32 v1, 0
	s_add_u32 s2, s10, s2
	s_addc_u32 s3, s11, s3
	global_load_u16 v1, v1, s[2:3]
	s_waitcnt vmcnt(0)
	v_fma_mix_f32 v0, s12, v1, v0 op_sel_hi:[0,1,0]
.LBB446_30:
	s_delay_alu instid0(VALU_DEP_1)
	v_cvt_f16_f32_e32 v1, v0
	s_or_b32 s15, s15, exec_lo
.LBB446_31:
	s_or_b32 exec_lo, exec_lo, s0
.LBB446_32:
	s_and_saveexec_b32 s0, s15
	s_cbranch_execz .LBB446_34
; %bb.33:
	s_lshl_b64 s[0:1], s[8:9], 1
	v_mov_b32_e32 v0, 0
	s_add_u32 s0, s10, s0
	s_addc_u32 s1, s11, s1
	global_store_b16 v0, v1, s[0:1]
.LBB446_34:
	s_nop 0
	s_sendmsg sendmsg(MSG_DEALLOC_VGPRS)
	s_endpgm
	.section	.rodata,"a",@progbits
	.p2align	6, 0x0
	.amdhsa_kernel _ZL32rocblas_gemvt_warp_reduce_kernelILb0ELi256EiPKDF16_PKfKPDF16_EviiT3_lPKT2_lT1_lS9_lSA_lS6_lPT4_lSA_li
		.amdhsa_group_segment_fixed_size 128
		.amdhsa_private_segment_fixed_size 0
		.amdhsa_kernarg_size 140
		.amdhsa_user_sgpr_count 14
		.amdhsa_user_sgpr_dispatch_ptr 0
		.amdhsa_user_sgpr_queue_ptr 0
		.amdhsa_user_sgpr_kernarg_segment_ptr 1
		.amdhsa_user_sgpr_dispatch_id 0
		.amdhsa_user_sgpr_private_segment_size 0
		.amdhsa_wavefront_size32 1
		.amdhsa_uses_dynamic_stack 0
		.amdhsa_enable_private_segment 0
		.amdhsa_system_sgpr_workgroup_id_x 1
		.amdhsa_system_sgpr_workgroup_id_y 0
		.amdhsa_system_sgpr_workgroup_id_z 1
		.amdhsa_system_sgpr_workgroup_info 0
		.amdhsa_system_vgpr_workitem_id 0
		.amdhsa_next_free_vgpr 11
		.amdhsa_next_free_sgpr 24
		.amdhsa_reserve_vcc 1
		.amdhsa_float_round_mode_32 0
		.amdhsa_float_round_mode_16_64 0
		.amdhsa_float_denorm_mode_32 3
		.amdhsa_float_denorm_mode_16_64 3
		.amdhsa_dx10_clamp 1
		.amdhsa_ieee_mode 1
		.amdhsa_fp16_overflow 0
		.amdhsa_workgroup_processor_mode 1
		.amdhsa_memory_ordered 1
		.amdhsa_forward_progress 0
		.amdhsa_shared_vgpr_count 0
		.amdhsa_exception_fp_ieee_invalid_op 0
		.amdhsa_exception_fp_denorm_src 0
		.amdhsa_exception_fp_ieee_div_zero 0
		.amdhsa_exception_fp_ieee_overflow 0
		.amdhsa_exception_fp_ieee_underflow 0
		.amdhsa_exception_fp_ieee_inexact 0
		.amdhsa_exception_int_div_zero 0
	.end_amdhsa_kernel
	.section	.text._ZL32rocblas_gemvt_warp_reduce_kernelILb0ELi256EiPKDF16_PKfKPDF16_EviiT3_lPKT2_lT1_lS9_lSA_lS6_lPT4_lSA_li,"axG",@progbits,_ZL32rocblas_gemvt_warp_reduce_kernelILb0ELi256EiPKDF16_PKfKPDF16_EviiT3_lPKT2_lT1_lS9_lSA_lS6_lPT4_lSA_li,comdat
.Lfunc_end446:
	.size	_ZL32rocblas_gemvt_warp_reduce_kernelILb0ELi256EiPKDF16_PKfKPDF16_EviiT3_lPKT2_lT1_lS9_lSA_lS6_lPT4_lSA_li, .Lfunc_end446-_ZL32rocblas_gemvt_warp_reduce_kernelILb0ELi256EiPKDF16_PKfKPDF16_EviiT3_lPKT2_lT1_lS9_lSA_lS6_lPT4_lSA_li
                                        ; -- End function
	.section	.AMDGPU.csdata,"",@progbits
; Kernel info:
; codeLenInByte = 1480
; NumSgprs: 26
; NumVgprs: 11
; ScratchSize: 0
; MemoryBound: 0
; FloatMode: 240
; IeeeMode: 1
; LDSByteSize: 128 bytes/workgroup (compile time only)
; SGPRBlocks: 3
; VGPRBlocks: 1
; NumSGPRsForWavesPerEU: 26
; NumVGPRsForWavesPerEU: 11
; Occupancy: 16
; WaveLimiterHint : 1
; COMPUTE_PGM_RSRC2:SCRATCH_EN: 0
; COMPUTE_PGM_RSRC2:USER_SGPR: 14
; COMPUTE_PGM_RSRC2:TRAP_HANDLER: 0
; COMPUTE_PGM_RSRC2:TGID_X_EN: 1
; COMPUTE_PGM_RSRC2:TGID_Y_EN: 0
; COMPUTE_PGM_RSRC2:TGID_Z_EN: 1
; COMPUTE_PGM_RSRC2:TIDIG_COMP_CNT: 0
	.section	.text._ZL32rocblas_gemvt_warp_reduce_kernelILb0ELi256ElPKDF16_PKfKPDF16_EviiT3_lPKT2_lT1_lS9_lSA_lS6_lPT4_lSA_li,"axG",@progbits,_ZL32rocblas_gemvt_warp_reduce_kernelILb0ELi256ElPKDF16_PKfKPDF16_EviiT3_lPKT2_lT1_lS9_lSA_lS6_lPT4_lSA_li,comdat
	.globl	_ZL32rocblas_gemvt_warp_reduce_kernelILb0ELi256ElPKDF16_PKfKPDF16_EviiT3_lPKT2_lT1_lS9_lSA_lS6_lPT4_lSA_li ; -- Begin function _ZL32rocblas_gemvt_warp_reduce_kernelILb0ELi256ElPKDF16_PKfKPDF16_EviiT3_lPKT2_lT1_lS9_lSA_lS6_lPT4_lSA_li
	.p2align	8
	.type	_ZL32rocblas_gemvt_warp_reduce_kernelILb0ELi256ElPKDF16_PKfKPDF16_EviiT3_lPKT2_lT1_lS9_lSA_lS6_lPT4_lSA_li,@function
_ZL32rocblas_gemvt_warp_reduce_kernelILb0ELi256ElPKDF16_PKfKPDF16_EviiT3_lPKT2_lT1_lS9_lSA_lS6_lPT4_lSA_li: ; @_ZL32rocblas_gemvt_warp_reduce_kernelILb0ELi256ElPKDF16_PKfKPDF16_EviiT3_lPKT2_lT1_lS9_lSA_lS6_lPT4_lSA_li
; %bb.0:
	s_clause 0x1
	s_load_b256 s[16:23], s[0:1], 0x8
	s_load_b256 s[4:11], s[0:1], 0x58
	s_mov_b32 s2, s15
	s_waitcnt lgkmcnt(0)
	s_mul_i32 s3, s15, s19
	s_mul_hi_u32 s13, s15, s18
	s_mul_i32 s12, s15, s18
	s_add_i32 s13, s13, s3
	s_mul_i32 s3, s15, s7
	s_lshl_b64 s[12:13], s[12:13], 2
	s_mul_hi_u32 s7, s15, s6
	s_add_u32 s12, s16, s12
	s_addc_u32 s13, s17, s13
	s_add_i32 s7, s7, s3
	s_mul_i32 s6, s15, s6
	s_delay_alu instid0(SALU_CYCLE_1) | instskip(NEXT) | instid1(SALU_CYCLE_1)
	s_lshl_b64 s[6:7], s[6:7], 2
	s_add_u32 s4, s4, s6
	s_addc_u32 s5, s5, s7
	s_load_b32 s28, s[12:13], 0x0
	s_load_b32 s15, s[4:5], 0x0
	s_waitcnt lgkmcnt(0)
	v_cmp_eq_f32_e64 s29, s28, 0
	v_cmp_eq_f32_e64 s3, s15, 1.0
	s_delay_alu instid0(VALU_DEP_1) | instskip(NEXT) | instid1(SALU_CYCLE_1)
	s_and_b32 s3, s29, s3
	s_and_b32 vcc_lo, exec_lo, s3
	s_mov_b32 s3, 0
	s_cbranch_vccnz .LBB447_34
; %bb.1:
	s_clause 0x1
	s_load_b64 s[24:25], s[0:1], 0x28
	s_load_b64 s[12:13], s[0:1], 0x78
	v_cmp_neq_f32_e64 s30, s28, 0
	s_mov_b64 s[16:17], 0
	s_and_b32 vcc_lo, exec_lo, s29
	s_mov_b64 s[26:27], 0
	s_cbranch_vccnz .LBB447_3
; %bb.2:
	s_lshl_b64 s[4:5], s[2:3], 3
	s_delay_alu instid0(SALU_CYCLE_1)
	s_add_u32 s4, s20, s4
	s_addc_u32 s5, s21, s5
	s_lshl_b64 s[6:7], s[22:23], 1
	s_load_b64 s[4:5], s[4:5], 0x0
	s_waitcnt lgkmcnt(0)
	s_add_u32 s26, s4, s6
	s_addc_u32 s27, s5, s7
.LBB447_3:
	s_clause 0x1
	s_load_b128 s[4:7], s[0:1], 0x38
	s_load_b64 s[18:19], s[0:1], 0x48
	s_and_not1_b32 vcc_lo, exec_lo, s30
	s_cbranch_vccnz .LBB447_5
; %bb.4:
	s_lshl_b64 s[16:17], s[2:3], 3
	s_waitcnt lgkmcnt(0)
	s_add_u32 s4, s4, s16
	s_addc_u32 s5, s5, s17
	s_lshl_b64 s[6:7], s[6:7], 1
	s_load_b64 s[4:5], s[4:5], 0x0
	s_waitcnt lgkmcnt(0)
	s_add_u32 s16, s4, s6
	s_addc_u32 s17, s5, s7
.LBB447_5:
	s_lshl_b64 s[2:3], s[2:3], 3
	s_delay_alu instid0(SALU_CYCLE_1)
	s_add_u32 s2, s8, s2
	s_addc_u32 s3, s9, s3
	s_waitcnt lgkmcnt(0)
	s_lshl_b64 s[6:7], s[10:11], 1
	s_load_b64 s[4:5], s[2:3], 0x0
	v_cmp_eq_u32_e64 s2, 0, v0
	s_waitcnt lgkmcnt(0)
	s_add_u32 s6, s4, s6
	s_addc_u32 s7, s5, s7
	s_and_not1_b32 vcc_lo, exec_lo, s29
	s_cbranch_vccnz .LBB447_9
; %bb.6:
	s_mov_b32 s3, 0
	s_mov_b32 s8, 0
                                        ; implicit-def: $vgpr1
                                        ; implicit-def: $sgpr4_sgpr5
	s_and_saveexec_b32 s9, s2
	s_cbranch_execz .LBB447_10
; %bb.7:
	v_cmp_eq_f32_e64 s2, s15, 0
	s_mul_i32 s4, s14, s13
	s_mul_hi_u32 s5, s14, s12
	s_ashr_i32 s8, s14, 31
	s_add_i32 s4, s5, s4
	s_mul_i32 s8, s8, s12
	s_and_b32 vcc_lo, exec_lo, s2
	s_add_i32 s5, s4, s8
	s_mul_i32 s4, s14, s12
	s_cbranch_vccnz .LBB447_11
; %bb.8:
	s_lshl_b64 s[10:11], s[4:5], 1
	v_mov_b32_e32 v1, 0
	s_add_u32 s10, s6, s10
	s_addc_u32 s11, s7, s11
	global_load_u16 v1, v1, s[10:11]
	s_waitcnt vmcnt(0)
	v_fma_mixlo_f16 v1, s15, v1, 0 op_sel_hi:[0,1,0]
	s_branch .LBB447_12
.LBB447_9:
	s_mov_b32 s8, 0
                                        ; implicit-def: $vgpr1
                                        ; implicit-def: $sgpr4_sgpr5
	s_cbranch_execnz .LBB447_13
	s_branch .LBB447_32
.LBB447_10:
	s_or_b32 exec_lo, exec_lo, s9
	s_delay_alu instid0(SALU_CYCLE_1)
	s_and_b32 vcc_lo, exec_lo, s3
	s_cbranch_vccnz .LBB447_13
	s_branch .LBB447_32
.LBB447_11:
	v_mov_b32_e32 v1, 0
.LBB447_12:
	s_mov_b32 s8, exec_lo
	s_or_b32 exec_lo, exec_lo, s9
	s_delay_alu instid0(SALU_CYCLE_1)
	s_and_b32 vcc_lo, exec_lo, s3
	s_cbranch_vccz .LBB447_32
.LBB447_13:
	s_load_b32 s3, s[0:1], 0x0
	s_mul_i32 s0, s14, s25
	s_mul_hi_u32 s2, s14, s24
	s_ashr_i32 s1, s14, 31
	s_add_i32 s0, s2, s0
	s_mul_i32 s2, s1, s24
	s_mul_i32 s4, s14, s24
	s_add_i32 s5, s0, s2
	v_mov_b32_e32 v7, 0
	s_lshl_b64 s[4:5], s[4:5], 1
	s_mov_b32 s10, 0
	s_add_u32 s0, s4, s26
	s_addc_u32 s4, s5, s27
	s_mov_b32 s9, exec_lo
	s_waitcnt lgkmcnt(0)
	v_cmp_gt_i32_e32 vcc_lo, s3, v0
	s_ashr_i32 s2, s3, 31
	s_delay_alu instid0(SALU_CYCLE_1) | instskip(NEXT) | instid1(SALU_CYCLE_1)
	s_lshr_b32 s2, s2, 24
	s_add_i32 s2, s3, s2
	v_cndmask_b32_e32 v1, 0, v0, vcc_lo
	s_and_b32 s2, s2, 0xffffff00
	s_delay_alu instid0(VALU_DEP_1) | instskip(NEXT) | instid1(VALU_DEP_1)
	v_lshlrev_b32_e32 v1, 1, v1
	v_add_co_u32 v1, s0, s0, v1
	s_delay_alu instid0(VALU_DEP_1)
	v_add_co_ci_u32_e64 v2, null, s4, 0, s0
	v_cmpx_gt_i32_e64 s2, v0
	s_cbranch_execz .LBB447_17
; %bb.14:
	v_mad_u64_u32 v[3:4], null, s18, v0, 0
	v_mov_b32_e32 v8, v0
	s_lshl_b64 s[4:5], s[18:19], 9
	v_mov_b32_e32 v7, 0
	s_delay_alu instid0(VALU_DEP_3) | instskip(NEXT) | instid1(VALU_DEP_1)
	v_mad_u64_u32 v[5:6], null, s19, v0, v[4:5]
	v_mov_b32_e32 v4, v5
	s_delay_alu instid0(VALU_DEP_1) | instskip(SKIP_1) | instid1(VALU_DEP_2)
	v_lshlrev_b64 v[5:6], 1, v[3:4]
	v_dual_mov_b32 v4, v2 :: v_dual_mov_b32 v3, v1
	v_add_co_u32 v5, vcc_lo, s16, v5
	s_delay_alu instid0(VALU_DEP_3)
	v_add_co_ci_u32_e32 v6, vcc_lo, s17, v6, vcc_lo
	.p2align	6
.LBB447_15:                             ; =>This Inner Loop Header: Depth=1
	flat_load_u16 v9, v[3:4]
	flat_load_u16 v10, v[5:6]
	v_add_co_u32 v3, vcc_lo, 0x200, v3
	v_add_co_ci_u32_e32 v4, vcc_lo, 0, v4, vcc_lo
	v_add_co_u32 v5, vcc_lo, v5, s4
	v_add_co_ci_u32_e32 v6, vcc_lo, s5, v6, vcc_lo
	s_waitcnt vmcnt(0) lgkmcnt(0)
	v_mul_f16_e32 v9, v9, v10
	s_delay_alu instid0(VALU_DEP_1) | instskip(NEXT) | instid1(VALU_DEP_1)
	v_cvt_f32_f16_e32 v9, v9
	v_dual_add_f32 v7, v7, v9 :: v_dual_add_nc_u32 v8, 0x100, v8
	s_delay_alu instid0(VALU_DEP_1) | instskip(NEXT) | instid1(VALU_DEP_1)
	v_cmp_le_i32_e64 s0, s2, v8
	s_or_b32 s10, s0, s10
	s_delay_alu instid0(SALU_CYCLE_1)
	s_and_not1_b32 exec_lo, exec_lo, s10
	s_cbranch_execnz .LBB447_15
; %bb.16:
	s_or_b32 exec_lo, exec_lo, s10
.LBB447_17:
	s_delay_alu instid0(SALU_CYCLE_1) | instskip(SKIP_2) | instid1(VALU_DEP_1)
	s_or_b32 exec_lo, exec_lo, s9
	v_add_nc_u32_e32 v3, s2, v0
	s_mov_b32 s0, exec_lo
	v_cmpx_gt_i32_e64 s3, v3
	s_cbranch_execz .LBB447_19
; %bb.18:
	v_ashrrev_i32_e32 v6, 31, v3
	v_mul_lo_u32 v8, v3, s19
	v_mad_u64_u32 v[4:5], null, v3, s18, 0
	s_ashr_i32 s3, s2, 31
	s_delay_alu instid0(VALU_DEP_3) | instskip(SKIP_1) | instid1(SALU_CYCLE_1)
	v_mul_lo_u32 v3, v6, s18
	s_lshl_b64 s[2:3], s[2:3], 1
	v_add_co_u32 v1, vcc_lo, v1, s2
	v_add_co_ci_u32_e32 v2, vcc_lo, s3, v2, vcc_lo
	s_delay_alu instid0(VALU_DEP_3) | instskip(NEXT) | instid1(VALU_DEP_1)
	v_add3_u32 v5, v5, v8, v3
	v_lshlrev_b64 v[3:4], 1, v[4:5]
	s_delay_alu instid0(VALU_DEP_1) | instskip(NEXT) | instid1(VALU_DEP_2)
	v_add_co_u32 v3, vcc_lo, s16, v3
	v_add_co_ci_u32_e32 v4, vcc_lo, s17, v4, vcc_lo
	flat_load_u16 v1, v[1:2]
	flat_load_u16 v2, v[3:4]
	s_waitcnt vmcnt(0) lgkmcnt(0)
	v_mul_f16_e32 v1, v1, v2
	s_delay_alu instid0(VALU_DEP_1) | instskip(NEXT) | instid1(VALU_DEP_1)
	v_cvt_f32_f16_e32 v1, v1
	v_add_f32_e32 v7, v7, v1
.LBB447_19:
	s_or_b32 exec_lo, exec_lo, s0
	v_and_b32_e32 v4, 31, v0
	v_cmp_gt_u32_e32 vcc_lo, 32, v0
	s_delay_alu instid0(VALU_DEP_2)
	v_lshlrev_b32_e32 v1, 2, v4
	s_and_saveexec_b32 s0, vcc_lo
	s_cbranch_execz .LBB447_21
; %bb.20:
	v_mov_b32_e32 v2, 0
	ds_store_b32 v1, v2
.LBB447_21:
	s_or_b32 exec_lo, exec_lo, s0
	v_mbcnt_lo_u32_b32 v5, -1, 0
	s_mov_b32 s2, exec_lo
	s_waitcnt lgkmcnt(0)
	s_barrier
	buffer_gl0_inv
	v_cmp_gt_u32_e64 s0, 16, v5
	s_delay_alu instid0(VALU_DEP_1) | instskip(SKIP_1) | instid1(VALU_DEP_2)
	v_cndmask_b32_e64 v2, 0, 1, s0
	v_cmp_gt_u32_e64 s0, 24, v5
	v_lshlrev_b32_e32 v2, 4, v2
	s_delay_alu instid0(VALU_DEP_2) | instskip(SKIP_1) | instid1(VALU_DEP_3)
	v_cndmask_b32_e64 v3, 0, 1, s0
	v_cmp_gt_u32_e64 s0, 28, v5
	v_add_lshl_u32 v2, v2, v5, 2
	ds_bpermute_b32 v2, v2, v7
	s_waitcnt lgkmcnt(0)
	v_dual_add_f32 v6, v7, v2 :: v_dual_lshlrev_b32 v3, 3, v3
	s_delay_alu instid0(VALU_DEP_1) | instskip(SKIP_4) | instid1(VALU_DEP_1)
	v_add_lshl_u32 v3, v3, v5, 2
	v_cndmask_b32_e64 v2, 0, 1, s0
	v_cmp_gt_u32_e64 s0, 30, v5
	ds_bpermute_b32 v3, v3, v6
	v_lshlrev_b32_e32 v2, 2, v2
	v_add_lshl_u32 v2, v2, v5, 2
	s_waitcnt lgkmcnt(0)
	v_add_f32_e32 v6, v6, v3
	v_cndmask_b32_e64 v3, 0, 1, s0
	v_cmp_ne_u32_e64 s0, 31, v5
	s_delay_alu instid0(VALU_DEP_2) | instskip(NEXT) | instid1(VALU_DEP_1)
	v_lshlrev_b32_e32 v3, 1, v3
	v_add_lshl_u32 v3, v3, v5, 2
	s_delay_alu instid0(VALU_DEP_3) | instskip(NEXT) | instid1(VALU_DEP_1)
	v_add_co_ci_u32_e64 v5, s0, 0, v5, s0
	v_lshlrev_b32_e32 v5, 2, v5
	ds_bpermute_b32 v7, v2, v6
	s_waitcnt lgkmcnt(0)
	v_add_f32_e32 v6, v6, v7
	ds_bpermute_b32 v7, v3, v6
	s_waitcnt lgkmcnt(0)
	v_add_f32_e32 v6, v6, v7
	ds_bpermute_b32 v7, v5, v6
	v_cmpx_eq_u32_e32 0, v4
	s_cbranch_execz .LBB447_23
; %bb.22:
	v_lshrrev_b32_e32 v4, 3, v0
	s_waitcnt lgkmcnt(0)
	v_add_f32_e32 v6, v6, v7
	s_delay_alu instid0(VALU_DEP_2)
	v_and_b32_e32 v4, 28, v4
	ds_store_b32 v4, v6
.LBB447_23:
	s_or_b32 exec_lo, exec_lo, s2
	v_mov_b32_e32 v4, 0
	s_mov_b32 s2, exec_lo
	s_waitcnt lgkmcnt(0)
	s_barrier
	buffer_gl0_inv
	v_cmpx_gt_u32_e32 8, v0
	s_cbranch_execz .LBB447_25
; %bb.24:
	ds_load_b32 v4, v1
.LBB447_25:
	s_or_b32 exec_lo, exec_lo, s2
	s_and_saveexec_b32 s0, vcc_lo
	s_cbranch_execz .LBB447_27
; %bb.26:
	s_waitcnt lgkmcnt(0)
	ds_bpermute_b32 v1, v2, v4
	s_waitcnt lgkmcnt(0)
	v_add_f32_e32 v1, v4, v1
	ds_bpermute_b32 v2, v3, v1
	s_waitcnt lgkmcnt(0)
	v_add_f32_e32 v1, v1, v2
	;; [unrolled: 3-line block ×3, first 2 shown]
.LBB447_27:
	s_or_b32 exec_lo, exec_lo, s0
	s_delay_alu instid0(SALU_CYCLE_1)
	s_mov_b32 s0, exec_lo
                                        ; implicit-def: $vgpr1
                                        ; implicit-def: $sgpr4_sgpr5
	v_cmpx_eq_u32_e32 0, v0
	s_cbranch_execz .LBB447_31
; %bb.28:
	v_cmp_eq_f32_e64 s4, s15, 0
	s_mul_i32 s2, s14, s13
	s_mul_hi_u32 s3, s14, s12
	s_waitcnt lgkmcnt(0)
	v_mul_f32_e32 v0, s28, v4
	s_add_i32 s2, s3, s2
	s_mul_i32 s1, s1, s12
	s_and_b32 vcc_lo, exec_lo, s4
	s_add_i32 s5, s2, s1
	s_mul_i32 s4, s14, s12
	s_cbranch_vccnz .LBB447_30
; %bb.29:
	s_lshl_b64 s[2:3], s[4:5], 1
	v_mov_b32_e32 v1, 0
	s_add_u32 s2, s6, s2
	s_addc_u32 s3, s7, s3
	global_load_u16 v1, v1, s[2:3]
	s_waitcnt vmcnt(0)
	v_fma_mix_f32 v0, s15, v1, v0 op_sel_hi:[0,1,0]
.LBB447_30:
	s_delay_alu instid0(VALU_DEP_1)
	v_cvt_f16_f32_e32 v1, v0
	s_or_b32 s8, s8, exec_lo
.LBB447_31:
	s_or_b32 exec_lo, exec_lo, s0
.LBB447_32:
	s_and_saveexec_b32 s0, s8
	s_cbranch_execz .LBB447_34
; %bb.33:
	s_lshl_b64 s[0:1], s[4:5], 1
	v_mov_b32_e32 v0, 0
	s_add_u32 s0, s6, s0
	s_addc_u32 s1, s7, s1
	global_store_b16 v0, v1, s[0:1]
.LBB447_34:
	s_nop 0
	s_sendmsg sendmsg(MSG_DEALLOC_VGPRS)
	s_endpgm
	.section	.rodata,"a",@progbits
	.p2align	6, 0x0
	.amdhsa_kernel _ZL32rocblas_gemvt_warp_reduce_kernelILb0ELi256ElPKDF16_PKfKPDF16_EviiT3_lPKT2_lT1_lS9_lSA_lS6_lPT4_lSA_li
		.amdhsa_group_segment_fixed_size 128
		.amdhsa_private_segment_fixed_size 0
		.amdhsa_kernarg_size 140
		.amdhsa_user_sgpr_count 14
		.amdhsa_user_sgpr_dispatch_ptr 0
		.amdhsa_user_sgpr_queue_ptr 0
		.amdhsa_user_sgpr_kernarg_segment_ptr 1
		.amdhsa_user_sgpr_dispatch_id 0
		.amdhsa_user_sgpr_private_segment_size 0
		.amdhsa_wavefront_size32 1
		.amdhsa_uses_dynamic_stack 0
		.amdhsa_enable_private_segment 0
		.amdhsa_system_sgpr_workgroup_id_x 1
		.amdhsa_system_sgpr_workgroup_id_y 0
		.amdhsa_system_sgpr_workgroup_id_z 1
		.amdhsa_system_sgpr_workgroup_info 0
		.amdhsa_system_vgpr_workitem_id 0
		.amdhsa_next_free_vgpr 11
		.amdhsa_next_free_sgpr 31
		.amdhsa_reserve_vcc 1
		.amdhsa_float_round_mode_32 0
		.amdhsa_float_round_mode_16_64 0
		.amdhsa_float_denorm_mode_32 3
		.amdhsa_float_denorm_mode_16_64 3
		.amdhsa_dx10_clamp 1
		.amdhsa_ieee_mode 1
		.amdhsa_fp16_overflow 0
		.amdhsa_workgroup_processor_mode 1
		.amdhsa_memory_ordered 1
		.amdhsa_forward_progress 0
		.amdhsa_shared_vgpr_count 0
		.amdhsa_exception_fp_ieee_invalid_op 0
		.amdhsa_exception_fp_denorm_src 0
		.amdhsa_exception_fp_ieee_div_zero 0
		.amdhsa_exception_fp_ieee_overflow 0
		.amdhsa_exception_fp_ieee_underflow 0
		.amdhsa_exception_fp_ieee_inexact 0
		.amdhsa_exception_int_div_zero 0
	.end_amdhsa_kernel
	.section	.text._ZL32rocblas_gemvt_warp_reduce_kernelILb0ELi256ElPKDF16_PKfKPDF16_EviiT3_lPKT2_lT1_lS9_lSA_lS6_lPT4_lSA_li,"axG",@progbits,_ZL32rocblas_gemvt_warp_reduce_kernelILb0ELi256ElPKDF16_PKfKPDF16_EviiT3_lPKT2_lT1_lS9_lSA_lS6_lPT4_lSA_li,comdat
.Lfunc_end447:
	.size	_ZL32rocblas_gemvt_warp_reduce_kernelILb0ELi256ElPKDF16_PKfKPDF16_EviiT3_lPKT2_lT1_lS9_lSA_lS6_lPT4_lSA_li, .Lfunc_end447-_ZL32rocblas_gemvt_warp_reduce_kernelILb0ELi256ElPKDF16_PKfKPDF16_EviiT3_lPKT2_lT1_lS9_lSA_lS6_lPT4_lSA_li
                                        ; -- End function
	.section	.AMDGPU.csdata,"",@progbits
; Kernel info:
; codeLenInByte = 1580
; NumSgprs: 33
; NumVgprs: 11
; ScratchSize: 0
; MemoryBound: 0
; FloatMode: 240
; IeeeMode: 1
; LDSByteSize: 128 bytes/workgroup (compile time only)
; SGPRBlocks: 4
; VGPRBlocks: 1
; NumSGPRsForWavesPerEU: 33
; NumVGPRsForWavesPerEU: 11
; Occupancy: 16
; WaveLimiterHint : 1
; COMPUTE_PGM_RSRC2:SCRATCH_EN: 0
; COMPUTE_PGM_RSRC2:USER_SGPR: 14
; COMPUTE_PGM_RSRC2:TRAP_HANDLER: 0
; COMPUTE_PGM_RSRC2:TGID_X_EN: 1
; COMPUTE_PGM_RSRC2:TGID_Y_EN: 0
; COMPUTE_PGM_RSRC2:TGID_Z_EN: 1
; COMPUTE_PGM_RSRC2:TIDIG_COMP_CNT: 0
	.section	.text._ZL32rocblas_gemvt_warp_reduce_kernelILb0ELi256EiPKDF16_fKPDF16_EviiT3_lPKT2_lT1_lS7_lS8_lS4_lPT4_lS8_li,"axG",@progbits,_ZL32rocblas_gemvt_warp_reduce_kernelILb0ELi256EiPKDF16_fKPDF16_EviiT3_lPKT2_lT1_lS7_lS8_lS4_lPT4_lS8_li,comdat
	.globl	_ZL32rocblas_gemvt_warp_reduce_kernelILb0ELi256EiPKDF16_fKPDF16_EviiT3_lPKT2_lT1_lS7_lS8_lS4_lPT4_lS8_li ; -- Begin function _ZL32rocblas_gemvt_warp_reduce_kernelILb0ELi256EiPKDF16_fKPDF16_EviiT3_lPKT2_lT1_lS7_lS8_lS4_lPT4_lS8_li
	.p2align	8
	.type	_ZL32rocblas_gemvt_warp_reduce_kernelILb0ELi256EiPKDF16_fKPDF16_EviiT3_lPKT2_lT1_lS7_lS8_lS4_lPT4_lS8_li,@function
_ZL32rocblas_gemvt_warp_reduce_kernelILb0ELi256EiPKDF16_fKPDF16_EviiT3_lPKT2_lT1_lS7_lS8_lS4_lPT4_lS8_li: ; @_ZL32rocblas_gemvt_warp_reduce_kernelILb0ELi256EiPKDF16_fKPDF16_EviiT3_lPKT2_lT1_lS7_lS8_lS4_lPT4_lS8_li
; %bb.0:
	s_clause 0x1
	s_load_b32 s11, s[0:1], 0x8
	s_load_b32 s10, s[0:1], 0x58
	s_waitcnt lgkmcnt(0)
	v_cmp_eq_f32_e64 s8, s11, 0
	v_cmp_eq_f32_e64 s3, s10, 1.0
	s_delay_alu instid0(VALU_DEP_1) | instskip(NEXT) | instid1(SALU_CYCLE_1)
	s_and_b32 s3, s8, s3
	s_and_b32 vcc_lo, exec_lo, s3
	s_cbranch_vccnz .LBB448_37
; %bb.1:
	v_cmp_neq_f32_e64 s4, s11, 0
	s_mov_b32 s2, s15
	s_delay_alu instid0(VALU_DEP_1)
	s_and_b32 vcc_lo, exec_lo, s4
	s_cbranch_vccnz .LBB448_3
; %bb.2:
	s_mov_b32 s3, 0
	s_mov_b64 s[6:7], 0
	s_cbranch_execz .LBB448_4
	s_branch .LBB448_5
.LBB448_3:
	s_mov_b32 s3, -1
                                        ; implicit-def: $sgpr6_sgpr7
.LBB448_4:
	s_load_b128 s[16:19], s[0:1], 0x18
	s_mov_b32 s3, 0
	s_delay_alu instid0(SALU_CYCLE_1)
	s_lshl_b64 s[6:7], s[2:3], 3
	s_waitcnt lgkmcnt(0)
	s_add_u32 s6, s16, s6
	s_addc_u32 s7, s17, s7
	s_lshl_b64 s[12:13], s[18:19], 1
	s_load_b64 s[6:7], s[6:7], 0x0
	s_waitcnt lgkmcnt(0)
	s_add_u32 s6, s6, s12
	s_addc_u32 s7, s7, s13
.LBB448_5:
	s_and_not1_b32 vcc_lo, exec_lo, s4
	s_cbranch_vccnz .LBB448_7
; %bb.6:
	s_load_b128 s[16:19], s[0:1], 0x38
	s_lshl_b64 s[4:5], s[2:3], 3
	s_waitcnt lgkmcnt(0)
	s_add_u32 s4, s16, s4
	s_addc_u32 s5, s17, s5
	s_lshl_b64 s[12:13], s[18:19], 1
	s_load_b64 s[4:5], s[4:5], 0x0
	s_waitcnt lgkmcnt(0)
	s_add_u32 s4, s4, s12
	s_addc_u32 s5, s5, s13
	s_branch .LBB448_8
.LBB448_7:
	s_mov_b64 s[4:5], 0
.LBB448_8:
	s_clause 0x1
	s_load_b128 s[16:19], s[0:1], 0x68
	s_load_b32 s15, s[0:1], 0x78
	s_lshl_b64 s[2:3], s[2:3], 3
	s_waitcnt lgkmcnt(0)
	s_add_u32 s2, s16, s2
	s_addc_u32 s3, s17, s3
	s_lshl_b64 s[16:17], s[18:19], 1
	s_load_b64 s[12:13], s[2:3], 0x0
	v_cmp_eq_u32_e64 s2, 0, v0
	s_waitcnt lgkmcnt(0)
	s_add_u32 s12, s12, s16
	s_addc_u32 s13, s13, s17
	s_and_not1_b32 vcc_lo, exec_lo, s8
	s_cbranch_vccnz .LBB448_12
; %bb.9:
	s_mov_b32 s3, 0
	s_mov_b32 s16, 0
                                        ; implicit-def: $vgpr1
                                        ; implicit-def: $sgpr8_sgpr9
	s_and_saveexec_b32 s17, s2
	s_cbranch_execz .LBB448_13
; %bb.10:
	v_cmp_eq_f32_e64 s2, s10, 0
	s_mul_i32 s8, s14, s15
	s_delay_alu instid0(SALU_CYCLE_1) | instskip(NEXT) | instid1(VALU_DEP_1)
	s_ashr_i32 s9, s8, 31
	s_and_b32 vcc_lo, exec_lo, s2
	s_cbranch_vccnz .LBB448_14
; %bb.11:
	s_lshl_b64 s[18:19], s[8:9], 1
	v_mov_b32_e32 v1, 0
	s_add_u32 s18, s12, s18
	s_addc_u32 s19, s13, s19
	global_load_u16 v1, v1, s[18:19]
	s_waitcnt vmcnt(0)
	v_fma_mixlo_f16 v1, v1, s10, 0 op_sel_hi:[1,0,0]
	s_branch .LBB448_15
.LBB448_12:
	s_mov_b32 s16, 0
                                        ; implicit-def: $vgpr1
                                        ; implicit-def: $sgpr8_sgpr9
	s_cbranch_execnz .LBB448_16
	s_branch .LBB448_35
.LBB448_13:
	s_or_b32 exec_lo, exec_lo, s17
	s_delay_alu instid0(SALU_CYCLE_1)
	s_and_b32 vcc_lo, exec_lo, s3
	s_cbranch_vccnz .LBB448_16
	s_branch .LBB448_35
.LBB448_14:
	v_mov_b32_e32 v1, 0
.LBB448_15:
	s_mov_b32 s16, exec_lo
	s_or_b32 exec_lo, exec_lo, s17
	s_delay_alu instid0(SALU_CYCLE_1)
	s_and_b32 vcc_lo, exec_lo, s3
	s_cbranch_vccz .LBB448_35
.LBB448_16:
	s_clause 0x2
	s_load_b32 s2, s[0:1], 0x28
	s_load_b32 s3, s[0:1], 0x0
	s_load_b32 s1, s[0:1], 0x48
	v_mov_b32_e32 v7, 0
	s_waitcnt lgkmcnt(0)
	s_mul_i32 s8, s14, s2
	v_cmp_gt_i32_e32 vcc_lo, s3, v0
	s_ashr_i32 s9, s8, 31
	s_delay_alu instid0(SALU_CYCLE_1)
	s_lshl_b64 s[8:9], s[8:9], 1
	v_cndmask_b32_e32 v1, 0, v0, vcc_lo
	s_add_u32 s0, s8, s6
	s_addc_u32 s6, s9, s7
	s_ashr_i32 s2, s3, 31
	s_mov_b32 s7, 0
	v_lshlrev_b32_e32 v1, 1, v1
	s_lshr_b32 s2, s2, 24
	s_delay_alu instid0(SALU_CYCLE_1) | instskip(NEXT) | instid1(SALU_CYCLE_1)
	s_add_i32 s2, s3, s2
	s_and_b32 s2, s2, 0xffffff00
	s_delay_alu instid0(VALU_DEP_1) | instskip(NEXT) | instid1(VALU_DEP_1)
	v_add_co_u32 v1, s0, s0, v1
	v_add_co_ci_u32_e64 v2, null, s6, 0, s0
	s_mov_b32 s6, exec_lo
	v_cmpx_gt_i32_e64 s2, v0
	s_cbranch_execz .LBB448_20
; %bb.17:
	v_mul_lo_u32 v3, v0, s1
	v_dual_mov_b32 v7, 0 :: v_dual_mov_b32 v6, v2
	v_dual_mov_b32 v5, v1 :: v_dual_mov_b32 v8, v0
	s_lshl_b32 s8, s1, 8
	.p2align	6
.LBB448_18:                             ; =>This Inner Loop Header: Depth=1
	s_delay_alu instid0(VALU_DEP_3) | instskip(NEXT) | instid1(VALU_DEP_2)
	v_ashrrev_i32_e32 v4, 31, v3
	v_add_nc_u32_e32 v8, 0x100, v8
	s_delay_alu instid0(VALU_DEP_2) | instskip(NEXT) | instid1(VALU_DEP_2)
	v_lshlrev_b64 v[9:10], 1, v[3:4]
	v_cmp_le_i32_e64 s0, s2, v8
	v_add_nc_u32_e32 v3, s8, v3
	s_delay_alu instid0(VALU_DEP_2) | instskip(NEXT) | instid1(VALU_DEP_3)
	s_or_b32 s7, s0, s7
	v_add_co_u32 v9, vcc_lo, s4, v9
	s_delay_alu instid0(VALU_DEP_4)
	v_add_co_ci_u32_e32 v10, vcc_lo, s5, v10, vcc_lo
	flat_load_u16 v4, v[5:6]
	flat_load_u16 v9, v[9:10]
	v_add_co_u32 v5, vcc_lo, 0x200, v5
	v_add_co_ci_u32_e32 v6, vcc_lo, 0, v6, vcc_lo
	s_waitcnt vmcnt(0) lgkmcnt(0)
	v_mul_f16_e32 v4, v4, v9
	s_delay_alu instid0(VALU_DEP_1) | instskip(NEXT) | instid1(VALU_DEP_1)
	v_cvt_f32_f16_e32 v4, v4
	v_add_f32_e32 v7, v7, v4
	s_and_not1_b32 exec_lo, exec_lo, s7
	s_cbranch_execnz .LBB448_18
; %bb.19:
	s_or_b32 exec_lo, exec_lo, s7
.LBB448_20:
	s_delay_alu instid0(SALU_CYCLE_1) | instskip(SKIP_2) | instid1(VALU_DEP_1)
	s_or_b32 exec_lo, exec_lo, s6
	v_add_nc_u32_e32 v3, s2, v0
	s_mov_b32 s0, exec_lo
	v_cmpx_gt_i32_e64 s3, v3
	s_cbranch_execz .LBB448_22
; %bb.21:
	v_mul_lo_u32 v3, v3, s1
	s_ashr_i32 s3, s2, 31
	s_delay_alu instid0(SALU_CYCLE_1) | instskip(NEXT) | instid1(SALU_CYCLE_1)
	s_lshl_b64 s[2:3], s[2:3], 1
	v_add_co_u32 v1, vcc_lo, v1, s2
	v_add_co_ci_u32_e32 v2, vcc_lo, s3, v2, vcc_lo
	s_delay_alu instid0(VALU_DEP_3) | instskip(NEXT) | instid1(VALU_DEP_1)
	v_ashrrev_i32_e32 v4, 31, v3
	v_lshlrev_b64 v[3:4], 1, v[3:4]
	s_delay_alu instid0(VALU_DEP_1) | instskip(NEXT) | instid1(VALU_DEP_2)
	v_add_co_u32 v3, vcc_lo, s4, v3
	v_add_co_ci_u32_e32 v4, vcc_lo, s5, v4, vcc_lo
	flat_load_u16 v1, v[1:2]
	flat_load_u16 v2, v[3:4]
	s_waitcnt vmcnt(0) lgkmcnt(0)
	v_mul_f16_e32 v1, v1, v2
	s_delay_alu instid0(VALU_DEP_1) | instskip(NEXT) | instid1(VALU_DEP_1)
	v_cvt_f32_f16_e32 v1, v1
	v_add_f32_e32 v7, v7, v1
.LBB448_22:
	s_or_b32 exec_lo, exec_lo, s0
	v_and_b32_e32 v4, 31, v0
	v_cmp_gt_u32_e32 vcc_lo, 32, v0
	s_delay_alu instid0(VALU_DEP_2)
	v_lshlrev_b32_e32 v1, 2, v4
	s_and_saveexec_b32 s0, vcc_lo
	s_cbranch_execz .LBB448_24
; %bb.23:
	v_mov_b32_e32 v2, 0
	ds_store_b32 v1, v2
.LBB448_24:
	s_or_b32 exec_lo, exec_lo, s0
	v_mbcnt_lo_u32_b32 v5, -1, 0
	s_mov_b32 s1, exec_lo
	s_waitcnt lgkmcnt(0)
	s_barrier
	buffer_gl0_inv
	v_cmp_gt_u32_e64 s0, 16, v5
	s_delay_alu instid0(VALU_DEP_1) | instskip(SKIP_1) | instid1(VALU_DEP_2)
	v_cndmask_b32_e64 v2, 0, 1, s0
	v_cmp_gt_u32_e64 s0, 24, v5
	v_lshlrev_b32_e32 v2, 4, v2
	s_delay_alu instid0(VALU_DEP_2) | instskip(SKIP_1) | instid1(VALU_DEP_3)
	v_cndmask_b32_e64 v3, 0, 1, s0
	v_cmp_gt_u32_e64 s0, 28, v5
	v_add_lshl_u32 v2, v2, v5, 2
	ds_bpermute_b32 v2, v2, v7
	s_waitcnt lgkmcnt(0)
	v_dual_add_f32 v6, v7, v2 :: v_dual_lshlrev_b32 v3, 3, v3
	s_delay_alu instid0(VALU_DEP_1) | instskip(SKIP_4) | instid1(VALU_DEP_1)
	v_add_lshl_u32 v3, v3, v5, 2
	v_cndmask_b32_e64 v2, 0, 1, s0
	v_cmp_gt_u32_e64 s0, 30, v5
	ds_bpermute_b32 v3, v3, v6
	v_lshlrev_b32_e32 v2, 2, v2
	v_add_lshl_u32 v2, v2, v5, 2
	s_waitcnt lgkmcnt(0)
	v_add_f32_e32 v6, v6, v3
	v_cndmask_b32_e64 v3, 0, 1, s0
	v_cmp_ne_u32_e64 s0, 31, v5
	s_delay_alu instid0(VALU_DEP_2) | instskip(NEXT) | instid1(VALU_DEP_1)
	v_lshlrev_b32_e32 v3, 1, v3
	v_add_lshl_u32 v3, v3, v5, 2
	s_delay_alu instid0(VALU_DEP_3) | instskip(NEXT) | instid1(VALU_DEP_1)
	v_add_co_ci_u32_e64 v5, s0, 0, v5, s0
	v_lshlrev_b32_e32 v5, 2, v5
	ds_bpermute_b32 v7, v2, v6
	s_waitcnt lgkmcnt(0)
	v_add_f32_e32 v6, v6, v7
	ds_bpermute_b32 v7, v3, v6
	s_waitcnt lgkmcnt(0)
	v_add_f32_e32 v6, v6, v7
	ds_bpermute_b32 v7, v5, v6
	v_cmpx_eq_u32_e32 0, v4
	s_cbranch_execz .LBB448_26
; %bb.25:
	v_lshrrev_b32_e32 v4, 3, v0
	s_waitcnt lgkmcnt(0)
	v_add_f32_e32 v6, v6, v7
	s_delay_alu instid0(VALU_DEP_2)
	v_and_b32_e32 v4, 28, v4
	ds_store_b32 v4, v6
.LBB448_26:
	s_or_b32 exec_lo, exec_lo, s1
	v_mov_b32_e32 v4, 0
	s_mov_b32 s1, exec_lo
	s_waitcnt lgkmcnt(0)
	s_barrier
	buffer_gl0_inv
	v_cmpx_gt_u32_e32 8, v0
	s_cbranch_execz .LBB448_28
; %bb.27:
	ds_load_b32 v4, v1
.LBB448_28:
	s_or_b32 exec_lo, exec_lo, s1
	s_and_saveexec_b32 s0, vcc_lo
	s_cbranch_execz .LBB448_30
; %bb.29:
	s_waitcnt lgkmcnt(0)
	ds_bpermute_b32 v1, v2, v4
	s_waitcnt lgkmcnt(0)
	v_add_f32_e32 v1, v4, v1
	ds_bpermute_b32 v2, v3, v1
	s_waitcnt lgkmcnt(0)
	v_add_f32_e32 v1, v1, v2
	;; [unrolled: 3-line block ×3, first 2 shown]
.LBB448_30:
	s_or_b32 exec_lo, exec_lo, s0
	s_delay_alu instid0(SALU_CYCLE_1)
	s_mov_b32 s0, exec_lo
                                        ; implicit-def: $vgpr1
                                        ; implicit-def: $sgpr8_sgpr9
	v_cmpx_eq_u32_e32 0, v0
	s_cbranch_execz .LBB448_34
; %bb.31:
	v_cmp_eq_f32_e64 s1, s10, 0
	s_waitcnt lgkmcnt(0)
	v_mul_f32_e32 v0, s11, v4
	s_mul_i32 s8, s14, s15
	s_delay_alu instid0(SALU_CYCLE_1)
	s_ashr_i32 s9, s8, 31
	s_and_b32 vcc_lo, exec_lo, s1
	s_cbranch_vccnz .LBB448_33
; %bb.32:
	s_lshl_b64 s[2:3], s[8:9], 1
	v_mov_b32_e32 v1, 0
	s_add_u32 s2, s12, s2
	s_addc_u32 s3, s13, s3
	global_load_u16 v1, v1, s[2:3]
	s_waitcnt vmcnt(0)
	v_fma_mix_f32 v0, v1, s10, v0 op_sel_hi:[1,0,0]
.LBB448_33:
	s_delay_alu instid0(VALU_DEP_1)
	v_cvt_f16_f32_e32 v1, v0
	s_or_b32 s16, s16, exec_lo
.LBB448_34:
	s_or_b32 exec_lo, exec_lo, s0
.LBB448_35:
	s_and_saveexec_b32 s0, s16
	s_cbranch_execz .LBB448_37
; %bb.36:
	s_lshl_b64 s[0:1], s[8:9], 1
	v_mov_b32_e32 v0, 0
	s_add_u32 s0, s12, s0
	s_addc_u32 s1, s13, s1
	global_store_b16 v0, v1, s[0:1]
.LBB448_37:
	s_nop 0
	s_sendmsg sendmsg(MSG_DEALLOC_VGPRS)
	s_endpgm
	.section	.rodata,"a",@progbits
	.p2align	6, 0x0
	.amdhsa_kernel _ZL32rocblas_gemvt_warp_reduce_kernelILb0ELi256EiPKDF16_fKPDF16_EviiT3_lPKT2_lT1_lS7_lS8_lS4_lPT4_lS8_li
		.amdhsa_group_segment_fixed_size 128
		.amdhsa_private_segment_fixed_size 0
		.amdhsa_kernarg_size 140
		.amdhsa_user_sgpr_count 14
		.amdhsa_user_sgpr_dispatch_ptr 0
		.amdhsa_user_sgpr_queue_ptr 0
		.amdhsa_user_sgpr_kernarg_segment_ptr 1
		.amdhsa_user_sgpr_dispatch_id 0
		.amdhsa_user_sgpr_private_segment_size 0
		.amdhsa_wavefront_size32 1
		.amdhsa_uses_dynamic_stack 0
		.amdhsa_enable_private_segment 0
		.amdhsa_system_sgpr_workgroup_id_x 1
		.amdhsa_system_sgpr_workgroup_id_y 0
		.amdhsa_system_sgpr_workgroup_id_z 1
		.amdhsa_system_sgpr_workgroup_info 0
		.amdhsa_system_vgpr_workitem_id 0
		.amdhsa_next_free_vgpr 11
		.amdhsa_next_free_sgpr 20
		.amdhsa_reserve_vcc 1
		.amdhsa_float_round_mode_32 0
		.amdhsa_float_round_mode_16_64 0
		.amdhsa_float_denorm_mode_32 3
		.amdhsa_float_denorm_mode_16_64 3
		.amdhsa_dx10_clamp 1
		.amdhsa_ieee_mode 1
		.amdhsa_fp16_overflow 0
		.amdhsa_workgroup_processor_mode 1
		.amdhsa_memory_ordered 1
		.amdhsa_forward_progress 0
		.amdhsa_shared_vgpr_count 0
		.amdhsa_exception_fp_ieee_invalid_op 0
		.amdhsa_exception_fp_denorm_src 0
		.amdhsa_exception_fp_ieee_div_zero 0
		.amdhsa_exception_fp_ieee_overflow 0
		.amdhsa_exception_fp_ieee_underflow 0
		.amdhsa_exception_fp_ieee_inexact 0
		.amdhsa_exception_int_div_zero 0
	.end_amdhsa_kernel
	.section	.text._ZL32rocblas_gemvt_warp_reduce_kernelILb0ELi256EiPKDF16_fKPDF16_EviiT3_lPKT2_lT1_lS7_lS8_lS4_lPT4_lS8_li,"axG",@progbits,_ZL32rocblas_gemvt_warp_reduce_kernelILb0ELi256EiPKDF16_fKPDF16_EviiT3_lPKT2_lT1_lS7_lS8_lS4_lPT4_lS8_li,comdat
.Lfunc_end448:
	.size	_ZL32rocblas_gemvt_warp_reduce_kernelILb0ELi256EiPKDF16_fKPDF16_EviiT3_lPKT2_lT1_lS7_lS8_lS4_lPT4_lS8_li, .Lfunc_end448-_ZL32rocblas_gemvt_warp_reduce_kernelILb0ELi256EiPKDF16_fKPDF16_EviiT3_lPKT2_lT1_lS7_lS8_lS4_lPT4_lS8_li
                                        ; -- End function
	.section	.AMDGPU.csdata,"",@progbits
; Kernel info:
; codeLenInByte = 1448
; NumSgprs: 22
; NumVgprs: 11
; ScratchSize: 0
; MemoryBound: 0
; FloatMode: 240
; IeeeMode: 1
; LDSByteSize: 128 bytes/workgroup (compile time only)
; SGPRBlocks: 2
; VGPRBlocks: 1
; NumSGPRsForWavesPerEU: 22
; NumVGPRsForWavesPerEU: 11
; Occupancy: 16
; WaveLimiterHint : 1
; COMPUTE_PGM_RSRC2:SCRATCH_EN: 0
; COMPUTE_PGM_RSRC2:USER_SGPR: 14
; COMPUTE_PGM_RSRC2:TRAP_HANDLER: 0
; COMPUTE_PGM_RSRC2:TGID_X_EN: 1
; COMPUTE_PGM_RSRC2:TGID_Y_EN: 0
; COMPUTE_PGM_RSRC2:TGID_Z_EN: 1
; COMPUTE_PGM_RSRC2:TIDIG_COMP_CNT: 0
	.section	.text._ZL32rocblas_gemvt_warp_reduce_kernelILb0ELi256ElPKDF16_fKPDF16_EviiT3_lPKT2_lT1_lS7_lS8_lS4_lPT4_lS8_li,"axG",@progbits,_ZL32rocblas_gemvt_warp_reduce_kernelILb0ELi256ElPKDF16_fKPDF16_EviiT3_lPKT2_lT1_lS7_lS8_lS4_lPT4_lS8_li,comdat
	.globl	_ZL32rocblas_gemvt_warp_reduce_kernelILb0ELi256ElPKDF16_fKPDF16_EviiT3_lPKT2_lT1_lS7_lS8_lS4_lPT4_lS8_li ; -- Begin function _ZL32rocblas_gemvt_warp_reduce_kernelILb0ELi256ElPKDF16_fKPDF16_EviiT3_lPKT2_lT1_lS7_lS8_lS4_lPT4_lS8_li
	.p2align	8
	.type	_ZL32rocblas_gemvt_warp_reduce_kernelILb0ELi256ElPKDF16_fKPDF16_EviiT3_lPKT2_lT1_lS7_lS8_lS4_lPT4_lS8_li,@function
_ZL32rocblas_gemvt_warp_reduce_kernelILb0ELi256ElPKDF16_fKPDF16_EviiT3_lPKT2_lT1_lS7_lS8_lS4_lPT4_lS8_li: ; @_ZL32rocblas_gemvt_warp_reduce_kernelILb0ELi256ElPKDF16_fKPDF16_EviiT3_lPKT2_lT1_lS7_lS8_lS4_lPT4_lS8_li
; %bb.0:
	s_mov_b32 s2, s15
	s_clause 0x1
	s_load_b32 s18, s[0:1], 0x8
	s_load_b32 s15, s[0:1], 0x58
	s_waitcnt lgkmcnt(0)
	v_cmp_eq_f32_e64 s16, s18, 0
	v_cmp_eq_f32_e64 s3, s15, 1.0
	s_delay_alu instid0(VALU_DEP_1) | instskip(NEXT) | instid1(SALU_CYCLE_1)
	s_and_b32 s3, s16, s3
	s_and_b32 vcc_lo, exec_lo, s3
	s_cbranch_vccnz .LBB449_37
; %bb.1:
	s_clause 0x1
	s_load_b128 s[4:7], s[0:1], 0x18
	s_load_b64 s[10:11], s[0:1], 0x28
	v_cmp_neq_f32_e64 s17, s18, 0
	s_delay_alu instid0(VALU_DEP_1)
	s_and_b32 vcc_lo, exec_lo, s17
	s_cbranch_vccnz .LBB449_3
; %bb.2:
	s_mov_b32 s3, 0
	s_mov_b64 s[12:13], 0
	s_cbranch_execz .LBB449_4
	s_branch .LBB449_5
.LBB449_3:
	s_mov_b32 s3, -1
                                        ; implicit-def: $sgpr12_sgpr13
.LBB449_4:
	s_mov_b32 s3, 0
	s_delay_alu instid0(SALU_CYCLE_1)
	s_lshl_b64 s[8:9], s[2:3], 3
	s_waitcnt lgkmcnt(0)
	s_add_u32 s4, s4, s8
	s_addc_u32 s5, s5, s9
	s_lshl_b64 s[6:7], s[6:7], 1
	s_load_b64 s[4:5], s[4:5], 0x0
	s_waitcnt lgkmcnt(0)
	s_add_u32 s12, s4, s6
	s_addc_u32 s13, s5, s7
.LBB449_5:
	s_waitcnt lgkmcnt(0)
	s_clause 0x1
	s_load_b128 s[4:7], s[0:1], 0x38
	s_load_b64 s[8:9], s[0:1], 0x48
	s_and_not1_b32 vcc_lo, exec_lo, s17
	s_cbranch_vccnz .LBB449_7
; %bb.6:
	s_lshl_b64 s[20:21], s[2:3], 3
	s_waitcnt lgkmcnt(0)
	s_add_u32 s4, s4, s20
	s_addc_u32 s5, s5, s21
	s_lshl_b64 s[6:7], s[6:7], 1
	s_load_b64 s[4:5], s[4:5], 0x0
	s_waitcnt lgkmcnt(0)
	s_add_u32 s6, s4, s6
	s_addc_u32 s7, s5, s7
	s_branch .LBB449_8
.LBB449_7:
	s_waitcnt lgkmcnt(0)
	s_mov_b64 s[6:7], 0
.LBB449_8:
	s_clause 0x1
	s_load_b128 s[20:23], s[0:1], 0x68
	s_load_b64 s[4:5], s[0:1], 0x78
	s_lshl_b64 s[2:3], s[2:3], 3
	s_waitcnt lgkmcnt(0)
	s_add_u32 s2, s20, s2
	s_addc_u32 s3, s21, s3
	s_lshl_b64 s[22:23], s[22:23], 1
	s_load_b64 s[20:21], s[2:3], 0x0
	v_cmp_eq_u32_e64 s2, 0, v0
	s_waitcnt lgkmcnt(0)
	s_add_u32 s19, s20, s22
	s_addc_u32 s20, s21, s23
	s_and_not1_b32 vcc_lo, exec_lo, s16
	s_cbranch_vccnz .LBB449_12
; %bb.9:
	s_mov_b32 s3, 0
	s_mov_b32 s21, 0
                                        ; implicit-def: $vgpr1
                                        ; implicit-def: $sgpr16_sgpr17
	s_and_saveexec_b32 s22, s2
	s_cbranch_execz .LBB449_13
; %bb.10:
	v_cmp_eq_f32_e64 s2, s15, 0
	s_mul_i32 s16, s14, s5
	s_mul_hi_u32 s17, s14, s4
	s_ashr_i32 s21, s14, 31
	s_add_i32 s16, s17, s16
	s_mul_i32 s21, s21, s4
	s_and_b32 vcc_lo, exec_lo, s2
	s_add_i32 s17, s16, s21
	s_mul_i32 s16, s14, s4
	s_cbranch_vccnz .LBB449_14
; %bb.11:
	s_lshl_b64 s[24:25], s[16:17], 1
	v_mov_b32_e32 v1, 0
	s_add_u32 s24, s19, s24
	s_addc_u32 s25, s20, s25
	global_load_u16 v1, v1, s[24:25]
	s_waitcnt vmcnt(0)
	v_fma_mixlo_f16 v1, v1, s15, 0 op_sel_hi:[1,0,0]
	s_branch .LBB449_15
.LBB449_12:
	s_mov_b32 s21, 0
                                        ; implicit-def: $vgpr1
                                        ; implicit-def: $sgpr16_sgpr17
	s_cbranch_execnz .LBB449_16
	s_branch .LBB449_35
.LBB449_13:
	s_or_b32 exec_lo, exec_lo, s22
	s_delay_alu instid0(SALU_CYCLE_1)
	s_and_b32 vcc_lo, exec_lo, s3
	s_cbranch_vccnz .LBB449_16
	s_branch .LBB449_35
.LBB449_14:
	v_mov_b32_e32 v1, 0
.LBB449_15:
	s_mov_b32 s21, exec_lo
	s_or_b32 exec_lo, exec_lo, s22
	s_delay_alu instid0(SALU_CYCLE_1)
	s_and_b32 vcc_lo, exec_lo, s3
	s_cbranch_vccz .LBB449_35
.LBB449_16:
	s_load_b32 s3, s[0:1], 0x0
	s_mul_i32 s0, s14, s11
	s_mul_hi_u32 s2, s14, s10
	s_ashr_i32 s1, s14, 31
	s_add_i32 s0, s2, s0
	s_mul_i32 s2, s1, s10
	s_mul_i32 s10, s14, s10
	s_add_i32 s11, s0, s2
	v_mov_b32_e32 v7, 0
	s_lshl_b64 s[10:11], s[10:11], 1
	s_delay_alu instid0(SALU_CYCLE_1)
	s_add_u32 s0, s10, s12
	s_addc_u32 s10, s11, s13
	s_mov_b32 s13, 0
	s_mov_b32 s12, exec_lo
	s_waitcnt lgkmcnt(0)
	v_cmp_gt_i32_e32 vcc_lo, s3, v0
	s_ashr_i32 s2, s3, 31
	s_delay_alu instid0(SALU_CYCLE_1) | instskip(NEXT) | instid1(SALU_CYCLE_1)
	s_lshr_b32 s2, s2, 24
	s_add_i32 s2, s3, s2
	v_cndmask_b32_e32 v1, 0, v0, vcc_lo
	s_and_b32 s2, s2, 0xffffff00
	s_delay_alu instid0(VALU_DEP_1) | instskip(NEXT) | instid1(VALU_DEP_1)
	v_lshlrev_b32_e32 v1, 1, v1
	v_add_co_u32 v1, s0, s0, v1
	s_delay_alu instid0(VALU_DEP_1)
	v_add_co_ci_u32_e64 v2, null, s10, 0, s0
	v_cmpx_gt_i32_e64 s2, v0
	s_cbranch_execz .LBB449_20
; %bb.17:
	v_mad_u64_u32 v[3:4], null, s8, v0, 0
	v_mov_b32_e32 v8, v0
	s_lshl_b64 s[10:11], s[8:9], 9
	v_mov_b32_e32 v7, 0
	s_delay_alu instid0(VALU_DEP_3) | instskip(NEXT) | instid1(VALU_DEP_1)
	v_mad_u64_u32 v[5:6], null, s9, v0, v[4:5]
	v_mov_b32_e32 v4, v5
	s_delay_alu instid0(VALU_DEP_1) | instskip(SKIP_1) | instid1(VALU_DEP_2)
	v_lshlrev_b64 v[5:6], 1, v[3:4]
	v_dual_mov_b32 v4, v2 :: v_dual_mov_b32 v3, v1
	v_add_co_u32 v5, vcc_lo, s6, v5
	s_delay_alu instid0(VALU_DEP_3)
	v_add_co_ci_u32_e32 v6, vcc_lo, s7, v6, vcc_lo
	.p2align	6
.LBB449_18:                             ; =>This Inner Loop Header: Depth=1
	flat_load_u16 v9, v[3:4]
	flat_load_u16 v10, v[5:6]
	v_add_co_u32 v3, vcc_lo, 0x200, v3
	v_add_co_ci_u32_e32 v4, vcc_lo, 0, v4, vcc_lo
	v_add_co_u32 v5, vcc_lo, v5, s10
	v_add_co_ci_u32_e32 v6, vcc_lo, s11, v6, vcc_lo
	s_waitcnt vmcnt(0) lgkmcnt(0)
	v_mul_f16_e32 v9, v9, v10
	s_delay_alu instid0(VALU_DEP_1) | instskip(NEXT) | instid1(VALU_DEP_1)
	v_cvt_f32_f16_e32 v9, v9
	v_dual_add_f32 v7, v7, v9 :: v_dual_add_nc_u32 v8, 0x100, v8
	s_delay_alu instid0(VALU_DEP_1) | instskip(NEXT) | instid1(VALU_DEP_1)
	v_cmp_le_i32_e64 s0, s2, v8
	s_or_b32 s13, s0, s13
	s_delay_alu instid0(SALU_CYCLE_1)
	s_and_not1_b32 exec_lo, exec_lo, s13
	s_cbranch_execnz .LBB449_18
; %bb.19:
	s_or_b32 exec_lo, exec_lo, s13
.LBB449_20:
	s_delay_alu instid0(SALU_CYCLE_1) | instskip(SKIP_2) | instid1(VALU_DEP_1)
	s_or_b32 exec_lo, exec_lo, s12
	v_add_nc_u32_e32 v3, s2, v0
	s_mov_b32 s0, exec_lo
	v_cmpx_gt_i32_e64 s3, v3
	s_cbranch_execz .LBB449_22
; %bb.21:
	v_ashrrev_i32_e32 v6, 31, v3
	v_mul_lo_u32 v8, v3, s9
	v_mad_u64_u32 v[4:5], null, v3, s8, 0
	s_ashr_i32 s3, s2, 31
	s_delay_alu instid0(VALU_DEP_3) | instskip(SKIP_1) | instid1(SALU_CYCLE_1)
	v_mul_lo_u32 v3, v6, s8
	s_lshl_b64 s[2:3], s[2:3], 1
	v_add_co_u32 v1, vcc_lo, v1, s2
	v_add_co_ci_u32_e32 v2, vcc_lo, s3, v2, vcc_lo
	s_delay_alu instid0(VALU_DEP_3) | instskip(NEXT) | instid1(VALU_DEP_1)
	v_add3_u32 v5, v5, v8, v3
	v_lshlrev_b64 v[3:4], 1, v[4:5]
	s_delay_alu instid0(VALU_DEP_1) | instskip(NEXT) | instid1(VALU_DEP_2)
	v_add_co_u32 v3, vcc_lo, s6, v3
	v_add_co_ci_u32_e32 v4, vcc_lo, s7, v4, vcc_lo
	flat_load_u16 v1, v[1:2]
	flat_load_u16 v2, v[3:4]
	s_waitcnt vmcnt(0) lgkmcnt(0)
	v_mul_f16_e32 v1, v1, v2
	s_delay_alu instid0(VALU_DEP_1) | instskip(NEXT) | instid1(VALU_DEP_1)
	v_cvt_f32_f16_e32 v1, v1
	v_add_f32_e32 v7, v7, v1
.LBB449_22:
	s_or_b32 exec_lo, exec_lo, s0
	v_and_b32_e32 v4, 31, v0
	v_cmp_gt_u32_e32 vcc_lo, 32, v0
	s_delay_alu instid0(VALU_DEP_2)
	v_lshlrev_b32_e32 v1, 2, v4
	s_and_saveexec_b32 s0, vcc_lo
	s_cbranch_execz .LBB449_24
; %bb.23:
	v_mov_b32_e32 v2, 0
	ds_store_b32 v1, v2
.LBB449_24:
	s_or_b32 exec_lo, exec_lo, s0
	v_mbcnt_lo_u32_b32 v5, -1, 0
	s_mov_b32 s2, exec_lo
	s_waitcnt lgkmcnt(0)
	s_barrier
	buffer_gl0_inv
	v_cmp_gt_u32_e64 s0, 16, v5
	s_delay_alu instid0(VALU_DEP_1) | instskip(SKIP_1) | instid1(VALU_DEP_2)
	v_cndmask_b32_e64 v2, 0, 1, s0
	v_cmp_gt_u32_e64 s0, 24, v5
	v_lshlrev_b32_e32 v2, 4, v2
	s_delay_alu instid0(VALU_DEP_2) | instskip(SKIP_1) | instid1(VALU_DEP_3)
	v_cndmask_b32_e64 v3, 0, 1, s0
	v_cmp_gt_u32_e64 s0, 28, v5
	v_add_lshl_u32 v2, v2, v5, 2
	ds_bpermute_b32 v2, v2, v7
	s_waitcnt lgkmcnt(0)
	v_dual_add_f32 v6, v7, v2 :: v_dual_lshlrev_b32 v3, 3, v3
	s_delay_alu instid0(VALU_DEP_1) | instskip(SKIP_4) | instid1(VALU_DEP_1)
	v_add_lshl_u32 v3, v3, v5, 2
	v_cndmask_b32_e64 v2, 0, 1, s0
	v_cmp_gt_u32_e64 s0, 30, v5
	ds_bpermute_b32 v3, v3, v6
	v_lshlrev_b32_e32 v2, 2, v2
	v_add_lshl_u32 v2, v2, v5, 2
	s_waitcnt lgkmcnt(0)
	v_add_f32_e32 v6, v6, v3
	v_cndmask_b32_e64 v3, 0, 1, s0
	v_cmp_ne_u32_e64 s0, 31, v5
	s_delay_alu instid0(VALU_DEP_2) | instskip(NEXT) | instid1(VALU_DEP_1)
	v_lshlrev_b32_e32 v3, 1, v3
	v_add_lshl_u32 v3, v3, v5, 2
	s_delay_alu instid0(VALU_DEP_3) | instskip(NEXT) | instid1(VALU_DEP_1)
	v_add_co_ci_u32_e64 v5, s0, 0, v5, s0
	v_lshlrev_b32_e32 v5, 2, v5
	ds_bpermute_b32 v7, v2, v6
	s_waitcnt lgkmcnt(0)
	v_add_f32_e32 v6, v6, v7
	ds_bpermute_b32 v7, v3, v6
	s_waitcnt lgkmcnt(0)
	v_add_f32_e32 v6, v6, v7
	ds_bpermute_b32 v7, v5, v6
	v_cmpx_eq_u32_e32 0, v4
	s_cbranch_execz .LBB449_26
; %bb.25:
	v_lshrrev_b32_e32 v4, 3, v0
	s_waitcnt lgkmcnt(0)
	v_add_f32_e32 v6, v6, v7
	s_delay_alu instid0(VALU_DEP_2)
	v_and_b32_e32 v4, 28, v4
	ds_store_b32 v4, v6
.LBB449_26:
	s_or_b32 exec_lo, exec_lo, s2
	v_mov_b32_e32 v4, 0
	s_mov_b32 s2, exec_lo
	s_waitcnt lgkmcnt(0)
	s_barrier
	buffer_gl0_inv
	v_cmpx_gt_u32_e32 8, v0
	s_cbranch_execz .LBB449_28
; %bb.27:
	ds_load_b32 v4, v1
.LBB449_28:
	s_or_b32 exec_lo, exec_lo, s2
	s_and_saveexec_b32 s0, vcc_lo
	s_cbranch_execz .LBB449_30
; %bb.29:
	s_waitcnt lgkmcnt(0)
	ds_bpermute_b32 v1, v2, v4
	s_waitcnt lgkmcnt(0)
	v_add_f32_e32 v1, v4, v1
	ds_bpermute_b32 v2, v3, v1
	s_waitcnt lgkmcnt(0)
	v_add_f32_e32 v1, v1, v2
	;; [unrolled: 3-line block ×3, first 2 shown]
.LBB449_30:
	s_or_b32 exec_lo, exec_lo, s0
	s_delay_alu instid0(SALU_CYCLE_1)
	s_mov_b32 s0, exec_lo
                                        ; implicit-def: $vgpr1
                                        ; implicit-def: $sgpr16_sgpr17
	v_cmpx_eq_u32_e32 0, v0
	s_cbranch_execz .LBB449_34
; %bb.31:
	s_mul_i32 s2, s14, s5
	v_cmp_eq_f32_e64 s5, s15, 0
	s_mul_hi_u32 s3, s14, s4
	s_waitcnt lgkmcnt(0)
	v_mul_f32_e32 v0, s18, v4
	s_add_i32 s2, s3, s2
	s_mul_i32 s1, s1, s4
	s_and_b32 vcc_lo, exec_lo, s5
	s_add_i32 s17, s2, s1
	s_mul_i32 s16, s14, s4
	s_cbranch_vccnz .LBB449_33
; %bb.32:
	s_lshl_b64 s[2:3], s[16:17], 1
	v_mov_b32_e32 v1, 0
	s_add_u32 s2, s19, s2
	s_addc_u32 s3, s20, s3
	global_load_u16 v1, v1, s[2:3]
	s_waitcnt vmcnt(0)
	v_fma_mix_f32 v0, v1, s15, v0 op_sel_hi:[1,0,0]
.LBB449_33:
	s_delay_alu instid0(VALU_DEP_1)
	v_cvt_f16_f32_e32 v1, v0
	s_or_b32 s21, s21, exec_lo
.LBB449_34:
	s_or_b32 exec_lo, exec_lo, s0
.LBB449_35:
	s_and_saveexec_b32 s0, s21
	s_cbranch_execz .LBB449_37
; %bb.36:
	s_lshl_b64 s[0:1], s[16:17], 1
	v_mov_b32_e32 v0, 0
	s_add_u32 s0, s19, s0
	s_addc_u32 s1, s20, s1
	global_store_b16 v0, v1, s[0:1]
.LBB449_37:
	s_nop 0
	s_sendmsg sendmsg(MSG_DEALLOC_VGPRS)
	s_endpgm
	.section	.rodata,"a",@progbits
	.p2align	6, 0x0
	.amdhsa_kernel _ZL32rocblas_gemvt_warp_reduce_kernelILb0ELi256ElPKDF16_fKPDF16_EviiT3_lPKT2_lT1_lS7_lS8_lS4_lPT4_lS8_li
		.amdhsa_group_segment_fixed_size 128
		.amdhsa_private_segment_fixed_size 0
		.amdhsa_kernarg_size 140
		.amdhsa_user_sgpr_count 14
		.amdhsa_user_sgpr_dispatch_ptr 0
		.amdhsa_user_sgpr_queue_ptr 0
		.amdhsa_user_sgpr_kernarg_segment_ptr 1
		.amdhsa_user_sgpr_dispatch_id 0
		.amdhsa_user_sgpr_private_segment_size 0
		.amdhsa_wavefront_size32 1
		.amdhsa_uses_dynamic_stack 0
		.amdhsa_enable_private_segment 0
		.amdhsa_system_sgpr_workgroup_id_x 1
		.amdhsa_system_sgpr_workgroup_id_y 0
		.amdhsa_system_sgpr_workgroup_id_z 1
		.amdhsa_system_sgpr_workgroup_info 0
		.amdhsa_system_vgpr_workitem_id 0
		.amdhsa_next_free_vgpr 11
		.amdhsa_next_free_sgpr 26
		.amdhsa_reserve_vcc 1
		.amdhsa_float_round_mode_32 0
		.amdhsa_float_round_mode_16_64 0
		.amdhsa_float_denorm_mode_32 3
		.amdhsa_float_denorm_mode_16_64 3
		.amdhsa_dx10_clamp 1
		.amdhsa_ieee_mode 1
		.amdhsa_fp16_overflow 0
		.amdhsa_workgroup_processor_mode 1
		.amdhsa_memory_ordered 1
		.amdhsa_forward_progress 0
		.amdhsa_shared_vgpr_count 0
		.amdhsa_exception_fp_ieee_invalid_op 0
		.amdhsa_exception_fp_denorm_src 0
		.amdhsa_exception_fp_ieee_div_zero 0
		.amdhsa_exception_fp_ieee_overflow 0
		.amdhsa_exception_fp_ieee_underflow 0
		.amdhsa_exception_fp_ieee_inexact 0
		.amdhsa_exception_int_div_zero 0
	.end_amdhsa_kernel
	.section	.text._ZL32rocblas_gemvt_warp_reduce_kernelILb0ELi256ElPKDF16_fKPDF16_EviiT3_lPKT2_lT1_lS7_lS8_lS4_lPT4_lS8_li,"axG",@progbits,_ZL32rocblas_gemvt_warp_reduce_kernelILb0ELi256ElPKDF16_fKPDF16_EviiT3_lPKT2_lT1_lS7_lS8_lS4_lPT4_lS8_li,comdat
.Lfunc_end449:
	.size	_ZL32rocblas_gemvt_warp_reduce_kernelILb0ELi256ElPKDF16_fKPDF16_EviiT3_lPKT2_lT1_lS7_lS8_lS4_lPT4_lS8_li, .Lfunc_end449-_ZL32rocblas_gemvt_warp_reduce_kernelILb0ELi256ElPKDF16_fKPDF16_EviiT3_lPKT2_lT1_lS7_lS8_lS4_lPT4_lS8_li
                                        ; -- End function
	.section	.AMDGPU.csdata,"",@progbits
; Kernel info:
; codeLenInByte = 1556
; NumSgprs: 28
; NumVgprs: 11
; ScratchSize: 0
; MemoryBound: 0
; FloatMode: 240
; IeeeMode: 1
; LDSByteSize: 128 bytes/workgroup (compile time only)
; SGPRBlocks: 3
; VGPRBlocks: 1
; NumSGPRsForWavesPerEU: 28
; NumVGPRsForWavesPerEU: 11
; Occupancy: 16
; WaveLimiterHint : 1
; COMPUTE_PGM_RSRC2:SCRATCH_EN: 0
; COMPUTE_PGM_RSRC2:USER_SGPR: 14
; COMPUTE_PGM_RSRC2:TRAP_HANDLER: 0
; COMPUTE_PGM_RSRC2:TGID_X_EN: 1
; COMPUTE_PGM_RSRC2:TGID_Y_EN: 0
; COMPUTE_PGM_RSRC2:TGID_Z_EN: 1
; COMPUTE_PGM_RSRC2:TIDIG_COMP_CNT: 0
	.section	.text._ZL20rocblas_gemvt_kernelILb0ELi256EPKDF16_PKfKPDF16_EviiT2_lPKT1_lilS9_lilS6_lPT3_lili,"axG",@progbits,_ZL20rocblas_gemvt_kernelILb0ELi256EPKDF16_PKfKPDF16_EviiT2_lPKT1_lilS9_lilS6_lPT3_lili,comdat
	.globl	_ZL20rocblas_gemvt_kernelILb0ELi256EPKDF16_PKfKPDF16_EviiT2_lPKT1_lilS9_lilS6_lPT3_lili ; -- Begin function _ZL20rocblas_gemvt_kernelILb0ELi256EPKDF16_PKfKPDF16_EviiT2_lPKT1_lilS9_lilS6_lPT3_lili
	.p2align	8
	.type	_ZL20rocblas_gemvt_kernelILb0ELi256EPKDF16_PKfKPDF16_EviiT2_lPKT1_lilS9_lilS6_lPT3_lili,@function
_ZL20rocblas_gemvt_kernelILb0ELi256EPKDF16_PKfKPDF16_EviiT2_lPKT1_lilS9_lilS6_lPT3_lili: ; @_ZL20rocblas_gemvt_kernelILb0ELi256EPKDF16_PKfKPDF16_EviiT2_lPKT1_lilS9_lilS6_lPT3_lili
; %bb.0:
	s_clause 0x1
	s_load_b256 s[16:23], s[0:1], 0x8
	s_load_b256 s[4:11], s[0:1], 0x58
	s_waitcnt lgkmcnt(0)
	s_mul_i32 s3, s15, s19
	s_mul_hi_u32 s13, s15, s18
	s_mul_i32 s12, s15, s18
	s_add_i32 s13, s13, s3
	s_mul_i32 s3, s15, s7
	s_lshl_b64 s[12:13], s[12:13], 2
	s_mul_hi_u32 s7, s15, s6
	s_add_u32 s12, s16, s12
	s_addc_u32 s13, s17, s13
	s_add_i32 s7, s7, s3
	s_mul_i32 s6, s15, s6
	s_delay_alu instid0(SALU_CYCLE_1) | instskip(NEXT) | instid1(SALU_CYCLE_1)
	s_lshl_b64 s[6:7], s[6:7], 2
	s_add_u32 s4, s4, s6
	s_addc_u32 s5, s5, s7
	s_load_b32 s13, s[12:13], 0x0
	s_load_b32 s12, s[4:5], 0x0
	s_waitcnt lgkmcnt(0)
	v_cmp_eq_f32_e64 s16, s13, 0
	v_cmp_eq_f32_e64 s3, s12, 1.0
	s_delay_alu instid0(VALU_DEP_1) | instskip(NEXT) | instid1(SALU_CYCLE_1)
	s_and_b32 s3, s16, s3
	s_and_b32 vcc_lo, exec_lo, s3
	s_mov_b32 s3, 0
	s_cbranch_vccnz .LBB450_41
; %bb.1:
	s_mov_b32 s2, s15
	v_cmp_neq_f32_e64 s15, s13, 0
	s_mov_b64 s[4:5], 0
	s_and_b32 vcc_lo, exec_lo, s16
	s_mov_b64 s[6:7], 0
	s_cbranch_vccnz .LBB450_3
; %bb.2:
	s_lshl_b64 s[6:7], s[2:3], 3
	s_delay_alu instid0(SALU_CYCLE_1)
	s_add_u32 s6, s20, s6
	s_addc_u32 s7, s21, s7
	s_lshl_b64 s[18:19], s[22:23], 1
	s_load_b64 s[6:7], s[6:7], 0x0
	s_waitcnt lgkmcnt(0)
	s_add_u32 s6, s6, s18
	s_addc_u32 s7, s7, s19
.LBB450_3:
	s_and_not1_b32 vcc_lo, exec_lo, s15
	s_cbranch_vccnz .LBB450_5
; %bb.4:
	s_load_b128 s[20:23], s[0:1], 0x38
	s_lshl_b64 s[4:5], s[2:3], 3
	s_waitcnt lgkmcnt(0)
	s_add_u32 s4, s20, s4
	s_addc_u32 s5, s21, s5
	s_lshl_b64 s[18:19], s[22:23], 1
	s_load_b64 s[4:5], s[4:5], 0x0
	s_waitcnt lgkmcnt(0)
	s_add_u32 s4, s4, s18
	s_addc_u32 s5, s5, s19
.LBB450_5:
	s_lshl_b64 s[2:3], s[2:3], 3
	s_delay_alu instid0(SALU_CYCLE_1)
	s_add_u32 s2, s8, s2
	s_addc_u32 s3, s9, s3
	s_lshl_b64 s[10:11], s[10:11], 1
	s_load_b64 s[8:9], s[2:3], 0x0
	s_load_b32 s15, s[0:1], 0x78
	v_cmp_eq_u32_e64 s2, 0, v0
	s_waitcnt lgkmcnt(0)
	s_add_u32 s10, s8, s10
	s_addc_u32 s11, s9, s11
	s_and_not1_b32 vcc_lo, exec_lo, s16
	s_cbranch_vccnz .LBB450_9
; %bb.6:
	s_mov_b32 s3, 0
	s_mov_b32 s16, 0
                                        ; implicit-def: $vgpr1
                                        ; implicit-def: $sgpr8_sgpr9
	s_and_saveexec_b32 s17, s2
	s_cbranch_execz .LBB450_10
; %bb.7:
	v_cmp_eq_f32_e64 s2, s12, 0
	s_mul_hi_i32 s9, s15, s14
	s_mul_i32 s8, s15, s14
	s_delay_alu instid0(VALU_DEP_1)
	s_and_b32 vcc_lo, exec_lo, s2
	s_cbranch_vccnz .LBB450_11
; %bb.8:
	s_lshl_b64 s[18:19], s[8:9], 1
	v_mov_b32_e32 v1, 0
	s_add_u32 s18, s10, s18
	s_addc_u32 s19, s11, s19
	global_load_u16 v1, v1, s[18:19]
	s_waitcnt vmcnt(0)
	v_fma_mixlo_f16 v1, s12, v1, 0 op_sel_hi:[0,1,0]
	s_branch .LBB450_12
.LBB450_9:
	s_mov_b32 s16, 0
                                        ; implicit-def: $vgpr1
                                        ; implicit-def: $sgpr8_sgpr9
	s_cbranch_execnz .LBB450_13
	s_branch .LBB450_39
.LBB450_10:
	s_or_b32 exec_lo, exec_lo, s17
	s_delay_alu instid0(SALU_CYCLE_1)
	s_and_b32 vcc_lo, exec_lo, s3
	s_cbranch_vccnz .LBB450_13
	s_branch .LBB450_39
.LBB450_11:
	v_mov_b32_e32 v1, 0
.LBB450_12:
	s_mov_b32 s16, exec_lo
	s_or_b32 exec_lo, exec_lo, s17
	s_delay_alu instid0(SALU_CYCLE_1)
	s_and_b32 vcc_lo, exec_lo, s3
	s_cbranch_vccz .LBB450_39
.LBB450_13:
	s_clause 0x2
	s_load_b32 s2, s[0:1], 0x28
	s_load_b32 s3, s[0:1], 0x0
	;; [unrolled: 1-line block ×3, first 2 shown]
	v_mov_b32_e32 v7, 0
	s_waitcnt lgkmcnt(0)
	s_mul_hi_i32 s9, s2, s14
	v_cmp_gt_i32_e32 vcc_lo, s3, v0
	s_mul_i32 s8, s2, s14
	s_delay_alu instid0(SALU_CYCLE_1) | instskip(NEXT) | instid1(SALU_CYCLE_1)
	s_lshl_b64 s[8:9], s[8:9], 1
	s_add_u32 s1, s8, s6
	v_cndmask_b32_e32 v1, 0, v0, vcc_lo
	s_addc_u32 s2, s9, s7
	s_ashr_i32 s6, s3, 31
	s_mov_b32 s8, 0
	s_lshr_b32 s6, s6, 24
	v_lshlrev_b32_e32 v1, 1, v1
	s_add_i32 s6, s3, s6
	s_delay_alu instid0(VALU_DEP_1) | instskip(NEXT) | instid1(VALU_DEP_1)
	v_add_co_u32 v1, s1, s1, v1
	v_add_co_ci_u32_e64 v2, null, s2, 0, s1
	s_and_b32 s2, s6, 0xffffff00
	s_cmpk_lt_i32 s3, 0x100
	s_cbranch_scc1 .LBB450_16
; %bb.14:
	v_mad_i64_i32 v[3:4], null, s0, v0, 0
	v_dual_mov_b32 v7, 0 :: v_dual_mov_b32 v6, v2
	v_mov_b32_e32 v5, v1
	s_ashr_i32 s1, s0, 31
	s_delay_alu instid0(SALU_CYCLE_1) | instskip(NEXT) | instid1(VALU_DEP_3)
	s_lshl_b64 s[6:7], s[0:1], 9
	v_lshlrev_b64 v[3:4], 1, v[3:4]
	s_delay_alu instid0(VALU_DEP_1) | instskip(NEXT) | instid1(VALU_DEP_2)
	v_add_co_u32 v3, vcc_lo, s4, v3
	v_add_co_ci_u32_e32 v4, vcc_lo, s5, v4, vcc_lo
	.p2align	6
.LBB450_15:                             ; =>This Inner Loop Header: Depth=1
	flat_load_u16 v8, v[5:6]
	flat_load_u16 v9, v[3:4]
	v_add_co_u32 v3, vcc_lo, v3, s6
	v_add_co_ci_u32_e32 v4, vcc_lo, s7, v4, vcc_lo
	v_add_co_u32 v5, vcc_lo, 0x200, v5
	v_add_co_ci_u32_e32 v6, vcc_lo, 0, v6, vcc_lo
	s_addk_i32 s8, 0x100
	s_delay_alu instid0(SALU_CYCLE_1) | instskip(SKIP_2) | instid1(VALU_DEP_1)
	s_cmp_ge_i32 s8, s2
	s_waitcnt vmcnt(0) lgkmcnt(0)
	v_mul_f16_e32 v8, v8, v9
	v_cvt_f32_f16_e32 v8, v8
	s_delay_alu instid0(VALU_DEP_1)
	v_add_f32_e32 v7, v7, v8
	s_cbranch_scc0 .LBB450_15
.LBB450_16:
	v_add_nc_u32_e32 v3, s2, v0
	s_mov_b32 s1, exec_lo
	s_delay_alu instid0(VALU_DEP_1)
	v_cmpx_gt_i32_e64 s3, v3
	s_cbranch_execz .LBB450_18
; %bb.17:
	v_mad_i64_i32 v[4:5], null, s0, v3, 0
	s_ashr_i32 s3, s2, 31
	s_delay_alu instid0(SALU_CYCLE_1) | instskip(NEXT) | instid1(SALU_CYCLE_1)
	s_lshl_b64 s[2:3], s[2:3], 1
	v_add_co_u32 v1, vcc_lo, v1, s2
	s_delay_alu instid0(VALU_DEP_2) | instskip(SKIP_1) | instid1(VALU_DEP_2)
	v_lshlrev_b64 v[3:4], 1, v[4:5]
	v_add_co_ci_u32_e32 v2, vcc_lo, s3, v2, vcc_lo
	v_add_co_u32 v3, vcc_lo, s4, v3
	s_delay_alu instid0(VALU_DEP_3) | instskip(SKIP_4) | instid1(VALU_DEP_1)
	v_add_co_ci_u32_e32 v4, vcc_lo, s5, v4, vcc_lo
	flat_load_u16 v1, v[1:2]
	flat_load_u16 v2, v[3:4]
	s_waitcnt vmcnt(0) lgkmcnt(0)
	v_mul_f16_e32 v1, v1, v2
	v_cvt_f32_f16_e32 v1, v1
	s_delay_alu instid0(VALU_DEP_1)
	v_add_f32_e32 v7, v7, v1
.LBB450_18:
	s_or_b32 exec_lo, exec_lo, s1
	v_lshlrev_b32_e32 v1, 2, v0
	s_mov_b32 s0, exec_lo
	ds_store_b32 v1, v7
	s_waitcnt lgkmcnt(0)
	s_barrier
	buffer_gl0_inv
	v_cmpx_gt_u32_e32 0x80, v0
	s_cbranch_execz .LBB450_20
; %bb.19:
	ds_load_2addr_stride64_b32 v[2:3], v1 offset1:2
	s_waitcnt lgkmcnt(0)
	v_add_f32_e32 v2, v3, v2
	ds_store_b32 v1, v2
.LBB450_20:
	s_or_b32 exec_lo, exec_lo, s0
	s_delay_alu instid0(SALU_CYCLE_1)
	s_mov_b32 s0, exec_lo
	s_waitcnt lgkmcnt(0)
	s_barrier
	buffer_gl0_inv
	v_cmpx_gt_u32_e32 64, v0
	s_cbranch_execz .LBB450_22
; %bb.21:
	ds_load_2addr_stride64_b32 v[2:3], v1 offset1:1
	s_waitcnt lgkmcnt(0)
	v_add_f32_e32 v2, v3, v2
	ds_store_b32 v1, v2
.LBB450_22:
	s_or_b32 exec_lo, exec_lo, s0
	s_delay_alu instid0(SALU_CYCLE_1)
	s_mov_b32 s0, exec_lo
	s_waitcnt lgkmcnt(0)
	s_barrier
	buffer_gl0_inv
	v_cmpx_gt_u32_e32 32, v0
	s_cbranch_execz .LBB450_24
; %bb.23:
	ds_load_2addr_b32 v[2:3], v1 offset1:32
	s_waitcnt lgkmcnt(0)
	v_add_f32_e32 v2, v3, v2
	ds_store_b32 v1, v2
.LBB450_24:
	s_or_b32 exec_lo, exec_lo, s0
	s_delay_alu instid0(SALU_CYCLE_1)
	s_mov_b32 s0, exec_lo
	s_waitcnt lgkmcnt(0)
	s_barrier
	buffer_gl0_inv
	v_cmpx_gt_u32_e32 16, v0
	s_cbranch_execz .LBB450_26
; %bb.25:
	ds_load_2addr_b32 v[2:3], v1 offset1:16
	s_waitcnt lgkmcnt(0)
	v_add_f32_e32 v2, v3, v2
	ds_store_b32 v1, v2
.LBB450_26:
	;; [unrolled: 14-line block ×5, first 2 shown]
	s_or_b32 exec_lo, exec_lo, s0
	v_cmp_eq_u32_e32 vcc_lo, 0, v0
	s_waitcnt lgkmcnt(0)
	s_barrier
	buffer_gl0_inv
	s_and_saveexec_b32 s0, vcc_lo
	s_cbranch_execz .LBB450_34
; %bb.33:
	v_mov_b32_e32 v2, 0
	ds_load_b64 v[0:1], v2
	s_waitcnt lgkmcnt(0)
	v_add_f32_e32 v0, v1, v0
	ds_store_b32 v2, v0
.LBB450_34:
	s_or_b32 exec_lo, exec_lo, s0
	s_waitcnt lgkmcnt(0)
	s_barrier
	buffer_gl0_inv
                                        ; implicit-def: $vgpr1
                                        ; implicit-def: $sgpr8_sgpr9
	s_and_saveexec_b32 s0, vcc_lo
	s_cbranch_execz .LBB450_38
; %bb.35:
	v_mov_b32_e32 v1, 0
	v_cmp_eq_f32_e64 s1, s12, 0
	s_mul_hi_i32 s9, s15, s14
	s_mul_i32 s8, s15, s14
	ds_load_b32 v0, v1
	s_and_b32 vcc_lo, exec_lo, s1
	s_waitcnt lgkmcnt(0)
	v_mul_f32_e32 v0, s13, v0
	s_cbranch_vccnz .LBB450_37
; %bb.36:
	s_lshl_b64 s[2:3], s[8:9], 1
	s_delay_alu instid0(SALU_CYCLE_1)
	s_add_u32 s2, s10, s2
	s_addc_u32 s3, s11, s3
	global_load_u16 v1, v1, s[2:3]
	s_waitcnt vmcnt(0)
	v_fma_mix_f32 v0, s12, v1, v0 op_sel_hi:[0,1,0]
.LBB450_37:
	s_delay_alu instid0(VALU_DEP_1)
	v_cvt_f16_f32_e32 v1, v0
	s_or_b32 s16, s16, exec_lo
.LBB450_38:
	s_or_b32 exec_lo, exec_lo, s0
.LBB450_39:
	s_and_saveexec_b32 s0, s16
	s_cbranch_execz .LBB450_41
; %bb.40:
	s_lshl_b64 s[0:1], s[8:9], 1
	v_mov_b32_e32 v0, 0
	s_add_u32 s0, s10, s0
	s_addc_u32 s1, s11, s1
	global_store_b16 v0, v1, s[0:1]
.LBB450_41:
	s_nop 0
	s_sendmsg sendmsg(MSG_DEALLOC_VGPRS)
	s_endpgm
	.section	.rodata,"a",@progbits
	.p2align	6, 0x0
	.amdhsa_kernel _ZL20rocblas_gemvt_kernelILb0ELi256EPKDF16_PKfKPDF16_EviiT2_lPKT1_lilS9_lilS6_lPT3_lili
		.amdhsa_group_segment_fixed_size 1024
		.amdhsa_private_segment_fixed_size 0
		.amdhsa_kernarg_size 140
		.amdhsa_user_sgpr_count 14
		.amdhsa_user_sgpr_dispatch_ptr 0
		.amdhsa_user_sgpr_queue_ptr 0
		.amdhsa_user_sgpr_kernarg_segment_ptr 1
		.amdhsa_user_sgpr_dispatch_id 0
		.amdhsa_user_sgpr_private_segment_size 0
		.amdhsa_wavefront_size32 1
		.amdhsa_uses_dynamic_stack 0
		.amdhsa_enable_private_segment 0
		.amdhsa_system_sgpr_workgroup_id_x 1
		.amdhsa_system_sgpr_workgroup_id_y 0
		.amdhsa_system_sgpr_workgroup_id_z 1
		.amdhsa_system_sgpr_workgroup_info 0
		.amdhsa_system_vgpr_workitem_id 0
		.amdhsa_next_free_vgpr 10
		.amdhsa_next_free_sgpr 24
		.amdhsa_reserve_vcc 1
		.amdhsa_float_round_mode_32 0
		.amdhsa_float_round_mode_16_64 0
		.amdhsa_float_denorm_mode_32 3
		.amdhsa_float_denorm_mode_16_64 3
		.amdhsa_dx10_clamp 1
		.amdhsa_ieee_mode 1
		.amdhsa_fp16_overflow 0
		.amdhsa_workgroup_processor_mode 1
		.amdhsa_memory_ordered 1
		.amdhsa_forward_progress 0
		.amdhsa_shared_vgpr_count 0
		.amdhsa_exception_fp_ieee_invalid_op 0
		.amdhsa_exception_fp_denorm_src 0
		.amdhsa_exception_fp_ieee_div_zero 0
		.amdhsa_exception_fp_ieee_overflow 0
		.amdhsa_exception_fp_ieee_underflow 0
		.amdhsa_exception_fp_ieee_inexact 0
		.amdhsa_exception_int_div_zero 0
	.end_amdhsa_kernel
	.section	.text._ZL20rocblas_gemvt_kernelILb0ELi256EPKDF16_PKfKPDF16_EviiT2_lPKT1_lilS9_lilS6_lPT3_lili,"axG",@progbits,_ZL20rocblas_gemvt_kernelILb0ELi256EPKDF16_PKfKPDF16_EviiT2_lPKT1_lilS9_lilS6_lPT3_lili,comdat
.Lfunc_end450:
	.size	_ZL20rocblas_gemvt_kernelILb0ELi256EPKDF16_PKfKPDF16_EviiT2_lPKT1_lilS9_lilS6_lPT3_lili, .Lfunc_end450-_ZL20rocblas_gemvt_kernelILb0ELi256EPKDF16_PKfKPDF16_EviiT2_lPKT1_lilS9_lilS6_lPT3_lili
                                        ; -- End function
	.section	.AMDGPU.csdata,"",@progbits
; Kernel info:
; codeLenInByte = 1508
; NumSgprs: 26
; NumVgprs: 10
; ScratchSize: 0
; MemoryBound: 0
; FloatMode: 240
; IeeeMode: 1
; LDSByteSize: 1024 bytes/workgroup (compile time only)
; SGPRBlocks: 3
; VGPRBlocks: 1
; NumSGPRsForWavesPerEU: 26
; NumVGPRsForWavesPerEU: 10
; Occupancy: 16
; WaveLimiterHint : 1
; COMPUTE_PGM_RSRC2:SCRATCH_EN: 0
; COMPUTE_PGM_RSRC2:USER_SGPR: 14
; COMPUTE_PGM_RSRC2:TRAP_HANDLER: 0
; COMPUTE_PGM_RSRC2:TGID_X_EN: 1
; COMPUTE_PGM_RSRC2:TGID_Y_EN: 0
; COMPUTE_PGM_RSRC2:TGID_Z_EN: 1
; COMPUTE_PGM_RSRC2:TIDIG_COMP_CNT: 0
	.section	.text._ZL20rocblas_gemvt_kernelILb0ELi256EPKDF16_fKPDF16_EviiT2_lPKT1_lilS7_lilS4_lPT3_lili,"axG",@progbits,_ZL20rocblas_gemvt_kernelILb0ELi256EPKDF16_fKPDF16_EviiT2_lPKT1_lilS7_lilS4_lPT3_lili,comdat
	.globl	_ZL20rocblas_gemvt_kernelILb0ELi256EPKDF16_fKPDF16_EviiT2_lPKT1_lilS7_lilS4_lPT3_lili ; -- Begin function _ZL20rocblas_gemvt_kernelILb0ELi256EPKDF16_fKPDF16_EviiT2_lPKT1_lilS7_lilS4_lPT3_lili
	.p2align	8
	.type	_ZL20rocblas_gemvt_kernelILb0ELi256EPKDF16_fKPDF16_EviiT2_lPKT1_lilS7_lilS4_lPT3_lili,@function
_ZL20rocblas_gemvt_kernelILb0ELi256EPKDF16_fKPDF16_EviiT2_lPKT1_lilS7_lilS4_lPT3_lili: ; @_ZL20rocblas_gemvt_kernelILb0ELi256EPKDF16_fKPDF16_EviiT2_lPKT1_lilS7_lilS4_lPT3_lili
; %bb.0:
	s_clause 0x1
	s_load_b32 s11, s[0:1], 0x8
	s_load_b32 s10, s[0:1], 0x58
	s_waitcnt lgkmcnt(0)
	v_cmp_eq_f32_e64 s8, s11, 0
	v_cmp_eq_f32_e64 s3, s10, 1.0
	s_delay_alu instid0(VALU_DEP_1) | instskip(NEXT) | instid1(SALU_CYCLE_1)
	s_and_b32 s3, s8, s3
	s_and_b32 vcc_lo, exec_lo, s3
	s_cbranch_vccnz .LBB451_44
; %bb.1:
	v_cmp_neq_f32_e64 s4, s11, 0
	s_mov_b32 s2, s15
	s_delay_alu instid0(VALU_DEP_1)
	s_and_b32 vcc_lo, exec_lo, s4
	s_cbranch_vccnz .LBB451_3
; %bb.2:
	s_mov_b32 s3, 0
	s_mov_b64 s[6:7], 0
	s_cbranch_execz .LBB451_4
	s_branch .LBB451_5
.LBB451_3:
	s_mov_b32 s3, -1
                                        ; implicit-def: $sgpr6_sgpr7
.LBB451_4:
	s_load_b128 s[16:19], s[0:1], 0x18
	s_mov_b32 s3, 0
	s_delay_alu instid0(SALU_CYCLE_1)
	s_lshl_b64 s[6:7], s[2:3], 3
	s_waitcnt lgkmcnt(0)
	s_add_u32 s6, s16, s6
	s_addc_u32 s7, s17, s7
	s_lshl_b64 s[12:13], s[18:19], 1
	s_load_b64 s[6:7], s[6:7], 0x0
	s_waitcnt lgkmcnt(0)
	s_add_u32 s6, s6, s12
	s_addc_u32 s7, s7, s13
.LBB451_5:
	s_and_not1_b32 vcc_lo, exec_lo, s4
	s_cbranch_vccnz .LBB451_7
; %bb.6:
	s_load_b128 s[16:19], s[0:1], 0x38
	s_lshl_b64 s[4:5], s[2:3], 3
	s_waitcnt lgkmcnt(0)
	s_add_u32 s4, s16, s4
	s_addc_u32 s5, s17, s5
	s_lshl_b64 s[12:13], s[18:19], 1
	s_load_b64 s[4:5], s[4:5], 0x0
	s_waitcnt lgkmcnt(0)
	s_add_u32 s4, s4, s12
	s_addc_u32 s5, s5, s13
	s_branch .LBB451_8
.LBB451_7:
	s_mov_b64 s[4:5], 0
.LBB451_8:
	s_clause 0x1
	s_load_b128 s[16:19], s[0:1], 0x68
	s_load_b32 s15, s[0:1], 0x78
	s_lshl_b64 s[2:3], s[2:3], 3
	s_waitcnt lgkmcnt(0)
	s_add_u32 s2, s16, s2
	s_addc_u32 s3, s17, s3
	s_lshl_b64 s[16:17], s[18:19], 1
	s_load_b64 s[12:13], s[2:3], 0x0
	v_cmp_eq_u32_e64 s2, 0, v0
	s_waitcnt lgkmcnt(0)
	s_add_u32 s12, s12, s16
	s_addc_u32 s13, s13, s17
	s_and_not1_b32 vcc_lo, exec_lo, s8
	s_cbranch_vccnz .LBB451_12
; %bb.9:
	s_mov_b32 s3, 0
	s_mov_b32 s16, 0
                                        ; implicit-def: $vgpr1
                                        ; implicit-def: $sgpr8_sgpr9
	s_and_saveexec_b32 s17, s2
	s_cbranch_execz .LBB451_13
; %bb.10:
	v_cmp_eq_f32_e64 s2, s10, 0
	s_mul_hi_i32 s9, s15, s14
	s_mul_i32 s8, s15, s14
	s_delay_alu instid0(VALU_DEP_1)
	s_and_b32 vcc_lo, exec_lo, s2
	s_cbranch_vccnz .LBB451_14
; %bb.11:
	s_lshl_b64 s[18:19], s[8:9], 1
	v_mov_b32_e32 v1, 0
	s_add_u32 s18, s12, s18
	s_addc_u32 s19, s13, s19
	global_load_u16 v1, v1, s[18:19]
	s_waitcnt vmcnt(0)
	v_fma_mixlo_f16 v1, v1, s10, 0 op_sel_hi:[1,0,0]
	s_branch .LBB451_15
.LBB451_12:
	s_mov_b32 s16, 0
                                        ; implicit-def: $vgpr1
                                        ; implicit-def: $sgpr8_sgpr9
	s_cbranch_execnz .LBB451_16
	s_branch .LBB451_42
.LBB451_13:
	s_or_b32 exec_lo, exec_lo, s17
	s_delay_alu instid0(SALU_CYCLE_1)
	s_and_b32 vcc_lo, exec_lo, s3
	s_cbranch_vccnz .LBB451_16
	s_branch .LBB451_42
.LBB451_14:
	v_mov_b32_e32 v1, 0
.LBB451_15:
	s_mov_b32 s16, exec_lo
	s_or_b32 exec_lo, exec_lo, s17
	s_delay_alu instid0(SALU_CYCLE_1)
	s_and_b32 vcc_lo, exec_lo, s3
	s_cbranch_vccz .LBB451_42
.LBB451_16:
	s_clause 0x2
	s_load_b32 s2, s[0:1], 0x28
	s_load_b32 s3, s[0:1], 0x0
	;; [unrolled: 1-line block ×3, first 2 shown]
	v_mov_b32_e32 v7, 0
	s_waitcnt lgkmcnt(0)
	s_mul_hi_i32 s9, s2, s14
	v_cmp_gt_i32_e32 vcc_lo, s3, v0
	s_mul_i32 s8, s2, s14
	s_delay_alu instid0(SALU_CYCLE_1) | instskip(NEXT) | instid1(SALU_CYCLE_1)
	s_lshl_b64 s[8:9], s[8:9], 1
	s_add_u32 s1, s8, s6
	v_cndmask_b32_e32 v1, 0, v0, vcc_lo
	s_addc_u32 s2, s9, s7
	s_ashr_i32 s6, s3, 31
	s_mov_b32 s8, 0
	s_lshr_b32 s6, s6, 24
	v_lshlrev_b32_e32 v1, 1, v1
	s_add_i32 s6, s3, s6
	s_delay_alu instid0(VALU_DEP_1) | instskip(NEXT) | instid1(VALU_DEP_1)
	v_add_co_u32 v1, s1, s1, v1
	v_add_co_ci_u32_e64 v2, null, s2, 0, s1
	s_and_b32 s2, s6, 0xffffff00
	s_cmpk_lt_i32 s3, 0x100
	s_cbranch_scc1 .LBB451_19
; %bb.17:
	v_mad_i64_i32 v[3:4], null, s0, v0, 0
	v_dual_mov_b32 v7, 0 :: v_dual_mov_b32 v6, v2
	v_mov_b32_e32 v5, v1
	s_ashr_i32 s1, s0, 31
	s_delay_alu instid0(SALU_CYCLE_1) | instskip(NEXT) | instid1(VALU_DEP_3)
	s_lshl_b64 s[6:7], s[0:1], 9
	v_lshlrev_b64 v[3:4], 1, v[3:4]
	s_delay_alu instid0(VALU_DEP_1) | instskip(NEXT) | instid1(VALU_DEP_2)
	v_add_co_u32 v3, vcc_lo, s4, v3
	v_add_co_ci_u32_e32 v4, vcc_lo, s5, v4, vcc_lo
	.p2align	6
.LBB451_18:                             ; =>This Inner Loop Header: Depth=1
	flat_load_u16 v8, v[5:6]
	flat_load_u16 v9, v[3:4]
	v_add_co_u32 v3, vcc_lo, v3, s6
	v_add_co_ci_u32_e32 v4, vcc_lo, s7, v4, vcc_lo
	v_add_co_u32 v5, vcc_lo, 0x200, v5
	v_add_co_ci_u32_e32 v6, vcc_lo, 0, v6, vcc_lo
	s_addk_i32 s8, 0x100
	s_delay_alu instid0(SALU_CYCLE_1) | instskip(SKIP_2) | instid1(VALU_DEP_1)
	s_cmp_ge_i32 s8, s2
	s_waitcnt vmcnt(0) lgkmcnt(0)
	v_mul_f16_e32 v8, v8, v9
	v_cvt_f32_f16_e32 v8, v8
	s_delay_alu instid0(VALU_DEP_1)
	v_add_f32_e32 v7, v7, v8
	s_cbranch_scc0 .LBB451_18
.LBB451_19:
	v_add_nc_u32_e32 v3, s2, v0
	s_mov_b32 s1, exec_lo
	s_delay_alu instid0(VALU_DEP_1)
	v_cmpx_gt_i32_e64 s3, v3
	s_cbranch_execz .LBB451_21
; %bb.20:
	v_mad_i64_i32 v[4:5], null, s0, v3, 0
	s_ashr_i32 s3, s2, 31
	s_delay_alu instid0(SALU_CYCLE_1) | instskip(NEXT) | instid1(SALU_CYCLE_1)
	s_lshl_b64 s[2:3], s[2:3], 1
	v_add_co_u32 v1, vcc_lo, v1, s2
	s_delay_alu instid0(VALU_DEP_2) | instskip(SKIP_1) | instid1(VALU_DEP_2)
	v_lshlrev_b64 v[3:4], 1, v[4:5]
	v_add_co_ci_u32_e32 v2, vcc_lo, s3, v2, vcc_lo
	v_add_co_u32 v3, vcc_lo, s4, v3
	s_delay_alu instid0(VALU_DEP_3) | instskip(SKIP_4) | instid1(VALU_DEP_1)
	v_add_co_ci_u32_e32 v4, vcc_lo, s5, v4, vcc_lo
	flat_load_u16 v1, v[1:2]
	flat_load_u16 v2, v[3:4]
	s_waitcnt vmcnt(0) lgkmcnt(0)
	v_mul_f16_e32 v1, v1, v2
	v_cvt_f32_f16_e32 v1, v1
	s_delay_alu instid0(VALU_DEP_1)
	v_add_f32_e32 v7, v7, v1
.LBB451_21:
	s_or_b32 exec_lo, exec_lo, s1
	v_lshlrev_b32_e32 v1, 2, v0
	s_mov_b32 s0, exec_lo
	ds_store_b32 v1, v7
	s_waitcnt lgkmcnt(0)
	s_barrier
	buffer_gl0_inv
	v_cmpx_gt_u32_e32 0x80, v0
	s_cbranch_execz .LBB451_23
; %bb.22:
	ds_load_2addr_stride64_b32 v[2:3], v1 offset1:2
	s_waitcnt lgkmcnt(0)
	v_add_f32_e32 v2, v3, v2
	ds_store_b32 v1, v2
.LBB451_23:
	s_or_b32 exec_lo, exec_lo, s0
	s_delay_alu instid0(SALU_CYCLE_1)
	s_mov_b32 s0, exec_lo
	s_waitcnt lgkmcnt(0)
	s_barrier
	buffer_gl0_inv
	v_cmpx_gt_u32_e32 64, v0
	s_cbranch_execz .LBB451_25
; %bb.24:
	ds_load_2addr_stride64_b32 v[2:3], v1 offset1:1
	s_waitcnt lgkmcnt(0)
	v_add_f32_e32 v2, v3, v2
	ds_store_b32 v1, v2
.LBB451_25:
	s_or_b32 exec_lo, exec_lo, s0
	s_delay_alu instid0(SALU_CYCLE_1)
	s_mov_b32 s0, exec_lo
	s_waitcnt lgkmcnt(0)
	s_barrier
	buffer_gl0_inv
	v_cmpx_gt_u32_e32 32, v0
	s_cbranch_execz .LBB451_27
; %bb.26:
	ds_load_2addr_b32 v[2:3], v1 offset1:32
	s_waitcnt lgkmcnt(0)
	v_add_f32_e32 v2, v3, v2
	ds_store_b32 v1, v2
.LBB451_27:
	s_or_b32 exec_lo, exec_lo, s0
	s_delay_alu instid0(SALU_CYCLE_1)
	s_mov_b32 s0, exec_lo
	s_waitcnt lgkmcnt(0)
	s_barrier
	buffer_gl0_inv
	v_cmpx_gt_u32_e32 16, v0
	s_cbranch_execz .LBB451_29
; %bb.28:
	ds_load_2addr_b32 v[2:3], v1 offset1:16
	s_waitcnt lgkmcnt(0)
	v_add_f32_e32 v2, v3, v2
	ds_store_b32 v1, v2
.LBB451_29:
	;; [unrolled: 14-line block ×5, first 2 shown]
	s_or_b32 exec_lo, exec_lo, s0
	v_cmp_eq_u32_e32 vcc_lo, 0, v0
	s_waitcnt lgkmcnt(0)
	s_barrier
	buffer_gl0_inv
	s_and_saveexec_b32 s0, vcc_lo
	s_cbranch_execz .LBB451_37
; %bb.36:
	v_mov_b32_e32 v2, 0
	ds_load_b64 v[0:1], v2
	s_waitcnt lgkmcnt(0)
	v_add_f32_e32 v0, v1, v0
	ds_store_b32 v2, v0
.LBB451_37:
	s_or_b32 exec_lo, exec_lo, s0
	s_waitcnt lgkmcnt(0)
	s_barrier
	buffer_gl0_inv
                                        ; implicit-def: $vgpr1
                                        ; implicit-def: $sgpr8_sgpr9
	s_and_saveexec_b32 s0, vcc_lo
	s_cbranch_execz .LBB451_41
; %bb.38:
	v_mov_b32_e32 v1, 0
	v_cmp_eq_f32_e64 s1, s10, 0
	s_mul_hi_i32 s9, s15, s14
	s_mul_i32 s8, s15, s14
	ds_load_b32 v0, v1
	s_and_b32 vcc_lo, exec_lo, s1
	s_waitcnt lgkmcnt(0)
	v_mul_f32_e32 v0, s11, v0
	s_cbranch_vccnz .LBB451_40
; %bb.39:
	s_lshl_b64 s[2:3], s[8:9], 1
	s_delay_alu instid0(SALU_CYCLE_1)
	s_add_u32 s2, s12, s2
	s_addc_u32 s3, s13, s3
	global_load_u16 v1, v1, s[2:3]
	s_waitcnt vmcnt(0)
	v_fma_mix_f32 v0, v1, s10, v0 op_sel_hi:[1,0,0]
.LBB451_40:
	s_delay_alu instid0(VALU_DEP_1)
	v_cvt_f16_f32_e32 v1, v0
	s_or_b32 s16, s16, exec_lo
.LBB451_41:
	s_or_b32 exec_lo, exec_lo, s0
.LBB451_42:
	s_and_saveexec_b32 s0, s16
	s_cbranch_execz .LBB451_44
; %bb.43:
	s_lshl_b64 s[0:1], s[8:9], 1
	v_mov_b32_e32 v0, 0
	s_add_u32 s0, s12, s0
	s_addc_u32 s1, s13, s1
	global_store_b16 v0, v1, s[0:1]
.LBB451_44:
	s_nop 0
	s_sendmsg sendmsg(MSG_DEALLOC_VGPRS)
	s_endpgm
	.section	.rodata,"a",@progbits
	.p2align	6, 0x0
	.amdhsa_kernel _ZL20rocblas_gemvt_kernelILb0ELi256EPKDF16_fKPDF16_EviiT2_lPKT1_lilS7_lilS4_lPT3_lili
		.amdhsa_group_segment_fixed_size 1024
		.amdhsa_private_segment_fixed_size 0
		.amdhsa_kernarg_size 140
		.amdhsa_user_sgpr_count 14
		.amdhsa_user_sgpr_dispatch_ptr 0
		.amdhsa_user_sgpr_queue_ptr 0
		.amdhsa_user_sgpr_kernarg_segment_ptr 1
		.amdhsa_user_sgpr_dispatch_id 0
		.amdhsa_user_sgpr_private_segment_size 0
		.amdhsa_wavefront_size32 1
		.amdhsa_uses_dynamic_stack 0
		.amdhsa_enable_private_segment 0
		.amdhsa_system_sgpr_workgroup_id_x 1
		.amdhsa_system_sgpr_workgroup_id_y 0
		.amdhsa_system_sgpr_workgroup_id_z 1
		.amdhsa_system_sgpr_workgroup_info 0
		.amdhsa_system_vgpr_workitem_id 0
		.amdhsa_next_free_vgpr 10
		.amdhsa_next_free_sgpr 20
		.amdhsa_reserve_vcc 1
		.amdhsa_float_round_mode_32 0
		.amdhsa_float_round_mode_16_64 0
		.amdhsa_float_denorm_mode_32 3
		.amdhsa_float_denorm_mode_16_64 3
		.amdhsa_dx10_clamp 1
		.amdhsa_ieee_mode 1
		.amdhsa_fp16_overflow 0
		.amdhsa_workgroup_processor_mode 1
		.amdhsa_memory_ordered 1
		.amdhsa_forward_progress 0
		.amdhsa_shared_vgpr_count 0
		.amdhsa_exception_fp_ieee_invalid_op 0
		.amdhsa_exception_fp_denorm_src 0
		.amdhsa_exception_fp_ieee_div_zero 0
		.amdhsa_exception_fp_ieee_overflow 0
		.amdhsa_exception_fp_ieee_underflow 0
		.amdhsa_exception_fp_ieee_inexact 0
		.amdhsa_exception_int_div_zero 0
	.end_amdhsa_kernel
	.section	.text._ZL20rocblas_gemvt_kernelILb0ELi256EPKDF16_fKPDF16_EviiT2_lPKT1_lilS7_lilS4_lPT3_lili,"axG",@progbits,_ZL20rocblas_gemvt_kernelILb0ELi256EPKDF16_fKPDF16_EviiT2_lPKT1_lilS7_lilS4_lPT3_lili,comdat
.Lfunc_end451:
	.size	_ZL20rocblas_gemvt_kernelILb0ELi256EPKDF16_fKPDF16_EviiT2_lPKT1_lilS7_lilS4_lPT3_lili, .Lfunc_end451-_ZL20rocblas_gemvt_kernelILb0ELi256EPKDF16_fKPDF16_EviiT2_lPKT1_lilS7_lilS4_lPT3_lili
                                        ; -- End function
	.section	.AMDGPU.csdata,"",@progbits
; Kernel info:
; codeLenInByte = 1476
; NumSgprs: 22
; NumVgprs: 10
; ScratchSize: 0
; MemoryBound: 0
; FloatMode: 240
; IeeeMode: 1
; LDSByteSize: 1024 bytes/workgroup (compile time only)
; SGPRBlocks: 2
; VGPRBlocks: 1
; NumSGPRsForWavesPerEU: 22
; NumVGPRsForWavesPerEU: 10
; Occupancy: 16
; WaveLimiterHint : 1
; COMPUTE_PGM_RSRC2:SCRATCH_EN: 0
; COMPUTE_PGM_RSRC2:USER_SGPR: 14
; COMPUTE_PGM_RSRC2:TRAP_HANDLER: 0
; COMPUTE_PGM_RSRC2:TGID_X_EN: 1
; COMPUTE_PGM_RSRC2:TGID_Y_EN: 0
; COMPUTE_PGM_RSRC2:TGID_Z_EN: 1
; COMPUTE_PGM_RSRC2:TIDIG_COMP_CNT: 0
	.section	.text._ZL32rocblas_gemvt_warp_reduce_kernelILb0ELi1024EiPKDF16_PKfKPDF16_EviiT3_lPKT2_lT1_lS9_lSA_lS6_lPT4_lSA_li,"axG",@progbits,_ZL32rocblas_gemvt_warp_reduce_kernelILb0ELi1024EiPKDF16_PKfKPDF16_EviiT3_lPKT2_lT1_lS9_lSA_lS6_lPT4_lSA_li,comdat
	.globl	_ZL32rocblas_gemvt_warp_reduce_kernelILb0ELi1024EiPKDF16_PKfKPDF16_EviiT3_lPKT2_lT1_lS9_lSA_lS6_lPT4_lSA_li ; -- Begin function _ZL32rocblas_gemvt_warp_reduce_kernelILb0ELi1024EiPKDF16_PKfKPDF16_EviiT3_lPKT2_lT1_lS9_lSA_lS6_lPT4_lSA_li
	.p2align	8
	.type	_ZL32rocblas_gemvt_warp_reduce_kernelILb0ELi1024EiPKDF16_PKfKPDF16_EviiT3_lPKT2_lT1_lS9_lSA_lS6_lPT4_lSA_li,@function
_ZL32rocblas_gemvt_warp_reduce_kernelILb0ELi1024EiPKDF16_PKfKPDF16_EviiT3_lPKT2_lT1_lS9_lSA_lS6_lPT4_lSA_li: ; @_ZL32rocblas_gemvt_warp_reduce_kernelILb0ELi1024EiPKDF16_PKfKPDF16_EviiT3_lPKT2_lT1_lS9_lSA_lS6_lPT4_lSA_li
; %bb.0:
	s_clause 0x1
	s_load_b256 s[16:23], s[0:1], 0x8
	s_load_b256 s[4:11], s[0:1], 0x58
	s_mov_b32 s2, s15
	s_waitcnt lgkmcnt(0)
	s_mul_i32 s3, s15, s19
	s_mul_hi_u32 s13, s15, s18
	s_mul_i32 s12, s15, s18
	s_add_i32 s13, s13, s3
	s_mul_i32 s3, s15, s7
	s_lshl_b64 s[12:13], s[12:13], 2
	s_mul_hi_u32 s7, s15, s6
	s_add_u32 s12, s16, s12
	s_addc_u32 s13, s17, s13
	s_add_i32 s7, s7, s3
	s_mul_i32 s6, s15, s6
	s_delay_alu instid0(SALU_CYCLE_1) | instskip(NEXT) | instid1(SALU_CYCLE_1)
	s_lshl_b64 s[6:7], s[6:7], 2
	s_add_u32 s4, s4, s6
	s_addc_u32 s5, s5, s7
	s_load_b32 s13, s[12:13], 0x0
	s_load_b32 s12, s[4:5], 0x0
	s_waitcnt lgkmcnt(0)
	v_cmp_eq_f32_e64 s15, s13, 0
	v_cmp_eq_f32_e64 s3, s12, 1.0
	s_delay_alu instid0(VALU_DEP_1) | instskip(NEXT) | instid1(SALU_CYCLE_1)
	s_and_b32 s3, s15, s3
	s_and_b32 vcc_lo, exec_lo, s3
	s_mov_b32 s3, 0
	s_cbranch_vccnz .LBB452_34
; %bb.1:
	v_cmp_neq_f32_e64 s16, s13, 0
	s_mov_b64 s[4:5], 0
	s_and_b32 vcc_lo, exec_lo, s15
	s_mov_b64 s[6:7], 0
	s_cbranch_vccnz .LBB452_3
; %bb.2:
	s_lshl_b64 s[6:7], s[2:3], 3
	s_delay_alu instid0(SALU_CYCLE_1)
	s_add_u32 s6, s20, s6
	s_addc_u32 s7, s21, s7
	s_lshl_b64 s[18:19], s[22:23], 1
	s_load_b64 s[6:7], s[6:7], 0x0
	s_waitcnt lgkmcnt(0)
	s_add_u32 s6, s6, s18
	s_addc_u32 s7, s7, s19
.LBB452_3:
	s_and_not1_b32 vcc_lo, exec_lo, s16
	s_cbranch_vccnz .LBB452_5
; %bb.4:
	s_load_b128 s[16:19], s[0:1], 0x38
	s_lshl_b64 s[4:5], s[2:3], 3
	s_waitcnt lgkmcnt(0)
	s_add_u32 s4, s16, s4
	s_addc_u32 s5, s17, s5
	s_lshl_b64 s[16:17], s[18:19], 1
	s_load_b64 s[4:5], s[4:5], 0x0
	s_waitcnt lgkmcnt(0)
	s_add_u32 s4, s4, s16
	s_addc_u32 s5, s5, s17
.LBB452_5:
	s_lshl_b64 s[2:3], s[2:3], 3
	s_delay_alu instid0(SALU_CYCLE_1)
	s_add_u32 s2, s8, s2
	s_addc_u32 s3, s9, s3
	s_lshl_b64 s[10:11], s[10:11], 1
	s_load_b64 s[8:9], s[2:3], 0x0
	s_load_b32 s16, s[0:1], 0x78
	v_cmp_eq_u32_e64 s2, 0, v0
	s_waitcnt lgkmcnt(0)
	s_add_u32 s10, s8, s10
	s_addc_u32 s11, s9, s11
	s_and_not1_b32 vcc_lo, exec_lo, s15
	s_cbranch_vccnz .LBB452_9
; %bb.6:
	s_mov_b32 s3, 0
	s_mov_b32 s15, 0
                                        ; implicit-def: $vgpr1
                                        ; implicit-def: $sgpr8_sgpr9
	s_and_saveexec_b32 s17, s2
	s_cbranch_execz .LBB452_10
; %bb.7:
	v_cmp_eq_f32_e64 s2, s12, 0
	s_mul_i32 s8, s14, s16
	s_delay_alu instid0(SALU_CYCLE_1) | instskip(NEXT) | instid1(VALU_DEP_1)
	s_ashr_i32 s9, s8, 31
	s_and_b32 vcc_lo, exec_lo, s2
	s_cbranch_vccnz .LBB452_11
; %bb.8:
	s_lshl_b64 s[18:19], s[8:9], 1
	v_mov_b32_e32 v1, 0
	s_add_u32 s18, s10, s18
	s_addc_u32 s19, s11, s19
	global_load_u16 v1, v1, s[18:19]
	s_waitcnt vmcnt(0)
	v_fma_mixlo_f16 v1, s12, v1, 0 op_sel_hi:[0,1,0]
	s_branch .LBB452_12
.LBB452_9:
	s_mov_b32 s15, 0
                                        ; implicit-def: $vgpr1
                                        ; implicit-def: $sgpr8_sgpr9
	s_cbranch_execnz .LBB452_13
	s_branch .LBB452_32
.LBB452_10:
	s_or_b32 exec_lo, exec_lo, s17
	s_delay_alu instid0(SALU_CYCLE_1)
	s_and_b32 vcc_lo, exec_lo, s3
	s_cbranch_vccnz .LBB452_13
	s_branch .LBB452_32
.LBB452_11:
	v_mov_b32_e32 v1, 0
.LBB452_12:
	s_mov_b32 s15, exec_lo
	s_or_b32 exec_lo, exec_lo, s17
	s_delay_alu instid0(SALU_CYCLE_1)
	s_and_b32 vcc_lo, exec_lo, s3
	s_cbranch_vccz .LBB452_32
.LBB452_13:
	s_clause 0x2
	s_load_b32 s2, s[0:1], 0x28
	s_load_b32 s3, s[0:1], 0x0
	;; [unrolled: 1-line block ×3, first 2 shown]
	v_mov_b32_e32 v7, 0
	s_waitcnt lgkmcnt(0)
	s_mul_i32 s8, s14, s2
	v_cmp_gt_i32_e32 vcc_lo, s3, v0
	s_ashr_i32 s9, s8, 31
	s_delay_alu instid0(SALU_CYCLE_1)
	s_lshl_b64 s[8:9], s[8:9], 1
	v_cndmask_b32_e32 v1, 0, v0, vcc_lo
	s_add_u32 s0, s8, s6
	s_addc_u32 s6, s9, s7
	s_ashr_i32 s2, s3, 31
	s_mov_b32 s7, 0
	v_lshlrev_b32_e32 v1, 1, v1
	s_lshr_b32 s2, s2, 22
	s_delay_alu instid0(SALU_CYCLE_1) | instskip(NEXT) | instid1(SALU_CYCLE_1)
	s_add_i32 s2, s3, s2
	s_and_b32 s2, s2, 0xfffffc00
	s_delay_alu instid0(VALU_DEP_1) | instskip(NEXT) | instid1(VALU_DEP_1)
	v_add_co_u32 v1, s0, s0, v1
	v_add_co_ci_u32_e64 v2, null, s6, 0, s0
	s_mov_b32 s6, exec_lo
	v_cmpx_gt_i32_e64 s2, v0
	s_cbranch_execz .LBB452_17
; %bb.14:
	v_mul_lo_u32 v3, v0, s1
	v_dual_mov_b32 v7, 0 :: v_dual_mov_b32 v6, v2
	v_dual_mov_b32 v5, v1 :: v_dual_mov_b32 v8, v0
	s_lshl_b32 s8, s1, 10
	.p2align	6
.LBB452_15:                             ; =>This Inner Loop Header: Depth=1
	s_delay_alu instid0(VALU_DEP_3) | instskip(NEXT) | instid1(VALU_DEP_2)
	v_ashrrev_i32_e32 v4, 31, v3
	v_add_nc_u32_e32 v8, 0x400, v8
	s_delay_alu instid0(VALU_DEP_2) | instskip(NEXT) | instid1(VALU_DEP_2)
	v_lshlrev_b64 v[9:10], 1, v[3:4]
	v_cmp_le_i32_e64 s0, s2, v8
	v_add_nc_u32_e32 v3, s8, v3
	s_delay_alu instid0(VALU_DEP_2) | instskip(NEXT) | instid1(VALU_DEP_3)
	s_or_b32 s7, s0, s7
	v_add_co_u32 v9, vcc_lo, s4, v9
	s_delay_alu instid0(VALU_DEP_4)
	v_add_co_ci_u32_e32 v10, vcc_lo, s5, v10, vcc_lo
	flat_load_u16 v4, v[5:6]
	flat_load_u16 v9, v[9:10]
	v_add_co_u32 v5, vcc_lo, 0x800, v5
	v_add_co_ci_u32_e32 v6, vcc_lo, 0, v6, vcc_lo
	s_waitcnt vmcnt(0) lgkmcnt(0)
	v_mul_f16_e32 v4, v4, v9
	s_delay_alu instid0(VALU_DEP_1) | instskip(NEXT) | instid1(VALU_DEP_1)
	v_cvt_f32_f16_e32 v4, v4
	v_add_f32_e32 v7, v7, v4
	s_and_not1_b32 exec_lo, exec_lo, s7
	s_cbranch_execnz .LBB452_15
; %bb.16:
	s_or_b32 exec_lo, exec_lo, s7
.LBB452_17:
	s_delay_alu instid0(SALU_CYCLE_1) | instskip(SKIP_2) | instid1(VALU_DEP_1)
	s_or_b32 exec_lo, exec_lo, s6
	v_or_b32_e32 v3, s2, v0
	s_mov_b32 s0, exec_lo
	v_cmpx_gt_i32_e64 s3, v3
	s_cbranch_execz .LBB452_19
; %bb.18:
	v_mul_lo_u32 v3, v3, s1
	s_ashr_i32 s3, s2, 31
	s_delay_alu instid0(SALU_CYCLE_1) | instskip(NEXT) | instid1(SALU_CYCLE_1)
	s_lshl_b64 s[2:3], s[2:3], 1
	v_add_co_u32 v1, vcc_lo, v1, s2
	v_add_co_ci_u32_e32 v2, vcc_lo, s3, v2, vcc_lo
	s_delay_alu instid0(VALU_DEP_3) | instskip(NEXT) | instid1(VALU_DEP_1)
	v_ashrrev_i32_e32 v4, 31, v3
	v_lshlrev_b64 v[3:4], 1, v[3:4]
	s_delay_alu instid0(VALU_DEP_1) | instskip(NEXT) | instid1(VALU_DEP_2)
	v_add_co_u32 v3, vcc_lo, s4, v3
	v_add_co_ci_u32_e32 v4, vcc_lo, s5, v4, vcc_lo
	flat_load_u16 v1, v[1:2]
	flat_load_u16 v2, v[3:4]
	s_waitcnt vmcnt(0) lgkmcnt(0)
	v_mul_f16_e32 v1, v1, v2
	s_delay_alu instid0(VALU_DEP_1) | instskip(NEXT) | instid1(VALU_DEP_1)
	v_cvt_f32_f16_e32 v1, v1
	v_add_f32_e32 v7, v7, v1
.LBB452_19:
	s_or_b32 exec_lo, exec_lo, s0
	v_and_b32_e32 v6, 31, v0
	v_cmp_gt_u32_e32 vcc_lo, 32, v0
	s_delay_alu instid0(VALU_DEP_2)
	v_lshlrev_b32_e32 v1, 2, v6
	s_and_saveexec_b32 s0, vcc_lo
	s_cbranch_execz .LBB452_21
; %bb.20:
	v_mov_b32_e32 v2, 0
	ds_store_b32 v1, v2
.LBB452_21:
	s_or_b32 exec_lo, exec_lo, s0
	v_mbcnt_lo_u32_b32 v8, -1, 0
	s_mov_b32 s1, exec_lo
	s_waitcnt lgkmcnt(0)
	s_barrier
	buffer_gl0_inv
	v_cmp_gt_u32_e64 s0, 16, v8
	s_delay_alu instid0(VALU_DEP_1) | instskip(SKIP_1) | instid1(VALU_DEP_2)
	v_cndmask_b32_e64 v2, 0, 1, s0
	v_cmp_gt_u32_e64 s0, 24, v8
	v_lshlrev_b32_e32 v2, 4, v2
	s_delay_alu instid0(VALU_DEP_2) | instskip(SKIP_1) | instid1(VALU_DEP_3)
	v_cndmask_b32_e64 v3, 0, 1, s0
	v_cmp_gt_u32_e64 s0, 28, v8
	v_add_lshl_u32 v2, v2, v8, 2
	s_delay_alu instid0(VALU_DEP_3)
	v_lshlrev_b32_e32 v3, 3, v3
	ds_bpermute_b32 v4, v2, v7
	v_add_lshl_u32 v3, v3, v8, 2
	s_waitcnt lgkmcnt(0)
	v_add_f32_e32 v5, v7, v4
	v_cndmask_b32_e64 v4, 0, 1, s0
	v_cmp_gt_u32_e64 s0, 30, v8
	ds_bpermute_b32 v7, v3, v5
	s_waitcnt lgkmcnt(0)
	v_dual_add_f32 v7, v5, v7 :: v_dual_lshlrev_b32 v4, 2, v4
	s_delay_alu instid0(VALU_DEP_1)
	v_add_lshl_u32 v4, v4, v8, 2
	v_cndmask_b32_e64 v5, 0, 1, s0
	v_cmp_ne_u32_e64 s0, 31, v8
	ds_bpermute_b32 v9, v4, v7
	v_lshlrev_b32_e32 v5, 1, v5
	v_add_co_ci_u32_e64 v10, s0, 0, v8, s0
	s_delay_alu instid0(VALU_DEP_2)
	v_add_lshl_u32 v5, v5, v8, 2
	s_waitcnt lgkmcnt(0)
	v_add_f32_e32 v7, v7, v9
	ds_bpermute_b32 v9, v5, v7
	s_waitcnt lgkmcnt(0)
	v_dual_add_f32 v8, v7, v9 :: v_dual_lshlrev_b32 v7, 2, v10
	ds_bpermute_b32 v9, v7, v8
	v_cmpx_eq_u32_e32 0, v6
	s_cbranch_execz .LBB452_23
; %bb.22:
	v_lshrrev_b32_e32 v6, 3, v0
	s_waitcnt lgkmcnt(0)
	v_add_f32_e32 v8, v8, v9
	s_delay_alu instid0(VALU_DEP_2)
	v_and_b32_e32 v6, 0x7c, v6
	ds_store_b32 v6, v8
.LBB452_23:
	s_or_b32 exec_lo, exec_lo, s1
	v_mov_b32_e32 v6, 0
	s_waitcnt lgkmcnt(0)
	s_barrier
	buffer_gl0_inv
	s_and_saveexec_b32 s0, vcc_lo
	s_cbranch_execz .LBB452_25
; %bb.24:
	ds_load_b32 v6, v1
.LBB452_25:
	s_or_b32 exec_lo, exec_lo, s0
	s_and_saveexec_b32 s0, vcc_lo
	s_cbranch_execz .LBB452_27
; %bb.26:
	s_waitcnt lgkmcnt(0)
	ds_bpermute_b32 v1, v2, v6
	s_waitcnt lgkmcnt(0)
	v_add_f32_e32 v1, v6, v1
	ds_bpermute_b32 v2, v3, v1
	s_waitcnt lgkmcnt(0)
	v_add_f32_e32 v1, v1, v2
	;; [unrolled: 3-line block ×5, first 2 shown]
.LBB452_27:
	s_or_b32 exec_lo, exec_lo, s0
	s_delay_alu instid0(SALU_CYCLE_1)
	s_mov_b32 s0, exec_lo
                                        ; implicit-def: $vgpr1
                                        ; implicit-def: $sgpr8_sgpr9
	v_cmpx_eq_u32_e32 0, v0
	s_cbranch_execz .LBB452_31
; %bb.28:
	v_cmp_eq_f32_e64 s1, s12, 0
	s_waitcnt lgkmcnt(0)
	v_mul_f32_e32 v0, s13, v6
	s_mul_i32 s8, s14, s16
	s_delay_alu instid0(SALU_CYCLE_1)
	s_ashr_i32 s9, s8, 31
	s_and_b32 vcc_lo, exec_lo, s1
	s_cbranch_vccnz .LBB452_30
; %bb.29:
	s_lshl_b64 s[2:3], s[8:9], 1
	v_mov_b32_e32 v1, 0
	s_add_u32 s2, s10, s2
	s_addc_u32 s3, s11, s3
	global_load_u16 v1, v1, s[2:3]
	s_waitcnt vmcnt(0)
	v_fma_mix_f32 v0, s12, v1, v0 op_sel_hi:[0,1,0]
.LBB452_30:
	s_delay_alu instid0(VALU_DEP_1)
	v_cvt_f16_f32_e32 v1, v0
	s_or_b32 s15, s15, exec_lo
.LBB452_31:
	s_or_b32 exec_lo, exec_lo, s0
.LBB452_32:
	s_and_saveexec_b32 s0, s15
	s_cbranch_execz .LBB452_34
; %bb.33:
	s_lshl_b64 s[0:1], s[8:9], 1
	v_mov_b32_e32 v0, 0
	s_add_u32 s0, s10, s0
	s_addc_u32 s1, s11, s1
	global_store_b16 v0, v1, s[0:1]
.LBB452_34:
	s_nop 0
	s_sendmsg sendmsg(MSG_DEALLOC_VGPRS)
	s_endpgm
	.section	.rodata,"a",@progbits
	.p2align	6, 0x0
	.amdhsa_kernel _ZL32rocblas_gemvt_warp_reduce_kernelILb0ELi1024EiPKDF16_PKfKPDF16_EviiT3_lPKT2_lT1_lS9_lSA_lS6_lPT4_lSA_li
		.amdhsa_group_segment_fixed_size 128
		.amdhsa_private_segment_fixed_size 0
		.amdhsa_kernarg_size 140
		.amdhsa_user_sgpr_count 14
		.amdhsa_user_sgpr_dispatch_ptr 0
		.amdhsa_user_sgpr_queue_ptr 0
		.amdhsa_user_sgpr_kernarg_segment_ptr 1
		.amdhsa_user_sgpr_dispatch_id 0
		.amdhsa_user_sgpr_private_segment_size 0
		.amdhsa_wavefront_size32 1
		.amdhsa_uses_dynamic_stack 0
		.amdhsa_enable_private_segment 0
		.amdhsa_system_sgpr_workgroup_id_x 1
		.amdhsa_system_sgpr_workgroup_id_y 0
		.amdhsa_system_sgpr_workgroup_id_z 1
		.amdhsa_system_sgpr_workgroup_info 0
		.amdhsa_system_vgpr_workitem_id 0
		.amdhsa_next_free_vgpr 11
		.amdhsa_next_free_sgpr 24
		.amdhsa_reserve_vcc 1
		.amdhsa_float_round_mode_32 0
		.amdhsa_float_round_mode_16_64 0
		.amdhsa_float_denorm_mode_32 3
		.amdhsa_float_denorm_mode_16_64 3
		.amdhsa_dx10_clamp 1
		.amdhsa_ieee_mode 1
		.amdhsa_fp16_overflow 0
		.amdhsa_workgroup_processor_mode 1
		.amdhsa_memory_ordered 1
		.amdhsa_forward_progress 0
		.amdhsa_shared_vgpr_count 0
		.amdhsa_exception_fp_ieee_invalid_op 0
		.amdhsa_exception_fp_denorm_src 0
		.amdhsa_exception_fp_ieee_div_zero 0
		.amdhsa_exception_fp_ieee_overflow 0
		.amdhsa_exception_fp_ieee_underflow 0
		.amdhsa_exception_fp_ieee_inexact 0
		.amdhsa_exception_int_div_zero 0
	.end_amdhsa_kernel
	.section	.text._ZL32rocblas_gemvt_warp_reduce_kernelILb0ELi1024EiPKDF16_PKfKPDF16_EviiT3_lPKT2_lT1_lS9_lSA_lS6_lPT4_lSA_li,"axG",@progbits,_ZL32rocblas_gemvt_warp_reduce_kernelILb0ELi1024EiPKDF16_PKfKPDF16_EviiT3_lPKT2_lT1_lS9_lSA_lS6_lPT4_lSA_li,comdat
.Lfunc_end452:
	.size	_ZL32rocblas_gemvt_warp_reduce_kernelILb0ELi1024EiPKDF16_PKfKPDF16_EviiT3_lPKT2_lT1_lS9_lSA_lS6_lPT4_lSA_li, .Lfunc_end452-_ZL32rocblas_gemvt_warp_reduce_kernelILb0ELi1024EiPKDF16_PKfKPDF16_EviiT3_lPKT2_lT1_lS9_lSA_lS6_lPT4_lSA_li
                                        ; -- End function
	.section	.AMDGPU.csdata,"",@progbits
; Kernel info:
; codeLenInByte = 1512
; NumSgprs: 26
; NumVgprs: 11
; ScratchSize: 0
; MemoryBound: 0
; FloatMode: 240
; IeeeMode: 1
; LDSByteSize: 128 bytes/workgroup (compile time only)
; SGPRBlocks: 3
; VGPRBlocks: 1
; NumSGPRsForWavesPerEU: 26
; NumVGPRsForWavesPerEU: 11
; Occupancy: 16
; WaveLimiterHint : 1
; COMPUTE_PGM_RSRC2:SCRATCH_EN: 0
; COMPUTE_PGM_RSRC2:USER_SGPR: 14
; COMPUTE_PGM_RSRC2:TRAP_HANDLER: 0
; COMPUTE_PGM_RSRC2:TGID_X_EN: 1
; COMPUTE_PGM_RSRC2:TGID_Y_EN: 0
; COMPUTE_PGM_RSRC2:TGID_Z_EN: 1
; COMPUTE_PGM_RSRC2:TIDIG_COMP_CNT: 0
	.section	.text._ZL32rocblas_gemvt_warp_reduce_kernelILb0ELi1024ElPKDF16_PKfKPDF16_EviiT3_lPKT2_lT1_lS9_lSA_lS6_lPT4_lSA_li,"axG",@progbits,_ZL32rocblas_gemvt_warp_reduce_kernelILb0ELi1024ElPKDF16_PKfKPDF16_EviiT3_lPKT2_lT1_lS9_lSA_lS6_lPT4_lSA_li,comdat
	.globl	_ZL32rocblas_gemvt_warp_reduce_kernelILb0ELi1024ElPKDF16_PKfKPDF16_EviiT3_lPKT2_lT1_lS9_lSA_lS6_lPT4_lSA_li ; -- Begin function _ZL32rocblas_gemvt_warp_reduce_kernelILb0ELi1024ElPKDF16_PKfKPDF16_EviiT3_lPKT2_lT1_lS9_lSA_lS6_lPT4_lSA_li
	.p2align	8
	.type	_ZL32rocblas_gemvt_warp_reduce_kernelILb0ELi1024ElPKDF16_PKfKPDF16_EviiT3_lPKT2_lT1_lS9_lSA_lS6_lPT4_lSA_li,@function
_ZL32rocblas_gemvt_warp_reduce_kernelILb0ELi1024ElPKDF16_PKfKPDF16_EviiT3_lPKT2_lT1_lS9_lSA_lS6_lPT4_lSA_li: ; @_ZL32rocblas_gemvt_warp_reduce_kernelILb0ELi1024ElPKDF16_PKfKPDF16_EviiT3_lPKT2_lT1_lS9_lSA_lS6_lPT4_lSA_li
; %bb.0:
	s_clause 0x1
	s_load_b256 s[16:23], s[0:1], 0x8
	s_load_b256 s[4:11], s[0:1], 0x58
	s_mov_b32 s2, s15
	s_waitcnt lgkmcnt(0)
	s_mul_i32 s3, s15, s19
	s_mul_hi_u32 s13, s15, s18
	s_mul_i32 s12, s15, s18
	s_add_i32 s13, s13, s3
	s_mul_i32 s3, s15, s7
	s_lshl_b64 s[12:13], s[12:13], 2
	s_mul_hi_u32 s7, s15, s6
	s_add_u32 s12, s16, s12
	s_addc_u32 s13, s17, s13
	s_add_i32 s7, s7, s3
	s_mul_i32 s6, s15, s6
	s_delay_alu instid0(SALU_CYCLE_1) | instskip(NEXT) | instid1(SALU_CYCLE_1)
	s_lshl_b64 s[6:7], s[6:7], 2
	s_add_u32 s4, s4, s6
	s_addc_u32 s5, s5, s7
	s_load_b32 s28, s[12:13], 0x0
	s_load_b32 s15, s[4:5], 0x0
	s_waitcnt lgkmcnt(0)
	v_cmp_eq_f32_e64 s29, s28, 0
	v_cmp_eq_f32_e64 s3, s15, 1.0
	s_delay_alu instid0(VALU_DEP_1) | instskip(NEXT) | instid1(SALU_CYCLE_1)
	s_and_b32 s3, s29, s3
	s_and_b32 vcc_lo, exec_lo, s3
	s_mov_b32 s3, 0
	s_cbranch_vccnz .LBB453_34
; %bb.1:
	s_clause 0x1
	s_load_b64 s[24:25], s[0:1], 0x28
	s_load_b64 s[12:13], s[0:1], 0x78
	v_cmp_neq_f32_e64 s30, s28, 0
	s_mov_b64 s[16:17], 0
	s_and_b32 vcc_lo, exec_lo, s29
	s_mov_b64 s[26:27], 0
	s_cbranch_vccnz .LBB453_3
; %bb.2:
	s_lshl_b64 s[4:5], s[2:3], 3
	s_delay_alu instid0(SALU_CYCLE_1)
	s_add_u32 s4, s20, s4
	s_addc_u32 s5, s21, s5
	s_lshl_b64 s[6:7], s[22:23], 1
	s_load_b64 s[4:5], s[4:5], 0x0
	s_waitcnt lgkmcnt(0)
	s_add_u32 s26, s4, s6
	s_addc_u32 s27, s5, s7
.LBB453_3:
	s_clause 0x1
	s_load_b128 s[4:7], s[0:1], 0x38
	s_load_b64 s[18:19], s[0:1], 0x48
	s_and_not1_b32 vcc_lo, exec_lo, s30
	s_cbranch_vccnz .LBB453_5
; %bb.4:
	s_lshl_b64 s[16:17], s[2:3], 3
	s_waitcnt lgkmcnt(0)
	s_add_u32 s4, s4, s16
	s_addc_u32 s5, s5, s17
	s_lshl_b64 s[6:7], s[6:7], 1
	s_load_b64 s[4:5], s[4:5], 0x0
	s_waitcnt lgkmcnt(0)
	s_add_u32 s16, s4, s6
	s_addc_u32 s17, s5, s7
.LBB453_5:
	s_lshl_b64 s[2:3], s[2:3], 3
	s_delay_alu instid0(SALU_CYCLE_1)
	s_add_u32 s2, s8, s2
	s_addc_u32 s3, s9, s3
	s_waitcnt lgkmcnt(0)
	s_lshl_b64 s[6:7], s[10:11], 1
	s_load_b64 s[4:5], s[2:3], 0x0
	v_cmp_eq_u32_e64 s2, 0, v0
	s_waitcnt lgkmcnt(0)
	s_add_u32 s6, s4, s6
	s_addc_u32 s7, s5, s7
	s_and_not1_b32 vcc_lo, exec_lo, s29
	s_cbranch_vccnz .LBB453_9
; %bb.6:
	s_mov_b32 s3, 0
	s_mov_b32 s8, 0
                                        ; implicit-def: $vgpr1
                                        ; implicit-def: $sgpr4_sgpr5
	s_and_saveexec_b32 s9, s2
	s_cbranch_execz .LBB453_10
; %bb.7:
	v_cmp_eq_f32_e64 s2, s15, 0
	s_mul_i32 s4, s14, s13
	s_mul_hi_u32 s5, s14, s12
	s_ashr_i32 s8, s14, 31
	s_add_i32 s4, s5, s4
	s_mul_i32 s8, s8, s12
	s_and_b32 vcc_lo, exec_lo, s2
	s_add_i32 s5, s4, s8
	s_mul_i32 s4, s14, s12
	s_cbranch_vccnz .LBB453_11
; %bb.8:
	s_lshl_b64 s[10:11], s[4:5], 1
	v_mov_b32_e32 v1, 0
	s_add_u32 s10, s6, s10
	s_addc_u32 s11, s7, s11
	global_load_u16 v1, v1, s[10:11]
	s_waitcnt vmcnt(0)
	v_fma_mixlo_f16 v1, s15, v1, 0 op_sel_hi:[0,1,0]
	s_branch .LBB453_12
.LBB453_9:
	s_mov_b32 s8, 0
                                        ; implicit-def: $vgpr1
                                        ; implicit-def: $sgpr4_sgpr5
	s_cbranch_execnz .LBB453_13
	s_branch .LBB453_32
.LBB453_10:
	s_or_b32 exec_lo, exec_lo, s9
	s_delay_alu instid0(SALU_CYCLE_1)
	s_and_b32 vcc_lo, exec_lo, s3
	s_cbranch_vccnz .LBB453_13
	s_branch .LBB453_32
.LBB453_11:
	v_mov_b32_e32 v1, 0
.LBB453_12:
	s_mov_b32 s8, exec_lo
	s_or_b32 exec_lo, exec_lo, s9
	s_delay_alu instid0(SALU_CYCLE_1)
	s_and_b32 vcc_lo, exec_lo, s3
	s_cbranch_vccz .LBB453_32
.LBB453_13:
	s_load_b32 s3, s[0:1], 0x0
	s_mul_i32 s0, s14, s25
	s_mul_hi_u32 s2, s14, s24
	s_ashr_i32 s1, s14, 31
	s_add_i32 s0, s2, s0
	s_mul_i32 s2, s1, s24
	s_mul_i32 s4, s14, s24
	s_add_i32 s5, s0, s2
	v_mov_b32_e32 v7, 0
	s_lshl_b64 s[4:5], s[4:5], 1
	s_mov_b32 s10, 0
	s_add_u32 s0, s4, s26
	s_addc_u32 s4, s5, s27
	s_mov_b32 s9, exec_lo
	s_waitcnt lgkmcnt(0)
	v_cmp_gt_i32_e32 vcc_lo, s3, v0
	s_ashr_i32 s2, s3, 31
	s_delay_alu instid0(SALU_CYCLE_1) | instskip(NEXT) | instid1(SALU_CYCLE_1)
	s_lshr_b32 s2, s2, 22
	s_add_i32 s2, s3, s2
	v_cndmask_b32_e32 v1, 0, v0, vcc_lo
	s_and_b32 s2, s2, 0xfffffc00
	s_delay_alu instid0(VALU_DEP_1) | instskip(NEXT) | instid1(VALU_DEP_1)
	v_lshlrev_b32_e32 v1, 1, v1
	v_add_co_u32 v1, s0, s0, v1
	s_delay_alu instid0(VALU_DEP_1)
	v_add_co_ci_u32_e64 v2, null, s4, 0, s0
	v_cmpx_gt_i32_e64 s2, v0
	s_cbranch_execz .LBB453_17
; %bb.14:
	v_mad_u64_u32 v[3:4], null, s18, v0, 0
	v_mov_b32_e32 v8, v0
	s_lshl_b64 s[4:5], s[18:19], 11
	v_mov_b32_e32 v7, 0
	s_delay_alu instid0(VALU_DEP_3) | instskip(NEXT) | instid1(VALU_DEP_1)
	v_mad_u64_u32 v[5:6], null, s19, v0, v[4:5]
	v_mov_b32_e32 v4, v5
	s_delay_alu instid0(VALU_DEP_1) | instskip(SKIP_1) | instid1(VALU_DEP_2)
	v_lshlrev_b64 v[5:6], 1, v[3:4]
	v_dual_mov_b32 v4, v2 :: v_dual_mov_b32 v3, v1
	v_add_co_u32 v5, vcc_lo, s16, v5
	s_delay_alu instid0(VALU_DEP_3)
	v_add_co_ci_u32_e32 v6, vcc_lo, s17, v6, vcc_lo
	.p2align	6
.LBB453_15:                             ; =>This Inner Loop Header: Depth=1
	flat_load_u16 v9, v[3:4]
	flat_load_u16 v10, v[5:6]
	v_add_co_u32 v3, vcc_lo, 0x800, v3
	v_add_co_ci_u32_e32 v4, vcc_lo, 0, v4, vcc_lo
	v_add_co_u32 v5, vcc_lo, v5, s4
	v_add_co_ci_u32_e32 v6, vcc_lo, s5, v6, vcc_lo
	s_waitcnt vmcnt(0) lgkmcnt(0)
	v_mul_f16_e32 v9, v9, v10
	s_delay_alu instid0(VALU_DEP_1) | instskip(NEXT) | instid1(VALU_DEP_1)
	v_cvt_f32_f16_e32 v9, v9
	v_dual_add_f32 v7, v7, v9 :: v_dual_add_nc_u32 v8, 0x400, v8
	s_delay_alu instid0(VALU_DEP_1) | instskip(NEXT) | instid1(VALU_DEP_1)
	v_cmp_le_i32_e64 s0, s2, v8
	s_or_b32 s10, s0, s10
	s_delay_alu instid0(SALU_CYCLE_1)
	s_and_not1_b32 exec_lo, exec_lo, s10
	s_cbranch_execnz .LBB453_15
; %bb.16:
	s_or_b32 exec_lo, exec_lo, s10
.LBB453_17:
	s_delay_alu instid0(SALU_CYCLE_1) | instskip(SKIP_2) | instid1(VALU_DEP_1)
	s_or_b32 exec_lo, exec_lo, s9
	v_or_b32_e32 v3, s2, v0
	s_mov_b32 s0, exec_lo
	v_cmpx_gt_i32_e64 s3, v3
	s_cbranch_execz .LBB453_19
; %bb.18:
	v_ashrrev_i32_e32 v6, 31, v3
	v_mul_lo_u32 v8, v3, s19
	v_mad_u64_u32 v[4:5], null, v3, s18, 0
	s_ashr_i32 s3, s2, 31
	s_delay_alu instid0(VALU_DEP_3) | instskip(SKIP_1) | instid1(SALU_CYCLE_1)
	v_mul_lo_u32 v3, v6, s18
	s_lshl_b64 s[2:3], s[2:3], 1
	v_add_co_u32 v1, vcc_lo, v1, s2
	v_add_co_ci_u32_e32 v2, vcc_lo, s3, v2, vcc_lo
	s_delay_alu instid0(VALU_DEP_3) | instskip(NEXT) | instid1(VALU_DEP_1)
	v_add3_u32 v5, v5, v8, v3
	v_lshlrev_b64 v[3:4], 1, v[4:5]
	s_delay_alu instid0(VALU_DEP_1) | instskip(NEXT) | instid1(VALU_DEP_2)
	v_add_co_u32 v3, vcc_lo, s16, v3
	v_add_co_ci_u32_e32 v4, vcc_lo, s17, v4, vcc_lo
	flat_load_u16 v1, v[1:2]
	flat_load_u16 v2, v[3:4]
	s_waitcnt vmcnt(0) lgkmcnt(0)
	v_mul_f16_e32 v1, v1, v2
	s_delay_alu instid0(VALU_DEP_1) | instskip(NEXT) | instid1(VALU_DEP_1)
	v_cvt_f32_f16_e32 v1, v1
	v_add_f32_e32 v7, v7, v1
.LBB453_19:
	s_or_b32 exec_lo, exec_lo, s0
	v_and_b32_e32 v6, 31, v0
	v_cmp_gt_u32_e32 vcc_lo, 32, v0
	s_delay_alu instid0(VALU_DEP_2)
	v_lshlrev_b32_e32 v1, 2, v6
	s_and_saveexec_b32 s0, vcc_lo
	s_cbranch_execz .LBB453_21
; %bb.20:
	v_mov_b32_e32 v2, 0
	ds_store_b32 v1, v2
.LBB453_21:
	s_or_b32 exec_lo, exec_lo, s0
	v_mbcnt_lo_u32_b32 v8, -1, 0
	s_mov_b32 s2, exec_lo
	s_waitcnt lgkmcnt(0)
	s_barrier
	buffer_gl0_inv
	v_cmp_gt_u32_e64 s0, 16, v8
	s_delay_alu instid0(VALU_DEP_1) | instskip(SKIP_1) | instid1(VALU_DEP_2)
	v_cndmask_b32_e64 v2, 0, 1, s0
	v_cmp_gt_u32_e64 s0, 24, v8
	v_lshlrev_b32_e32 v2, 4, v2
	s_delay_alu instid0(VALU_DEP_2) | instskip(SKIP_1) | instid1(VALU_DEP_3)
	v_cndmask_b32_e64 v3, 0, 1, s0
	v_cmp_gt_u32_e64 s0, 28, v8
	v_add_lshl_u32 v2, v2, v8, 2
	s_delay_alu instid0(VALU_DEP_3)
	v_lshlrev_b32_e32 v3, 3, v3
	ds_bpermute_b32 v4, v2, v7
	v_add_lshl_u32 v3, v3, v8, 2
	s_waitcnt lgkmcnt(0)
	v_add_f32_e32 v5, v7, v4
	v_cndmask_b32_e64 v4, 0, 1, s0
	v_cmp_gt_u32_e64 s0, 30, v8
	ds_bpermute_b32 v7, v3, v5
	s_waitcnt lgkmcnt(0)
	v_dual_add_f32 v7, v5, v7 :: v_dual_lshlrev_b32 v4, 2, v4
	s_delay_alu instid0(VALU_DEP_1)
	v_add_lshl_u32 v4, v4, v8, 2
	v_cndmask_b32_e64 v5, 0, 1, s0
	v_cmp_ne_u32_e64 s0, 31, v8
	ds_bpermute_b32 v9, v4, v7
	v_lshlrev_b32_e32 v5, 1, v5
	v_add_co_ci_u32_e64 v10, s0, 0, v8, s0
	s_delay_alu instid0(VALU_DEP_2)
	v_add_lshl_u32 v5, v5, v8, 2
	s_waitcnt lgkmcnt(0)
	v_add_f32_e32 v7, v7, v9
	ds_bpermute_b32 v9, v5, v7
	s_waitcnt lgkmcnt(0)
	v_dual_add_f32 v8, v7, v9 :: v_dual_lshlrev_b32 v7, 2, v10
	ds_bpermute_b32 v9, v7, v8
	v_cmpx_eq_u32_e32 0, v6
	s_cbranch_execz .LBB453_23
; %bb.22:
	v_lshrrev_b32_e32 v6, 3, v0
	s_waitcnt lgkmcnt(0)
	v_add_f32_e32 v8, v8, v9
	s_delay_alu instid0(VALU_DEP_2)
	v_and_b32_e32 v6, 0x7c, v6
	ds_store_b32 v6, v8
.LBB453_23:
	s_or_b32 exec_lo, exec_lo, s2
	v_mov_b32_e32 v6, 0
	s_waitcnt lgkmcnt(0)
	s_barrier
	buffer_gl0_inv
	s_and_saveexec_b32 s0, vcc_lo
	s_cbranch_execz .LBB453_25
; %bb.24:
	ds_load_b32 v6, v1
.LBB453_25:
	s_or_b32 exec_lo, exec_lo, s0
	s_and_saveexec_b32 s0, vcc_lo
	s_cbranch_execz .LBB453_27
; %bb.26:
	s_waitcnt lgkmcnt(0)
	ds_bpermute_b32 v1, v2, v6
	s_waitcnt lgkmcnt(0)
	v_add_f32_e32 v1, v6, v1
	ds_bpermute_b32 v2, v3, v1
	s_waitcnt lgkmcnt(0)
	v_add_f32_e32 v1, v1, v2
	;; [unrolled: 3-line block ×5, first 2 shown]
.LBB453_27:
	s_or_b32 exec_lo, exec_lo, s0
	s_delay_alu instid0(SALU_CYCLE_1)
	s_mov_b32 s0, exec_lo
                                        ; implicit-def: $vgpr1
                                        ; implicit-def: $sgpr4_sgpr5
	v_cmpx_eq_u32_e32 0, v0
	s_cbranch_execz .LBB453_31
; %bb.28:
	v_cmp_eq_f32_e64 s4, s15, 0
	s_mul_i32 s2, s14, s13
	s_mul_hi_u32 s3, s14, s12
	s_waitcnt lgkmcnt(0)
	v_mul_f32_e32 v0, s28, v6
	s_add_i32 s2, s3, s2
	s_mul_i32 s1, s1, s12
	s_and_b32 vcc_lo, exec_lo, s4
	s_add_i32 s5, s2, s1
	s_mul_i32 s4, s14, s12
	s_cbranch_vccnz .LBB453_30
; %bb.29:
	s_lshl_b64 s[2:3], s[4:5], 1
	v_mov_b32_e32 v1, 0
	s_add_u32 s2, s6, s2
	s_addc_u32 s3, s7, s3
	global_load_u16 v1, v1, s[2:3]
	s_waitcnt vmcnt(0)
	v_fma_mix_f32 v0, s15, v1, v0 op_sel_hi:[0,1,0]
.LBB453_30:
	s_delay_alu instid0(VALU_DEP_1)
	v_cvt_f16_f32_e32 v1, v0
	s_or_b32 s8, s8, exec_lo
.LBB453_31:
	s_or_b32 exec_lo, exec_lo, s0
.LBB453_32:
	s_and_saveexec_b32 s0, s8
	s_cbranch_execz .LBB453_34
; %bb.33:
	s_lshl_b64 s[0:1], s[4:5], 1
	v_mov_b32_e32 v0, 0
	s_add_u32 s0, s6, s0
	s_addc_u32 s1, s7, s1
	global_store_b16 v0, v1, s[0:1]
.LBB453_34:
	s_nop 0
	s_sendmsg sendmsg(MSG_DEALLOC_VGPRS)
	s_endpgm
	.section	.rodata,"a",@progbits
	.p2align	6, 0x0
	.amdhsa_kernel _ZL32rocblas_gemvt_warp_reduce_kernelILb0ELi1024ElPKDF16_PKfKPDF16_EviiT3_lPKT2_lT1_lS9_lSA_lS6_lPT4_lSA_li
		.amdhsa_group_segment_fixed_size 128
		.amdhsa_private_segment_fixed_size 0
		.amdhsa_kernarg_size 140
		.amdhsa_user_sgpr_count 14
		.amdhsa_user_sgpr_dispatch_ptr 0
		.amdhsa_user_sgpr_queue_ptr 0
		.amdhsa_user_sgpr_kernarg_segment_ptr 1
		.amdhsa_user_sgpr_dispatch_id 0
		.amdhsa_user_sgpr_private_segment_size 0
		.amdhsa_wavefront_size32 1
		.amdhsa_uses_dynamic_stack 0
		.amdhsa_enable_private_segment 0
		.amdhsa_system_sgpr_workgroup_id_x 1
		.amdhsa_system_sgpr_workgroup_id_y 0
		.amdhsa_system_sgpr_workgroup_id_z 1
		.amdhsa_system_sgpr_workgroup_info 0
		.amdhsa_system_vgpr_workitem_id 0
		.amdhsa_next_free_vgpr 11
		.amdhsa_next_free_sgpr 31
		.amdhsa_reserve_vcc 1
		.amdhsa_float_round_mode_32 0
		.amdhsa_float_round_mode_16_64 0
		.amdhsa_float_denorm_mode_32 3
		.amdhsa_float_denorm_mode_16_64 3
		.amdhsa_dx10_clamp 1
		.amdhsa_ieee_mode 1
		.amdhsa_fp16_overflow 0
		.amdhsa_workgroup_processor_mode 1
		.amdhsa_memory_ordered 1
		.amdhsa_forward_progress 0
		.amdhsa_shared_vgpr_count 0
		.amdhsa_exception_fp_ieee_invalid_op 0
		.amdhsa_exception_fp_denorm_src 0
		.amdhsa_exception_fp_ieee_div_zero 0
		.amdhsa_exception_fp_ieee_overflow 0
		.amdhsa_exception_fp_ieee_underflow 0
		.amdhsa_exception_fp_ieee_inexact 0
		.amdhsa_exception_int_div_zero 0
	.end_amdhsa_kernel
	.section	.text._ZL32rocblas_gemvt_warp_reduce_kernelILb0ELi1024ElPKDF16_PKfKPDF16_EviiT3_lPKT2_lT1_lS9_lSA_lS6_lPT4_lSA_li,"axG",@progbits,_ZL32rocblas_gemvt_warp_reduce_kernelILb0ELi1024ElPKDF16_PKfKPDF16_EviiT3_lPKT2_lT1_lS9_lSA_lS6_lPT4_lSA_li,comdat
.Lfunc_end453:
	.size	_ZL32rocblas_gemvt_warp_reduce_kernelILb0ELi1024ElPKDF16_PKfKPDF16_EviiT3_lPKT2_lT1_lS9_lSA_lS6_lPT4_lSA_li, .Lfunc_end453-_ZL32rocblas_gemvt_warp_reduce_kernelILb0ELi1024ElPKDF16_PKfKPDF16_EviiT3_lPKT2_lT1_lS9_lSA_lS6_lPT4_lSA_li
                                        ; -- End function
	.section	.AMDGPU.csdata,"",@progbits
; Kernel info:
; codeLenInByte = 1612
; NumSgprs: 33
; NumVgprs: 11
; ScratchSize: 0
; MemoryBound: 0
; FloatMode: 240
; IeeeMode: 1
; LDSByteSize: 128 bytes/workgroup (compile time only)
; SGPRBlocks: 4
; VGPRBlocks: 1
; NumSGPRsForWavesPerEU: 33
; NumVGPRsForWavesPerEU: 11
; Occupancy: 16
; WaveLimiterHint : 1
; COMPUTE_PGM_RSRC2:SCRATCH_EN: 0
; COMPUTE_PGM_RSRC2:USER_SGPR: 14
; COMPUTE_PGM_RSRC2:TRAP_HANDLER: 0
; COMPUTE_PGM_RSRC2:TGID_X_EN: 1
; COMPUTE_PGM_RSRC2:TGID_Y_EN: 0
; COMPUTE_PGM_RSRC2:TGID_Z_EN: 1
; COMPUTE_PGM_RSRC2:TIDIG_COMP_CNT: 0
	.section	.text._ZL32rocblas_gemvt_warp_reduce_kernelILb0ELi1024EiPKDF16_fKPDF16_EviiT3_lPKT2_lT1_lS7_lS8_lS4_lPT4_lS8_li,"axG",@progbits,_ZL32rocblas_gemvt_warp_reduce_kernelILb0ELi1024EiPKDF16_fKPDF16_EviiT3_lPKT2_lT1_lS7_lS8_lS4_lPT4_lS8_li,comdat
	.globl	_ZL32rocblas_gemvt_warp_reduce_kernelILb0ELi1024EiPKDF16_fKPDF16_EviiT3_lPKT2_lT1_lS7_lS8_lS4_lPT4_lS8_li ; -- Begin function _ZL32rocblas_gemvt_warp_reduce_kernelILb0ELi1024EiPKDF16_fKPDF16_EviiT3_lPKT2_lT1_lS7_lS8_lS4_lPT4_lS8_li
	.p2align	8
	.type	_ZL32rocblas_gemvt_warp_reduce_kernelILb0ELi1024EiPKDF16_fKPDF16_EviiT3_lPKT2_lT1_lS7_lS8_lS4_lPT4_lS8_li,@function
_ZL32rocblas_gemvt_warp_reduce_kernelILb0ELi1024EiPKDF16_fKPDF16_EviiT3_lPKT2_lT1_lS7_lS8_lS4_lPT4_lS8_li: ; @_ZL32rocblas_gemvt_warp_reduce_kernelILb0ELi1024EiPKDF16_fKPDF16_EviiT3_lPKT2_lT1_lS7_lS8_lS4_lPT4_lS8_li
; %bb.0:
	s_clause 0x1
	s_load_b32 s11, s[0:1], 0x8
	s_load_b32 s10, s[0:1], 0x58
	s_waitcnt lgkmcnt(0)
	v_cmp_eq_f32_e64 s8, s11, 0
	v_cmp_eq_f32_e64 s3, s10, 1.0
	s_delay_alu instid0(VALU_DEP_1) | instskip(NEXT) | instid1(SALU_CYCLE_1)
	s_and_b32 s3, s8, s3
	s_and_b32 vcc_lo, exec_lo, s3
	s_cbranch_vccnz .LBB454_37
; %bb.1:
	v_cmp_neq_f32_e64 s4, s11, 0
	s_mov_b32 s2, s15
	s_delay_alu instid0(VALU_DEP_1)
	s_and_b32 vcc_lo, exec_lo, s4
	s_cbranch_vccnz .LBB454_3
; %bb.2:
	s_mov_b32 s3, 0
	s_mov_b64 s[6:7], 0
	s_cbranch_execz .LBB454_4
	s_branch .LBB454_5
.LBB454_3:
	s_mov_b32 s3, -1
                                        ; implicit-def: $sgpr6_sgpr7
.LBB454_4:
	s_load_b128 s[16:19], s[0:1], 0x18
	s_mov_b32 s3, 0
	s_delay_alu instid0(SALU_CYCLE_1)
	s_lshl_b64 s[6:7], s[2:3], 3
	s_waitcnt lgkmcnt(0)
	s_add_u32 s6, s16, s6
	s_addc_u32 s7, s17, s7
	s_lshl_b64 s[12:13], s[18:19], 1
	s_load_b64 s[6:7], s[6:7], 0x0
	s_waitcnt lgkmcnt(0)
	s_add_u32 s6, s6, s12
	s_addc_u32 s7, s7, s13
.LBB454_5:
	s_and_not1_b32 vcc_lo, exec_lo, s4
	s_cbranch_vccnz .LBB454_7
; %bb.6:
	s_load_b128 s[16:19], s[0:1], 0x38
	s_lshl_b64 s[4:5], s[2:3], 3
	s_waitcnt lgkmcnt(0)
	s_add_u32 s4, s16, s4
	s_addc_u32 s5, s17, s5
	s_lshl_b64 s[12:13], s[18:19], 1
	s_load_b64 s[4:5], s[4:5], 0x0
	s_waitcnt lgkmcnt(0)
	s_add_u32 s4, s4, s12
	s_addc_u32 s5, s5, s13
	s_branch .LBB454_8
.LBB454_7:
	s_mov_b64 s[4:5], 0
.LBB454_8:
	s_clause 0x1
	s_load_b128 s[16:19], s[0:1], 0x68
	s_load_b32 s15, s[0:1], 0x78
	s_lshl_b64 s[2:3], s[2:3], 3
	s_waitcnt lgkmcnt(0)
	s_add_u32 s2, s16, s2
	s_addc_u32 s3, s17, s3
	s_lshl_b64 s[16:17], s[18:19], 1
	s_load_b64 s[12:13], s[2:3], 0x0
	v_cmp_eq_u32_e64 s2, 0, v0
	s_waitcnt lgkmcnt(0)
	s_add_u32 s12, s12, s16
	s_addc_u32 s13, s13, s17
	s_and_not1_b32 vcc_lo, exec_lo, s8
	s_cbranch_vccnz .LBB454_12
; %bb.9:
	s_mov_b32 s3, 0
	s_mov_b32 s16, 0
                                        ; implicit-def: $vgpr1
                                        ; implicit-def: $sgpr8_sgpr9
	s_and_saveexec_b32 s17, s2
	s_cbranch_execz .LBB454_13
; %bb.10:
	v_cmp_eq_f32_e64 s2, s10, 0
	s_mul_i32 s8, s14, s15
	s_delay_alu instid0(SALU_CYCLE_1) | instskip(NEXT) | instid1(VALU_DEP_1)
	s_ashr_i32 s9, s8, 31
	s_and_b32 vcc_lo, exec_lo, s2
	s_cbranch_vccnz .LBB454_14
; %bb.11:
	s_lshl_b64 s[18:19], s[8:9], 1
	v_mov_b32_e32 v1, 0
	s_add_u32 s18, s12, s18
	s_addc_u32 s19, s13, s19
	global_load_u16 v1, v1, s[18:19]
	s_waitcnt vmcnt(0)
	v_fma_mixlo_f16 v1, v1, s10, 0 op_sel_hi:[1,0,0]
	s_branch .LBB454_15
.LBB454_12:
	s_mov_b32 s16, 0
                                        ; implicit-def: $vgpr1
                                        ; implicit-def: $sgpr8_sgpr9
	s_cbranch_execnz .LBB454_16
	s_branch .LBB454_35
.LBB454_13:
	s_or_b32 exec_lo, exec_lo, s17
	s_delay_alu instid0(SALU_CYCLE_1)
	s_and_b32 vcc_lo, exec_lo, s3
	s_cbranch_vccnz .LBB454_16
	s_branch .LBB454_35
.LBB454_14:
	v_mov_b32_e32 v1, 0
.LBB454_15:
	s_mov_b32 s16, exec_lo
	s_or_b32 exec_lo, exec_lo, s17
	s_delay_alu instid0(SALU_CYCLE_1)
	s_and_b32 vcc_lo, exec_lo, s3
	s_cbranch_vccz .LBB454_35
.LBB454_16:
	s_clause 0x2
	s_load_b32 s2, s[0:1], 0x28
	s_load_b32 s3, s[0:1], 0x0
	;; [unrolled: 1-line block ×3, first 2 shown]
	v_mov_b32_e32 v7, 0
	s_waitcnt lgkmcnt(0)
	s_mul_i32 s8, s14, s2
	v_cmp_gt_i32_e32 vcc_lo, s3, v0
	s_ashr_i32 s9, s8, 31
	s_delay_alu instid0(SALU_CYCLE_1)
	s_lshl_b64 s[8:9], s[8:9], 1
	v_cndmask_b32_e32 v1, 0, v0, vcc_lo
	s_add_u32 s0, s8, s6
	s_addc_u32 s6, s9, s7
	s_ashr_i32 s2, s3, 31
	s_mov_b32 s7, 0
	v_lshlrev_b32_e32 v1, 1, v1
	s_lshr_b32 s2, s2, 22
	s_delay_alu instid0(SALU_CYCLE_1) | instskip(NEXT) | instid1(SALU_CYCLE_1)
	s_add_i32 s2, s3, s2
	s_and_b32 s2, s2, 0xfffffc00
	s_delay_alu instid0(VALU_DEP_1) | instskip(NEXT) | instid1(VALU_DEP_1)
	v_add_co_u32 v1, s0, s0, v1
	v_add_co_ci_u32_e64 v2, null, s6, 0, s0
	s_mov_b32 s6, exec_lo
	v_cmpx_gt_i32_e64 s2, v0
	s_cbranch_execz .LBB454_20
; %bb.17:
	v_mul_lo_u32 v3, v0, s1
	v_dual_mov_b32 v7, 0 :: v_dual_mov_b32 v6, v2
	v_dual_mov_b32 v5, v1 :: v_dual_mov_b32 v8, v0
	s_lshl_b32 s8, s1, 10
	.p2align	6
.LBB454_18:                             ; =>This Inner Loop Header: Depth=1
	s_delay_alu instid0(VALU_DEP_3) | instskip(NEXT) | instid1(VALU_DEP_2)
	v_ashrrev_i32_e32 v4, 31, v3
	v_add_nc_u32_e32 v8, 0x400, v8
	s_delay_alu instid0(VALU_DEP_2) | instskip(NEXT) | instid1(VALU_DEP_2)
	v_lshlrev_b64 v[9:10], 1, v[3:4]
	v_cmp_le_i32_e64 s0, s2, v8
	v_add_nc_u32_e32 v3, s8, v3
	s_delay_alu instid0(VALU_DEP_2) | instskip(NEXT) | instid1(VALU_DEP_3)
	s_or_b32 s7, s0, s7
	v_add_co_u32 v9, vcc_lo, s4, v9
	s_delay_alu instid0(VALU_DEP_4)
	v_add_co_ci_u32_e32 v10, vcc_lo, s5, v10, vcc_lo
	flat_load_u16 v4, v[5:6]
	flat_load_u16 v9, v[9:10]
	v_add_co_u32 v5, vcc_lo, 0x800, v5
	v_add_co_ci_u32_e32 v6, vcc_lo, 0, v6, vcc_lo
	s_waitcnt vmcnt(0) lgkmcnt(0)
	v_mul_f16_e32 v4, v4, v9
	s_delay_alu instid0(VALU_DEP_1) | instskip(NEXT) | instid1(VALU_DEP_1)
	v_cvt_f32_f16_e32 v4, v4
	v_add_f32_e32 v7, v7, v4
	s_and_not1_b32 exec_lo, exec_lo, s7
	s_cbranch_execnz .LBB454_18
; %bb.19:
	s_or_b32 exec_lo, exec_lo, s7
.LBB454_20:
	s_delay_alu instid0(SALU_CYCLE_1) | instskip(SKIP_2) | instid1(VALU_DEP_1)
	s_or_b32 exec_lo, exec_lo, s6
	v_or_b32_e32 v3, s2, v0
	s_mov_b32 s0, exec_lo
	v_cmpx_gt_i32_e64 s3, v3
	s_cbranch_execz .LBB454_22
; %bb.21:
	v_mul_lo_u32 v3, v3, s1
	s_ashr_i32 s3, s2, 31
	s_delay_alu instid0(SALU_CYCLE_1) | instskip(NEXT) | instid1(SALU_CYCLE_1)
	s_lshl_b64 s[2:3], s[2:3], 1
	v_add_co_u32 v1, vcc_lo, v1, s2
	v_add_co_ci_u32_e32 v2, vcc_lo, s3, v2, vcc_lo
	s_delay_alu instid0(VALU_DEP_3) | instskip(NEXT) | instid1(VALU_DEP_1)
	v_ashrrev_i32_e32 v4, 31, v3
	v_lshlrev_b64 v[3:4], 1, v[3:4]
	s_delay_alu instid0(VALU_DEP_1) | instskip(NEXT) | instid1(VALU_DEP_2)
	v_add_co_u32 v3, vcc_lo, s4, v3
	v_add_co_ci_u32_e32 v4, vcc_lo, s5, v4, vcc_lo
	flat_load_u16 v1, v[1:2]
	flat_load_u16 v2, v[3:4]
	s_waitcnt vmcnt(0) lgkmcnt(0)
	v_mul_f16_e32 v1, v1, v2
	s_delay_alu instid0(VALU_DEP_1) | instskip(NEXT) | instid1(VALU_DEP_1)
	v_cvt_f32_f16_e32 v1, v1
	v_add_f32_e32 v7, v7, v1
.LBB454_22:
	s_or_b32 exec_lo, exec_lo, s0
	v_and_b32_e32 v6, 31, v0
	v_cmp_gt_u32_e32 vcc_lo, 32, v0
	s_delay_alu instid0(VALU_DEP_2)
	v_lshlrev_b32_e32 v1, 2, v6
	s_and_saveexec_b32 s0, vcc_lo
	s_cbranch_execz .LBB454_24
; %bb.23:
	v_mov_b32_e32 v2, 0
	ds_store_b32 v1, v2
.LBB454_24:
	s_or_b32 exec_lo, exec_lo, s0
	v_mbcnt_lo_u32_b32 v8, -1, 0
	s_mov_b32 s1, exec_lo
	s_waitcnt lgkmcnt(0)
	s_barrier
	buffer_gl0_inv
	v_cmp_gt_u32_e64 s0, 16, v8
	s_delay_alu instid0(VALU_DEP_1) | instskip(SKIP_1) | instid1(VALU_DEP_2)
	v_cndmask_b32_e64 v2, 0, 1, s0
	v_cmp_gt_u32_e64 s0, 24, v8
	v_lshlrev_b32_e32 v2, 4, v2
	s_delay_alu instid0(VALU_DEP_2) | instskip(SKIP_1) | instid1(VALU_DEP_3)
	v_cndmask_b32_e64 v3, 0, 1, s0
	v_cmp_gt_u32_e64 s0, 28, v8
	v_add_lshl_u32 v2, v2, v8, 2
	s_delay_alu instid0(VALU_DEP_3)
	v_lshlrev_b32_e32 v3, 3, v3
	ds_bpermute_b32 v4, v2, v7
	v_add_lshl_u32 v3, v3, v8, 2
	s_waitcnt lgkmcnt(0)
	v_add_f32_e32 v5, v7, v4
	v_cndmask_b32_e64 v4, 0, 1, s0
	v_cmp_gt_u32_e64 s0, 30, v8
	ds_bpermute_b32 v7, v3, v5
	s_waitcnt lgkmcnt(0)
	v_dual_add_f32 v7, v5, v7 :: v_dual_lshlrev_b32 v4, 2, v4
	s_delay_alu instid0(VALU_DEP_1)
	v_add_lshl_u32 v4, v4, v8, 2
	v_cndmask_b32_e64 v5, 0, 1, s0
	v_cmp_ne_u32_e64 s0, 31, v8
	ds_bpermute_b32 v9, v4, v7
	v_lshlrev_b32_e32 v5, 1, v5
	v_add_co_ci_u32_e64 v10, s0, 0, v8, s0
	s_delay_alu instid0(VALU_DEP_2)
	v_add_lshl_u32 v5, v5, v8, 2
	s_waitcnt lgkmcnt(0)
	v_add_f32_e32 v7, v7, v9
	ds_bpermute_b32 v9, v5, v7
	s_waitcnt lgkmcnt(0)
	v_dual_add_f32 v8, v7, v9 :: v_dual_lshlrev_b32 v7, 2, v10
	ds_bpermute_b32 v9, v7, v8
	v_cmpx_eq_u32_e32 0, v6
	s_cbranch_execz .LBB454_26
; %bb.25:
	v_lshrrev_b32_e32 v6, 3, v0
	s_waitcnt lgkmcnt(0)
	v_add_f32_e32 v8, v8, v9
	s_delay_alu instid0(VALU_DEP_2)
	v_and_b32_e32 v6, 0x7c, v6
	ds_store_b32 v6, v8
.LBB454_26:
	s_or_b32 exec_lo, exec_lo, s1
	v_mov_b32_e32 v6, 0
	s_waitcnt lgkmcnt(0)
	s_barrier
	buffer_gl0_inv
	s_and_saveexec_b32 s0, vcc_lo
	s_cbranch_execz .LBB454_28
; %bb.27:
	ds_load_b32 v6, v1
.LBB454_28:
	s_or_b32 exec_lo, exec_lo, s0
	s_and_saveexec_b32 s0, vcc_lo
	s_cbranch_execz .LBB454_30
; %bb.29:
	s_waitcnt lgkmcnt(0)
	ds_bpermute_b32 v1, v2, v6
	s_waitcnt lgkmcnt(0)
	v_add_f32_e32 v1, v6, v1
	ds_bpermute_b32 v2, v3, v1
	s_waitcnt lgkmcnt(0)
	v_add_f32_e32 v1, v1, v2
	;; [unrolled: 3-line block ×5, first 2 shown]
.LBB454_30:
	s_or_b32 exec_lo, exec_lo, s0
	s_delay_alu instid0(SALU_CYCLE_1)
	s_mov_b32 s0, exec_lo
                                        ; implicit-def: $vgpr1
                                        ; implicit-def: $sgpr8_sgpr9
	v_cmpx_eq_u32_e32 0, v0
	s_cbranch_execz .LBB454_34
; %bb.31:
	v_cmp_eq_f32_e64 s1, s10, 0
	s_waitcnt lgkmcnt(0)
	v_mul_f32_e32 v0, s11, v6
	s_mul_i32 s8, s14, s15
	s_delay_alu instid0(SALU_CYCLE_1)
	s_ashr_i32 s9, s8, 31
	s_and_b32 vcc_lo, exec_lo, s1
	s_cbranch_vccnz .LBB454_33
; %bb.32:
	s_lshl_b64 s[2:3], s[8:9], 1
	v_mov_b32_e32 v1, 0
	s_add_u32 s2, s12, s2
	s_addc_u32 s3, s13, s3
	global_load_u16 v1, v1, s[2:3]
	s_waitcnt vmcnt(0)
	v_fma_mix_f32 v0, v1, s10, v0 op_sel_hi:[1,0,0]
.LBB454_33:
	s_delay_alu instid0(VALU_DEP_1)
	v_cvt_f16_f32_e32 v1, v0
	s_or_b32 s16, s16, exec_lo
.LBB454_34:
	s_or_b32 exec_lo, exec_lo, s0
.LBB454_35:
	s_and_saveexec_b32 s0, s16
	s_cbranch_execz .LBB454_37
; %bb.36:
	s_lshl_b64 s[0:1], s[8:9], 1
	v_mov_b32_e32 v0, 0
	s_add_u32 s0, s12, s0
	s_addc_u32 s1, s13, s1
	global_store_b16 v0, v1, s[0:1]
.LBB454_37:
	s_nop 0
	s_sendmsg sendmsg(MSG_DEALLOC_VGPRS)
	s_endpgm
	.section	.rodata,"a",@progbits
	.p2align	6, 0x0
	.amdhsa_kernel _ZL32rocblas_gemvt_warp_reduce_kernelILb0ELi1024EiPKDF16_fKPDF16_EviiT3_lPKT2_lT1_lS7_lS8_lS4_lPT4_lS8_li
		.amdhsa_group_segment_fixed_size 128
		.amdhsa_private_segment_fixed_size 0
		.amdhsa_kernarg_size 140
		.amdhsa_user_sgpr_count 14
		.amdhsa_user_sgpr_dispatch_ptr 0
		.amdhsa_user_sgpr_queue_ptr 0
		.amdhsa_user_sgpr_kernarg_segment_ptr 1
		.amdhsa_user_sgpr_dispatch_id 0
		.amdhsa_user_sgpr_private_segment_size 0
		.amdhsa_wavefront_size32 1
		.amdhsa_uses_dynamic_stack 0
		.amdhsa_enable_private_segment 0
		.amdhsa_system_sgpr_workgroup_id_x 1
		.amdhsa_system_sgpr_workgroup_id_y 0
		.amdhsa_system_sgpr_workgroup_id_z 1
		.amdhsa_system_sgpr_workgroup_info 0
		.amdhsa_system_vgpr_workitem_id 0
		.amdhsa_next_free_vgpr 11
		.amdhsa_next_free_sgpr 20
		.amdhsa_reserve_vcc 1
		.amdhsa_float_round_mode_32 0
		.amdhsa_float_round_mode_16_64 0
		.amdhsa_float_denorm_mode_32 3
		.amdhsa_float_denorm_mode_16_64 3
		.amdhsa_dx10_clamp 1
		.amdhsa_ieee_mode 1
		.amdhsa_fp16_overflow 0
		.amdhsa_workgroup_processor_mode 1
		.amdhsa_memory_ordered 1
		.amdhsa_forward_progress 0
		.amdhsa_shared_vgpr_count 0
		.amdhsa_exception_fp_ieee_invalid_op 0
		.amdhsa_exception_fp_denorm_src 0
		.amdhsa_exception_fp_ieee_div_zero 0
		.amdhsa_exception_fp_ieee_overflow 0
		.amdhsa_exception_fp_ieee_underflow 0
		.amdhsa_exception_fp_ieee_inexact 0
		.amdhsa_exception_int_div_zero 0
	.end_amdhsa_kernel
	.section	.text._ZL32rocblas_gemvt_warp_reduce_kernelILb0ELi1024EiPKDF16_fKPDF16_EviiT3_lPKT2_lT1_lS7_lS8_lS4_lPT4_lS8_li,"axG",@progbits,_ZL32rocblas_gemvt_warp_reduce_kernelILb0ELi1024EiPKDF16_fKPDF16_EviiT3_lPKT2_lT1_lS7_lS8_lS4_lPT4_lS8_li,comdat
.Lfunc_end454:
	.size	_ZL32rocblas_gemvt_warp_reduce_kernelILb0ELi1024EiPKDF16_fKPDF16_EviiT3_lPKT2_lT1_lS7_lS8_lS4_lPT4_lS8_li, .Lfunc_end454-_ZL32rocblas_gemvt_warp_reduce_kernelILb0ELi1024EiPKDF16_fKPDF16_EviiT3_lPKT2_lT1_lS7_lS8_lS4_lPT4_lS8_li
                                        ; -- End function
	.section	.AMDGPU.csdata,"",@progbits
; Kernel info:
; codeLenInByte = 1480
; NumSgprs: 22
; NumVgprs: 11
; ScratchSize: 0
; MemoryBound: 0
; FloatMode: 240
; IeeeMode: 1
; LDSByteSize: 128 bytes/workgroup (compile time only)
; SGPRBlocks: 2
; VGPRBlocks: 1
; NumSGPRsForWavesPerEU: 22
; NumVGPRsForWavesPerEU: 11
; Occupancy: 16
; WaveLimiterHint : 1
; COMPUTE_PGM_RSRC2:SCRATCH_EN: 0
; COMPUTE_PGM_RSRC2:USER_SGPR: 14
; COMPUTE_PGM_RSRC2:TRAP_HANDLER: 0
; COMPUTE_PGM_RSRC2:TGID_X_EN: 1
; COMPUTE_PGM_RSRC2:TGID_Y_EN: 0
; COMPUTE_PGM_RSRC2:TGID_Z_EN: 1
; COMPUTE_PGM_RSRC2:TIDIG_COMP_CNT: 0
	.section	.text._ZL32rocblas_gemvt_warp_reduce_kernelILb0ELi1024ElPKDF16_fKPDF16_EviiT3_lPKT2_lT1_lS7_lS8_lS4_lPT4_lS8_li,"axG",@progbits,_ZL32rocblas_gemvt_warp_reduce_kernelILb0ELi1024ElPKDF16_fKPDF16_EviiT3_lPKT2_lT1_lS7_lS8_lS4_lPT4_lS8_li,comdat
	.globl	_ZL32rocblas_gemvt_warp_reduce_kernelILb0ELi1024ElPKDF16_fKPDF16_EviiT3_lPKT2_lT1_lS7_lS8_lS4_lPT4_lS8_li ; -- Begin function _ZL32rocblas_gemvt_warp_reduce_kernelILb0ELi1024ElPKDF16_fKPDF16_EviiT3_lPKT2_lT1_lS7_lS8_lS4_lPT4_lS8_li
	.p2align	8
	.type	_ZL32rocblas_gemvt_warp_reduce_kernelILb0ELi1024ElPKDF16_fKPDF16_EviiT3_lPKT2_lT1_lS7_lS8_lS4_lPT4_lS8_li,@function
_ZL32rocblas_gemvt_warp_reduce_kernelILb0ELi1024ElPKDF16_fKPDF16_EviiT3_lPKT2_lT1_lS7_lS8_lS4_lPT4_lS8_li: ; @_ZL32rocblas_gemvt_warp_reduce_kernelILb0ELi1024ElPKDF16_fKPDF16_EviiT3_lPKT2_lT1_lS7_lS8_lS4_lPT4_lS8_li
; %bb.0:
	s_mov_b32 s2, s15
	s_clause 0x1
	s_load_b32 s18, s[0:1], 0x8
	s_load_b32 s15, s[0:1], 0x58
	s_waitcnt lgkmcnt(0)
	v_cmp_eq_f32_e64 s16, s18, 0
	v_cmp_eq_f32_e64 s3, s15, 1.0
	s_delay_alu instid0(VALU_DEP_1) | instskip(NEXT) | instid1(SALU_CYCLE_1)
	s_and_b32 s3, s16, s3
	s_and_b32 vcc_lo, exec_lo, s3
	s_cbranch_vccnz .LBB455_37
; %bb.1:
	s_clause 0x1
	s_load_b128 s[4:7], s[0:1], 0x18
	s_load_b64 s[10:11], s[0:1], 0x28
	v_cmp_neq_f32_e64 s17, s18, 0
	s_delay_alu instid0(VALU_DEP_1)
	s_and_b32 vcc_lo, exec_lo, s17
	s_cbranch_vccnz .LBB455_3
; %bb.2:
	s_mov_b32 s3, 0
	s_mov_b64 s[12:13], 0
	s_cbranch_execz .LBB455_4
	s_branch .LBB455_5
.LBB455_3:
	s_mov_b32 s3, -1
                                        ; implicit-def: $sgpr12_sgpr13
.LBB455_4:
	s_mov_b32 s3, 0
	s_delay_alu instid0(SALU_CYCLE_1)
	s_lshl_b64 s[8:9], s[2:3], 3
	s_waitcnt lgkmcnt(0)
	s_add_u32 s4, s4, s8
	s_addc_u32 s5, s5, s9
	s_lshl_b64 s[6:7], s[6:7], 1
	s_load_b64 s[4:5], s[4:5], 0x0
	s_waitcnt lgkmcnt(0)
	s_add_u32 s12, s4, s6
	s_addc_u32 s13, s5, s7
.LBB455_5:
	s_waitcnt lgkmcnt(0)
	s_clause 0x1
	s_load_b128 s[4:7], s[0:1], 0x38
	s_load_b64 s[8:9], s[0:1], 0x48
	s_and_not1_b32 vcc_lo, exec_lo, s17
	s_cbranch_vccnz .LBB455_7
; %bb.6:
	s_lshl_b64 s[20:21], s[2:3], 3
	s_waitcnt lgkmcnt(0)
	s_add_u32 s4, s4, s20
	s_addc_u32 s5, s5, s21
	s_lshl_b64 s[6:7], s[6:7], 1
	s_load_b64 s[4:5], s[4:5], 0x0
	s_waitcnt lgkmcnt(0)
	s_add_u32 s6, s4, s6
	s_addc_u32 s7, s5, s7
	s_branch .LBB455_8
.LBB455_7:
	s_waitcnt lgkmcnt(0)
	s_mov_b64 s[6:7], 0
.LBB455_8:
	s_clause 0x1
	s_load_b128 s[20:23], s[0:1], 0x68
	s_load_b64 s[4:5], s[0:1], 0x78
	s_lshl_b64 s[2:3], s[2:3], 3
	s_waitcnt lgkmcnt(0)
	s_add_u32 s2, s20, s2
	s_addc_u32 s3, s21, s3
	s_lshl_b64 s[22:23], s[22:23], 1
	s_load_b64 s[20:21], s[2:3], 0x0
	v_cmp_eq_u32_e64 s2, 0, v0
	s_waitcnt lgkmcnt(0)
	s_add_u32 s19, s20, s22
	s_addc_u32 s20, s21, s23
	s_and_not1_b32 vcc_lo, exec_lo, s16
	s_cbranch_vccnz .LBB455_12
; %bb.9:
	s_mov_b32 s3, 0
	s_mov_b32 s21, 0
                                        ; implicit-def: $vgpr1
                                        ; implicit-def: $sgpr16_sgpr17
	s_and_saveexec_b32 s22, s2
	s_cbranch_execz .LBB455_13
; %bb.10:
	v_cmp_eq_f32_e64 s2, s15, 0
	s_mul_i32 s16, s14, s5
	s_mul_hi_u32 s17, s14, s4
	s_ashr_i32 s21, s14, 31
	s_add_i32 s16, s17, s16
	s_mul_i32 s21, s21, s4
	s_and_b32 vcc_lo, exec_lo, s2
	s_add_i32 s17, s16, s21
	s_mul_i32 s16, s14, s4
	s_cbranch_vccnz .LBB455_14
; %bb.11:
	s_lshl_b64 s[24:25], s[16:17], 1
	v_mov_b32_e32 v1, 0
	s_add_u32 s24, s19, s24
	s_addc_u32 s25, s20, s25
	global_load_u16 v1, v1, s[24:25]
	s_waitcnt vmcnt(0)
	v_fma_mixlo_f16 v1, v1, s15, 0 op_sel_hi:[1,0,0]
	s_branch .LBB455_15
.LBB455_12:
	s_mov_b32 s21, 0
                                        ; implicit-def: $vgpr1
                                        ; implicit-def: $sgpr16_sgpr17
	s_cbranch_execnz .LBB455_16
	s_branch .LBB455_35
.LBB455_13:
	s_or_b32 exec_lo, exec_lo, s22
	s_delay_alu instid0(SALU_CYCLE_1)
	s_and_b32 vcc_lo, exec_lo, s3
	s_cbranch_vccnz .LBB455_16
	s_branch .LBB455_35
.LBB455_14:
	v_mov_b32_e32 v1, 0
.LBB455_15:
	s_mov_b32 s21, exec_lo
	s_or_b32 exec_lo, exec_lo, s22
	s_delay_alu instid0(SALU_CYCLE_1)
	s_and_b32 vcc_lo, exec_lo, s3
	s_cbranch_vccz .LBB455_35
.LBB455_16:
	s_load_b32 s3, s[0:1], 0x0
	s_mul_i32 s0, s14, s11
	s_mul_hi_u32 s2, s14, s10
	s_ashr_i32 s1, s14, 31
	s_add_i32 s0, s2, s0
	s_mul_i32 s2, s1, s10
	s_mul_i32 s10, s14, s10
	s_add_i32 s11, s0, s2
	v_mov_b32_e32 v7, 0
	s_lshl_b64 s[10:11], s[10:11], 1
	s_delay_alu instid0(SALU_CYCLE_1)
	s_add_u32 s0, s10, s12
	s_addc_u32 s10, s11, s13
	s_mov_b32 s13, 0
	s_mov_b32 s12, exec_lo
	s_waitcnt lgkmcnt(0)
	v_cmp_gt_i32_e32 vcc_lo, s3, v0
	s_ashr_i32 s2, s3, 31
	s_delay_alu instid0(SALU_CYCLE_1) | instskip(NEXT) | instid1(SALU_CYCLE_1)
	s_lshr_b32 s2, s2, 22
	s_add_i32 s2, s3, s2
	v_cndmask_b32_e32 v1, 0, v0, vcc_lo
	s_and_b32 s2, s2, 0xfffffc00
	s_delay_alu instid0(VALU_DEP_1) | instskip(NEXT) | instid1(VALU_DEP_1)
	v_lshlrev_b32_e32 v1, 1, v1
	v_add_co_u32 v1, s0, s0, v1
	s_delay_alu instid0(VALU_DEP_1)
	v_add_co_ci_u32_e64 v2, null, s10, 0, s0
	v_cmpx_gt_i32_e64 s2, v0
	s_cbranch_execz .LBB455_20
; %bb.17:
	v_mad_u64_u32 v[3:4], null, s8, v0, 0
	v_mov_b32_e32 v8, v0
	s_lshl_b64 s[10:11], s[8:9], 11
	v_mov_b32_e32 v7, 0
	s_delay_alu instid0(VALU_DEP_3) | instskip(NEXT) | instid1(VALU_DEP_1)
	v_mad_u64_u32 v[5:6], null, s9, v0, v[4:5]
	v_mov_b32_e32 v4, v5
	s_delay_alu instid0(VALU_DEP_1) | instskip(SKIP_1) | instid1(VALU_DEP_2)
	v_lshlrev_b64 v[5:6], 1, v[3:4]
	v_dual_mov_b32 v4, v2 :: v_dual_mov_b32 v3, v1
	v_add_co_u32 v5, vcc_lo, s6, v5
	s_delay_alu instid0(VALU_DEP_3)
	v_add_co_ci_u32_e32 v6, vcc_lo, s7, v6, vcc_lo
	.p2align	6
.LBB455_18:                             ; =>This Inner Loop Header: Depth=1
	flat_load_u16 v9, v[3:4]
	flat_load_u16 v10, v[5:6]
	v_add_co_u32 v3, vcc_lo, 0x800, v3
	v_add_co_ci_u32_e32 v4, vcc_lo, 0, v4, vcc_lo
	v_add_co_u32 v5, vcc_lo, v5, s10
	v_add_co_ci_u32_e32 v6, vcc_lo, s11, v6, vcc_lo
	s_waitcnt vmcnt(0) lgkmcnt(0)
	v_mul_f16_e32 v9, v9, v10
	s_delay_alu instid0(VALU_DEP_1) | instskip(NEXT) | instid1(VALU_DEP_1)
	v_cvt_f32_f16_e32 v9, v9
	v_dual_add_f32 v7, v7, v9 :: v_dual_add_nc_u32 v8, 0x400, v8
	s_delay_alu instid0(VALU_DEP_1) | instskip(NEXT) | instid1(VALU_DEP_1)
	v_cmp_le_i32_e64 s0, s2, v8
	s_or_b32 s13, s0, s13
	s_delay_alu instid0(SALU_CYCLE_1)
	s_and_not1_b32 exec_lo, exec_lo, s13
	s_cbranch_execnz .LBB455_18
; %bb.19:
	s_or_b32 exec_lo, exec_lo, s13
.LBB455_20:
	s_delay_alu instid0(SALU_CYCLE_1) | instskip(SKIP_2) | instid1(VALU_DEP_1)
	s_or_b32 exec_lo, exec_lo, s12
	v_or_b32_e32 v3, s2, v0
	s_mov_b32 s0, exec_lo
	v_cmpx_gt_i32_e64 s3, v3
	s_cbranch_execz .LBB455_22
; %bb.21:
	v_ashrrev_i32_e32 v6, 31, v3
	v_mul_lo_u32 v8, v3, s9
	v_mad_u64_u32 v[4:5], null, v3, s8, 0
	s_ashr_i32 s3, s2, 31
	s_delay_alu instid0(VALU_DEP_3) | instskip(SKIP_1) | instid1(SALU_CYCLE_1)
	v_mul_lo_u32 v3, v6, s8
	s_lshl_b64 s[2:3], s[2:3], 1
	v_add_co_u32 v1, vcc_lo, v1, s2
	v_add_co_ci_u32_e32 v2, vcc_lo, s3, v2, vcc_lo
	s_delay_alu instid0(VALU_DEP_3) | instskip(NEXT) | instid1(VALU_DEP_1)
	v_add3_u32 v5, v5, v8, v3
	v_lshlrev_b64 v[3:4], 1, v[4:5]
	s_delay_alu instid0(VALU_DEP_1) | instskip(NEXT) | instid1(VALU_DEP_2)
	v_add_co_u32 v3, vcc_lo, s6, v3
	v_add_co_ci_u32_e32 v4, vcc_lo, s7, v4, vcc_lo
	flat_load_u16 v1, v[1:2]
	flat_load_u16 v2, v[3:4]
	s_waitcnt vmcnt(0) lgkmcnt(0)
	v_mul_f16_e32 v1, v1, v2
	s_delay_alu instid0(VALU_DEP_1) | instskip(NEXT) | instid1(VALU_DEP_1)
	v_cvt_f32_f16_e32 v1, v1
	v_add_f32_e32 v7, v7, v1
.LBB455_22:
	s_or_b32 exec_lo, exec_lo, s0
	v_and_b32_e32 v6, 31, v0
	v_cmp_gt_u32_e32 vcc_lo, 32, v0
	s_delay_alu instid0(VALU_DEP_2)
	v_lshlrev_b32_e32 v1, 2, v6
	s_and_saveexec_b32 s0, vcc_lo
	s_cbranch_execz .LBB455_24
; %bb.23:
	v_mov_b32_e32 v2, 0
	ds_store_b32 v1, v2
.LBB455_24:
	s_or_b32 exec_lo, exec_lo, s0
	v_mbcnt_lo_u32_b32 v8, -1, 0
	s_mov_b32 s2, exec_lo
	s_waitcnt lgkmcnt(0)
	s_barrier
	buffer_gl0_inv
	v_cmp_gt_u32_e64 s0, 16, v8
	s_delay_alu instid0(VALU_DEP_1) | instskip(SKIP_1) | instid1(VALU_DEP_2)
	v_cndmask_b32_e64 v2, 0, 1, s0
	v_cmp_gt_u32_e64 s0, 24, v8
	v_lshlrev_b32_e32 v2, 4, v2
	s_delay_alu instid0(VALU_DEP_2) | instskip(SKIP_1) | instid1(VALU_DEP_3)
	v_cndmask_b32_e64 v3, 0, 1, s0
	v_cmp_gt_u32_e64 s0, 28, v8
	v_add_lshl_u32 v2, v2, v8, 2
	s_delay_alu instid0(VALU_DEP_3)
	v_lshlrev_b32_e32 v3, 3, v3
	ds_bpermute_b32 v4, v2, v7
	v_add_lshl_u32 v3, v3, v8, 2
	s_waitcnt lgkmcnt(0)
	v_add_f32_e32 v5, v7, v4
	v_cndmask_b32_e64 v4, 0, 1, s0
	v_cmp_gt_u32_e64 s0, 30, v8
	ds_bpermute_b32 v7, v3, v5
	s_waitcnt lgkmcnt(0)
	v_dual_add_f32 v7, v5, v7 :: v_dual_lshlrev_b32 v4, 2, v4
	s_delay_alu instid0(VALU_DEP_1)
	v_add_lshl_u32 v4, v4, v8, 2
	v_cndmask_b32_e64 v5, 0, 1, s0
	v_cmp_ne_u32_e64 s0, 31, v8
	ds_bpermute_b32 v9, v4, v7
	v_lshlrev_b32_e32 v5, 1, v5
	v_add_co_ci_u32_e64 v10, s0, 0, v8, s0
	s_delay_alu instid0(VALU_DEP_2)
	v_add_lshl_u32 v5, v5, v8, 2
	s_waitcnt lgkmcnt(0)
	v_add_f32_e32 v7, v7, v9
	ds_bpermute_b32 v9, v5, v7
	s_waitcnt lgkmcnt(0)
	v_dual_add_f32 v8, v7, v9 :: v_dual_lshlrev_b32 v7, 2, v10
	ds_bpermute_b32 v9, v7, v8
	v_cmpx_eq_u32_e32 0, v6
	s_cbranch_execz .LBB455_26
; %bb.25:
	v_lshrrev_b32_e32 v6, 3, v0
	s_waitcnt lgkmcnt(0)
	v_add_f32_e32 v8, v8, v9
	s_delay_alu instid0(VALU_DEP_2)
	v_and_b32_e32 v6, 0x7c, v6
	ds_store_b32 v6, v8
.LBB455_26:
	s_or_b32 exec_lo, exec_lo, s2
	v_mov_b32_e32 v6, 0
	s_waitcnt lgkmcnt(0)
	s_barrier
	buffer_gl0_inv
	s_and_saveexec_b32 s0, vcc_lo
	s_cbranch_execz .LBB455_28
; %bb.27:
	ds_load_b32 v6, v1
.LBB455_28:
	s_or_b32 exec_lo, exec_lo, s0
	s_and_saveexec_b32 s0, vcc_lo
	s_cbranch_execz .LBB455_30
; %bb.29:
	s_waitcnt lgkmcnt(0)
	ds_bpermute_b32 v1, v2, v6
	s_waitcnt lgkmcnt(0)
	v_add_f32_e32 v1, v6, v1
	ds_bpermute_b32 v2, v3, v1
	s_waitcnt lgkmcnt(0)
	v_add_f32_e32 v1, v1, v2
	;; [unrolled: 3-line block ×5, first 2 shown]
.LBB455_30:
	s_or_b32 exec_lo, exec_lo, s0
	s_delay_alu instid0(SALU_CYCLE_1)
	s_mov_b32 s0, exec_lo
                                        ; implicit-def: $vgpr1
                                        ; implicit-def: $sgpr16_sgpr17
	v_cmpx_eq_u32_e32 0, v0
	s_cbranch_execz .LBB455_34
; %bb.31:
	s_mul_i32 s2, s14, s5
	v_cmp_eq_f32_e64 s5, s15, 0
	s_mul_hi_u32 s3, s14, s4
	s_waitcnt lgkmcnt(0)
	v_mul_f32_e32 v0, s18, v6
	s_add_i32 s2, s3, s2
	s_mul_i32 s1, s1, s4
	s_and_b32 vcc_lo, exec_lo, s5
	s_add_i32 s17, s2, s1
	s_mul_i32 s16, s14, s4
	s_cbranch_vccnz .LBB455_33
; %bb.32:
	s_lshl_b64 s[2:3], s[16:17], 1
	v_mov_b32_e32 v1, 0
	s_add_u32 s2, s19, s2
	s_addc_u32 s3, s20, s3
	global_load_u16 v1, v1, s[2:3]
	s_waitcnt vmcnt(0)
	v_fma_mix_f32 v0, v1, s15, v0 op_sel_hi:[1,0,0]
.LBB455_33:
	s_delay_alu instid0(VALU_DEP_1)
	v_cvt_f16_f32_e32 v1, v0
	s_or_b32 s21, s21, exec_lo
.LBB455_34:
	s_or_b32 exec_lo, exec_lo, s0
.LBB455_35:
	s_and_saveexec_b32 s0, s21
	s_cbranch_execz .LBB455_37
; %bb.36:
	s_lshl_b64 s[0:1], s[16:17], 1
	v_mov_b32_e32 v0, 0
	s_add_u32 s0, s19, s0
	s_addc_u32 s1, s20, s1
	global_store_b16 v0, v1, s[0:1]
.LBB455_37:
	s_nop 0
	s_sendmsg sendmsg(MSG_DEALLOC_VGPRS)
	s_endpgm
	.section	.rodata,"a",@progbits
	.p2align	6, 0x0
	.amdhsa_kernel _ZL32rocblas_gemvt_warp_reduce_kernelILb0ELi1024ElPKDF16_fKPDF16_EviiT3_lPKT2_lT1_lS7_lS8_lS4_lPT4_lS8_li
		.amdhsa_group_segment_fixed_size 128
		.amdhsa_private_segment_fixed_size 0
		.amdhsa_kernarg_size 140
		.amdhsa_user_sgpr_count 14
		.amdhsa_user_sgpr_dispatch_ptr 0
		.amdhsa_user_sgpr_queue_ptr 0
		.amdhsa_user_sgpr_kernarg_segment_ptr 1
		.amdhsa_user_sgpr_dispatch_id 0
		.amdhsa_user_sgpr_private_segment_size 0
		.amdhsa_wavefront_size32 1
		.amdhsa_uses_dynamic_stack 0
		.amdhsa_enable_private_segment 0
		.amdhsa_system_sgpr_workgroup_id_x 1
		.amdhsa_system_sgpr_workgroup_id_y 0
		.amdhsa_system_sgpr_workgroup_id_z 1
		.amdhsa_system_sgpr_workgroup_info 0
		.amdhsa_system_vgpr_workitem_id 0
		.amdhsa_next_free_vgpr 11
		.amdhsa_next_free_sgpr 26
		.amdhsa_reserve_vcc 1
		.amdhsa_float_round_mode_32 0
		.amdhsa_float_round_mode_16_64 0
		.amdhsa_float_denorm_mode_32 3
		.amdhsa_float_denorm_mode_16_64 3
		.amdhsa_dx10_clamp 1
		.amdhsa_ieee_mode 1
		.amdhsa_fp16_overflow 0
		.amdhsa_workgroup_processor_mode 1
		.amdhsa_memory_ordered 1
		.amdhsa_forward_progress 0
		.amdhsa_shared_vgpr_count 0
		.amdhsa_exception_fp_ieee_invalid_op 0
		.amdhsa_exception_fp_denorm_src 0
		.amdhsa_exception_fp_ieee_div_zero 0
		.amdhsa_exception_fp_ieee_overflow 0
		.amdhsa_exception_fp_ieee_underflow 0
		.amdhsa_exception_fp_ieee_inexact 0
		.amdhsa_exception_int_div_zero 0
	.end_amdhsa_kernel
	.section	.text._ZL32rocblas_gemvt_warp_reduce_kernelILb0ELi1024ElPKDF16_fKPDF16_EviiT3_lPKT2_lT1_lS7_lS8_lS4_lPT4_lS8_li,"axG",@progbits,_ZL32rocblas_gemvt_warp_reduce_kernelILb0ELi1024ElPKDF16_fKPDF16_EviiT3_lPKT2_lT1_lS7_lS8_lS4_lPT4_lS8_li,comdat
.Lfunc_end455:
	.size	_ZL32rocblas_gemvt_warp_reduce_kernelILb0ELi1024ElPKDF16_fKPDF16_EviiT3_lPKT2_lT1_lS7_lS8_lS4_lPT4_lS8_li, .Lfunc_end455-_ZL32rocblas_gemvt_warp_reduce_kernelILb0ELi1024ElPKDF16_fKPDF16_EviiT3_lPKT2_lT1_lS7_lS8_lS4_lPT4_lS8_li
                                        ; -- End function
	.section	.AMDGPU.csdata,"",@progbits
; Kernel info:
; codeLenInByte = 1588
; NumSgprs: 28
; NumVgprs: 11
; ScratchSize: 0
; MemoryBound: 0
; FloatMode: 240
; IeeeMode: 1
; LDSByteSize: 128 bytes/workgroup (compile time only)
; SGPRBlocks: 3
; VGPRBlocks: 1
; NumSGPRsForWavesPerEU: 28
; NumVGPRsForWavesPerEU: 11
; Occupancy: 16
; WaveLimiterHint : 1
; COMPUTE_PGM_RSRC2:SCRATCH_EN: 0
; COMPUTE_PGM_RSRC2:USER_SGPR: 14
; COMPUTE_PGM_RSRC2:TRAP_HANDLER: 0
; COMPUTE_PGM_RSRC2:TGID_X_EN: 1
; COMPUTE_PGM_RSRC2:TGID_Y_EN: 0
; COMPUTE_PGM_RSRC2:TGID_Z_EN: 1
; COMPUTE_PGM_RSRC2:TIDIG_COMP_CNT: 0
	.section	.text._ZL22rocblas_gemvtsm_kernelILb1ELi256EPKDF16_PKfKPDF16_EviiT2_lPKT1_lilS9_lilS6_lPT3_lil,"axG",@progbits,_ZL22rocblas_gemvtsm_kernelILb1ELi256EPKDF16_PKfKPDF16_EviiT2_lPKT1_lilS9_lilS6_lPT3_lil,comdat
	.globl	_ZL22rocblas_gemvtsm_kernelILb1ELi256EPKDF16_PKfKPDF16_EviiT2_lPKT1_lilS9_lilS6_lPT3_lil ; -- Begin function _ZL22rocblas_gemvtsm_kernelILb1ELi256EPKDF16_PKfKPDF16_EviiT2_lPKT1_lilS9_lilS6_lPT3_lil
	.p2align	8
	.type	_ZL22rocblas_gemvtsm_kernelILb1ELi256EPKDF16_PKfKPDF16_EviiT2_lPKT1_lilS9_lilS6_lPT3_lil,@function
_ZL22rocblas_gemvtsm_kernelILb1ELi256EPKDF16_PKfKPDF16_EviiT2_lPKT1_lilS9_lilS6_lPT3_lil: ; @_ZL22rocblas_gemvtsm_kernelILb1ELi256EPKDF16_PKfKPDF16_EviiT2_lPKT1_lilS9_lilS6_lPT3_lil
; %bb.0:
	s_mov_b32 s2, s15
	s_clause 0x1
	s_load_b256 s[12:19], s[0:1], 0x8
	s_load_b256 s[4:11], s[0:1], 0x58
	s_waitcnt lgkmcnt(0)
	s_mul_i32 s3, s2, s15
	s_mul_hi_u32 s15, s2, s14
	s_mul_i32 s14, s2, s14
	s_add_i32 s15, s15, s3
	s_mul_i32 s3, s2, s7
	s_lshl_b64 s[14:15], s[14:15], 2
	s_mul_hi_u32 s7, s2, s6
	s_add_u32 s12, s12, s14
	s_addc_u32 s13, s13, s15
	s_add_i32 s7, s7, s3
	s_mul_i32 s6, s2, s6
	s_delay_alu instid0(SALU_CYCLE_1) | instskip(NEXT) | instid1(SALU_CYCLE_1)
	s_lshl_b64 s[6:7], s[6:7], 2
	s_add_u32 s4, s4, s6
	s_addc_u32 s5, s5, s7
	s_load_b32 s21, s[12:13], 0x0
	s_load_b32 s20, s[4:5], 0x0
	s_waitcnt lgkmcnt(0)
	v_cmp_eq_f32_e64 s7, s21, 0
	v_cmp_eq_f32_e64 s3, s20, 1.0
	s_delay_alu instid0(VALU_DEP_1) | instskip(NEXT) | instid1(SALU_CYCLE_1)
	s_and_b32 s3, s7, s3
	s_and_b32 vcc_lo, exec_lo, s3
	s_mov_b32 s3, 0
	s_cbranch_vccnz .LBB456_38
; %bb.1:
	v_cmp_neq_f32_e64 s4, s21, 0
	s_mov_b64 s[14:15], 0
	s_and_b32 vcc_lo, exec_lo, s7
	s_mov_b64 s[12:13], 0
	s_cbranch_vccnz .LBB456_3
; %bb.2:
	s_lshl_b64 s[12:13], s[2:3], 3
	s_delay_alu instid0(SALU_CYCLE_1)
	s_add_u32 s12, s16, s12
	s_addc_u32 s13, s17, s13
	s_lshl_b64 s[16:17], s[18:19], 1
	s_load_b64 s[12:13], s[12:13], 0x0
	s_waitcnt lgkmcnt(0)
	s_add_u32 s12, s12, s16
	s_addc_u32 s13, s13, s17
.LBB456_3:
	s_and_not1_b32 vcc_lo, exec_lo, s4
	s_cbranch_vccnz .LBB456_5
; %bb.4:
	s_load_b128 s[16:19], s[0:1], 0x38
	s_lshl_b64 s[4:5], s[2:3], 3
	s_waitcnt lgkmcnt(0)
	s_add_u32 s4, s16, s4
	s_addc_u32 s5, s17, s5
	s_lshl_b64 s[14:15], s[18:19], 1
	s_load_b64 s[4:5], s[4:5], 0x0
	s_waitcnt lgkmcnt(0)
	s_add_u32 s14, s4, s14
	s_addc_u32 s15, s5, s15
.LBB456_5:
	s_lshl_b64 s[2:3], s[2:3], 3
	s_delay_alu instid0(SALU_CYCLE_1)
	s_add_u32 s2, s8, s2
	s_addc_u32 s3, s9, s3
	s_clause 0x1
	s_load_b64 s[4:5], s[0:1], 0x0
	s_load_b32 s6, s[0:1], 0x78
	s_load_b64 s[8:9], s[2:3], 0x0
	s_and_not1_b32 vcc_lo, exec_lo, s7
	s_mov_b32 s2, -1
	s_cbranch_vccnz .LBB456_20
; %bb.6:
	s_waitcnt lgkmcnt(0)
	s_cmp_gt_i32 s5, 0
	v_cmp_neq_f32_e64 s2, s20, 0
	s_cselect_b32 s16, -1, 0
	s_delay_alu instid0(SALU_CYCLE_1) | instskip(NEXT) | instid1(VALU_DEP_2)
	v_cndmask_b32_e64 v1, 0, 1, s16
	s_and_b32 vcc_lo, exec_lo, s2
	s_delay_alu instid0(VALU_DEP_1)
	v_cmp_ne_u32_e64 s2, 1, v1
	s_cbranch_vccnz .LBB456_13
; %bb.7:
	s_delay_alu instid0(VALU_DEP_1)
	s_and_b32 vcc_lo, exec_lo, s2
	s_cbranch_vccnz .LBB456_12
; %bb.8:
	v_mad_i64_i32 v[1:2], null, s6, v0, 0
	s_lshl_b64 s[2:3], s[10:11], 1
	s_ashr_i32 s7, s6, 31
	s_add_u32 s2, s8, s2
	s_addc_u32 s3, s9, s3
	v_mov_b32_e32 v3, 0
	s_delay_alu instid0(VALU_DEP_2) | instskip(NEXT) | instid1(VALU_DEP_1)
	v_lshlrev_b64 v[1:2], 1, v[1:2]
	v_add_co_u32 v1, vcc_lo, s2, v1
	s_delay_alu instid0(VALU_DEP_2)
	v_add_co_ci_u32_e32 v2, vcc_lo, s3, v2, vcc_lo
	s_lshl_b64 s[2:3], s[6:7], 9
	s_mov_b32 s7, 0
	s_branch .LBB456_10
.LBB456_9:                              ;   in Loop: Header=BB456_10 Depth=1
	s_or_b32 exec_lo, exec_lo, s17
	v_add_co_u32 v1, vcc_lo, v1, s2
	v_add_co_ci_u32_e32 v2, vcc_lo, s3, v2, vcc_lo
	s_addk_i32 s7, 0x100
	s_delay_alu instid0(SALU_CYCLE_1)
	s_cmp_ge_i32 s7, s5
	s_cbranch_scc1 .LBB456_12
.LBB456_10:                             ; =>This Inner Loop Header: Depth=1
	v_add_nc_u32_e32 v4, s7, v0
	s_mov_b32 s17, exec_lo
	s_delay_alu instid0(VALU_DEP_1)
	v_cmpx_gt_i32_e64 s5, v4
	s_cbranch_execz .LBB456_9
; %bb.11:                               ;   in Loop: Header=BB456_10 Depth=1
	global_store_b16 v[1:2], v3, off
	s_branch .LBB456_9
.LBB456_12:
	s_cbranch_execz .LBB456_14
	s_branch .LBB456_19
.LBB456_13:
.LBB456_14:
	s_and_not1_b32 vcc_lo, exec_lo, s16
	s_cbranch_vccnz .LBB456_19
; %bb.15:
	v_mad_i64_i32 v[1:2], null, s6, v0, 0
	s_lshl_b64 s[2:3], s[10:11], 1
	s_ashr_i32 s7, s6, 31
	s_add_u32 s2, s8, s2
	s_addc_u32 s3, s9, s3
	s_delay_alu instid0(VALU_DEP_1) | instskip(NEXT) | instid1(VALU_DEP_1)
	v_lshlrev_b64 v[1:2], 1, v[1:2]
	v_add_co_u32 v1, vcc_lo, s2, v1
	s_delay_alu instid0(VALU_DEP_2)
	v_add_co_ci_u32_e32 v2, vcc_lo, s3, v2, vcc_lo
	s_lshl_b64 s[2:3], s[6:7], 9
	s_mov_b32 s7, 0
	s_branch .LBB456_17
	.p2align	6
.LBB456_16:                             ;   in Loop: Header=BB456_17 Depth=1
	s_or_b32 exec_lo, exec_lo, s16
	v_add_co_u32 v1, vcc_lo, v1, s2
	v_add_co_ci_u32_e32 v2, vcc_lo, s3, v2, vcc_lo
	s_addk_i32 s7, 0x100
	s_delay_alu instid0(SALU_CYCLE_1)
	s_cmp_ge_i32 s7, s5
	s_cbranch_scc1 .LBB456_19
.LBB456_17:                             ; =>This Inner Loop Header: Depth=1
	v_add_nc_u32_e32 v3, s7, v0
	s_mov_b32 s16, exec_lo
	s_delay_alu instid0(VALU_DEP_1)
	v_cmpx_gt_i32_e64 s5, v3
	s_cbranch_execz .LBB456_16
; %bb.18:                               ;   in Loop: Header=BB456_17 Depth=1
	global_load_u16 v3, v[1:2], off
	s_waitcnt vmcnt(0)
	v_fma_mixlo_f16 v3, s20, v3, 0 op_sel_hi:[0,1,0]
	global_store_b16 v[1:2], v3, off
	s_branch .LBB456_16
.LBB456_19:
	s_mov_b32 s2, 0
.LBB456_20:
	s_delay_alu instid0(SALU_CYCLE_1)
	s_and_not1_b32 vcc_lo, exec_lo, s2
	s_cbranch_vccnz .LBB456_38
; %bb.21:
	s_mov_b32 s2, exec_lo
	s_waitcnt lgkmcnt(0)
	v_cmpx_gt_i32_e64 s4, v0
	s_cbranch_execz .LBB456_23
; %bb.22:
	s_load_b32 s3, s[0:1], 0x48
	s_waitcnt lgkmcnt(0)
	v_mad_i64_i32 v[1:2], null, s3, v0, 0
	s_delay_alu instid0(VALU_DEP_1) | instskip(NEXT) | instid1(VALU_DEP_1)
	v_lshlrev_b64 v[1:2], 1, v[1:2]
	v_add_co_u32 v1, vcc_lo, s14, v1
	s_delay_alu instid0(VALU_DEP_2) | instskip(SKIP_4) | instid1(VALU_DEP_1)
	v_add_co_ci_u32_e32 v2, vcc_lo, s15, v2, vcc_lo
	flat_load_u16 v1, v[1:2]
	v_lshlrev_b32_e32 v2, 2, v0
	s_waitcnt vmcnt(0) lgkmcnt(0)
	v_cvt_f32_f16_e32 v1, v1
	v_mul_f32_e32 v1, s21, v1
	ds_store_b32 v2, v1
.LBB456_23:
	s_or_b32 exec_lo, exec_lo, s2
	s_cmp_lt_i32 s5, 1
	s_waitcnt lgkmcnt(0)
	s_waitcnt_vscnt null, 0x0
	s_barrier
	buffer_gl0_inv
	s_cbranch_scc1 .LBB456_38
; %bb.24:
	s_load_b32 s0, s[0:1], 0x28
	s_lshl_b64 s[2:3], s[10:11], 1
	s_delay_alu instid0(SALU_CYCLE_1)
	s_add_u32 s2, s8, s2
	s_addc_u32 s3, s9, s3
	s_ashr_i32 s7, s6, 31
	v_cmp_neq_f32_e64 s8, s20, 0
	s_waitcnt lgkmcnt(0)
	v_mad_i64_i32 v[1:2], null, s0, v0, 0
	s_ashr_i32 s1, s0, 31
	s_cmp_gt_i32 s4, 0
	s_cselect_b32 s9, -1, 0
	s_and_b32 s10, s4, 7
	s_cmp_gt_u32 s4, 7
	s_delay_alu instid0(VALU_DEP_1) | instskip(SKIP_3) | instid1(VALU_DEP_1)
	v_lshlrev_b64 v[1:2], 1, v[1:2]
	s_cselect_b32 s11, -1, 0
	s_and_b32 s4, s4, 0x7ffffff8
	s_cmp_lg_u32 s10, 0
	v_add_co_u32 v1, vcc_lo, s12, v1
	s_delay_alu instid0(VALU_DEP_2)
	v_add_co_ci_u32_e32 v2, vcc_lo, s13, v2, vcc_lo
	s_cselect_b32 s12, -1, 0
	s_mov_b32 s13, 0
	s_lshl_b64 s[0:1], s[0:1], 9
	s_branch .LBB456_27
.LBB456_25:                             ;   in Loop: Header=BB456_27 Depth=1
	s_delay_alu instid0(VALU_DEP_2) | instskip(NEXT) | instid1(VALU_DEP_2)
	v_add_co_u32 v3, vcc_lo, s2, v3
	v_cvt_f16_f32_e32 v5, v7
	v_add_co_ci_u32_e32 v4, vcc_lo, s3, v4, vcc_lo
	global_store_b16 v[3:4], v5, off
.LBB456_26:                             ;   in Loop: Header=BB456_27 Depth=1
	s_or_b32 exec_lo, exec_lo, s14
	v_add_co_u32 v1, vcc_lo, v1, s0
	v_add_co_ci_u32_e32 v2, vcc_lo, s1, v2, vcc_lo
	s_addk_i32 s13, 0x100
	s_delay_alu instid0(SALU_CYCLE_1)
	s_cmp_ge_i32 s13, s5
	s_cbranch_scc1 .LBB456_38
.LBB456_27:                             ; =>This Loop Header: Depth=1
                                        ;     Child Loop BB456_33 Depth 2
                                        ;     Child Loop BB456_37 Depth 2
	v_add_nc_u32_e32 v3, s13, v0
	s_mov_b32 s14, exec_lo
	s_delay_alu instid0(VALU_DEP_1)
	v_cmpx_gt_i32_e64 s5, v3
	s_cbranch_execz .LBB456_26
; %bb.28:                               ;   in Loop: Header=BB456_27 Depth=1
	v_mad_u64_u32 v[4:5], null, v3, s6, 0
	s_and_not1_b32 vcc_lo, exec_lo, s8
	s_delay_alu instid0(VALU_DEP_1) | instskip(NEXT) | instid1(VALU_DEP_1)
	v_mad_u64_u32 v[6:7], null, v3, s7, v[5:6]
	v_mov_b32_e32 v5, v6
	s_delay_alu instid0(VALU_DEP_1)
	v_lshlrev_b64 v[3:4], 1, v[4:5]
	s_cbranch_vccnz .LBB456_30
; %bb.29:                               ;   in Loop: Header=BB456_27 Depth=1
	s_delay_alu instid0(VALU_DEP_1) | instskip(NEXT) | instid1(VALU_DEP_2)
	v_add_co_u32 v5, vcc_lo, s2, v3
	v_add_co_ci_u32_e32 v6, vcc_lo, s3, v4, vcc_lo
	global_load_u16 v5, v[5:6], off
	s_waitcnt vmcnt(0)
	v_cvt_f32_f16_e32 v5, v5
	s_delay_alu instid0(VALU_DEP_1)
	v_mul_f32_e32 v7, s20, v5
	s_and_not1_b32 vcc_lo, exec_lo, s9
	s_cbranch_vccz .LBB456_31
	s_branch .LBB456_25
.LBB456_30:                             ;   in Loop: Header=BB456_27 Depth=1
	v_mov_b32_e32 v7, 0
	s_and_not1_b32 vcc_lo, exec_lo, s9
	s_cbranch_vccnz .LBB456_25
.LBB456_31:                             ;   in Loop: Header=BB456_27 Depth=1
	s_and_not1_b32 vcc_lo, exec_lo, s11
	s_cbranch_vccnz .LBB456_35
; %bb.32:                               ;   in Loop: Header=BB456_27 Depth=1
	v_dual_mov_b32 v6, v2 :: v_dual_mov_b32 v5, v1
	s_mov_b32 s15, 0
	s_mov_b32 s16, 0
	.p2align	6
.LBB456_33:                             ;   Parent Loop BB456_27 Depth=1
                                        ; =>  This Inner Loop Header: Depth=2
	flat_load_b128 v[8:11], v[5:6]
	v_mov_b32_e32 v16, s15
	v_add_co_u32 v5, vcc_lo, v5, 16
	v_add_co_ci_u32_e32 v6, vcc_lo, 0, v6, vcc_lo
	ds_load_b128 v[12:15], v16
	ds_load_b128 v[16:19], v16 offset:16
	s_add_i32 s16, s16, 8
	s_add_i32 s15, s15, 32
	s_cmp_eq_u32 s4, s16
	s_waitcnt vmcnt(0) lgkmcnt(1)
	v_fma_mix_f32 v7, v12, v8, v7 op_sel_hi:[0,1,0]
	s_delay_alu instid0(VALU_DEP_1) | instskip(NEXT) | instid1(VALU_DEP_1)
	v_fma_mix_f32 v7, v13, v8, v7 op_sel:[0,1,0] op_sel_hi:[0,1,0]
	v_fma_mix_f32 v7, v14, v9, v7 op_sel_hi:[0,1,0]
	s_delay_alu instid0(VALU_DEP_1) | instskip(SKIP_1) | instid1(VALU_DEP_1)
	v_fma_mix_f32 v7, v15, v9, v7 op_sel:[0,1,0] op_sel_hi:[0,1,0]
	s_waitcnt lgkmcnt(0)
	v_fma_mix_f32 v7, v16, v10, v7 op_sel_hi:[0,1,0]
	s_delay_alu instid0(VALU_DEP_1) | instskip(NEXT) | instid1(VALU_DEP_1)
	v_fma_mix_f32 v7, v17, v10, v7 op_sel:[0,1,0] op_sel_hi:[0,1,0]
	v_fma_mix_f32 v7, v18, v11, v7 op_sel_hi:[0,1,0]
	s_delay_alu instid0(VALU_DEP_1)
	v_fma_mix_f32 v7, v19, v11, v7 op_sel:[0,1,0] op_sel_hi:[0,1,0]
	s_cbranch_scc0 .LBB456_33
; %bb.34:                               ;   in Loop: Header=BB456_27 Depth=1
	s_mov_b32 s15, s4
	s_and_not1_b32 vcc_lo, exec_lo, s12
	s_cbranch_vccz .LBB456_36
	s_branch .LBB456_25
.LBB456_35:                             ;   in Loop: Header=BB456_27 Depth=1
	s_mov_b32 s15, 0
	s_and_not1_b32 vcc_lo, exec_lo, s12
	s_cbranch_vccnz .LBB456_25
.LBB456_36:                             ;   in Loop: Header=BB456_27 Depth=1
	s_lshl_b32 s16, s15, 1
	s_lshl_b32 s15, s15, 2
	v_add_co_u32 v5, vcc_lo, v1, s16
	v_add_co_ci_u32_e32 v6, vcc_lo, 0, v2, vcc_lo
	s_mov_b32 s16, s10
.LBB456_37:                             ;   Parent Loop BB456_27 Depth=1
                                        ; =>  This Inner Loop Header: Depth=2
	flat_load_u16 v8, v[5:6]
	v_mov_b32_e32 v9, s15
	v_add_co_u32 v5, vcc_lo, v5, 2
	v_add_co_ci_u32_e32 v6, vcc_lo, 0, v6, vcc_lo
	ds_load_b32 v9, v9
	s_add_i32 s16, s16, -1
	s_add_i32 s15, s15, 4
	s_cmp_lg_u32 s16, 0
	s_waitcnt vmcnt(0) lgkmcnt(0)
	v_fma_mix_f32 v7, v9, v8, v7 op_sel_hi:[0,1,0]
	s_cbranch_scc1 .LBB456_37
	s_branch .LBB456_25
.LBB456_38:
	s_nop 0
	s_sendmsg sendmsg(MSG_DEALLOC_VGPRS)
	s_endpgm
	.section	.rodata,"a",@progbits
	.p2align	6, 0x0
	.amdhsa_kernel _ZL22rocblas_gemvtsm_kernelILb1ELi256EPKDF16_PKfKPDF16_EviiT2_lPKT1_lilS9_lilS6_lPT3_lil
		.amdhsa_group_segment_fixed_size 256
		.amdhsa_private_segment_fixed_size 0
		.amdhsa_kernarg_size 136
		.amdhsa_user_sgpr_count 15
		.amdhsa_user_sgpr_dispatch_ptr 0
		.amdhsa_user_sgpr_queue_ptr 0
		.amdhsa_user_sgpr_kernarg_segment_ptr 1
		.amdhsa_user_sgpr_dispatch_id 0
		.amdhsa_user_sgpr_private_segment_size 0
		.amdhsa_wavefront_size32 1
		.amdhsa_uses_dynamic_stack 0
		.amdhsa_enable_private_segment 0
		.amdhsa_system_sgpr_workgroup_id_x 1
		.amdhsa_system_sgpr_workgroup_id_y 0
		.amdhsa_system_sgpr_workgroup_id_z 0
		.amdhsa_system_sgpr_workgroup_info 0
		.amdhsa_system_vgpr_workitem_id 0
		.amdhsa_next_free_vgpr 20
		.amdhsa_next_free_sgpr 22
		.amdhsa_reserve_vcc 1
		.amdhsa_float_round_mode_32 0
		.amdhsa_float_round_mode_16_64 0
		.amdhsa_float_denorm_mode_32 3
		.amdhsa_float_denorm_mode_16_64 3
		.amdhsa_dx10_clamp 1
		.amdhsa_ieee_mode 1
		.amdhsa_fp16_overflow 0
		.amdhsa_workgroup_processor_mode 1
		.amdhsa_memory_ordered 1
		.amdhsa_forward_progress 0
		.amdhsa_shared_vgpr_count 0
		.amdhsa_exception_fp_ieee_invalid_op 0
		.amdhsa_exception_fp_denorm_src 0
		.amdhsa_exception_fp_ieee_div_zero 0
		.amdhsa_exception_fp_ieee_overflow 0
		.amdhsa_exception_fp_ieee_underflow 0
		.amdhsa_exception_fp_ieee_inexact 0
		.amdhsa_exception_int_div_zero 0
	.end_amdhsa_kernel
	.section	.text._ZL22rocblas_gemvtsm_kernelILb1ELi256EPKDF16_PKfKPDF16_EviiT2_lPKT1_lilS9_lilS6_lPT3_lil,"axG",@progbits,_ZL22rocblas_gemvtsm_kernelILb1ELi256EPKDF16_PKfKPDF16_EviiT2_lPKT1_lilS9_lilS6_lPT3_lil,comdat
.Lfunc_end456:
	.size	_ZL22rocblas_gemvtsm_kernelILb1ELi256EPKDF16_PKfKPDF16_EviiT2_lPKT1_lilS9_lilS6_lPT3_lil, .Lfunc_end456-_ZL22rocblas_gemvtsm_kernelILb1ELi256EPKDF16_PKfKPDF16_EviiT2_lPKT1_lilS9_lilS6_lPT3_lil
                                        ; -- End function
	.section	.AMDGPU.csdata,"",@progbits
; Kernel info:
; codeLenInByte = 1452
; NumSgprs: 24
; NumVgprs: 20
; ScratchSize: 0
; MemoryBound: 0
; FloatMode: 240
; IeeeMode: 1
; LDSByteSize: 256 bytes/workgroup (compile time only)
; SGPRBlocks: 2
; VGPRBlocks: 2
; NumSGPRsForWavesPerEU: 24
; NumVGPRsForWavesPerEU: 20
; Occupancy: 16
; WaveLimiterHint : 1
; COMPUTE_PGM_RSRC2:SCRATCH_EN: 0
; COMPUTE_PGM_RSRC2:USER_SGPR: 15
; COMPUTE_PGM_RSRC2:TRAP_HANDLER: 0
; COMPUTE_PGM_RSRC2:TGID_X_EN: 1
; COMPUTE_PGM_RSRC2:TGID_Y_EN: 0
; COMPUTE_PGM_RSRC2:TGID_Z_EN: 0
; COMPUTE_PGM_RSRC2:TIDIG_COMP_CNT: 0
	.section	.text._ZL22rocblas_gemvtsm_kernelILb1ELi256EPKDF16_fKPDF16_EviiT2_lPKT1_lilS7_lilS4_lPT3_lil,"axG",@progbits,_ZL22rocblas_gemvtsm_kernelILb1ELi256EPKDF16_fKPDF16_EviiT2_lPKT1_lilS7_lilS4_lPT3_lil,comdat
	.globl	_ZL22rocblas_gemvtsm_kernelILb1ELi256EPKDF16_fKPDF16_EviiT2_lPKT1_lilS7_lilS4_lPT3_lil ; -- Begin function _ZL22rocblas_gemvtsm_kernelILb1ELi256EPKDF16_fKPDF16_EviiT2_lPKT1_lilS7_lilS4_lPT3_lil
	.p2align	8
	.type	_ZL22rocblas_gemvtsm_kernelILb1ELi256EPKDF16_fKPDF16_EviiT2_lPKT1_lilS7_lilS4_lPT3_lil,@function
_ZL22rocblas_gemvtsm_kernelILb1ELi256EPKDF16_fKPDF16_EviiT2_lPKT1_lilS7_lilS4_lPT3_lil: ; @_ZL22rocblas_gemvtsm_kernelILb1ELi256EPKDF16_fKPDF16_EviiT2_lPKT1_lilS7_lilS4_lPT3_lil
; %bb.0:
	s_load_b128 s[4:7], s[0:1], 0x0
	s_waitcnt lgkmcnt(0)
	s_load_b32 s7, s[0:1], 0x58
	v_cmp_eq_f32_e64 s13, s6, 0
	s_waitcnt lgkmcnt(0)
	v_cmp_eq_f32_e64 s3, s7, 1.0
	s_delay_alu instid0(VALU_DEP_1) | instskip(NEXT) | instid1(SALU_CYCLE_1)
	s_and_b32 s3, s13, s3
	s_and_b32 vcc_lo, exec_lo, s3
	s_cbranch_vccnz .LBB457_41
; %bb.1:
	v_cmp_neq_f32_e64 s8, s6, 0
	s_mov_b32 s2, s15
	s_delay_alu instid0(VALU_DEP_1)
	s_and_b32 vcc_lo, exec_lo, s8
	s_cbranch_vccnz .LBB457_3
; %bb.2:
	s_mov_b32 s3, 0
	s_mov_b64 s[14:15], 0
	s_cbranch_execz .LBB457_4
	s_branch .LBB457_5
.LBB457_3:
	s_mov_b32 s3, -1
                                        ; implicit-def: $sgpr14_sgpr15
.LBB457_4:
	s_load_b128 s[16:19], s[0:1], 0x18
	s_mov_b32 s3, 0
	s_delay_alu instid0(SALU_CYCLE_1)
	s_lshl_b64 s[10:11], s[2:3], 3
	s_waitcnt lgkmcnt(0)
	s_add_u32 s10, s16, s10
	s_addc_u32 s11, s17, s11
	s_lshl_b64 s[14:15], s[18:19], 1
	s_load_b64 s[10:11], s[10:11], 0x0
	s_waitcnt lgkmcnt(0)
	s_add_u32 s14, s10, s14
	s_addc_u32 s15, s11, s15
.LBB457_5:
	s_and_not1_b32 vcc_lo, exec_lo, s8
	s_cbranch_vccnz .LBB457_7
; %bb.6:
	s_load_b128 s[8:11], s[0:1], 0x38
	s_lshl_b64 s[16:17], s[2:3], 3
	s_waitcnt lgkmcnt(0)
	s_add_u32 s8, s8, s16
	s_addc_u32 s9, s9, s17
	s_lshl_b64 s[10:11], s[10:11], 1
	s_load_b64 s[8:9], s[8:9], 0x0
	s_waitcnt lgkmcnt(0)
	s_add_u32 s16, s8, s10
	s_addc_u32 s17, s9, s11
	s_branch .LBB457_8
.LBB457_7:
	s_mov_b64 s[16:17], 0
.LBB457_8:
	s_clause 0x1
	s_load_b128 s[8:11], s[0:1], 0x68
	s_load_b32 s12, s[0:1], 0x78
	s_lshl_b64 s[2:3], s[2:3], 3
	s_waitcnt lgkmcnt(0)
	s_add_u32 s2, s8, s2
	s_addc_u32 s3, s9, s3
	s_and_not1_b32 vcc_lo, exec_lo, s13
	s_load_b64 s[8:9], s[2:3], 0x0
	s_mov_b32 s2, -1
	s_cbranch_vccnz .LBB457_23
; %bb.9:
	s_cmp_gt_i32 s5, 0
	v_cmp_neq_f32_e64 s2, s7, 0
	s_cselect_b32 s18, -1, 0
	s_delay_alu instid0(SALU_CYCLE_1) | instskip(NEXT) | instid1(VALU_DEP_2)
	v_cndmask_b32_e64 v1, 0, 1, s18
	s_and_b32 vcc_lo, exec_lo, s2
	s_delay_alu instid0(VALU_DEP_1)
	v_cmp_ne_u32_e64 s2, 1, v1
	s_cbranch_vccnz .LBB457_16
; %bb.10:
	s_delay_alu instid0(VALU_DEP_1)
	s_and_b32 vcc_lo, exec_lo, s2
	s_cbranch_vccnz .LBB457_15
; %bb.11:
	v_mad_i64_i32 v[1:2], null, s12, v0, 0
	s_lshl_b64 s[2:3], s[10:11], 1
	s_ashr_i32 s13, s12, 31
	s_waitcnt lgkmcnt(0)
	s_add_u32 s2, s8, s2
	s_addc_u32 s3, s9, s3
	v_mov_b32_e32 v3, 0
	s_delay_alu instid0(VALU_DEP_2) | instskip(NEXT) | instid1(VALU_DEP_1)
	v_lshlrev_b64 v[1:2], 1, v[1:2]
	v_add_co_u32 v1, vcc_lo, s2, v1
	s_delay_alu instid0(VALU_DEP_2)
	v_add_co_ci_u32_e32 v2, vcc_lo, s3, v2, vcc_lo
	s_lshl_b64 s[2:3], s[12:13], 9
	s_mov_b32 s13, 0
	s_branch .LBB457_13
.LBB457_12:                             ;   in Loop: Header=BB457_13 Depth=1
	s_or_b32 exec_lo, exec_lo, s19
	v_add_co_u32 v1, vcc_lo, v1, s2
	v_add_co_ci_u32_e32 v2, vcc_lo, s3, v2, vcc_lo
	s_addk_i32 s13, 0x100
	s_delay_alu instid0(SALU_CYCLE_1)
	s_cmp_ge_i32 s13, s5
	s_cbranch_scc1 .LBB457_15
.LBB457_13:                             ; =>This Inner Loop Header: Depth=1
	v_add_nc_u32_e32 v4, s13, v0
	s_mov_b32 s19, exec_lo
	s_delay_alu instid0(VALU_DEP_1)
	v_cmpx_gt_i32_e64 s5, v4
	s_cbranch_execz .LBB457_12
; %bb.14:                               ;   in Loop: Header=BB457_13 Depth=1
	global_store_b16 v[1:2], v3, off
	s_branch .LBB457_12
.LBB457_15:
	s_cbranch_execz .LBB457_17
	s_branch .LBB457_22
.LBB457_16:
.LBB457_17:
	s_and_not1_b32 vcc_lo, exec_lo, s18
	s_cbranch_vccnz .LBB457_22
; %bb.18:
	v_mad_i64_i32 v[1:2], null, s12, v0, 0
	s_lshl_b64 s[2:3], s[10:11], 1
	s_ashr_i32 s13, s12, 31
	s_waitcnt lgkmcnt(0)
	s_add_u32 s2, s8, s2
	s_addc_u32 s3, s9, s3
	s_delay_alu instid0(VALU_DEP_1) | instskip(NEXT) | instid1(VALU_DEP_1)
	v_lshlrev_b64 v[1:2], 1, v[1:2]
	v_add_co_u32 v1, vcc_lo, s2, v1
	s_delay_alu instid0(VALU_DEP_2)
	v_add_co_ci_u32_e32 v2, vcc_lo, s3, v2, vcc_lo
	s_lshl_b64 s[2:3], s[12:13], 9
	s_mov_b32 s13, 0
	s_branch .LBB457_20
	.p2align	6
.LBB457_19:                             ;   in Loop: Header=BB457_20 Depth=1
	s_or_b32 exec_lo, exec_lo, s18
	v_add_co_u32 v1, vcc_lo, v1, s2
	v_add_co_ci_u32_e32 v2, vcc_lo, s3, v2, vcc_lo
	s_addk_i32 s13, 0x100
	s_delay_alu instid0(SALU_CYCLE_1)
	s_cmp_ge_i32 s13, s5
	s_cbranch_scc1 .LBB457_22
.LBB457_20:                             ; =>This Inner Loop Header: Depth=1
	v_add_nc_u32_e32 v3, s13, v0
	s_mov_b32 s18, exec_lo
	s_delay_alu instid0(VALU_DEP_1)
	v_cmpx_gt_i32_e64 s5, v3
	s_cbranch_execz .LBB457_19
; %bb.21:                               ;   in Loop: Header=BB457_20 Depth=1
	global_load_u16 v3, v[1:2], off
	s_waitcnt vmcnt(0)
	v_fma_mixlo_f16 v3, v3, s7, 0 op_sel_hi:[1,0,0]
	global_store_b16 v[1:2], v3, off
	s_branch .LBB457_19
.LBB457_22:
	s_mov_b32 s2, 0
.LBB457_23:
	s_delay_alu instid0(SALU_CYCLE_1)
	s_and_not1_b32 vcc_lo, exec_lo, s2
	s_cbranch_vccnz .LBB457_41
; %bb.24:
	s_mov_b32 s2, exec_lo
	v_cmpx_gt_i32_e64 s4, v0
	s_cbranch_execz .LBB457_26
; %bb.25:
	s_load_b32 s3, s[0:1], 0x48
	s_waitcnt lgkmcnt(0)
	v_mad_i64_i32 v[1:2], null, s3, v0, 0
	s_delay_alu instid0(VALU_DEP_1) | instskip(NEXT) | instid1(VALU_DEP_1)
	v_lshlrev_b64 v[1:2], 1, v[1:2]
	v_add_co_u32 v1, vcc_lo, s16, v1
	s_delay_alu instid0(VALU_DEP_2) | instskip(SKIP_4) | instid1(VALU_DEP_1)
	v_add_co_ci_u32_e32 v2, vcc_lo, s17, v2, vcc_lo
	flat_load_u16 v1, v[1:2]
	v_lshlrev_b32_e32 v2, 2, v0
	s_waitcnt vmcnt(0) lgkmcnt(0)
	v_cvt_f32_f16_e32 v1, v1
	v_mul_f32_e32 v1, s6, v1
	ds_store_b32 v2, v1
.LBB457_26:
	s_or_b32 exec_lo, exec_lo, s2
	s_cmp_lt_i32 s5, 1
	s_waitcnt lgkmcnt(0)
	s_waitcnt_vscnt null, 0x0
	s_barrier
	buffer_gl0_inv
	s_cbranch_scc1 .LBB457_41
; %bb.27:
	s_load_b32 s0, s[0:1], 0x28
	s_lshl_b64 s[2:3], s[10:11], 1
	s_delay_alu instid0(SALU_CYCLE_1)
	s_add_u32 s2, s8, s2
	s_addc_u32 s3, s9, s3
	s_ashr_i32 s6, s12, 31
	v_cmp_neq_f32_e64 s8, s7, 0
	s_waitcnt lgkmcnt(0)
	v_mad_i64_i32 v[1:2], null, s0, v0, 0
	s_ashr_i32 s1, s0, 31
	s_cmp_gt_i32 s4, 0
	s_cselect_b32 s9, -1, 0
	s_and_b32 s10, s4, 7
	s_cmp_gt_u32 s4, 7
	s_delay_alu instid0(VALU_DEP_1) | instskip(SKIP_4) | instid1(VALU_DEP_1)
	v_lshlrev_b64 v[1:2], 1, v[1:2]
	s_cselect_b32 s11, -1, 0
	s_and_b32 s4, s4, 0x7ffffff8
	s_cmp_lg_u32 s10, 0
	s_cselect_b32 s13, -1, 0
	v_add_co_u32 v1, vcc_lo, s14, v1
	v_add_co_ci_u32_e32 v2, vcc_lo, s15, v2, vcc_lo
	s_mov_b32 s14, 0
	s_lshl_b64 s[0:1], s[0:1], 9
	s_branch .LBB457_30
.LBB457_28:                             ;   in Loop: Header=BB457_30 Depth=1
	s_delay_alu instid0(VALU_DEP_2) | instskip(NEXT) | instid1(VALU_DEP_2)
	v_add_co_u32 v3, vcc_lo, s2, v3
	v_cvt_f16_f32_e32 v5, v7
	v_add_co_ci_u32_e32 v4, vcc_lo, s3, v4, vcc_lo
	global_store_b16 v[3:4], v5, off
.LBB457_29:                             ;   in Loop: Header=BB457_30 Depth=1
	s_or_b32 exec_lo, exec_lo, s15
	v_add_co_u32 v1, vcc_lo, v1, s0
	v_add_co_ci_u32_e32 v2, vcc_lo, s1, v2, vcc_lo
	s_addk_i32 s14, 0x100
	s_delay_alu instid0(SALU_CYCLE_1)
	s_cmp_ge_i32 s14, s5
	s_cbranch_scc1 .LBB457_41
.LBB457_30:                             ; =>This Loop Header: Depth=1
                                        ;     Child Loop BB457_36 Depth 2
                                        ;     Child Loop BB457_40 Depth 2
	v_add_nc_u32_e32 v3, s14, v0
	s_mov_b32 s15, exec_lo
	s_delay_alu instid0(VALU_DEP_1)
	v_cmpx_gt_i32_e64 s5, v3
	s_cbranch_execz .LBB457_29
; %bb.31:                               ;   in Loop: Header=BB457_30 Depth=1
	v_mad_u64_u32 v[4:5], null, v3, s12, 0
	s_and_not1_b32 vcc_lo, exec_lo, s8
	s_delay_alu instid0(VALU_DEP_1) | instskip(NEXT) | instid1(VALU_DEP_1)
	v_mad_u64_u32 v[6:7], null, v3, s6, v[5:6]
	v_mov_b32_e32 v5, v6
	s_delay_alu instid0(VALU_DEP_1)
	v_lshlrev_b64 v[3:4], 1, v[4:5]
	s_cbranch_vccnz .LBB457_33
; %bb.32:                               ;   in Loop: Header=BB457_30 Depth=1
	s_delay_alu instid0(VALU_DEP_1) | instskip(NEXT) | instid1(VALU_DEP_2)
	v_add_co_u32 v5, vcc_lo, s2, v3
	v_add_co_ci_u32_e32 v6, vcc_lo, s3, v4, vcc_lo
	global_load_u16 v5, v[5:6], off
	s_waitcnt vmcnt(0)
	v_cvt_f32_f16_e32 v5, v5
	s_delay_alu instid0(VALU_DEP_1)
	v_mul_f32_e32 v7, s7, v5
	s_and_not1_b32 vcc_lo, exec_lo, s9
	s_cbranch_vccz .LBB457_34
	s_branch .LBB457_28
.LBB457_33:                             ;   in Loop: Header=BB457_30 Depth=1
	v_mov_b32_e32 v7, 0
	s_and_not1_b32 vcc_lo, exec_lo, s9
	s_cbranch_vccnz .LBB457_28
.LBB457_34:                             ;   in Loop: Header=BB457_30 Depth=1
	s_and_not1_b32 vcc_lo, exec_lo, s11
	s_cbranch_vccnz .LBB457_38
; %bb.35:                               ;   in Loop: Header=BB457_30 Depth=1
	v_dual_mov_b32 v6, v2 :: v_dual_mov_b32 v5, v1
	s_mov_b32 s16, 0
	s_mov_b32 s17, 0
	.p2align	6
.LBB457_36:                             ;   Parent Loop BB457_30 Depth=1
                                        ; =>  This Inner Loop Header: Depth=2
	flat_load_b128 v[8:11], v[5:6]
	v_mov_b32_e32 v16, s16
	v_add_co_u32 v5, vcc_lo, v5, 16
	v_add_co_ci_u32_e32 v6, vcc_lo, 0, v6, vcc_lo
	ds_load_b128 v[12:15], v16
	ds_load_b128 v[16:19], v16 offset:16
	s_add_i32 s17, s17, 8
	s_add_i32 s16, s16, 32
	s_cmp_eq_u32 s4, s17
	s_waitcnt vmcnt(0) lgkmcnt(1)
	v_fma_mix_f32 v7, v12, v8, v7 op_sel_hi:[0,1,0]
	s_delay_alu instid0(VALU_DEP_1) | instskip(NEXT) | instid1(VALU_DEP_1)
	v_fma_mix_f32 v7, v13, v8, v7 op_sel:[0,1,0] op_sel_hi:[0,1,0]
	v_fma_mix_f32 v7, v14, v9, v7 op_sel_hi:[0,1,0]
	s_delay_alu instid0(VALU_DEP_1) | instskip(SKIP_1) | instid1(VALU_DEP_1)
	v_fma_mix_f32 v7, v15, v9, v7 op_sel:[0,1,0] op_sel_hi:[0,1,0]
	s_waitcnt lgkmcnt(0)
	v_fma_mix_f32 v7, v16, v10, v7 op_sel_hi:[0,1,0]
	s_delay_alu instid0(VALU_DEP_1) | instskip(NEXT) | instid1(VALU_DEP_1)
	v_fma_mix_f32 v7, v17, v10, v7 op_sel:[0,1,0] op_sel_hi:[0,1,0]
	v_fma_mix_f32 v7, v18, v11, v7 op_sel_hi:[0,1,0]
	s_delay_alu instid0(VALU_DEP_1)
	v_fma_mix_f32 v7, v19, v11, v7 op_sel:[0,1,0] op_sel_hi:[0,1,0]
	s_cbranch_scc0 .LBB457_36
; %bb.37:                               ;   in Loop: Header=BB457_30 Depth=1
	s_mov_b32 s16, s4
	s_and_not1_b32 vcc_lo, exec_lo, s13
	s_cbranch_vccz .LBB457_39
	s_branch .LBB457_28
.LBB457_38:                             ;   in Loop: Header=BB457_30 Depth=1
	s_mov_b32 s16, 0
	s_and_not1_b32 vcc_lo, exec_lo, s13
	s_cbranch_vccnz .LBB457_28
.LBB457_39:                             ;   in Loop: Header=BB457_30 Depth=1
	s_lshl_b32 s17, s16, 1
	s_lshl_b32 s16, s16, 2
	v_add_co_u32 v5, vcc_lo, v1, s17
	v_add_co_ci_u32_e32 v6, vcc_lo, 0, v2, vcc_lo
	s_mov_b32 s17, s10
.LBB457_40:                             ;   Parent Loop BB457_30 Depth=1
                                        ; =>  This Inner Loop Header: Depth=2
	flat_load_u16 v8, v[5:6]
	v_mov_b32_e32 v9, s16
	v_add_co_u32 v5, vcc_lo, v5, 2
	v_add_co_ci_u32_e32 v6, vcc_lo, 0, v6, vcc_lo
	ds_load_b32 v9, v9
	s_add_i32 s17, s17, -1
	s_add_i32 s16, s16, 4
	s_cmp_lg_u32 s17, 0
	s_waitcnt vmcnt(0) lgkmcnt(0)
	v_fma_mix_f32 v7, v9, v8, v7 op_sel_hi:[0,1,0]
	s_cbranch_scc1 .LBB457_40
	s_branch .LBB457_28
.LBB457_41:
	s_nop 0
	s_sendmsg sendmsg(MSG_DEALLOC_VGPRS)
	s_endpgm
	.section	.rodata,"a",@progbits
	.p2align	6, 0x0
	.amdhsa_kernel _ZL22rocblas_gemvtsm_kernelILb1ELi256EPKDF16_fKPDF16_EviiT2_lPKT1_lilS7_lilS4_lPT3_lil
		.amdhsa_group_segment_fixed_size 256
		.amdhsa_private_segment_fixed_size 0
		.amdhsa_kernarg_size 136
		.amdhsa_user_sgpr_count 15
		.amdhsa_user_sgpr_dispatch_ptr 0
		.amdhsa_user_sgpr_queue_ptr 0
		.amdhsa_user_sgpr_kernarg_segment_ptr 1
		.amdhsa_user_sgpr_dispatch_id 0
		.amdhsa_user_sgpr_private_segment_size 0
		.amdhsa_wavefront_size32 1
		.amdhsa_uses_dynamic_stack 0
		.amdhsa_enable_private_segment 0
		.amdhsa_system_sgpr_workgroup_id_x 1
		.amdhsa_system_sgpr_workgroup_id_y 0
		.amdhsa_system_sgpr_workgroup_id_z 0
		.amdhsa_system_sgpr_workgroup_info 0
		.amdhsa_system_vgpr_workitem_id 0
		.amdhsa_next_free_vgpr 20
		.amdhsa_next_free_sgpr 20
		.amdhsa_reserve_vcc 1
		.amdhsa_float_round_mode_32 0
		.amdhsa_float_round_mode_16_64 0
		.amdhsa_float_denorm_mode_32 3
		.amdhsa_float_denorm_mode_16_64 3
		.amdhsa_dx10_clamp 1
		.amdhsa_ieee_mode 1
		.amdhsa_fp16_overflow 0
		.amdhsa_workgroup_processor_mode 1
		.amdhsa_memory_ordered 1
		.amdhsa_forward_progress 0
		.amdhsa_shared_vgpr_count 0
		.amdhsa_exception_fp_ieee_invalid_op 0
		.amdhsa_exception_fp_denorm_src 0
		.amdhsa_exception_fp_ieee_div_zero 0
		.amdhsa_exception_fp_ieee_overflow 0
		.amdhsa_exception_fp_ieee_underflow 0
		.amdhsa_exception_fp_ieee_inexact 0
		.amdhsa_exception_int_div_zero 0
	.end_amdhsa_kernel
	.section	.text._ZL22rocblas_gemvtsm_kernelILb1ELi256EPKDF16_fKPDF16_EviiT2_lPKT1_lilS7_lilS4_lPT3_lil,"axG",@progbits,_ZL22rocblas_gemvtsm_kernelILb1ELi256EPKDF16_fKPDF16_EviiT2_lPKT1_lilS7_lilS4_lPT3_lil,comdat
.Lfunc_end457:
	.size	_ZL22rocblas_gemvtsm_kernelILb1ELi256EPKDF16_fKPDF16_EviiT2_lPKT1_lilS7_lilS4_lPT3_lil, .Lfunc_end457-_ZL22rocblas_gemvtsm_kernelILb1ELi256EPKDF16_fKPDF16_EviiT2_lPKT1_lilS7_lilS4_lPT3_lil
                                        ; -- End function
	.section	.AMDGPU.csdata,"",@progbits
; Kernel info:
; codeLenInByte = 1404
; NumSgprs: 22
; NumVgprs: 20
; ScratchSize: 0
; MemoryBound: 0
; FloatMode: 240
; IeeeMode: 1
; LDSByteSize: 256 bytes/workgroup (compile time only)
; SGPRBlocks: 2
; VGPRBlocks: 2
; NumSGPRsForWavesPerEU: 22
; NumVGPRsForWavesPerEU: 20
; Occupancy: 16
; WaveLimiterHint : 1
; COMPUTE_PGM_RSRC2:SCRATCH_EN: 0
; COMPUTE_PGM_RSRC2:USER_SGPR: 15
; COMPUTE_PGM_RSRC2:TRAP_HANDLER: 0
; COMPUTE_PGM_RSRC2:TGID_X_EN: 1
; COMPUTE_PGM_RSRC2:TGID_Y_EN: 0
; COMPUTE_PGM_RSRC2:TGID_Z_EN: 0
; COMPUTE_PGM_RSRC2:TIDIG_COMP_CNT: 0
	.section	.text._ZL23rocblas_gemvt_sn_kernelILb1ELi256ELi4EiPKDF16_PKffEviiT4_lPKT3_lilS7_lilPT5_i,"axG",@progbits,_ZL23rocblas_gemvt_sn_kernelILb1ELi256ELi4EiPKDF16_PKffEviiT4_lPKT3_lilS7_lilPT5_i,comdat
	.globl	_ZL23rocblas_gemvt_sn_kernelILb1ELi256ELi4EiPKDF16_PKffEviiT4_lPKT3_lilS7_lilPT5_i ; -- Begin function _ZL23rocblas_gemvt_sn_kernelILb1ELi256ELi4EiPKDF16_PKffEviiT4_lPKT3_lilS7_lilPT5_i
	.p2align	8
	.type	_ZL23rocblas_gemvt_sn_kernelILb1ELi256ELi4EiPKDF16_PKffEviiT4_lPKT3_lilS7_lilPT5_i,@function
_ZL23rocblas_gemvt_sn_kernelILb1ELi256ELi4EiPKDF16_PKffEviiT4_lPKT3_lilS7_lilPT5_i: ; @_ZL23rocblas_gemvt_sn_kernelILb1ELi256ELi4EiPKDF16_PKffEviiT4_lPKT3_lilS7_lilPT5_i
; %bb.0:
	s_load_b256 s[4:11], s[0:1], 0x8
	s_mov_b32 s16, s15
	s_mov_b32 s17, 0
	s_mov_b64 s[12:13], 0
	s_waitcnt lgkmcnt(0)
	s_mul_i32 s2, s15, s7
	s_mul_hi_u32 s3, s15, s6
	s_delay_alu instid0(SALU_CYCLE_1) | instskip(SKIP_1) | instid1(SALU_CYCLE_1)
	s_add_i32 s3, s3, s2
	s_mul_i32 s2, s15, s6
	s_lshl_b64 s[2:3], s[2:3], 2
	s_delay_alu instid0(SALU_CYCLE_1)
	s_add_u32 s2, s4, s2
	s_addc_u32 s3, s5, s3
	s_load_b32 s28, s[2:3], 0x0
	s_mov_b64 s[2:3], 0
	s_waitcnt lgkmcnt(0)
	v_cmp_eq_f32_e64 s4, s28, 0
	v_cmp_neq_f32_e64 s5, s28, 0
	s_delay_alu instid0(VALU_DEP_2)
	s_and_b32 vcc_lo, exec_lo, s4
	s_cbranch_vccnz .LBB458_2
; %bb.1:
	s_lshl_b64 s[2:3], s[16:17], 3
	s_delay_alu instid0(SALU_CYCLE_1)
	s_add_u32 s2, s8, s2
	s_addc_u32 s3, s9, s3
	s_lshl_b64 s[6:7], s[10:11], 1
	s_load_b64 s[2:3], s[2:3], 0x0
	s_waitcnt lgkmcnt(0)
	s_add_u32 s2, s2, s6
	s_addc_u32 s3, s3, s7
.LBB458_2:
	s_delay_alu instid0(VALU_DEP_1)
	s_and_not1_b32 vcc_lo, exec_lo, s5
	s_cbranch_vccnz .LBB458_4
; %bb.3:
	s_load_b128 s[8:11], s[0:1], 0x38
	s_lshl_b64 s[6:7], s[16:17], 3
	s_waitcnt lgkmcnt(0)
	s_add_u32 s6, s8, s6
	s_addc_u32 s7, s9, s7
	s_lshl_b64 s[8:9], s[10:11], 1
	s_load_b64 s[6:7], s[6:7], 0x0
	s_waitcnt lgkmcnt(0)
	s_add_u32 s12, s6, s8
	s_addc_u32 s13, s7, s9
.LBB458_4:
	s_clause 0x2
	s_load_b64 s[8:9], s[0:1], 0x0
	s_load_b32 s10, s[0:1], 0x68
	s_load_b64 s[6:7], s[0:1], 0x58
	s_waitcnt lgkmcnt(0)
	s_ashr_i32 s17, s9, 31
	s_mul_hi_u32 s5, s9, s16
	s_mul_i32 s11, s17, s16
	s_mul_i32 s15, s9, s16
	s_add_i32 s5, s5, s11
	s_mul_hi_u32 s11, s15, s10
	s_mul_i32 s5, s5, s10
	s_mul_i32 s18, s15, s10
	s_add_i32 s19, s11, s5
	s_mov_b32 s11, 0
	s_lshl_b64 s[18:19], s[18:19], 2
	s_delay_alu instid0(SALU_CYCLE_1)
	s_add_u32 s30, s6, s18
	s_addc_u32 s31, s7, s19
	s_and_not1_b32 vcc_lo, exec_lo, s4
	s_mov_b32 s4, -1
	s_cbranch_vccnz .LBB458_9
; %bb.5:
	v_cmp_eq_u32_e32 vcc_lo, 0, v0
	s_cmp_gt_i32 s9, 0
	s_cselect_b32 s4, -1, 0
	s_delay_alu instid0(SALU_CYCLE_1) | instskip(NEXT) | instid1(SALU_CYCLE_1)
	s_and_b32 s4, vcc_lo, s4
	s_and_saveexec_b32 s16, s4
	s_cbranch_execz .LBB458_8
; %bb.6:
	s_mov_b32 s15, 0
	v_mov_b32_e32 v1, 0
	s_lshl_b64 s[4:5], s[14:15], 2
	s_delay_alu instid0(SALU_CYCLE_1)
	s_add_u32 s4, s30, s4
	s_addc_u32 s5, s31, s5
	s_lshl_b64 s[6:7], s[10:11], 2
	s_mov_b32 s11, s9
.LBB458_7:                              ; =>This Inner Loop Header: Depth=1
	s_delay_alu instid0(SALU_CYCLE_1)
	s_add_i32 s11, s11, -1
	global_store_b32 v1, v1, s[4:5]
	s_add_u32 s4, s4, s6
	s_addc_u32 s5, s5, s7
	s_cmp_eq_u32 s11, 0
	s_cbranch_scc0 .LBB458_7
.LBB458_8:
	s_or_b32 exec_lo, exec_lo, s16
	s_mov_b32 s4, 0
.LBB458_9:
	s_delay_alu instid0(SALU_CYCLE_1)
	s_and_not1_b32 vcc_lo, exec_lo, s4
	s_cbranch_vccnz .LBB458_83
; %bb.10:
	s_clause 0x1
	s_load_b32 s16, s[0:1], 0x28
	s_load_b32 s11, s[0:1], 0x48
	s_lshl_b32 s4, s14, 10
	s_ashr_i32 s0, s8, 31
	v_lshl_or_b32 v1, v0, 2, s4
	s_lshr_b32 s0, s0, 30
	s_lshr_b32 s1, s17, 30
	s_add_i32 s0, s8, s0
	s_add_i32 s1, s9, s1
	v_ashrrev_i32_e32 v2, 31, v1
	s_and_b32 s0, s0, -4
	s_and_b32 s15, s1, -4
	s_sub_i32 s29, s8, s0
	v_add_nc_u32_e32 v22, 4, v1
	v_lshlrev_b64 v[2:3], 1, v[1:2]
	v_add_nc_u32_e32 v23, s29, v1
	v_and_b32_e32 v19, 31, v0
	v_cmp_gt_u32_e64 s0, 32, v0
	v_mbcnt_lo_u32_b32 v21, -1, 0
	v_cmp_gt_u32_e64 s1, 8, v0
	v_add_co_u32 v17, vcc_lo, s2, v2
	s_waitcnt lgkmcnt(0)
	v_mul_lo_u32 v5, v1, s11
	v_add_co_ci_u32_e32 v18, vcc_lo, s3, v3, vcc_lo
	v_lshrrev_b32_e32 v20, 3, v0
	v_cmp_eq_u32_e64 s2, 0, v0
	s_cmp_lt_i32 s15, 1
	s_cbranch_scc1 .LBB458_58
; %bb.11:
	v_cmp_gt_u32_e32 vcc_lo, 16, v21
	v_mul_lo_u32 v6, v1, s11
	s_mov_b32 s19, 0
	s_cmp_gt_i32 s29, 0
	v_cmp_ge_i32_e64 s3, s8, v22
	v_cndmask_b32_e64 v2, 0, 1, vcc_lo
	v_cmp_gt_u32_e32 vcc_lo, 24, v21
	v_cmp_ge_i32_e64 s4, s8, v23
	v_cmp_eq_u32_e64 s5, 0, v19
	v_lshlrev_b32_e32 v29, 2, v19
	v_dual_mov_b32 v31, 0 :: v_dual_lshlrev_b32 v2, 4, v2
	v_cndmask_b32_e64 v3, 0, 1, vcc_lo
	v_cmp_gt_u32_e32 vcc_lo, 28, v21
	v_and_b32_e32 v30, 28, v20
	s_delay_alu instid0(VALU_DEP_4)
	v_add_lshl_u32 v24, v2, v21, 2
	s_mov_b32 s17, s19
	v_lshlrev_b32_e32 v2, 3, v3
	v_cndmask_b32_e64 v4, 0, 1, vcc_lo
	v_cmp_gt_u32_e32 vcc_lo, 30, v21
	s_cselect_b32 s33, -1, 0
	s_lshl_b32 s18, s16, 1
	v_add_lshl_u32 v25, v2, v21, 2
	v_lshlrev_b32_e32 v1, 2, v4
	v_cndmask_b32_e64 v7, 0, 1, vcc_lo
	v_cmp_ne_u32_e32 vcc_lo, 31, v21
	s_lshl_b32 s34, s16, 2
	s_mul_i32 s35, s16, 3
	v_add_lshl_u32 v26, v1, v21, 2
	v_lshlrev_b32_e32 v3, 1, v7
	v_add_nc_u32_e32 v1, s11, v6
	v_ashrrev_i32_e32 v7, 31, v6
	v_add_co_ci_u32_e32 v4, vcc_lo, 0, v21, vcc_lo
	s_delay_alu instid0(VALU_DEP_4) | instskip(NEXT) | instid1(VALU_DEP_4)
	v_add_lshl_u32 v27, v3, v21, 2
	v_add_nc_u32_e32 v3, s11, v1
	v_ashrrev_i32_e32 v2, 31, v1
	v_lshlrev_b64 v[7:8], 1, v[6:7]
	v_lshlrev_b32_e32 v28, 2, v4
	s_mov_b32 s36, s19
	v_add_nc_u32_e32 v11, s11, v3
	v_lshlrev_b64 v[1:2], 1, v[1:2]
	v_ashrrev_i32_e32 v4, 31, v3
	v_add_co_u32 v7, vcc_lo, s12, v7
	s_delay_alu instid0(VALU_DEP_4) | instskip(SKIP_1) | instid1(VALU_DEP_4)
	v_ashrrev_i32_e32 v12, 31, v11
	v_add_co_ci_u32_e32 v8, vcc_lo, s13, v8, vcc_lo
	v_lshlrev_b64 v[3:4], 1, v[3:4]
	v_add_co_u32 v9, vcc_lo, s12, v1
	v_add_co_ci_u32_e32 v10, vcc_lo, s13, v2, vcc_lo
	v_lshlrev_b64 v[1:2], 1, v[11:12]
	s_delay_alu instid0(VALU_DEP_4) | instskip(SKIP_2) | instid1(VALU_DEP_3)
	v_add_co_u32 v11, vcc_lo, s12, v3
	v_add_co_ci_u32_e32 v12, vcc_lo, s13, v4, vcc_lo
	s_mov_b32 s20, s19
	v_add_co_u32 v13, vcc_lo, s12, v1
	s_delay_alu instid0(VALU_DEP_4)
	v_add_co_ci_u32_e32 v14, vcc_lo, s13, v2, vcc_lo
	s_mov_b64 s[22:23], s[18:19]
	s_mov_b64 s[24:25], s[16:17]
	s_mov_b32 s17, 0
                                        ; implicit-def: $vgpr1_vgpr2_vgpr3_vgpr4
	s_branch .LBB458_13
.LBB458_12:                             ;   in Loop: Header=BB458_13 Depth=1
	s_or_b32 exec_lo, exec_lo, s6
	s_add_i32 s17, s17, 4
	s_add_u32 s24, s24, s34
	s_addc_u32 s25, s25, 0
	s_add_u32 s22, s22, s34
	s_addc_u32 s23, s23, 0
	;; [unrolled: 2-line block ×3, first 2 shown]
	s_add_i32 s20, s20, s34
	s_cmp_ge_i32 s17, s15
	s_cbranch_scc1 .LBB458_59
.LBB458_13:                             ; =>This Loop Header: Depth=1
                                        ;     Child Loop BB458_44 Depth 2
                                        ;     Child Loop BB458_47 Depth 2
                                        ; implicit-def: $vgpr32
                                        ; implicit-def: $vgpr33
                                        ; implicit-def: $vgpr34
                                        ; implicit-def: $vgpr35
	s_and_saveexec_b32 s6, s3
	s_delay_alu instid0(SALU_CYCLE_1)
	s_xor_b32 s6, exec_lo, s6
	s_cbranch_execnz .LBB458_40
; %bb.14:                               ;   in Loop: Header=BB458_13 Depth=1
	s_and_not1_saveexec_b32 s18, s6
	s_cbranch_execnz .LBB458_41
.LBB458_15:                             ;   in Loop: Header=BB458_13 Depth=1
	s_or_b32 exec_lo, exec_lo, s18
	s_and_saveexec_b32 s6, s0
	s_cbranch_execz .LBB458_17
.LBB458_16:                             ;   in Loop: Header=BB458_13 Depth=1
	ds_store_b32 v29, v31
.LBB458_17:                             ;   in Loop: Header=BB458_13 Depth=1
	s_or_b32 exec_lo, exec_lo, s6
	ds_bpermute_b32 v15, v24, v35
	s_waitcnt lgkmcnt(0)
	s_waitcnt_vscnt null, 0x0
	s_barrier
	buffer_gl0_inv
	v_add_f32_e32 v15, v35, v15
	ds_bpermute_b32 v16, v25, v15
	s_waitcnt lgkmcnt(0)
	v_add_f32_e32 v15, v15, v16
	ds_bpermute_b32 v16, v26, v15
	s_waitcnt lgkmcnt(0)
	;; [unrolled: 3-line block ×3, first 2 shown]
	v_add_f32_e32 v15, v15, v16
	ds_bpermute_b32 v16, v28, v15
	s_and_saveexec_b32 s6, s5
	s_cbranch_execz .LBB458_19
; %bb.18:                               ;   in Loop: Header=BB458_13 Depth=1
	s_waitcnt lgkmcnt(0)
	v_add_f32_e32 v15, v15, v16
	ds_store_b32 v30, v15
.LBB458_19:                             ;   in Loop: Header=BB458_13 Depth=1
	s_or_b32 exec_lo, exec_lo, s6
	v_mov_b32_e32 v15, 0
	s_waitcnt lgkmcnt(0)
	s_barrier
	buffer_gl0_inv
	s_and_saveexec_b32 s6, s1
	s_cbranch_execnz .LBB458_49
; %bb.20:                               ;   in Loop: Header=BB458_13 Depth=1
	s_or_b32 exec_lo, exec_lo, s6
	s_and_saveexec_b32 s6, s0
	s_cbranch_execnz .LBB458_50
.LBB458_21:                             ;   in Loop: Header=BB458_13 Depth=1
	s_or_b32 exec_lo, exec_lo, s6
	s_and_saveexec_b32 s6, s0
	s_cbranch_execz .LBB458_23
.LBB458_22:                             ;   in Loop: Header=BB458_13 Depth=1
	ds_store_b32 v29, v31
.LBB458_23:                             ;   in Loop: Header=BB458_13 Depth=1
	s_or_b32 exec_lo, exec_lo, s6
	ds_bpermute_b32 v16, v24, v34
	s_waitcnt lgkmcnt(0)
	s_barrier
	buffer_gl0_inv
	v_add_f32_e32 v16, v34, v16
	ds_bpermute_b32 v34, v25, v16
	s_waitcnt lgkmcnt(0)
	v_add_f32_e32 v16, v16, v34
	ds_bpermute_b32 v34, v26, v16
	s_waitcnt lgkmcnt(0)
	;; [unrolled: 3-line block ×3, first 2 shown]
	v_add_f32_e32 v16, v16, v34
	ds_bpermute_b32 v34, v28, v16
	s_and_saveexec_b32 s6, s5
	s_cbranch_execz .LBB458_25
; %bb.24:                               ;   in Loop: Header=BB458_13 Depth=1
	s_waitcnt lgkmcnt(0)
	v_add_f32_e32 v16, v16, v34
	ds_store_b32 v30, v16
.LBB458_25:                             ;   in Loop: Header=BB458_13 Depth=1
	s_or_b32 exec_lo, exec_lo, s6
	v_mov_b32_e32 v16, 0
	s_waitcnt lgkmcnt(0)
	s_barrier
	buffer_gl0_inv
	s_and_saveexec_b32 s6, s1
	s_cbranch_execnz .LBB458_51
; %bb.26:                               ;   in Loop: Header=BB458_13 Depth=1
	s_or_b32 exec_lo, exec_lo, s6
	s_and_saveexec_b32 s6, s0
	s_cbranch_execnz .LBB458_52
.LBB458_27:                             ;   in Loop: Header=BB458_13 Depth=1
	s_or_b32 exec_lo, exec_lo, s6
	s_and_saveexec_b32 s6, s0
	s_cbranch_execz .LBB458_29
.LBB458_28:                             ;   in Loop: Header=BB458_13 Depth=1
	ds_store_b32 v29, v31
.LBB458_29:                             ;   in Loop: Header=BB458_13 Depth=1
	s_or_b32 exec_lo, exec_lo, s6
	ds_bpermute_b32 v34, v24, v33
	s_waitcnt lgkmcnt(0)
	s_barrier
	buffer_gl0_inv
	v_add_f32_e32 v33, v33, v34
	ds_bpermute_b32 v34, v25, v33
	s_waitcnt lgkmcnt(0)
	v_add_f32_e32 v33, v33, v34
	ds_bpermute_b32 v34, v26, v33
	s_waitcnt lgkmcnt(0)
	;; [unrolled: 3-line block ×3, first 2 shown]
	v_add_f32_e32 v33, v33, v34
	ds_bpermute_b32 v34, v28, v33
	s_and_saveexec_b32 s6, s5
	s_cbranch_execz .LBB458_31
; %bb.30:                               ;   in Loop: Header=BB458_13 Depth=1
	s_waitcnt lgkmcnt(0)
	v_add_f32_e32 v33, v33, v34
	ds_store_b32 v30, v33
.LBB458_31:                             ;   in Loop: Header=BB458_13 Depth=1
	s_or_b32 exec_lo, exec_lo, s6
	v_mov_b32_e32 v33, 0
	s_waitcnt lgkmcnt(0)
	s_barrier
	buffer_gl0_inv
	s_and_saveexec_b32 s6, s1
	s_cbranch_execnz .LBB458_53
; %bb.32:                               ;   in Loop: Header=BB458_13 Depth=1
	s_or_b32 exec_lo, exec_lo, s6
	s_and_saveexec_b32 s6, s0
	s_cbranch_execnz .LBB458_54
.LBB458_33:                             ;   in Loop: Header=BB458_13 Depth=1
	s_or_b32 exec_lo, exec_lo, s6
	s_and_saveexec_b32 s6, s0
	s_cbranch_execz .LBB458_35
.LBB458_34:                             ;   in Loop: Header=BB458_13 Depth=1
	ds_store_b32 v29, v31
.LBB458_35:                             ;   in Loop: Header=BB458_13 Depth=1
	s_or_b32 exec_lo, exec_lo, s6
	ds_bpermute_b32 v34, v24, v32
	s_waitcnt lgkmcnt(0)
	s_barrier
	buffer_gl0_inv
	v_add_f32_e32 v32, v32, v34
	ds_bpermute_b32 v34, v25, v32
	s_waitcnt lgkmcnt(0)
	v_add_f32_e32 v32, v32, v34
	ds_bpermute_b32 v34, v26, v32
	s_waitcnt lgkmcnt(0)
	;; [unrolled: 3-line block ×3, first 2 shown]
	v_add_f32_e32 v32, v32, v34
	ds_bpermute_b32 v34, v28, v32
	s_and_saveexec_b32 s6, s5
	s_cbranch_execz .LBB458_37
; %bb.36:                               ;   in Loop: Header=BB458_13 Depth=1
	s_waitcnt lgkmcnt(0)
	v_add_f32_e32 v32, v32, v34
	ds_store_b32 v30, v32
.LBB458_37:                             ;   in Loop: Header=BB458_13 Depth=1
	s_or_b32 exec_lo, exec_lo, s6
	v_mov_b32_e32 v32, 0
	s_waitcnt lgkmcnt(0)
	s_barrier
	buffer_gl0_inv
	s_and_saveexec_b32 s6, s1
	s_cbranch_execnz .LBB458_55
; %bb.38:                               ;   in Loop: Header=BB458_13 Depth=1
	s_or_b32 exec_lo, exec_lo, s6
	s_and_saveexec_b32 s6, s0
	s_cbranch_execnz .LBB458_56
.LBB458_39:                             ;   in Loop: Header=BB458_13 Depth=1
	s_or_b32 exec_lo, exec_lo, s6
	s_and_saveexec_b32 s6, s2
	s_cbranch_execz .LBB458_12
	s_branch .LBB458_57
.LBB458_40:                             ;   in Loop: Header=BB458_13 Depth=1
	s_mul_i32 s26, s17, s16
	s_delay_alu instid0(SALU_CYCLE_1)
	s_ashr_i32 s27, s26, 31
	s_add_i32 s38, s26, s16
	s_lshl_b64 s[26:27], s[26:27], 1
	s_ashr_i32 s39, s38, 31
	v_add_co_u32 v1, vcc_lo, v17, s26
	v_add_co_ci_u32_e32 v2, vcc_lo, s27, v18, vcc_lo
	s_lshl_b64 s[26:27], s[38:39], 1
	s_add_i32 s38, s38, s16
	v_add_co_u32 v3, vcc_lo, v17, s26
	s_ashr_i32 s39, s38, 31
	s_add_i32 s26, s38, s16
	s_lshl_b64 s[38:39], s[38:39], 1
	v_add_co_ci_u32_e32 v4, vcc_lo, s27, v18, vcc_lo
	s_ashr_i32 s27, s26, 31
	v_add_co_u32 v15, vcc_lo, v17, s38
	s_lshl_b64 s[26:27], s[26:27], 1
	v_add_co_ci_u32_e32 v16, vcc_lo, s39, v18, vcc_lo
	s_waitcnt lgkmcnt(0)
	v_add_co_u32 v32, vcc_lo, v17, s26
	v_add_co_ci_u32_e32 v33, vcc_lo, s27, v18, vcc_lo
	flat_load_u16 v40, v[7:8]
	s_clause 0x3
	flat_load_b64 v[34:35], v[1:2]
	flat_load_b64 v[36:37], v[3:4]
	;; [unrolled: 1-line block ×4, first 2 shown]
	s_clause 0x2
	flat_load_u16 v3, v[9:10]
	flat_load_u16 v4, v[11:12]
	;; [unrolled: 1-line block ×3, first 2 shown]
	s_waitcnt vmcnt(7) lgkmcnt(7)
	v_cvt_f32_f16_e32 v1, v40
	s_waitcnt vmcnt(6) lgkmcnt(6)
	v_fma_mix_f32 v33, v40, v34, 0 op_sel_hi:[1,1,0]
	s_waitcnt vmcnt(5) lgkmcnt(5)
	v_fma_mix_f32 v41, v40, v36, 0 op_sel_hi:[1,1,0]
	;; [unrolled: 2-line block ×4, first 2 shown]
	s_waitcnt vmcnt(2) lgkmcnt(2)
	v_cvt_f32_f16_e32 v2, v3
	v_fma_mix_f32 v33, v3, v34, v33 op_sel:[0,1,0] op_sel_hi:[1,1,0]
	v_fma_mix_f32 v34, v3, v36, v41 op_sel:[0,1,0] op_sel_hi:[1,1,0]
	;; [unrolled: 1-line block ×4, first 2 shown]
	s_waitcnt vmcnt(1) lgkmcnt(1)
	v_cvt_f32_f16_e32 v3, v4
	v_fma_mix_f32 v33, v4, v35, v33 op_sel_hi:[1,1,0]
	v_fma_mix_f32 v34, v4, v37, v34 op_sel_hi:[1,1,0]
	v_fma_mix_f32 v15, v4, v16, v15 op_sel_hi:[1,1,0]
	v_fma_mix_f32 v36, v4, v39, v36 op_sel_hi:[1,1,0]
	s_waitcnt vmcnt(0) lgkmcnt(0)
	v_cvt_f32_f16_e32 v4, v32
	v_fma_mix_f32 v35, v32, v35, v33 op_sel:[0,1,0] op_sel_hi:[1,1,0]
	v_fma_mix_f32 v34, v32, v37, v34 op_sel:[0,1,0] op_sel_hi:[1,1,0]
	;; [unrolled: 1-line block ×4, first 2 shown]
	s_and_not1_saveexec_b32 s18, s6
	s_cbranch_execz .LBB458_15
.LBB458_41:                             ;   in Loop: Header=BB458_13 Depth=1
	s_waitcnt lgkmcnt(0)
	v_dual_mov_b32 v32, 0 :: v_dual_mov_b32 v33, 0
	v_dual_mov_b32 v34, 0 :: v_dual_mov_b32 v35, 0
	s_and_saveexec_b32 s37, s4
	s_cbranch_execz .LBB458_48
; %bb.42:                               ;   in Loop: Header=BB458_13 Depth=1
	s_and_not1_b32 vcc_lo, exec_lo, s33
	s_cbranch_vccnz .LBB458_45
; %bb.43:                               ;   in Loop: Header=BB458_13 Depth=1
	v_mov_b32_e32 v15, v6
	s_mov_b64 s[26:27], 0
	.p2align	6
.LBB458_44:                             ;   Parent Loop BB458_13 Depth=1
                                        ; =>  This Inner Loop Header: Depth=2
	s_delay_alu instid0(VALU_DEP_1) | instskip(SKIP_1) | instid1(VALU_DEP_1)
	v_ashrrev_i32_e32 v16, 31, v15
	s_cmp_eq_u32 s26, 3
	v_lshlrev_b64 v[32:33], 1, v[15:16]
	s_delay_alu instid0(VALU_DEP_1) | instskip(NEXT) | instid1(VALU_DEP_2)
	v_add_co_u32 v32, vcc_lo, s12, v32
	v_add_co_ci_u32_e32 v33, vcc_lo, s13, v33, vcc_lo
	s_cselect_b32 vcc_lo, -1, 0
	s_cmp_eq_u32 s26, 2
	s_cselect_b32 s6, -1, 0
	flat_load_u16 v16, v[32:33]
	s_cmp_eq_u32 s26, 1
	s_cselect_b32 s7, -1, 0
	s_cmp_eq_u32 s26, 0
	s_waitcnt vmcnt(0) lgkmcnt(0)
	v_cvt_f32_f16_e32 v16, v16
	s_delay_alu instid0(VALU_DEP_1)
	v_dual_cndmask_b32 v4, v4, v16 :: v_dual_add_nc_u32 v15, s11, v15
	s_cselect_b32 vcc_lo, -1, 0
	v_cndmask_b32_e64 v3, v3, v16, s6
	v_cndmask_b32_e64 v2, v2, v16, s7
	v_cndmask_b32_e32 v1, v1, v16, vcc_lo
	s_add_u32 s26, s26, 1
	s_addc_u32 s27, s27, 0
	s_cmp_eq_u32 s29, s26
	s_cbranch_scc0 .LBB458_44
.LBB458_45:                             ;   in Loop: Header=BB458_13 Depth=1
	v_dual_mov_b32 v32, 0 :: v_dual_mov_b32 v33, 0
	v_dual_mov_b32 v34, 0 :: v_dual_mov_b32 v35, 0
	s_and_not1_b32 vcc_lo, exec_lo, s33
	s_cbranch_vccnz .LBB458_48
; %bb.46:                               ;   in Loop: Header=BB458_13 Depth=1
	s_ashr_i32 s21, s20, 31
	v_dual_mov_b32 v35, 0 :: v_dual_mov_b32 v34, 0
	s_lshl_b64 s[6:7], s[20:21], 1
	v_dual_mov_b32 v33, 0 :: v_dual_mov_b32 v32, 0
	v_add_co_u32 v15, vcc_lo, v17, s6
	v_add_co_ci_u32_e32 v16, vcc_lo, s7, v18, vcc_lo
	s_mov_b64 s[26:27], 0
.LBB458_47:                             ;   Parent Loop BB458_13 Depth=1
                                        ; =>  This Inner Loop Header: Depth=2
	s_delay_alu instid0(SALU_CYCLE_1)
	s_cmp_eq_u32 s26, 1
	s_cselect_b32 vcc_lo, -1, 0
	s_cmp_eq_u32 s26, 2
	v_cndmask_b32_e32 v36, v1, v2, vcc_lo
	s_cselect_b32 vcc_lo, -1, 0
	s_cmp_eq_u32 s26, 3
	s_delay_alu instid0(VALU_DEP_1)
	v_cndmask_b32_e32 v42, v36, v3, vcc_lo
	s_cselect_b32 vcc_lo, -1, 0
	s_add_i32 s6, s24, s26
	s_add_i32 s38, s22, s26
	s_ashr_i32 s7, s6, 31
	s_ashr_i32 s39, s38, 31
	s_lshl_b64 s[6:7], s[6:7], 1
	s_add_i32 s40, s35, s26
	v_add_co_u32 v36, s6, v17, s6
	s_lshl_b64 s[38:39], s[38:39], 1
	s_ashr_i32 s41, s40, 31
	v_add_co_ci_u32_e64 v37, s6, s7, v18, s6
	v_add_co_u32 v38, s6, v17, s38
	s_lshl_b64 s[40:41], s[40:41], 1
	v_add_co_ci_u32_e64 v39, s6, s39, v18, s6
	v_add_co_u32 v40, s6, v17, s40
	s_delay_alu instid0(VALU_DEP_1)
	v_add_co_ci_u32_e64 v41, s6, s41, v18, s6
	flat_load_u16 v43, v[15:16]
	s_clause 0x2
	flat_load_u16 v36, v[36:37]
	flat_load_u16 v37, v[38:39]
	;; [unrolled: 1-line block ×3, first 2 shown]
	v_cndmask_b32_e32 v39, v42, v4, vcc_lo
	v_add_co_u32 v15, s6, v15, 2
	s_delay_alu instid0(VALU_DEP_1)
	v_add_co_ci_u32_e64 v16, s6, 0, v16, s6
	s_add_u32 s26, s26, 1
	s_addc_u32 s27, s27, 0
	s_cmp_lg_u32 s29, s26
	s_waitcnt vmcnt(3) lgkmcnt(3)
	v_fma_mix_f32 v35, v39, v43, v35 op_sel_hi:[0,1,0]
	s_waitcnt vmcnt(2) lgkmcnt(2)
	v_fma_mix_f32 v34, v39, v36, v34 op_sel_hi:[0,1,0]
	;; [unrolled: 2-line block ×4, first 2 shown]
	s_cbranch_scc1 .LBB458_47
.LBB458_48:                             ;   in Loop: Header=BB458_13 Depth=1
	s_or_b32 exec_lo, exec_lo, s37
	s_delay_alu instid0(SALU_CYCLE_1)
	s_or_b32 exec_lo, exec_lo, s18
	s_and_saveexec_b32 s6, s0
	s_cbranch_execnz .LBB458_16
	s_branch .LBB458_17
.LBB458_49:                             ;   in Loop: Header=BB458_13 Depth=1
	ds_load_b32 v15, v29
	s_or_b32 exec_lo, exec_lo, s6
	s_and_saveexec_b32 s6, s0
	s_cbranch_execz .LBB458_21
.LBB458_50:                             ;   in Loop: Header=BB458_13 Depth=1
	s_waitcnt lgkmcnt(0)
	ds_bpermute_b32 v16, v26, v15
	s_waitcnt lgkmcnt(0)
	v_add_f32_e32 v15, v15, v16
	ds_bpermute_b32 v16, v27, v15
	s_waitcnt lgkmcnt(0)
	v_add_f32_e32 v15, v15, v16
	;; [unrolled: 3-line block ×3, first 2 shown]
	s_or_b32 exec_lo, exec_lo, s6
	s_and_saveexec_b32 s6, s0
	s_cbranch_execnz .LBB458_22
	s_branch .LBB458_23
.LBB458_51:                             ;   in Loop: Header=BB458_13 Depth=1
	ds_load_b32 v16, v29
	s_or_b32 exec_lo, exec_lo, s6
	s_and_saveexec_b32 s6, s0
	s_cbranch_execz .LBB458_27
.LBB458_52:                             ;   in Loop: Header=BB458_13 Depth=1
	s_waitcnt lgkmcnt(0)
	ds_bpermute_b32 v34, v26, v16
	s_waitcnt lgkmcnt(0)
	v_add_f32_e32 v16, v16, v34
	ds_bpermute_b32 v34, v27, v16
	s_waitcnt lgkmcnt(0)
	v_add_f32_e32 v16, v16, v34
	;; [unrolled: 3-line block ×3, first 2 shown]
	s_or_b32 exec_lo, exec_lo, s6
	s_and_saveexec_b32 s6, s0
	s_cbranch_execnz .LBB458_28
	s_branch .LBB458_29
.LBB458_53:                             ;   in Loop: Header=BB458_13 Depth=1
	ds_load_b32 v33, v29
	s_or_b32 exec_lo, exec_lo, s6
	s_and_saveexec_b32 s6, s0
	s_cbranch_execz .LBB458_33
.LBB458_54:                             ;   in Loop: Header=BB458_13 Depth=1
	s_waitcnt lgkmcnt(0)
	ds_bpermute_b32 v34, v26, v33
	s_waitcnt lgkmcnt(0)
	v_add_f32_e32 v33, v33, v34
	ds_bpermute_b32 v34, v27, v33
	s_waitcnt lgkmcnt(0)
	v_add_f32_e32 v33, v33, v34
	;; [unrolled: 3-line block ×3, first 2 shown]
	s_or_b32 exec_lo, exec_lo, s6
	s_and_saveexec_b32 s6, s0
	s_cbranch_execnz .LBB458_34
	s_branch .LBB458_35
.LBB458_55:                             ;   in Loop: Header=BB458_13 Depth=1
	ds_load_b32 v32, v29
	s_or_b32 exec_lo, exec_lo, s6
	s_and_saveexec_b32 s6, s0
	s_cbranch_execz .LBB458_39
.LBB458_56:                             ;   in Loop: Header=BB458_13 Depth=1
	s_waitcnt lgkmcnt(0)
	ds_bpermute_b32 v34, v26, v32
	s_waitcnt lgkmcnt(0)
	v_add_f32_e32 v32, v32, v34
	ds_bpermute_b32 v34, v27, v32
	s_waitcnt lgkmcnt(0)
	v_add_f32_e32 v32, v32, v34
	;; [unrolled: 3-line block ×3, first 2 shown]
	s_or_b32 exec_lo, exec_lo, s6
	s_and_saveexec_b32 s6, s2
	s_cbranch_execz .LBB458_12
.LBB458_57:                             ;   in Loop: Header=BB458_13 Depth=1
	s_mul_i32 s7, s17, s10
	v_dual_mul_f32 v15, s28, v15 :: v_dual_mul_f32 v16, s28, v16
	s_add_i32 s18, s7, s14
	v_mul_f32_e32 v33, s28, v33
	s_lshl_b64 s[26:27], s[18:19], 2
	s_delay_alu instid0(SALU_CYCLE_1)
	s_add_u32 s26, s30, s26
	s_addc_u32 s27, s31, s27
	s_add_i32 s18, s18, s10
	global_store_b32 v31, v15, s[26:27]
	s_lshl_b64 s[38:39], s[18:19], 2
	s_waitcnt lgkmcnt(0)
	v_mul_f32_e32 v15, s28, v32
	s_add_u32 s38, s30, s38
	s_addc_u32 s39, s31, s39
	s_add_i32 s18, s18, s10
	global_store_b32 v31, v16, s[38:39]
	s_lshl_b64 s[40:41], s[18:19], 2
	s_delay_alu instid0(SALU_CYCLE_1) | instskip(SKIP_2) | instid1(SALU_CYCLE_1)
	s_add_u32 s26, s30, s40
	s_addc_u32 s27, s31, s41
	s_add_i32 s18, s18, s10
	s_lshl_b64 s[40:41], s[18:19], 2
	s_delay_alu instid0(SALU_CYCLE_1)
	s_add_u32 s38, s30, s40
	s_addc_u32 s39, s31, s41
	s_clause 0x1
	global_store_b32 v31, v33, s[26:27]
	global_store_b32 v31, v15, s[38:39]
	s_branch .LBB458_12
.LBB458_58:
	s_mov_b32 s17, 0
                                        ; implicit-def: $vgpr1_vgpr2_vgpr3_vgpr4
.LBB458_59:
	s_delay_alu instid0(SALU_CYCLE_1)
	s_cmp_ge_i32 s17, s9
	s_cbranch_scc1 .LBB458_83
; %bb.60:
	v_cmp_gt_u32_e32 vcc_lo, 16, v21
	v_cmp_ge_i32_e64 s1, s8, v23
	v_cmp_gt_u32_e64 s2, 32, v0
	v_cmp_gt_u32_e64 s4, 8, v0
	v_cmp_eq_u32_e64 s5, 0, v0
	v_cndmask_b32_e64 v6, 0, 1, vcc_lo
	v_cmp_gt_u32_e32 vcc_lo, 24, v21
	v_cmp_ge_i32_e64 s0, s8, v22
	s_cmp_gt_i32 s29, 0
	s_mov_b32 s15, 0
	v_lshlrev_b32_e32 v6, 4, v6
	v_cndmask_b32_e64 v7, 0, 1, vcc_lo
	v_cmp_gt_u32_e32 vcc_lo, 28, v21
	s_cselect_b32 s8, -1, 0
	v_lshlrev_b32_e32 v16, 2, v19
	s_delay_alu instid0(VALU_DEP_3)
	v_dual_mov_b32 v0, 0 :: v_dual_lshlrev_b32 v7, 3, v7
	v_cndmask_b32_e64 v8, 0, 1, vcc_lo
	v_cmp_gt_u32_e32 vcc_lo, 30, v21
	v_add_lshl_u32 v22, v6, v21, 2
	v_ashrrev_i32_e32 v6, 31, v5
	v_add_lshl_u32 v23, v7, v21, 2
	v_lshlrev_b32_e32 v8, 2, v8
	v_cndmask_b32_e64 v9, 0, 1, vcc_lo
	v_cmp_ne_u32_e32 vcc_lo, 31, v21
	v_add_nc_u32_e32 v7, s11, v5
	v_lshlrev_b64 v[11:12], 1, v[5:6]
	v_add_lshl_u32 v24, v8, v21, 2
	v_lshlrev_b32_e32 v9, 1, v9
	v_add_co_ci_u32_e32 v10, vcc_lo, 0, v21, vcc_lo
	v_ashrrev_i32_e32 v8, 31, v7
	v_add_co_u32 v6, vcc_lo, s12, v11
	s_delay_alu instid0(VALU_DEP_4) | instskip(SKIP_4) | instid1(VALU_DEP_4)
	v_add_lshl_u32 v21, v9, v21, 2
	v_add_nc_u32_e32 v9, s11, v7
	v_lshlrev_b32_e32 v25, 2, v10
	v_lshlrev_b64 v[13:14], 1, v[7:8]
	v_add_co_ci_u32_e32 v7, vcc_lo, s13, v12, vcc_lo
	v_add_nc_u32_e32 v26, s11, v9
	v_ashrrev_i32_e32 v10, 31, v9
	v_cmp_eq_u32_e64 s3, 0, v19
	v_add_co_u32 v8, vcc_lo, s12, v13
	s_delay_alu instid0(VALU_DEP_4) | instskip(NEXT) | instid1(VALU_DEP_4)
	v_ashrrev_i32_e32 v27, 31, v26
	v_lshlrev_b64 v[10:11], 1, v[9:10]
	v_add_co_ci_u32_e32 v9, vcc_lo, s13, v14, vcc_lo
	v_and_b32_e32 v19, 28, v20
	s_delay_alu instid0(VALU_DEP_4) | instskip(SKIP_1) | instid1(VALU_DEP_4)
	v_lshlrev_b64 v[12:13], 1, v[26:27]
	s_lshl_b64 s[6:7], s[14:15], 2
	v_add_co_u32 v10, vcc_lo, s12, v10
	v_add_co_ci_u32_e32 v11, vcc_lo, s13, v11, vcc_lo
	s_delay_alu instid0(VALU_DEP_3) | instskip(NEXT) | instid1(VALU_DEP_4)
	v_add_co_u32 v12, vcc_lo, s12, v12
	v_add_co_ci_u32_e32 v13, vcc_lo, s13, v13, vcc_lo
	s_add_u32 s14, s30, s6
	s_addc_u32 s22, s31, s7
	s_mul_i32 s18, s17, s16
	s_branch .LBB458_62
.LBB458_61:                             ;   in Loop: Header=BB458_62 Depth=1
	s_or_b32 exec_lo, exec_lo, s6
	s_add_i32 s17, s17, 1
	s_add_i32 s18, s18, s16
	s_cmp_ge_i32 s17, s9
	s_cbranch_scc1 .LBB458_83
.LBB458_62:                             ; =>This Loop Header: Depth=1
                                        ;     Child Loop BB458_75 Depth 2
                                        ;     Child Loop BB458_78 Depth 2
	v_mov_b32_e32 v20, s15
	s_and_saveexec_b32 s6, s0
	s_delay_alu instid0(SALU_CYCLE_1)
	s_xor_b32 s6, exec_lo, s6
	s_cbranch_execnz .LBB458_71
; %bb.63:                               ;   in Loop: Header=BB458_62 Depth=1
	s_and_not1_saveexec_b32 s23, s6
	s_cbranch_execnz .LBB458_72
.LBB458_64:                             ;   in Loop: Header=BB458_62 Depth=1
	s_or_b32 exec_lo, exec_lo, s23
	s_and_saveexec_b32 s6, s2
	s_cbranch_execz .LBB458_66
.LBB458_65:                             ;   in Loop: Header=BB458_62 Depth=1
	ds_store_b32 v16, v0
.LBB458_66:                             ;   in Loop: Header=BB458_62 Depth=1
	s_or_b32 exec_lo, exec_lo, s6
	s_waitcnt lgkmcnt(0)
	ds_bpermute_b32 v14, v22, v20
	s_waitcnt lgkmcnt(0)
	s_waitcnt_vscnt null, 0x0
	s_barrier
	buffer_gl0_inv
	v_add_f32_e32 v14, v20, v14
	ds_bpermute_b32 v15, v23, v14
	s_waitcnt lgkmcnt(0)
	v_add_f32_e32 v14, v14, v15
	ds_bpermute_b32 v15, v24, v14
	s_waitcnt lgkmcnt(0)
	;; [unrolled: 3-line block ×3, first 2 shown]
	v_add_f32_e32 v14, v14, v15
	ds_bpermute_b32 v15, v25, v14
	s_and_saveexec_b32 s6, s3
	s_cbranch_execz .LBB458_68
; %bb.67:                               ;   in Loop: Header=BB458_62 Depth=1
	s_waitcnt lgkmcnt(0)
	v_add_f32_e32 v14, v14, v15
	ds_store_b32 v19, v14
.LBB458_68:                             ;   in Loop: Header=BB458_62 Depth=1
	s_or_b32 exec_lo, exec_lo, s6
	v_mov_b32_e32 v14, 0
	s_waitcnt lgkmcnt(0)
	s_barrier
	buffer_gl0_inv
	s_and_saveexec_b32 s6, s4
	s_cbranch_execnz .LBB458_80
; %bb.69:                               ;   in Loop: Header=BB458_62 Depth=1
	s_or_b32 exec_lo, exec_lo, s6
	s_and_saveexec_b32 s6, s2
	s_cbranch_execnz .LBB458_81
.LBB458_70:                             ;   in Loop: Header=BB458_62 Depth=1
	s_or_b32 exec_lo, exec_lo, s6
	s_and_saveexec_b32 s6, s5
	s_cbranch_execz .LBB458_61
	s_branch .LBB458_82
.LBB458_71:                             ;   in Loop: Header=BB458_62 Depth=1
	s_mul_i32 s20, s17, s16
	s_delay_alu instid0(SALU_CYCLE_1) | instskip(NEXT) | instid1(SALU_CYCLE_1)
	s_ashr_i32 s21, s20, 31
	s_lshl_b64 s[20:21], s[20:21], 1
	s_delay_alu instid0(SALU_CYCLE_1)
	v_add_co_u32 v1, vcc_lo, v17, s20
	v_add_co_ci_u32_e32 v2, vcc_lo, s21, v18, vcc_lo
	s_waitcnt lgkmcnt(0)
	flat_load_b64 v[14:15], v[1:2]
	s_clause 0x3
	flat_load_u16 v1, v[6:7]
	flat_load_u16 v2, v[8:9]
	;; [unrolled: 1-line block ×4, first 2 shown]
	s_waitcnt vmcnt(3) lgkmcnt(3)
	v_fma_mix_f32 v4, v1, v14, 0 op_sel_hi:[1,1,0]
	v_cvt_f32_f16_e32 v1, v1
	s_waitcnt vmcnt(2) lgkmcnt(2)
	s_delay_alu instid0(VALU_DEP_2) | instskip(SKIP_2) | instid1(VALU_DEP_2)
	v_fma_mix_f32 v4, v2, v14, v4 op_sel:[0,1,0] op_sel_hi:[1,1,0]
	v_cvt_f32_f16_e32 v2, v2
	s_waitcnt vmcnt(1) lgkmcnt(1)
	v_fma_mix_f32 v14, v3, v15, v4 op_sel_hi:[1,1,0]
	v_cvt_f32_f16_e32 v3, v3
	s_waitcnt vmcnt(0) lgkmcnt(0)
	v_cvt_f32_f16_e32 v4, v20
	s_delay_alu instid0(VALU_DEP_3)
	v_fma_mix_f32 v20, v20, v15, v14 op_sel:[0,1,0] op_sel_hi:[1,1,0]
	s_and_not1_saveexec_b32 s23, s6
	s_cbranch_execz .LBB458_64
.LBB458_72:                             ;   in Loop: Header=BB458_62 Depth=1
	s_and_saveexec_b32 s24, s1
	s_cbranch_execz .LBB458_79
; %bb.73:                               ;   in Loop: Header=BB458_62 Depth=1
	s_and_not1_b32 vcc_lo, exec_lo, s8
	s_cbranch_vccnz .LBB458_76
; %bb.74:                               ;   in Loop: Header=BB458_62 Depth=1
	s_waitcnt lgkmcnt(0)
	v_mov_b32_e32 v14, v5
	s_mov_b64 s[20:21], 0
	.p2align	6
.LBB458_75:                             ;   Parent Loop BB458_62 Depth=1
                                        ; =>  This Inner Loop Header: Depth=2
	s_delay_alu instid0(VALU_DEP_1) | instskip(SKIP_1) | instid1(VALU_DEP_1)
	v_ashrrev_i32_e32 v15, 31, v14
	s_cmp_eq_u32 s20, 3
	v_lshlrev_b64 v[26:27], 1, v[14:15]
	s_delay_alu instid0(VALU_DEP_1) | instskip(NEXT) | instid1(VALU_DEP_2)
	v_add_co_u32 v26, vcc_lo, s12, v26
	v_add_co_ci_u32_e32 v27, vcc_lo, s13, v27, vcc_lo
	s_cselect_b32 vcc_lo, -1, 0
	s_cmp_eq_u32 s20, 2
	s_cselect_b32 s6, -1, 0
	flat_load_u16 v15, v[26:27]
	s_cmp_eq_u32 s20, 1
	s_cselect_b32 s7, -1, 0
	s_cmp_eq_u32 s20, 0
	s_waitcnt vmcnt(0) lgkmcnt(0)
	v_cvt_f32_f16_e32 v15, v15
	s_delay_alu instid0(VALU_DEP_1)
	v_cndmask_b32_e32 v4, v4, v15, vcc_lo
	s_cselect_b32 vcc_lo, -1, 0
	v_dual_cndmask_b32 v1, v1, v15 :: v_dual_add_nc_u32 v14, s11, v14
	v_cndmask_b32_e64 v3, v3, v15, s6
	v_cndmask_b32_e64 v2, v2, v15, s7
	s_add_u32 s20, s20, 1
	s_addc_u32 s21, s21, 0
	s_cmp_eq_u32 s29, s20
	s_cbranch_scc0 .LBB458_75
.LBB458_76:                             ;   in Loop: Header=BB458_62 Depth=1
	s_and_not1_b32 vcc_lo, exec_lo, s8
	s_cbranch_vccnz .LBB458_79
; %bb.77:                               ;   in Loop: Header=BB458_62 Depth=1
	s_ashr_i32 s19, s18, 31
	s_delay_alu instid0(SALU_CYCLE_1)
	s_lshl_b64 s[6:7], s[18:19], 1
	s_waitcnt lgkmcnt(0)
	v_add_co_u32 v14, vcc_lo, v17, s6
	v_add_co_ci_u32_e32 v15, vcc_lo, s7, v18, vcc_lo
	s_mov_b64 s[6:7], 0
	.p2align	6
.LBB458_78:                             ;   Parent Loop BB458_62 Depth=1
                                        ; =>  This Inner Loop Header: Depth=2
	flat_load_u16 v26, v[14:15]
	s_cmp_eq_u32 s6, 1
	s_cselect_b32 vcc_lo, -1, 0
	s_cmp_eq_u32 s6, 2
	v_cndmask_b32_e32 v27, v1, v2, vcc_lo
	s_cselect_b32 vcc_lo, -1, 0
	s_cmp_eq_u32 s6, 3
	s_delay_alu instid0(VALU_DEP_1)
	v_cndmask_b32_e32 v27, v27, v3, vcc_lo
	s_cselect_b32 vcc_lo, -1, 0
	s_add_u32 s6, s6, 1
	s_addc_u32 s7, s7, 0
	s_cmp_lg_u32 s29, s6
	v_cndmask_b32_e32 v27, v27, v4, vcc_lo
	v_add_co_u32 v14, vcc_lo, v14, 2
	v_add_co_ci_u32_e32 v15, vcc_lo, 0, v15, vcc_lo
	s_waitcnt vmcnt(0) lgkmcnt(0)
	s_delay_alu instid0(VALU_DEP_3)
	v_fma_mix_f32 v20, v27, v26, v20 op_sel_hi:[0,1,0]
	s_cbranch_scc1 .LBB458_78
.LBB458_79:                             ;   in Loop: Header=BB458_62 Depth=1
	s_or_b32 exec_lo, exec_lo, s24
	s_delay_alu instid0(SALU_CYCLE_1)
	s_or_b32 exec_lo, exec_lo, s23
	s_and_saveexec_b32 s6, s2
	s_cbranch_execnz .LBB458_65
	s_branch .LBB458_66
.LBB458_80:                             ;   in Loop: Header=BB458_62 Depth=1
	ds_load_b32 v14, v16
	s_or_b32 exec_lo, exec_lo, s6
	s_and_saveexec_b32 s6, s2
	s_cbranch_execz .LBB458_70
.LBB458_81:                             ;   in Loop: Header=BB458_62 Depth=1
	s_waitcnt lgkmcnt(0)
	ds_bpermute_b32 v15, v24, v14
	s_waitcnt lgkmcnt(0)
	v_add_f32_e32 v14, v14, v15
	ds_bpermute_b32 v15, v21, v14
	s_waitcnt lgkmcnt(0)
	v_add_f32_e32 v14, v14, v15
	;; [unrolled: 3-line block ×3, first 2 shown]
	s_or_b32 exec_lo, exec_lo, s6
	s_and_saveexec_b32 s6, s5
	s_cbranch_execz .LBB458_61
.LBB458_82:                             ;   in Loop: Header=BB458_62 Depth=1
	s_mul_hi_u32 s21, s17, s10
	s_mul_i32 s20, s17, s10
	s_waitcnt lgkmcnt(0)
	v_mul_f32_e32 v14, s28, v14
	s_lshl_b64 s[20:21], s[20:21], 2
	s_delay_alu instid0(SALU_CYCLE_1)
	s_add_u32 s20, s14, s20
	s_addc_u32 s21, s22, s21
	global_store_b32 v0, v14, s[20:21]
	s_branch .LBB458_61
.LBB458_83:
	s_nop 0
	s_sendmsg sendmsg(MSG_DEALLOC_VGPRS)
	s_endpgm
	.section	.rodata,"a",@progbits
	.p2align	6, 0x0
	.amdhsa_kernel _ZL23rocblas_gemvt_sn_kernelILb1ELi256ELi4EiPKDF16_PKffEviiT4_lPKT3_lilS7_lilPT5_i
		.amdhsa_group_segment_fixed_size 128
		.amdhsa_private_segment_fixed_size 0
		.amdhsa_kernarg_size 360
		.amdhsa_user_sgpr_count 14
		.amdhsa_user_sgpr_dispatch_ptr 0
		.amdhsa_user_sgpr_queue_ptr 0
		.amdhsa_user_sgpr_kernarg_segment_ptr 1
		.amdhsa_user_sgpr_dispatch_id 0
		.amdhsa_user_sgpr_private_segment_size 0
		.amdhsa_wavefront_size32 1
		.amdhsa_uses_dynamic_stack 0
		.amdhsa_enable_private_segment 0
		.amdhsa_system_sgpr_workgroup_id_x 1
		.amdhsa_system_sgpr_workgroup_id_y 0
		.amdhsa_system_sgpr_workgroup_id_z 1
		.amdhsa_system_sgpr_workgroup_info 0
		.amdhsa_system_vgpr_workitem_id 0
		.amdhsa_next_free_vgpr 44
		.amdhsa_next_free_sgpr 42
		.amdhsa_reserve_vcc 1
		.amdhsa_float_round_mode_32 0
		.amdhsa_float_round_mode_16_64 0
		.amdhsa_float_denorm_mode_32 3
		.amdhsa_float_denorm_mode_16_64 3
		.amdhsa_dx10_clamp 1
		.amdhsa_ieee_mode 1
		.amdhsa_fp16_overflow 0
		.amdhsa_workgroup_processor_mode 1
		.amdhsa_memory_ordered 1
		.amdhsa_forward_progress 0
		.amdhsa_shared_vgpr_count 0
		.amdhsa_exception_fp_ieee_invalid_op 0
		.amdhsa_exception_fp_denorm_src 0
		.amdhsa_exception_fp_ieee_div_zero 0
		.amdhsa_exception_fp_ieee_overflow 0
		.amdhsa_exception_fp_ieee_underflow 0
		.amdhsa_exception_fp_ieee_inexact 0
		.amdhsa_exception_int_div_zero 0
	.end_amdhsa_kernel
	.section	.text._ZL23rocblas_gemvt_sn_kernelILb1ELi256ELi4EiPKDF16_PKffEviiT4_lPKT3_lilS7_lilPT5_i,"axG",@progbits,_ZL23rocblas_gemvt_sn_kernelILb1ELi256ELi4EiPKDF16_PKffEviiT4_lPKT3_lilS7_lilPT5_i,comdat
.Lfunc_end458:
	.size	_ZL23rocblas_gemvt_sn_kernelILb1ELi256ELi4EiPKDF16_PKffEviiT4_lPKT3_lilS7_lilPT5_i, .Lfunc_end458-_ZL23rocblas_gemvt_sn_kernelILb1ELi256ELi4EiPKDF16_PKffEviiT4_lPKT3_lilS7_lilPT5_i
                                        ; -- End function
	.section	.AMDGPU.csdata,"",@progbits
; Kernel info:
; codeLenInByte = 4260
; NumSgprs: 44
; NumVgprs: 44
; ScratchSize: 0
; MemoryBound: 0
; FloatMode: 240
; IeeeMode: 1
; LDSByteSize: 128 bytes/workgroup (compile time only)
; SGPRBlocks: 5
; VGPRBlocks: 5
; NumSGPRsForWavesPerEU: 44
; NumVGPRsForWavesPerEU: 44
; Occupancy: 16
; WaveLimiterHint : 0
; COMPUTE_PGM_RSRC2:SCRATCH_EN: 0
; COMPUTE_PGM_RSRC2:USER_SGPR: 14
; COMPUTE_PGM_RSRC2:TRAP_HANDLER: 0
; COMPUTE_PGM_RSRC2:TGID_X_EN: 1
; COMPUTE_PGM_RSRC2:TGID_Y_EN: 0
; COMPUTE_PGM_RSRC2:TGID_Z_EN: 1
; COMPUTE_PGM_RSRC2:TIDIG_COMP_CNT: 0
	.section	.text._ZL23rocblas_gemvt_sn_kernelILb1ELi256ELi4ElPKDF16_PKffEviiT4_lPKT3_lilS7_lilPT5_i,"axG",@progbits,_ZL23rocblas_gemvt_sn_kernelILb1ELi256ELi4ElPKDF16_PKffEviiT4_lPKT3_lilS7_lilPT5_i,comdat
	.globl	_ZL23rocblas_gemvt_sn_kernelILb1ELi256ELi4ElPKDF16_PKffEviiT4_lPKT3_lilS7_lilPT5_i ; -- Begin function _ZL23rocblas_gemvt_sn_kernelILb1ELi256ELi4ElPKDF16_PKffEviiT4_lPKT3_lilS7_lilPT5_i
	.p2align	8
	.type	_ZL23rocblas_gemvt_sn_kernelILb1ELi256ELi4ElPKDF16_PKffEviiT4_lPKT3_lilS7_lilPT5_i,@function
_ZL23rocblas_gemvt_sn_kernelILb1ELi256ELi4ElPKDF16_PKffEviiT4_lPKT3_lilS7_lilPT5_i: ; @_ZL23rocblas_gemvt_sn_kernelILb1ELi256ELi4ElPKDF16_PKffEviiT4_lPKT3_lilS7_lilPT5_i
; %bb.0:
	s_load_b256 s[4:11], s[0:1], 0x8
	s_mov_b32 s2, s15
	s_mov_b64 s[18:19], 0
	s_mov_b64 s[16:17], 0
	s_waitcnt lgkmcnt(0)
	s_mul_i32 s3, s15, s7
	s_mul_hi_u32 s7, s15, s6
	s_mul_i32 s6, s15, s6
	s_add_i32 s7, s7, s3
	s_mov_b32 s3, 0
	s_lshl_b64 s[6:7], s[6:7], 2
	s_delay_alu instid0(SALU_CYCLE_1)
	s_add_u32 s4, s4, s6
	s_addc_u32 s5, s5, s7
	s_load_b32 s33, s[4:5], 0x0
	s_waitcnt lgkmcnt(0)
	v_cmp_eq_f32_e64 s4, s33, 0
	v_cmp_neq_f32_e64 s5, s33, 0
	s_delay_alu instid0(VALU_DEP_2)
	s_and_b32 vcc_lo, exec_lo, s4
	s_cbranch_vccnz .LBB459_2
; %bb.1:
	s_lshl_b64 s[6:7], s[2:3], 3
	s_delay_alu instid0(SALU_CYCLE_1)
	s_add_u32 s6, s8, s6
	s_addc_u32 s7, s9, s7
	s_lshl_b64 s[8:9], s[10:11], 1
	s_load_b64 s[6:7], s[6:7], 0x0
	s_waitcnt lgkmcnt(0)
	s_add_u32 s16, s6, s8
	s_addc_u32 s17, s7, s9
.LBB459_2:
	s_delay_alu instid0(VALU_DEP_1)
	s_and_not1_b32 vcc_lo, exec_lo, s5
	s_cbranch_vccnz .LBB459_4
; %bb.3:
	s_load_b128 s[8:11], s[0:1], 0x38
	s_lshl_b64 s[6:7], s[2:3], 3
	s_waitcnt lgkmcnt(0)
	s_add_u32 s6, s8, s6
	s_addc_u32 s7, s9, s7
	s_lshl_b64 s[8:9], s[10:11], 1
	s_load_b64 s[6:7], s[6:7], 0x0
	s_waitcnt lgkmcnt(0)
	s_add_u32 s18, s6, s8
	s_addc_u32 s19, s7, s9
.LBB459_4:
	s_clause 0x2
	s_load_b64 s[8:9], s[0:1], 0x0
	s_load_b32 s10, s[0:1], 0x68
	s_load_b64 s[12:13], s[0:1], 0x58
	s_mov_b32 s11, 0
	s_waitcnt lgkmcnt(0)
	s_ashr_i32 s6, s9, 31
	s_mul_hi_u32 s3, s9, s2
	s_mul_i32 s5, s6, s2
	s_mul_i32 s2, s9, s2
	s_add_i32 s3, s3, s5
	s_mul_hi_u32 s5, s2, s10
	s_mul_i32 s3, s3, s10
	s_mul_i32 s2, s2, s10
	s_add_i32 s3, s5, s3
	s_delay_alu instid0(SALU_CYCLE_1) | instskip(NEXT) | instid1(SALU_CYCLE_1)
	s_lshl_b64 s[2:3], s[2:3], 2
	s_add_u32 s34, s12, s2
	s_addc_u32 s35, s13, s3
	s_and_not1_b32 vcc_lo, exec_lo, s4
	s_mov_b32 s2, -1
	s_cbranch_vccnz .LBB459_9
; %bb.5:
	v_cmp_eq_u32_e32 vcc_lo, 0, v0
	s_cmp_gt_i32 s9, 0
	s_cselect_b32 s2, -1, 0
	s_delay_alu instid0(SALU_CYCLE_1) | instskip(NEXT) | instid1(SALU_CYCLE_1)
	s_and_b32 s2, vcc_lo, s2
	s_and_saveexec_b32 s7, s2
	s_cbranch_execz .LBB459_8
; %bb.6:
	s_mov_b32 s15, 0
	v_mov_b32_e32 v1, 0
	s_lshl_b64 s[2:3], s[14:15], 2
	s_delay_alu instid0(SALU_CYCLE_1)
	s_add_u32 s2, s34, s2
	s_addc_u32 s3, s35, s3
	s_lshl_b64 s[4:5], s[10:11], 2
	s_mov_b32 s11, s9
.LBB459_7:                              ; =>This Inner Loop Header: Depth=1
	s_delay_alu instid0(SALU_CYCLE_1)
	s_add_i32 s11, s11, -1
	global_store_b32 v1, v1, s[2:3]
	s_add_u32 s2, s2, s4
	s_addc_u32 s3, s3, s5
	s_cmp_eq_u32 s11, 0
	s_cbranch_scc0 .LBB459_7
.LBB459_8:
	s_or_b32 exec_lo, exec_lo, s7
	s_mov_b32 s2, 0
.LBB459_9:
	s_delay_alu instid0(SALU_CYCLE_1)
	s_and_not1_b32 vcc_lo, exec_lo, s2
	s_cbranch_vccnz .LBB459_83
; %bb.10:
	s_lshl_b32 s2, s14, 10
	s_clause 0x1
	s_load_b32 s12, s[0:1], 0x28
	s_load_b32 s20, s[0:1], 0x48
	v_lshl_or_b32 v9, v0, 2, s2
	s_ashr_i32 s2, s8, 31
	s_lshr_b32 s1, s6, 30
	s_lshr_b32 s0, s2, 30
	s_add_i32 s1, s9, s1
	v_ashrrev_i32_e32 v10, 31, v9
	s_add_i32 s0, s8, s0
	s_and_b32 s36, s1, -4
	s_and_b32 s0, s0, -4
	v_add_nc_u32_e32 v28, 4, v9
	v_lshlrev_b64 v[7:8], 1, v[9:10]
	s_sub_i32 s11, s8, s0
	v_and_b32_e32 v25, 31, v0
	v_add_nc_u32_e32 v29, s11, v9
	v_cmp_gt_u32_e64 s0, 32, v0
	v_mbcnt_lo_u32_b32 v27, -1, 0
	v_add_co_u32 v5, vcc_lo, s16, v7
	v_add_co_ci_u32_e32 v6, vcc_lo, s17, v8, vcc_lo
	v_cmp_gt_u32_e64 s1, 8, v0
	v_lshrrev_b32_e32 v26, 3, v0
	v_cmp_eq_u32_e64 s2, 0, v0
	v_or_b32_e32 v24, 1, v9
	v_or_b32_e32 v23, 2, v9
	;; [unrolled: 1-line block ×3, first 2 shown]
	s_waitcnt lgkmcnt(0)
	s_ashr_i32 s13, s12, 31
	s_ashr_i32 s21, s20, 31
	s_cmp_lt_i32 s36, 1
	s_cbranch_scc1 .LBB459_58
; %bb.11:
	v_cmp_gt_u32_e32 vcc_lo, 16, v27
	v_mad_i64_i32 v[12:13], null, s20, v23, 0
	v_mad_i64_i32 v[14:15], null, s20, v22, 0
	v_cndmask_b32_e64 v1, 0, 1, vcc_lo
	v_cmp_gt_u32_e32 vcc_lo, 24, v27
	s_mov_b32 s15, 0
	s_cmp_gt_i32 s11, 0
	v_cmp_ge_i32_e64 s3, s8, v28
	v_lshlrev_b32_e32 v1, 4, v1
	v_cndmask_b32_e64 v2, 0, 1, vcc_lo
	v_cmp_gt_u32_e32 vcc_lo, 28, v27
	v_cmp_ge_i32_e64 s4, s8, v29
	s_cselect_b32 s37, -1, 0
	s_delay_alu instid0(VALU_DEP_3)
	v_dual_mov_b32 v37, 0 :: v_dual_lshlrev_b32 v2, 3, v2
	v_cndmask_b32_e64 v3, 0, 1, vcc_lo
	v_cmp_gt_u32_e32 vcc_lo, 30, v27
	v_cmp_eq_u32_e64 s5, 0, v25
	v_lshlrev_b32_e32 v35, 2, v25
	v_add_lshl_u32 v31, v2, v27, 2
	v_lshlrev_b32_e32 v3, 2, v3
	v_cndmask_b32_e64 v4, 0, 1, vcc_lo
	v_cmp_ne_u32_e32 vcc_lo, 31, v27
	v_dual_mov_b32 v19, v6 :: v_dual_mov_b32 v18, v5
	v_add_lshl_u32 v30, v1, v27, 2
	s_delay_alu instid0(VALU_DEP_4) | instskip(SKIP_3) | instid1(VALU_DEP_4)
	v_lshlrev_b32_e32 v4, 1, v4
	v_mad_i64_i32 v[1:2], null, s20, v9, 0
	v_add_lshl_u32 v32, v3, v27, 2
	v_add_co_ci_u32_e32 v10, vcc_lo, 0, v27, vcc_lo
	v_add_lshl_u32 v33, v4, v27, 2
	v_mad_i64_i32 v[3:4], null, s20, v24, 0
	v_lshlrev_b64 v[1:2], 1, v[1:2]
	s_delay_alu instid0(VALU_DEP_4) | instskip(SKIP_4) | instid1(VALU_DEP_4)
	v_lshlrev_b32_e32 v34, 2, v10
	s_lshl_b64 s[6:7], s[14:15], 2
	v_and_b32_e32 v36, 28, v26
	s_add_u32 s38, s34, s6
	s_addc_u32 s39, s35, s7
	v_lshlrev_b64 v[3:4], 1, v[3:4]
	v_add_co_u32 v10, vcc_lo, s18, v1
	v_add_co_ci_u32_e32 v11, vcc_lo, s19, v2, vcc_lo
	v_lshlrev_b64 v[1:2], 1, v[12:13]
	s_delay_alu instid0(VALU_DEP_4) | instskip(SKIP_2) | instid1(VALU_DEP_4)
	v_add_co_u32 v12, vcc_lo, s18, v3
	v_add_co_ci_u32_e32 v13, vcc_lo, s19, v4, vcc_lo
	v_lshlrev_b64 v[3:4], 1, v[14:15]
	v_add_co_u32 v14, vcc_lo, s18, v1
	v_add_co_ci_u32_e32 v15, vcc_lo, s19, v2, vcc_lo
	s_lshl_b64 s[22:23], s[20:21], 1
	s_delay_alu instid0(VALU_DEP_3) | instskip(NEXT) | instid1(VALU_DEP_4)
	v_add_co_u32 v16, vcc_lo, s18, v3
	v_add_co_ci_u32_e32 v17, vcc_lo, s19, v4, vcc_lo
	s_mul_hi_i32 s40, s12, 6
	s_mul_i32 s41, s12, 6
	s_lshl_b64 s[24:25], s[12:13], 3
	s_lshl_b64 s[26:27], s[12:13], 2
	s_lshl_b64 s[28:29], s[12:13], 1
                                        ; implicit-def: $vgpr1_vgpr2_vgpr3_vgpr4
	s_branch .LBB459_13
.LBB459_12:                             ;   in Loop: Header=BB459_13 Depth=1
	s_or_b32 exec_lo, exec_lo, s6
	v_add_co_u32 v18, vcc_lo, v18, s24
	v_add_co_ci_u32_e32 v19, vcc_lo, s25, v19, vcc_lo
	s_add_i32 s15, s15, 4
	s_delay_alu instid0(SALU_CYCLE_1)
	s_cmp_ge_i32 s15, s36
	s_cbranch_scc1 .LBB459_59
.LBB459_13:                             ; =>This Loop Header: Depth=1
                                        ;     Child Loop BB459_44 Depth 2
                                        ;     Child Loop BB459_47 Depth 2
                                        ; implicit-def: $vgpr38
                                        ; implicit-def: $vgpr39
                                        ; implicit-def: $vgpr40
                                        ; implicit-def: $vgpr41
	s_and_saveexec_b32 s6, s3
	s_delay_alu instid0(SALU_CYCLE_1)
	s_xor_b32 s6, exec_lo, s6
	s_cbranch_execnz .LBB459_40
; %bb.14:                               ;   in Loop: Header=BB459_13 Depth=1
	s_and_not1_saveexec_b32 s42, s6
	s_cbranch_execnz .LBB459_41
.LBB459_15:                             ;   in Loop: Header=BB459_13 Depth=1
	s_or_b32 exec_lo, exec_lo, s42
	s_and_saveexec_b32 s6, s0
	s_cbranch_execz .LBB459_17
.LBB459_16:                             ;   in Loop: Header=BB459_13 Depth=1
	ds_store_b32 v35, v37
.LBB459_17:                             ;   in Loop: Header=BB459_13 Depth=1
	s_or_b32 exec_lo, exec_lo, s6
	ds_bpermute_b32 v20, v30, v41
	s_waitcnt lgkmcnt(0)
	s_waitcnt_vscnt null, 0x0
	s_barrier
	buffer_gl0_inv
	v_add_f32_e32 v20, v41, v20
	ds_bpermute_b32 v21, v31, v20
	s_waitcnt lgkmcnt(0)
	v_add_f32_e32 v20, v20, v21
	ds_bpermute_b32 v21, v32, v20
	s_waitcnt lgkmcnt(0)
	;; [unrolled: 3-line block ×3, first 2 shown]
	v_add_f32_e32 v20, v20, v21
	ds_bpermute_b32 v21, v34, v20
	s_and_saveexec_b32 s6, s5
	s_cbranch_execz .LBB459_19
; %bb.18:                               ;   in Loop: Header=BB459_13 Depth=1
	s_waitcnt lgkmcnt(0)
	v_add_f32_e32 v20, v20, v21
	ds_store_b32 v36, v20
.LBB459_19:                             ;   in Loop: Header=BB459_13 Depth=1
	s_or_b32 exec_lo, exec_lo, s6
	v_mov_b32_e32 v20, 0
	s_waitcnt lgkmcnt(0)
	s_barrier
	buffer_gl0_inv
	s_and_saveexec_b32 s6, s1
	s_cbranch_execnz .LBB459_49
; %bb.20:                               ;   in Loop: Header=BB459_13 Depth=1
	s_or_b32 exec_lo, exec_lo, s6
	s_and_saveexec_b32 s6, s0
	s_cbranch_execnz .LBB459_50
.LBB459_21:                             ;   in Loop: Header=BB459_13 Depth=1
	s_or_b32 exec_lo, exec_lo, s6
	s_and_saveexec_b32 s6, s0
	s_cbranch_execz .LBB459_23
.LBB459_22:                             ;   in Loop: Header=BB459_13 Depth=1
	ds_store_b32 v35, v37
.LBB459_23:                             ;   in Loop: Header=BB459_13 Depth=1
	s_or_b32 exec_lo, exec_lo, s6
	ds_bpermute_b32 v21, v30, v40
	s_waitcnt lgkmcnt(0)
	s_barrier
	buffer_gl0_inv
	v_add_f32_e32 v21, v40, v21
	ds_bpermute_b32 v40, v31, v21
	s_waitcnt lgkmcnt(0)
	v_add_f32_e32 v21, v21, v40
	ds_bpermute_b32 v40, v32, v21
	s_waitcnt lgkmcnt(0)
	;; [unrolled: 3-line block ×3, first 2 shown]
	v_add_f32_e32 v21, v21, v40
	ds_bpermute_b32 v40, v34, v21
	s_and_saveexec_b32 s6, s5
	s_cbranch_execz .LBB459_25
; %bb.24:                               ;   in Loop: Header=BB459_13 Depth=1
	s_waitcnt lgkmcnt(0)
	v_add_f32_e32 v21, v21, v40
	ds_store_b32 v36, v21
.LBB459_25:                             ;   in Loop: Header=BB459_13 Depth=1
	s_or_b32 exec_lo, exec_lo, s6
	v_mov_b32_e32 v21, 0
	s_waitcnt lgkmcnt(0)
	s_barrier
	buffer_gl0_inv
	s_and_saveexec_b32 s6, s1
	s_cbranch_execnz .LBB459_51
; %bb.26:                               ;   in Loop: Header=BB459_13 Depth=1
	s_or_b32 exec_lo, exec_lo, s6
	s_and_saveexec_b32 s6, s0
	s_cbranch_execnz .LBB459_52
.LBB459_27:                             ;   in Loop: Header=BB459_13 Depth=1
	s_or_b32 exec_lo, exec_lo, s6
	s_and_saveexec_b32 s6, s0
	s_cbranch_execz .LBB459_29
.LBB459_28:                             ;   in Loop: Header=BB459_13 Depth=1
	ds_store_b32 v35, v37
.LBB459_29:                             ;   in Loop: Header=BB459_13 Depth=1
	s_or_b32 exec_lo, exec_lo, s6
	ds_bpermute_b32 v40, v30, v39
	s_waitcnt lgkmcnt(0)
	s_barrier
	buffer_gl0_inv
	v_add_f32_e32 v39, v39, v40
	ds_bpermute_b32 v40, v31, v39
	s_waitcnt lgkmcnt(0)
	v_add_f32_e32 v39, v39, v40
	ds_bpermute_b32 v40, v32, v39
	s_waitcnt lgkmcnt(0)
	;; [unrolled: 3-line block ×3, first 2 shown]
	v_add_f32_e32 v39, v39, v40
	ds_bpermute_b32 v40, v34, v39
	s_and_saveexec_b32 s6, s5
	s_cbranch_execz .LBB459_31
; %bb.30:                               ;   in Loop: Header=BB459_13 Depth=1
	s_waitcnt lgkmcnt(0)
	v_add_f32_e32 v39, v39, v40
	ds_store_b32 v36, v39
.LBB459_31:                             ;   in Loop: Header=BB459_13 Depth=1
	s_or_b32 exec_lo, exec_lo, s6
	v_mov_b32_e32 v39, 0
	s_waitcnt lgkmcnt(0)
	s_barrier
	buffer_gl0_inv
	s_and_saveexec_b32 s6, s1
	s_cbranch_execnz .LBB459_53
; %bb.32:                               ;   in Loop: Header=BB459_13 Depth=1
	s_or_b32 exec_lo, exec_lo, s6
	s_and_saveexec_b32 s6, s0
	s_cbranch_execnz .LBB459_54
.LBB459_33:                             ;   in Loop: Header=BB459_13 Depth=1
	s_or_b32 exec_lo, exec_lo, s6
	s_and_saveexec_b32 s6, s0
	s_cbranch_execz .LBB459_35
.LBB459_34:                             ;   in Loop: Header=BB459_13 Depth=1
	ds_store_b32 v35, v37
.LBB459_35:                             ;   in Loop: Header=BB459_13 Depth=1
	s_or_b32 exec_lo, exec_lo, s6
	ds_bpermute_b32 v40, v30, v38
	s_waitcnt lgkmcnt(0)
	s_barrier
	buffer_gl0_inv
	v_add_f32_e32 v38, v38, v40
	ds_bpermute_b32 v40, v31, v38
	s_waitcnt lgkmcnt(0)
	v_add_f32_e32 v38, v38, v40
	ds_bpermute_b32 v40, v32, v38
	s_waitcnt lgkmcnt(0)
	;; [unrolled: 3-line block ×3, first 2 shown]
	v_add_f32_e32 v38, v38, v40
	ds_bpermute_b32 v40, v34, v38
	s_and_saveexec_b32 s6, s5
	s_cbranch_execz .LBB459_37
; %bb.36:                               ;   in Loop: Header=BB459_13 Depth=1
	s_waitcnt lgkmcnt(0)
	v_add_f32_e32 v38, v38, v40
	ds_store_b32 v36, v38
.LBB459_37:                             ;   in Loop: Header=BB459_13 Depth=1
	s_or_b32 exec_lo, exec_lo, s6
	v_mov_b32_e32 v38, 0
	s_waitcnt lgkmcnt(0)
	s_barrier
	buffer_gl0_inv
	s_and_saveexec_b32 s6, s1
	s_cbranch_execnz .LBB459_55
; %bb.38:                               ;   in Loop: Header=BB459_13 Depth=1
	s_or_b32 exec_lo, exec_lo, s6
	s_and_saveexec_b32 s6, s0
	s_cbranch_execnz .LBB459_56
.LBB459_39:                             ;   in Loop: Header=BB459_13 Depth=1
	s_or_b32 exec_lo, exec_lo, s6
	s_and_saveexec_b32 s6, s2
	s_cbranch_execz .LBB459_12
	s_branch .LBB459_57
.LBB459_40:                             ;   in Loop: Header=BB459_13 Depth=1
	s_mul_i32 s7, s15, s13
	s_mul_hi_u32 s30, s15, s12
	s_delay_alu instid0(SALU_CYCLE_1)
	s_add_i32 s31, s30, s7
	s_mul_i32 s30, s15, s12
	s_or_b32 s7, s15, 1
	s_lshl_b64 s[30:31], s[30:31], 1
	s_mul_i32 s42, s7, s13
	s_mul_hi_u32 s43, s7, s12
	v_add_co_u32 v1, vcc_lo, v5, s30
	v_add_co_ci_u32_e32 v2, vcc_lo, s31, v6, vcc_lo
	s_add_i32 s31, s43, s42
	s_mul_i32 s30, s7, s12
	s_or_b32 s7, s15, 2
	s_lshl_b64 s[30:31], s[30:31], 1
	s_mul_i32 s42, s7, s13
	s_mul_hi_u32 s43, s7, s12
	v_add_co_u32 v3, vcc_lo, v5, s30
	v_add_co_ci_u32_e32 v4, vcc_lo, s31, v6, vcc_lo
	s_add_i32 s31, s43, s42
	s_or_b32 s42, s15, 3
	s_mul_i32 s30, s7, s12
	s_mul_i32 s7, s42, s13
	s_mul_hi_u32 s43, s42, s12
	s_lshl_b64 s[30:31], s[30:31], 1
	s_add_i32 s43, s43, s7
	s_mul_i32 s42, s42, s12
	v_add_co_u32 v20, vcc_lo, v5, s30
	v_add_co_ci_u32_e32 v21, vcc_lo, s31, v6, vcc_lo
	s_lshl_b64 s[30:31], s[42:43], 1
	s_waitcnt lgkmcnt(0)
	v_add_co_u32 v38, vcc_lo, v5, s30
	v_add_co_ci_u32_e32 v39, vcc_lo, s31, v6, vcc_lo
	flat_load_u16 v46, v[10:11]
	s_clause 0x3
	flat_load_b64 v[40:41], v[1:2]
	flat_load_b64 v[42:43], v[3:4]
	;; [unrolled: 1-line block ×4, first 2 shown]
	s_clause 0x2
	flat_load_u16 v3, v[12:13]
	flat_load_u16 v4, v[14:15]
	;; [unrolled: 1-line block ×3, first 2 shown]
	s_waitcnt vmcnt(7) lgkmcnt(7)
	v_cvt_f32_f16_e32 v1, v46
	s_waitcnt vmcnt(6) lgkmcnt(6)
	v_fma_mix_f32 v39, v46, v40, 0 op_sel_hi:[1,1,0]
	s_waitcnt vmcnt(5) lgkmcnt(5)
	v_fma_mix_f32 v47, v46, v42, 0 op_sel_hi:[1,1,0]
	;; [unrolled: 2-line block ×4, first 2 shown]
	s_waitcnt vmcnt(2) lgkmcnt(2)
	v_cvt_f32_f16_e32 v2, v3
	v_fma_mix_f32 v39, v3, v40, v39 op_sel:[0,1,0] op_sel_hi:[1,1,0]
	v_fma_mix_f32 v40, v3, v42, v47 op_sel:[0,1,0] op_sel_hi:[1,1,0]
	;; [unrolled: 1-line block ×4, first 2 shown]
	s_waitcnt vmcnt(1) lgkmcnt(1)
	v_cvt_f32_f16_e32 v3, v4
	v_fma_mix_f32 v39, v4, v41, v39 op_sel_hi:[1,1,0]
	v_fma_mix_f32 v40, v4, v43, v40 op_sel_hi:[1,1,0]
	v_fma_mix_f32 v20, v4, v21, v20 op_sel_hi:[1,1,0]
	v_fma_mix_f32 v42, v4, v45, v42 op_sel_hi:[1,1,0]
	s_waitcnt vmcnt(0) lgkmcnt(0)
	v_cvt_f32_f16_e32 v4, v38
	v_fma_mix_f32 v41, v38, v41, v39 op_sel:[0,1,0] op_sel_hi:[1,1,0]
	v_fma_mix_f32 v40, v38, v43, v40 op_sel:[0,1,0] op_sel_hi:[1,1,0]
	;; [unrolled: 1-line block ×4, first 2 shown]
	s_and_not1_saveexec_b32 s42, s6
	s_cbranch_execz .LBB459_15
.LBB459_41:                             ;   in Loop: Header=BB459_13 Depth=1
	s_waitcnt lgkmcnt(0)
	v_dual_mov_b32 v38, 0 :: v_dual_mov_b32 v39, 0
	v_dual_mov_b32 v40, 0 :: v_dual_mov_b32 v41, 0
	s_and_saveexec_b32 s43, s4
	s_cbranch_execz .LBB459_48
; %bb.42:                               ;   in Loop: Header=BB459_13 Depth=1
	s_and_not1_b32 vcc_lo, exec_lo, s37
	s_cbranch_vccnz .LBB459_45
; %bb.43:                               ;   in Loop: Header=BB459_13 Depth=1
	v_dual_mov_b32 v21, v11 :: v_dual_mov_b32 v20, v10
	s_mov_b64 s[30:31], 0
	.p2align	6
.LBB459_44:                             ;   Parent Loop BB459_13 Depth=1
                                        ; =>  This Inner Loop Header: Depth=2
	flat_load_u16 v38, v[20:21]
	v_add_co_u32 v20, vcc_lo, v20, s22
	s_cmp_eq_u32 s30, 3
	v_add_co_ci_u32_e32 v21, vcc_lo, s23, v21, vcc_lo
	s_cselect_b32 vcc_lo, -1, 0
	s_cmp_eq_u32 s30, 2
	s_cselect_b32 s6, -1, 0
	s_cmp_eq_u32 s30, 1
	s_cselect_b32 s7, -1, 0
	s_cmp_eq_u32 s30, 0
	s_waitcnt vmcnt(0) lgkmcnt(0)
	v_cvt_f32_f16_e32 v38, v38
	s_delay_alu instid0(VALU_DEP_1)
	v_cndmask_b32_e32 v4, v4, v38, vcc_lo
	s_cselect_b32 vcc_lo, -1, 0
	v_cndmask_b32_e64 v3, v3, v38, s6
	v_cndmask_b32_e64 v2, v2, v38, s7
	v_cndmask_b32_e32 v1, v1, v38, vcc_lo
	s_add_u32 s30, s30, 1
	s_addc_u32 s31, s31, 0
	s_cmp_eq_u32 s11, s30
	s_cbranch_scc0 .LBB459_44
.LBB459_45:                             ;   in Loop: Header=BB459_13 Depth=1
	v_dual_mov_b32 v38, 0 :: v_dual_mov_b32 v39, 0
	v_dual_mov_b32 v40, 0 :: v_dual_mov_b32 v41, 0
	s_and_not1_b32 vcc_lo, exec_lo, s37
	s_cbranch_vccnz .LBB459_48
; %bb.46:                               ;   in Loop: Header=BB459_13 Depth=1
	v_dual_mov_b32 v21, v19 :: v_dual_mov_b32 v40, 0
	v_dual_mov_b32 v41, 0 :: v_dual_mov_b32 v20, v18
	;; [unrolled: 1-line block ×3, first 2 shown]
	s_mov_b64 s[30:31], 0
	s_set_inst_prefetch_distance 0x1
	.p2align	6
.LBB459_47:                             ;   Parent Loop BB459_13 Depth=1
                                        ; =>  This Inner Loop Header: Depth=2
	s_delay_alu instid0(VALU_DEP_2)
	v_add_co_u32 v42, vcc_lo, v20, s28
	v_add_co_ci_u32_e32 v43, vcc_lo, s29, v21, vcc_lo
	v_add_co_u32 v44, vcc_lo, v20, s26
	v_add_co_ci_u32_e32 v45, vcc_lo, s27, v21, vcc_lo
	;; [unrolled: 2-line block ×3, first 2 shown]
	s_clause 0x3
	flat_load_u16 v48, v[20:21]
	flat_load_u16 v42, v[42:43]
	;; [unrolled: 1-line block ×4, first 2 shown]
	s_cmp_eq_u32 s30, 1
	v_add_co_u32 v20, s6, v20, 2
	s_cselect_b32 vcc_lo, -1, 0
	s_cmp_eq_u32 s30, 2
	v_cndmask_b32_e32 v45, v1, v2, vcc_lo
	s_cselect_b32 vcc_lo, -1, 0
	s_cmp_eq_u32 s30, 3
	v_add_co_ci_u32_e64 v21, s6, 0, v21, s6
	s_delay_alu instid0(VALU_DEP_2)
	v_cndmask_b32_e32 v45, v45, v3, vcc_lo
	s_cselect_b32 vcc_lo, -1, 0
	s_add_u32 s30, s30, 1
	s_addc_u32 s31, s31, 0
	s_cmp_lg_u32 s11, s30
	v_cndmask_b32_e32 v45, v45, v4, vcc_lo
	s_waitcnt vmcnt(3) lgkmcnt(3)
	s_delay_alu instid0(VALU_DEP_1)
	v_fma_mix_f32 v41, v45, v48, v41 op_sel_hi:[0,1,0]
	s_waitcnt vmcnt(2) lgkmcnt(2)
	v_fma_mix_f32 v40, v45, v42, v40 op_sel_hi:[0,1,0]
	s_waitcnt vmcnt(1) lgkmcnt(1)
	;; [unrolled: 2-line block ×3, first 2 shown]
	v_fma_mix_f32 v38, v45, v44, v38 op_sel_hi:[0,1,0]
	s_cbranch_scc1 .LBB459_47
.LBB459_48:                             ;   in Loop: Header=BB459_13 Depth=1
	s_set_inst_prefetch_distance 0x2
	s_or_b32 exec_lo, exec_lo, s43
	s_delay_alu instid0(SALU_CYCLE_1)
	s_or_b32 exec_lo, exec_lo, s42
	s_and_saveexec_b32 s6, s0
	s_cbranch_execnz .LBB459_16
	s_branch .LBB459_17
.LBB459_49:                             ;   in Loop: Header=BB459_13 Depth=1
	ds_load_b32 v20, v35
	s_or_b32 exec_lo, exec_lo, s6
	s_and_saveexec_b32 s6, s0
	s_cbranch_execz .LBB459_21
.LBB459_50:                             ;   in Loop: Header=BB459_13 Depth=1
	s_waitcnt lgkmcnt(0)
	ds_bpermute_b32 v21, v32, v20
	s_waitcnt lgkmcnt(0)
	v_add_f32_e32 v20, v20, v21
	ds_bpermute_b32 v21, v33, v20
	s_waitcnt lgkmcnt(0)
	v_add_f32_e32 v20, v20, v21
	;; [unrolled: 3-line block ×3, first 2 shown]
	s_or_b32 exec_lo, exec_lo, s6
	s_and_saveexec_b32 s6, s0
	s_cbranch_execnz .LBB459_22
	s_branch .LBB459_23
.LBB459_51:                             ;   in Loop: Header=BB459_13 Depth=1
	ds_load_b32 v21, v35
	s_or_b32 exec_lo, exec_lo, s6
	s_and_saveexec_b32 s6, s0
	s_cbranch_execz .LBB459_27
.LBB459_52:                             ;   in Loop: Header=BB459_13 Depth=1
	s_waitcnt lgkmcnt(0)
	ds_bpermute_b32 v40, v32, v21
	s_waitcnt lgkmcnt(0)
	v_add_f32_e32 v21, v21, v40
	ds_bpermute_b32 v40, v33, v21
	s_waitcnt lgkmcnt(0)
	v_add_f32_e32 v21, v21, v40
	ds_bpermute_b32 v40, v34, v21
	s_waitcnt lgkmcnt(0)
	v_add_f32_e32 v21, v21, v40
	s_or_b32 exec_lo, exec_lo, s6
	s_and_saveexec_b32 s6, s0
	s_cbranch_execnz .LBB459_28
	s_branch .LBB459_29
.LBB459_53:                             ;   in Loop: Header=BB459_13 Depth=1
	ds_load_b32 v39, v35
	s_or_b32 exec_lo, exec_lo, s6
	s_and_saveexec_b32 s6, s0
	s_cbranch_execz .LBB459_33
.LBB459_54:                             ;   in Loop: Header=BB459_13 Depth=1
	s_waitcnt lgkmcnt(0)
	ds_bpermute_b32 v40, v32, v39
	s_waitcnt lgkmcnt(0)
	v_add_f32_e32 v39, v39, v40
	ds_bpermute_b32 v40, v33, v39
	s_waitcnt lgkmcnt(0)
	v_add_f32_e32 v39, v39, v40
	;; [unrolled: 3-line block ×3, first 2 shown]
	s_or_b32 exec_lo, exec_lo, s6
	s_and_saveexec_b32 s6, s0
	s_cbranch_execnz .LBB459_34
	s_branch .LBB459_35
.LBB459_55:                             ;   in Loop: Header=BB459_13 Depth=1
	ds_load_b32 v38, v35
	s_or_b32 exec_lo, exec_lo, s6
	s_and_saveexec_b32 s6, s0
	s_cbranch_execz .LBB459_39
.LBB459_56:                             ;   in Loop: Header=BB459_13 Depth=1
	s_waitcnt lgkmcnt(0)
	ds_bpermute_b32 v40, v32, v38
	s_waitcnt lgkmcnt(0)
	v_add_f32_e32 v38, v38, v40
	ds_bpermute_b32 v40, v33, v38
	s_waitcnt lgkmcnt(0)
	v_add_f32_e32 v38, v38, v40
	;; [unrolled: 3-line block ×3, first 2 shown]
	s_or_b32 exec_lo, exec_lo, s6
	s_and_saveexec_b32 s6, s2
	s_cbranch_execz .LBB459_12
.LBB459_57:                             ;   in Loop: Header=BB459_13 Depth=1
	s_mul_hi_u32 s31, s15, s10
	s_mul_i32 s30, s15, s10
	v_dual_mul_f32 v20, s33, v20 :: v_dual_mul_f32 v21, s33, v21
	s_lshl_b64 s[30:31], s[30:31], 2
	s_waitcnt lgkmcnt(0)
	v_mul_f32_e32 v38, s33, v38
	s_add_u32 s30, s38, s30
	s_addc_u32 s31, s39, s31
	s_or_b32 s7, s15, 1
	global_store_b32 v37, v20, s[30:31]
	s_mul_hi_u32 s43, s7, s10
	s_mul_i32 s42, s7, s10
	v_mul_f32_e32 v20, s33, v39
	s_lshl_b64 s[42:43], s[42:43], 2
	s_delay_alu instid0(SALU_CYCLE_1)
	s_add_u32 s42, s38, s42
	s_addc_u32 s43, s39, s43
	s_or_b32 s7, s15, 2
	global_store_b32 v37, v21, s[42:43]
	s_mul_hi_u32 s45, s7, s10
	s_mul_i32 s44, s7, s10
	s_delay_alu instid0(SALU_CYCLE_1) | instskip(NEXT) | instid1(SALU_CYCLE_1)
	s_lshl_b64 s[44:45], s[44:45], 2
	s_add_u32 s30, s38, s44
	s_addc_u32 s31, s39, s45
	s_or_b32 s7, s15, 3
	s_delay_alu instid0(SALU_CYCLE_1) | instskip(SKIP_1) | instid1(SALU_CYCLE_1)
	s_mul_hi_u32 s45, s7, s10
	s_mul_i32 s44, s7, s10
	s_lshl_b64 s[44:45], s[44:45], 2
	s_delay_alu instid0(SALU_CYCLE_1)
	s_add_u32 s42, s38, s44
	s_addc_u32 s43, s39, s45
	s_clause 0x1
	global_store_b32 v37, v20, s[30:31]
	global_store_b32 v37, v38, s[42:43]
	s_branch .LBB459_12
.LBB459_58:
	s_mov_b32 s15, 0
                                        ; implicit-def: $vgpr1_vgpr2_vgpr3_vgpr4
.LBB459_59:
	s_delay_alu instid0(SALU_CYCLE_1)
	s_cmp_ge_i32 s15, s9
	s_cbranch_scc1 .LBB459_83
; %bb.60:
	v_cmp_gt_u32_e32 vcc_lo, 16, v27
	v_cmp_ge_i32_e64 s0, s8, v28
	v_cmp_ge_i32_e64 s1, s8, v29
	v_mad_i64_i32 v[16:17], null, s20, v22, 0
	v_cndmask_b32_e64 v10, 0, 1, vcc_lo
	v_cmp_gt_u32_e32 vcc_lo, 24, v27
	s_cmp_gt_i32 s11, 0
	s_mov_b32 s23, 0
	s_mov_b32 s22, s14
	v_lshlrev_b32_e32 v10, 4, v10
	v_cndmask_b32_e64 v11, 0, 1, vcc_lo
	v_cmp_gt_u32_e32 vcc_lo, 28, v27
	s_cselect_b32 s8, -1, 0
	s_lshl_b64 s[6:7], s[22:23], 2
	v_add_lshl_u32 v20, v10, v27, 2
	v_lshlrev_b32_e32 v11, 3, v11
	v_cndmask_b32_e64 v12, 0, 1, vcc_lo
	v_cmp_gt_u32_e32 vcc_lo, 30, v27
	s_add_u32 s14, s34, s6
	s_addc_u32 s22, s35, s7
	v_add_lshl_u32 v21, v11, v27, 2
	v_lshlrev_b32_e32 v12, 2, v12
	v_cndmask_b32_e64 v13, 0, 1, vcc_lo
	v_cmp_ne_u32_e32 vcc_lo, 31, v27
	v_mad_i64_i32 v[10:11], null, s20, v9, 0
	s_delay_alu instid0(VALU_DEP_4) | instskip(NEXT) | instid1(VALU_DEP_4)
	v_add_lshl_u32 v28, v12, v27, 2
	v_lshlrev_b32_e32 v13, 1, v13
	v_add_co_ci_u32_e32 v14, vcc_lo, 0, v27, vcc_lo
	s_mul_i32 s6, s13, s15
	s_mul_hi_u32 s7, s12, s15
	s_delay_alu instid0(VALU_DEP_2)
	v_add_lshl_u32 v27, v13, v27, 2
	v_mad_i64_i32 v[12:13], null, s20, v24, 0
	v_lshlrev_b32_e32 v29, 2, v14
	v_mad_i64_i32 v[14:15], null, s20, v23, 0
	v_lshlrev_b64 v[9:10], 1, v[10:11]
	s_add_i32 s7, s7, s6
	s_mul_i32 s6, s12, s15
	s_delay_alu instid0(VALU_DEP_4)
	v_lshlrev_b64 v[11:12], 1, v[12:13]
	s_lshl_b64 s[6:7], s[6:7], 1
	v_cmp_gt_u32_e64 s2, 32, v0
	v_add_co_u32 v9, vcc_lo, s18, v9
	v_lshlrev_b64 v[13:14], 1, v[14:15]
	v_add_co_ci_u32_e32 v10, vcc_lo, s19, v10, vcc_lo
	v_add_co_u32 v11, vcc_lo, s18, v11
	v_lshlrev_b64 v[15:16], 1, v[16:17]
	v_add_co_ci_u32_e32 v12, vcc_lo, s19, v12, vcc_lo
	v_add_co_u32 v13, vcc_lo, s18, v13
	v_add_co_ci_u32_e32 v14, vcc_lo, s19, v14, vcc_lo
	s_delay_alu instid0(VALU_DEP_4)
	v_add_co_u32 v15, vcc_lo, s18, v15
	v_add_co_ci_u32_e32 v16, vcc_lo, s19, v16, vcc_lo
	s_lshl_b64 s[18:19], s[20:21], 1
	s_add_u32 s6, s16, s6
	s_addc_u32 s7, s17, s7
	v_add_co_u32 v7, vcc_lo, s6, v7
	v_lshlrev_b32_e32 v19, 2, v25
	v_cmp_eq_u32_e64 s3, 0, v25
	v_and_b32_e32 v25, 28, v26
	v_cmp_gt_u32_e64 s4, 8, v0
	v_cmp_eq_u32_e64 s5, 0, v0
	v_mov_b32_e32 v0, 0
	v_add_co_ci_u32_e32 v8, vcc_lo, s7, v8, vcc_lo
	s_lshl_b64 s[16:17], s[12:13], 1
	s_branch .LBB459_62
.LBB459_61:                             ;   in Loop: Header=BB459_62 Depth=1
	s_or_b32 exec_lo, exec_lo, s6
	v_add_co_u32 v7, vcc_lo, v7, s16
	v_add_co_ci_u32_e32 v8, vcc_lo, s17, v8, vcc_lo
	s_add_i32 s15, s15, 1
	s_delay_alu instid0(SALU_CYCLE_1)
	s_cmp_ge_i32 s15, s9
	s_cbranch_scc1 .LBB459_83
.LBB459_62:                             ; =>This Loop Header: Depth=1
                                        ;     Child Loop BB459_75 Depth 2
                                        ;     Child Loop BB459_78 Depth 2
	v_mov_b32_e32 v22, s23
	s_and_saveexec_b32 s6, s0
	s_delay_alu instid0(SALU_CYCLE_1)
	s_xor_b32 s6, exec_lo, s6
	s_cbranch_execnz .LBB459_71
; %bb.63:                               ;   in Loop: Header=BB459_62 Depth=1
	s_and_not1_saveexec_b32 s24, s6
	s_cbranch_execnz .LBB459_72
.LBB459_64:                             ;   in Loop: Header=BB459_62 Depth=1
	s_or_b32 exec_lo, exec_lo, s24
	s_and_saveexec_b32 s6, s2
	s_cbranch_execz .LBB459_66
.LBB459_65:                             ;   in Loop: Header=BB459_62 Depth=1
	ds_store_b32 v19, v0
.LBB459_66:                             ;   in Loop: Header=BB459_62 Depth=1
	s_or_b32 exec_lo, exec_lo, s6
	s_waitcnt lgkmcnt(0)
	ds_bpermute_b32 v17, v20, v22
	s_waitcnt lgkmcnt(0)
	s_waitcnt_vscnt null, 0x0
	s_barrier
	buffer_gl0_inv
	v_add_f32_e32 v17, v22, v17
	ds_bpermute_b32 v18, v21, v17
	s_waitcnt lgkmcnt(0)
	v_add_f32_e32 v17, v17, v18
	ds_bpermute_b32 v18, v28, v17
	s_waitcnt lgkmcnt(0)
	;; [unrolled: 3-line block ×3, first 2 shown]
	v_add_f32_e32 v17, v17, v18
	ds_bpermute_b32 v18, v29, v17
	s_and_saveexec_b32 s6, s3
	s_cbranch_execz .LBB459_68
; %bb.67:                               ;   in Loop: Header=BB459_62 Depth=1
	s_waitcnt lgkmcnt(0)
	v_add_f32_e32 v17, v17, v18
	ds_store_b32 v25, v17
.LBB459_68:                             ;   in Loop: Header=BB459_62 Depth=1
	s_or_b32 exec_lo, exec_lo, s6
	v_mov_b32_e32 v17, 0
	s_waitcnt lgkmcnt(0)
	s_barrier
	buffer_gl0_inv
	s_and_saveexec_b32 s6, s4
	s_cbranch_execnz .LBB459_80
; %bb.69:                               ;   in Loop: Header=BB459_62 Depth=1
	s_or_b32 exec_lo, exec_lo, s6
	s_and_saveexec_b32 s6, s2
	s_cbranch_execnz .LBB459_81
.LBB459_70:                             ;   in Loop: Header=BB459_62 Depth=1
	s_or_b32 exec_lo, exec_lo, s6
	s_and_saveexec_b32 s6, s5
	s_cbranch_execz .LBB459_61
	s_branch .LBB459_82
.LBB459_71:                             ;   in Loop: Header=BB459_62 Depth=1
	s_mul_i32 s7, s15, s13
	s_mul_hi_u32 s21, s15, s12
	s_mul_i32 s20, s15, s12
	s_add_i32 s21, s21, s7
	s_delay_alu instid0(SALU_CYCLE_1) | instskip(NEXT) | instid1(SALU_CYCLE_1)
	s_lshl_b64 s[20:21], s[20:21], 1
	v_add_co_u32 v1, vcc_lo, v5, s20
	v_add_co_ci_u32_e32 v2, vcc_lo, s21, v6, vcc_lo
	s_waitcnt lgkmcnt(0)
	flat_load_b64 v[17:18], v[1:2]
	s_clause 0x3
	flat_load_u16 v1, v[9:10]
	flat_load_u16 v2, v[11:12]
	;; [unrolled: 1-line block ×4, first 2 shown]
	s_waitcnt vmcnt(3) lgkmcnt(3)
	v_fma_mix_f32 v4, v1, v17, 0 op_sel_hi:[1,1,0]
	v_cvt_f32_f16_e32 v1, v1
	s_waitcnt vmcnt(2) lgkmcnt(2)
	s_delay_alu instid0(VALU_DEP_2) | instskip(SKIP_2) | instid1(VALU_DEP_2)
	v_fma_mix_f32 v4, v2, v17, v4 op_sel:[0,1,0] op_sel_hi:[1,1,0]
	v_cvt_f32_f16_e32 v2, v2
	s_waitcnt vmcnt(1) lgkmcnt(1)
	v_fma_mix_f32 v17, v3, v18, v4 op_sel_hi:[1,1,0]
	v_cvt_f32_f16_e32 v3, v3
	s_waitcnt vmcnt(0) lgkmcnt(0)
	v_cvt_f32_f16_e32 v4, v22
	s_delay_alu instid0(VALU_DEP_3)
	v_fma_mix_f32 v22, v22, v18, v17 op_sel:[0,1,0] op_sel_hi:[1,1,0]
	s_and_not1_saveexec_b32 s24, s6
	s_cbranch_execz .LBB459_64
.LBB459_72:                             ;   in Loop: Header=BB459_62 Depth=1
	s_and_saveexec_b32 s25, s1
	s_cbranch_execz .LBB459_79
; %bb.73:                               ;   in Loop: Header=BB459_62 Depth=1
	s_and_not1_b32 vcc_lo, exec_lo, s8
	s_cbranch_vccnz .LBB459_76
; %bb.74:                               ;   in Loop: Header=BB459_62 Depth=1
	s_waitcnt lgkmcnt(0)
	v_dual_mov_b32 v18, v10 :: v_dual_mov_b32 v17, v9
	s_mov_b64 s[20:21], 0
	.p2align	6
.LBB459_75:                             ;   Parent Loop BB459_62 Depth=1
                                        ; =>  This Inner Loop Header: Depth=2
	flat_load_u16 v23, v[17:18]
	v_add_co_u32 v17, vcc_lo, v17, s18
	s_cmp_eq_u32 s20, 3
	v_add_co_ci_u32_e32 v18, vcc_lo, s19, v18, vcc_lo
	s_cselect_b32 vcc_lo, -1, 0
	s_cmp_eq_u32 s20, 2
	s_cselect_b32 s6, -1, 0
	s_cmp_eq_u32 s20, 1
	s_cselect_b32 s7, -1, 0
	s_cmp_eq_u32 s20, 0
	s_waitcnt vmcnt(0) lgkmcnt(0)
	v_cvt_f32_f16_e32 v23, v23
	s_delay_alu instid0(VALU_DEP_1)
	v_cndmask_b32_e32 v4, v4, v23, vcc_lo
	s_cselect_b32 vcc_lo, -1, 0
	v_cndmask_b32_e64 v3, v3, v23, s6
	v_cndmask_b32_e64 v2, v2, v23, s7
	v_cndmask_b32_e32 v1, v1, v23, vcc_lo
	s_add_u32 s20, s20, 1
	s_addc_u32 s21, s21, 0
	s_cmp_eq_u32 s11, s20
	s_cbranch_scc0 .LBB459_75
.LBB459_76:                             ;   in Loop: Header=BB459_62 Depth=1
	s_and_not1_b32 vcc_lo, exec_lo, s8
	s_cbranch_vccnz .LBB459_79
; %bb.77:                               ;   in Loop: Header=BB459_62 Depth=1
	s_waitcnt lgkmcnt(0)
	v_dual_mov_b32 v18, v8 :: v_dual_mov_b32 v17, v7
	s_mov_b64 s[6:7], 0
	.p2align	6
.LBB459_78:                             ;   Parent Loop BB459_62 Depth=1
                                        ; =>  This Inner Loop Header: Depth=2
	flat_load_u16 v23, v[17:18]
	s_cmp_eq_u32 s6, 1
	s_cselect_b32 vcc_lo, -1, 0
	s_cmp_eq_u32 s6, 2
	v_cndmask_b32_e32 v24, v1, v2, vcc_lo
	s_cselect_b32 vcc_lo, -1, 0
	s_cmp_eq_u32 s6, 3
	s_delay_alu instid0(VALU_DEP_1)
	v_cndmask_b32_e32 v24, v24, v3, vcc_lo
	s_cselect_b32 vcc_lo, -1, 0
	s_add_u32 s6, s6, 1
	s_addc_u32 s7, s7, 0
	s_cmp_lg_u32 s11, s6
	v_cndmask_b32_e32 v24, v24, v4, vcc_lo
	v_add_co_u32 v17, vcc_lo, v17, 2
	v_add_co_ci_u32_e32 v18, vcc_lo, 0, v18, vcc_lo
	s_waitcnt vmcnt(0) lgkmcnt(0)
	s_delay_alu instid0(VALU_DEP_3)
	v_fma_mix_f32 v22, v24, v23, v22 op_sel_hi:[0,1,0]
	s_cbranch_scc1 .LBB459_78
.LBB459_79:                             ;   in Loop: Header=BB459_62 Depth=1
	s_or_b32 exec_lo, exec_lo, s25
	s_delay_alu instid0(SALU_CYCLE_1)
	s_or_b32 exec_lo, exec_lo, s24
	s_and_saveexec_b32 s6, s2
	s_cbranch_execnz .LBB459_65
	s_branch .LBB459_66
.LBB459_80:                             ;   in Loop: Header=BB459_62 Depth=1
	ds_load_b32 v17, v19
	s_or_b32 exec_lo, exec_lo, s6
	s_and_saveexec_b32 s6, s2
	s_cbranch_execz .LBB459_70
.LBB459_81:                             ;   in Loop: Header=BB459_62 Depth=1
	s_waitcnt lgkmcnt(0)
	ds_bpermute_b32 v18, v28, v17
	s_waitcnt lgkmcnt(0)
	v_add_f32_e32 v17, v17, v18
	ds_bpermute_b32 v18, v27, v17
	s_waitcnt lgkmcnt(0)
	v_add_f32_e32 v17, v17, v18
	;; [unrolled: 3-line block ×3, first 2 shown]
	s_or_b32 exec_lo, exec_lo, s6
	s_and_saveexec_b32 s6, s5
	s_cbranch_execz .LBB459_61
.LBB459_82:                             ;   in Loop: Header=BB459_62 Depth=1
	s_mul_hi_u32 s21, s15, s10
	s_mul_i32 s20, s15, s10
	s_waitcnt lgkmcnt(0)
	v_mul_f32_e32 v17, s33, v17
	s_lshl_b64 s[20:21], s[20:21], 2
	s_delay_alu instid0(SALU_CYCLE_1)
	s_add_u32 s20, s14, s20
	s_addc_u32 s21, s22, s21
	global_store_b32 v0, v17, s[20:21]
	s_branch .LBB459_61
.LBB459_83:
	s_nop 0
	s_sendmsg sendmsg(MSG_DEALLOC_VGPRS)
	s_endpgm
	.section	.rodata,"a",@progbits
	.p2align	6, 0x0
	.amdhsa_kernel _ZL23rocblas_gemvt_sn_kernelILb1ELi256ELi4ElPKDF16_PKffEviiT4_lPKT3_lilS7_lilPT5_i
		.amdhsa_group_segment_fixed_size 128
		.amdhsa_private_segment_fixed_size 0
		.amdhsa_kernarg_size 360
		.amdhsa_user_sgpr_count 14
		.amdhsa_user_sgpr_dispatch_ptr 0
		.amdhsa_user_sgpr_queue_ptr 0
		.amdhsa_user_sgpr_kernarg_segment_ptr 1
		.amdhsa_user_sgpr_dispatch_id 0
		.amdhsa_user_sgpr_private_segment_size 0
		.amdhsa_wavefront_size32 1
		.amdhsa_uses_dynamic_stack 0
		.amdhsa_enable_private_segment 0
		.amdhsa_system_sgpr_workgroup_id_x 1
		.amdhsa_system_sgpr_workgroup_id_y 0
		.amdhsa_system_sgpr_workgroup_id_z 1
		.amdhsa_system_sgpr_workgroup_info 0
		.amdhsa_system_vgpr_workitem_id 0
		.amdhsa_next_free_vgpr 49
		.amdhsa_next_free_sgpr 46
		.amdhsa_reserve_vcc 1
		.amdhsa_float_round_mode_32 0
		.amdhsa_float_round_mode_16_64 0
		.amdhsa_float_denorm_mode_32 3
		.amdhsa_float_denorm_mode_16_64 3
		.amdhsa_dx10_clamp 1
		.amdhsa_ieee_mode 1
		.amdhsa_fp16_overflow 0
		.amdhsa_workgroup_processor_mode 1
		.amdhsa_memory_ordered 1
		.amdhsa_forward_progress 0
		.amdhsa_shared_vgpr_count 0
		.amdhsa_exception_fp_ieee_invalid_op 0
		.amdhsa_exception_fp_denorm_src 0
		.amdhsa_exception_fp_ieee_div_zero 0
		.amdhsa_exception_fp_ieee_overflow 0
		.amdhsa_exception_fp_ieee_underflow 0
		.amdhsa_exception_fp_ieee_inexact 0
		.amdhsa_exception_int_div_zero 0
	.end_amdhsa_kernel
	.section	.text._ZL23rocblas_gemvt_sn_kernelILb1ELi256ELi4ElPKDF16_PKffEviiT4_lPKT3_lilS7_lilPT5_i,"axG",@progbits,_ZL23rocblas_gemvt_sn_kernelILb1ELi256ELi4ElPKDF16_PKffEviiT4_lPKT3_lilS7_lilPT5_i,comdat
.Lfunc_end459:
	.size	_ZL23rocblas_gemvt_sn_kernelILb1ELi256ELi4ElPKDF16_PKffEviiT4_lPKT3_lilS7_lilPT5_i, .Lfunc_end459-_ZL23rocblas_gemvt_sn_kernelILb1ELi256ELi4ElPKDF16_PKffEviiT4_lPKT3_lilS7_lilPT5_i
                                        ; -- End function
	.section	.AMDGPU.csdata,"",@progbits
; Kernel info:
; codeLenInByte = 4284
; NumSgprs: 48
; NumVgprs: 49
; ScratchSize: 0
; MemoryBound: 0
; FloatMode: 240
; IeeeMode: 1
; LDSByteSize: 128 bytes/workgroup (compile time only)
; SGPRBlocks: 5
; VGPRBlocks: 6
; NumSGPRsForWavesPerEU: 48
; NumVGPRsForWavesPerEU: 49
; Occupancy: 16
; WaveLimiterHint : 0
; COMPUTE_PGM_RSRC2:SCRATCH_EN: 0
; COMPUTE_PGM_RSRC2:USER_SGPR: 14
; COMPUTE_PGM_RSRC2:TRAP_HANDLER: 0
; COMPUTE_PGM_RSRC2:TGID_X_EN: 1
; COMPUTE_PGM_RSRC2:TGID_Y_EN: 0
; COMPUTE_PGM_RSRC2:TGID_Z_EN: 1
; COMPUTE_PGM_RSRC2:TIDIG_COMP_CNT: 0
	.section	.text._ZL23rocblas_gemvt_sn_kernelILb1ELi256ELi4EiPKDF16_ffEviiT4_lPKT3_lilS5_lilPT5_i,"axG",@progbits,_ZL23rocblas_gemvt_sn_kernelILb1ELi256ELi4EiPKDF16_ffEviiT4_lPKT3_lilS5_lilPT5_i,comdat
	.globl	_ZL23rocblas_gemvt_sn_kernelILb1ELi256ELi4EiPKDF16_ffEviiT4_lPKT3_lilS5_lilPT5_i ; -- Begin function _ZL23rocblas_gemvt_sn_kernelILb1ELi256ELi4EiPKDF16_ffEviiT4_lPKT3_lilS5_lilPT5_i
	.p2align	8
	.type	_ZL23rocblas_gemvt_sn_kernelILb1ELi256ELi4EiPKDF16_ffEviiT4_lPKT3_lilS5_lilPT5_i,@function
_ZL23rocblas_gemvt_sn_kernelILb1ELi256ELi4EiPKDF16_ffEviiT4_lPKT3_lilS5_lilPT5_i: ; @_ZL23rocblas_gemvt_sn_kernelILb1ELi256ELi4EiPKDF16_ffEviiT4_lPKT3_lilS5_lilPT5_i
; %bb.0:
	s_load_b128 s[8:11], s[0:1], 0x0
	s_mov_b32 s4, s15
	s_mov_b32 s5, 0
	s_waitcnt lgkmcnt(0)
	v_cmp_neq_f32_e64 s7, s10, 0
	v_cmp_eq_f32_e64 s6, s10, 0
	s_delay_alu instid0(VALU_DEP_2)
	s_and_b32 vcc_lo, exec_lo, s7
	s_cbranch_vccnz .LBB460_2
; %bb.1:
	s_mov_b64 s[2:3], 0
	s_and_not1_b32 vcc_lo, exec_lo, s5
	s_cbranch_vccz .LBB460_3
	s_branch .LBB460_4
.LBB460_2:
	s_mov_b32 s5, -1
                                        ; implicit-def: $sgpr2_sgpr3
.LBB460_3:
	s_load_b128 s[16:19], s[0:1], 0x18
	s_mov_b32 s5, 0
	s_delay_alu instid0(SALU_CYCLE_1)
	s_lshl_b64 s[2:3], s[4:5], 3
	s_waitcnt lgkmcnt(0)
	s_add_u32 s2, s16, s2
	s_addc_u32 s3, s17, s3
	s_lshl_b64 s[12:13], s[18:19], 1
	s_load_b64 s[2:3], s[2:3], 0x0
	s_waitcnt lgkmcnt(0)
	s_add_u32 s2, s2, s12
	s_addc_u32 s3, s3, s13
.LBB460_4:
	s_and_not1_b32 vcc_lo, exec_lo, s7
	s_cbranch_vccnz .LBB460_6
; %bb.5:
	s_load_b128 s[16:19], s[0:1], 0x38
	s_lshl_b64 s[12:13], s[4:5], 3
	s_waitcnt lgkmcnt(0)
	s_add_u32 s12, s16, s12
	s_addc_u32 s13, s17, s13
	s_lshl_b64 s[16:17], s[18:19], 1
	s_load_b64 s[12:13], s[12:13], 0x0
	s_waitcnt lgkmcnt(0)
	s_add_u32 s12, s12, s16
	s_addc_u32 s13, s13, s17
	s_branch .LBB460_7
.LBB460_6:
	s_mov_b64 s[12:13], 0
.LBB460_7:
	s_clause 0x1
	s_load_b32 s16, s[0:1], 0x68
	s_load_b64 s[20:21], s[0:1], 0x58
	s_ashr_i32 s19, s9, 31
	s_mul_hi_u32 s7, s4, s9
	s_mul_i32 s11, s4, s19
	s_mul_i32 s5, s5, s9
	s_add_i32 s7, s7, s11
	s_mul_i32 s4, s4, s9
	s_add_i32 s5, s7, s5
	s_mov_b32 s17, 0
	s_waitcnt lgkmcnt(0)
	s_mul_i32 s5, s5, s16
	s_mul_hi_u32 s7, s4, s16
	s_mul_i32 s4, s4, s16
	s_add_i32 s5, s7, s5
	s_delay_alu instid0(SALU_CYCLE_1) | instskip(NEXT) | instid1(SALU_CYCLE_1)
	s_lshl_b64 s[4:5], s[4:5], 2
	s_add_u32 s30, s20, s4
	s_addc_u32 s31, s21, s5
	s_and_not1_b32 vcc_lo, exec_lo, s6
	s_mov_b32 s4, -1
	s_cbranch_vccnz .LBB460_12
; %bb.8:
	v_cmp_eq_u32_e32 vcc_lo, 0, v0
	s_cmp_gt_i32 s9, 0
	s_cselect_b32 s4, -1, 0
	s_delay_alu instid0(SALU_CYCLE_1) | instskip(NEXT) | instid1(SALU_CYCLE_1)
	s_and_b32 s4, vcc_lo, s4
	s_and_saveexec_b32 s11, s4
	s_cbranch_execz .LBB460_11
; %bb.9:
	s_mov_b32 s15, 0
	v_mov_b32_e32 v1, 0
	s_lshl_b64 s[4:5], s[14:15], 2
	s_mov_b32 s15, s9
	s_add_u32 s4, s30, s4
	s_addc_u32 s5, s31, s5
	s_lshl_b64 s[6:7], s[16:17], 2
.LBB460_10:                             ; =>This Inner Loop Header: Depth=1
	s_add_i32 s15, s15, -1
	global_store_b32 v1, v1, s[4:5]
	s_add_u32 s4, s4, s6
	s_addc_u32 s5, s5, s7
	s_cmp_eq_u32 s15, 0
	s_cbranch_scc0 .LBB460_10
.LBB460_11:
	s_or_b32 exec_lo, exec_lo, s11
	s_mov_b32 s4, 0
.LBB460_12:
	s_delay_alu instid0(SALU_CYCLE_1)
	s_and_not1_b32 vcc_lo, exec_lo, s4
	s_cbranch_vccnz .LBB460_86
; %bb.13:
	s_clause 0x1
	s_load_b32 s18, s[0:1], 0x28
	s_load_b32 s11, s[0:1], 0x48
	s_lshl_b32 s4, s14, 10
	s_ashr_i32 s0, s8, 31
	v_lshl_or_b32 v1, v0, 2, s4
	s_lshr_b32 s0, s0, 30
	s_lshr_b32 s1, s19, 30
	s_add_i32 s0, s8, s0
	s_add_i32 s1, s9, s1
	v_ashrrev_i32_e32 v2, 31, v1
	s_and_b32 s0, s0, -4
	s_and_b32 s15, s1, -4
	s_sub_i32 s17, s8, s0
	v_add_nc_u32_e32 v22, 4, v1
	v_lshlrev_b64 v[2:3], 1, v[1:2]
	v_add_nc_u32_e32 v23, s17, v1
	v_and_b32_e32 v19, 31, v0
	v_cmp_gt_u32_e64 s0, 32, v0
	v_mbcnt_lo_u32_b32 v21, -1, 0
	v_cmp_gt_u32_e64 s1, 8, v0
	v_add_co_u32 v17, vcc_lo, s2, v2
	s_waitcnt lgkmcnt(0)
	v_mul_lo_u32 v5, v1, s11
	v_add_co_ci_u32_e32 v18, vcc_lo, s3, v3, vcc_lo
	v_lshrrev_b32_e32 v20, 3, v0
	v_cmp_eq_u32_e64 s2, 0, v0
	s_cmp_lt_i32 s15, 1
	s_cbranch_scc1 .LBB460_61
; %bb.14:
	v_cmp_gt_u32_e32 vcc_lo, 16, v21
	v_mul_lo_u32 v6, v1, s11
	s_mov_b32 s21, 0
	s_cmp_gt_i32 s17, 0
	v_cmp_ge_i32_e64 s3, s8, v22
	v_cndmask_b32_e64 v2, 0, 1, vcc_lo
	v_cmp_gt_u32_e32 vcc_lo, 24, v21
	v_cmp_ge_i32_e64 s4, s8, v23
	v_cmp_eq_u32_e64 s5, 0, v19
	v_lshlrev_b32_e32 v29, 2, v19
	v_dual_mov_b32 v31, 0 :: v_dual_lshlrev_b32 v2, 4, v2
	v_cndmask_b32_e64 v3, 0, 1, vcc_lo
	v_cmp_gt_u32_e32 vcc_lo, 28, v21
	v_and_b32_e32 v30, 28, v20
	s_delay_alu instid0(VALU_DEP_4)
	v_add_lshl_u32 v24, v2, v21, 2
	s_mov_b32 s19, s21
	v_lshlrev_b32_e32 v2, 3, v3
	v_cndmask_b32_e64 v4, 0, 1, vcc_lo
	v_cmp_gt_u32_e32 vcc_lo, 30, v21
	s_cselect_b32 s33, -1, 0
	s_lshl_b32 s20, s18, 1
	v_add_lshl_u32 v25, v2, v21, 2
	v_lshlrev_b32_e32 v1, 2, v4
	v_cndmask_b32_e64 v7, 0, 1, vcc_lo
	v_cmp_ne_u32_e32 vcc_lo, 31, v21
	s_lshl_b32 s34, s18, 2
	s_mul_i32 s35, s18, 3
	v_add_lshl_u32 v26, v1, v21, 2
	v_lshlrev_b32_e32 v3, 1, v7
	v_add_nc_u32_e32 v1, s11, v6
	v_ashrrev_i32_e32 v7, 31, v6
	v_add_co_ci_u32_e32 v4, vcc_lo, 0, v21, vcc_lo
	s_delay_alu instid0(VALU_DEP_4) | instskip(NEXT) | instid1(VALU_DEP_4)
	v_add_lshl_u32 v27, v3, v21, 2
	v_add_nc_u32_e32 v3, s11, v1
	v_ashrrev_i32_e32 v2, 31, v1
	v_lshlrev_b64 v[7:8], 1, v[6:7]
	v_lshlrev_b32_e32 v28, 2, v4
	s_mov_b32 s36, s21
	v_add_nc_u32_e32 v11, s11, v3
	v_lshlrev_b64 v[1:2], 1, v[1:2]
	v_ashrrev_i32_e32 v4, 31, v3
	v_add_co_u32 v7, vcc_lo, s12, v7
	s_delay_alu instid0(VALU_DEP_4) | instskip(SKIP_1) | instid1(VALU_DEP_4)
	v_ashrrev_i32_e32 v12, 31, v11
	v_add_co_ci_u32_e32 v8, vcc_lo, s13, v8, vcc_lo
	v_lshlrev_b64 v[3:4], 1, v[3:4]
	v_add_co_u32 v9, vcc_lo, s12, v1
	v_add_co_ci_u32_e32 v10, vcc_lo, s13, v2, vcc_lo
	v_lshlrev_b64 v[1:2], 1, v[11:12]
	s_delay_alu instid0(VALU_DEP_4) | instskip(SKIP_2) | instid1(VALU_DEP_3)
	v_add_co_u32 v11, vcc_lo, s12, v3
	v_add_co_ci_u32_e32 v12, vcc_lo, s13, v4, vcc_lo
	s_mov_b32 s22, s21
	v_add_co_u32 v13, vcc_lo, s12, v1
	s_delay_alu instid0(VALU_DEP_4)
	v_add_co_ci_u32_e32 v14, vcc_lo, s13, v2, vcc_lo
	s_mov_b64 s[24:25], s[20:21]
	s_mov_b64 s[26:27], s[18:19]
	s_mov_b32 s19, 0
                                        ; implicit-def: $vgpr1_vgpr2_vgpr3_vgpr4
	s_branch .LBB460_16
.LBB460_15:                             ;   in Loop: Header=BB460_16 Depth=1
	s_or_b32 exec_lo, exec_lo, s6
	s_add_i32 s19, s19, 4
	s_add_u32 s26, s26, s34
	s_addc_u32 s27, s27, 0
	s_add_u32 s24, s24, s34
	s_addc_u32 s25, s25, 0
	s_add_u32 s35, s35, s34
	s_addc_u32 s36, s36, 0
	s_add_i32 s22, s22, s34
	s_cmp_ge_i32 s19, s15
	s_cbranch_scc1 .LBB460_62
.LBB460_16:                             ; =>This Loop Header: Depth=1
                                        ;     Child Loop BB460_47 Depth 2
                                        ;     Child Loop BB460_50 Depth 2
                                        ; implicit-def: $vgpr32
                                        ; implicit-def: $vgpr33
                                        ; implicit-def: $vgpr34
                                        ; implicit-def: $vgpr35
	s_and_saveexec_b32 s6, s3
	s_delay_alu instid0(SALU_CYCLE_1)
	s_xor_b32 s6, exec_lo, s6
	s_cbranch_execnz .LBB460_43
; %bb.17:                               ;   in Loop: Header=BB460_16 Depth=1
	s_and_not1_saveexec_b32 s20, s6
	s_cbranch_execnz .LBB460_44
.LBB460_18:                             ;   in Loop: Header=BB460_16 Depth=1
	s_or_b32 exec_lo, exec_lo, s20
	s_and_saveexec_b32 s6, s0
	s_cbranch_execz .LBB460_20
.LBB460_19:                             ;   in Loop: Header=BB460_16 Depth=1
	ds_store_b32 v29, v31
.LBB460_20:                             ;   in Loop: Header=BB460_16 Depth=1
	s_or_b32 exec_lo, exec_lo, s6
	ds_bpermute_b32 v15, v24, v35
	s_waitcnt lgkmcnt(0)
	s_waitcnt_vscnt null, 0x0
	s_barrier
	buffer_gl0_inv
	v_add_f32_e32 v15, v35, v15
	ds_bpermute_b32 v16, v25, v15
	s_waitcnt lgkmcnt(0)
	v_add_f32_e32 v15, v15, v16
	ds_bpermute_b32 v16, v26, v15
	s_waitcnt lgkmcnt(0)
	;; [unrolled: 3-line block ×3, first 2 shown]
	v_add_f32_e32 v15, v15, v16
	ds_bpermute_b32 v16, v28, v15
	s_and_saveexec_b32 s6, s5
	s_cbranch_execz .LBB460_22
; %bb.21:                               ;   in Loop: Header=BB460_16 Depth=1
	s_waitcnt lgkmcnt(0)
	v_add_f32_e32 v15, v15, v16
	ds_store_b32 v30, v15
.LBB460_22:                             ;   in Loop: Header=BB460_16 Depth=1
	s_or_b32 exec_lo, exec_lo, s6
	v_mov_b32_e32 v15, 0
	s_waitcnt lgkmcnt(0)
	s_barrier
	buffer_gl0_inv
	s_and_saveexec_b32 s6, s1
	s_cbranch_execnz .LBB460_52
; %bb.23:                               ;   in Loop: Header=BB460_16 Depth=1
	s_or_b32 exec_lo, exec_lo, s6
	s_and_saveexec_b32 s6, s0
	s_cbranch_execnz .LBB460_53
.LBB460_24:                             ;   in Loop: Header=BB460_16 Depth=1
	s_or_b32 exec_lo, exec_lo, s6
	s_and_saveexec_b32 s6, s0
	s_cbranch_execz .LBB460_26
.LBB460_25:                             ;   in Loop: Header=BB460_16 Depth=1
	ds_store_b32 v29, v31
.LBB460_26:                             ;   in Loop: Header=BB460_16 Depth=1
	s_or_b32 exec_lo, exec_lo, s6
	ds_bpermute_b32 v16, v24, v34
	s_waitcnt lgkmcnt(0)
	s_barrier
	buffer_gl0_inv
	v_add_f32_e32 v16, v34, v16
	ds_bpermute_b32 v34, v25, v16
	s_waitcnt lgkmcnt(0)
	v_add_f32_e32 v16, v16, v34
	ds_bpermute_b32 v34, v26, v16
	s_waitcnt lgkmcnt(0)
	;; [unrolled: 3-line block ×3, first 2 shown]
	v_add_f32_e32 v16, v16, v34
	ds_bpermute_b32 v34, v28, v16
	s_and_saveexec_b32 s6, s5
	s_cbranch_execz .LBB460_28
; %bb.27:                               ;   in Loop: Header=BB460_16 Depth=1
	s_waitcnt lgkmcnt(0)
	v_add_f32_e32 v16, v16, v34
	ds_store_b32 v30, v16
.LBB460_28:                             ;   in Loop: Header=BB460_16 Depth=1
	s_or_b32 exec_lo, exec_lo, s6
	v_mov_b32_e32 v16, 0
	s_waitcnt lgkmcnt(0)
	s_barrier
	buffer_gl0_inv
	s_and_saveexec_b32 s6, s1
	s_cbranch_execnz .LBB460_54
; %bb.29:                               ;   in Loop: Header=BB460_16 Depth=1
	s_or_b32 exec_lo, exec_lo, s6
	s_and_saveexec_b32 s6, s0
	s_cbranch_execnz .LBB460_55
.LBB460_30:                             ;   in Loop: Header=BB460_16 Depth=1
	s_or_b32 exec_lo, exec_lo, s6
	s_and_saveexec_b32 s6, s0
	s_cbranch_execz .LBB460_32
.LBB460_31:                             ;   in Loop: Header=BB460_16 Depth=1
	ds_store_b32 v29, v31
.LBB460_32:                             ;   in Loop: Header=BB460_16 Depth=1
	s_or_b32 exec_lo, exec_lo, s6
	ds_bpermute_b32 v34, v24, v33
	s_waitcnt lgkmcnt(0)
	s_barrier
	buffer_gl0_inv
	v_add_f32_e32 v33, v33, v34
	ds_bpermute_b32 v34, v25, v33
	s_waitcnt lgkmcnt(0)
	v_add_f32_e32 v33, v33, v34
	ds_bpermute_b32 v34, v26, v33
	s_waitcnt lgkmcnt(0)
	;; [unrolled: 3-line block ×3, first 2 shown]
	v_add_f32_e32 v33, v33, v34
	ds_bpermute_b32 v34, v28, v33
	s_and_saveexec_b32 s6, s5
	s_cbranch_execz .LBB460_34
; %bb.33:                               ;   in Loop: Header=BB460_16 Depth=1
	s_waitcnt lgkmcnt(0)
	v_add_f32_e32 v33, v33, v34
	ds_store_b32 v30, v33
.LBB460_34:                             ;   in Loop: Header=BB460_16 Depth=1
	s_or_b32 exec_lo, exec_lo, s6
	v_mov_b32_e32 v33, 0
	s_waitcnt lgkmcnt(0)
	s_barrier
	buffer_gl0_inv
	s_and_saveexec_b32 s6, s1
	s_cbranch_execnz .LBB460_56
; %bb.35:                               ;   in Loop: Header=BB460_16 Depth=1
	s_or_b32 exec_lo, exec_lo, s6
	s_and_saveexec_b32 s6, s0
	s_cbranch_execnz .LBB460_57
.LBB460_36:                             ;   in Loop: Header=BB460_16 Depth=1
	s_or_b32 exec_lo, exec_lo, s6
	s_and_saveexec_b32 s6, s0
	s_cbranch_execz .LBB460_38
.LBB460_37:                             ;   in Loop: Header=BB460_16 Depth=1
	ds_store_b32 v29, v31
.LBB460_38:                             ;   in Loop: Header=BB460_16 Depth=1
	s_or_b32 exec_lo, exec_lo, s6
	ds_bpermute_b32 v34, v24, v32
	s_waitcnt lgkmcnt(0)
	s_barrier
	buffer_gl0_inv
	v_add_f32_e32 v32, v32, v34
	ds_bpermute_b32 v34, v25, v32
	s_waitcnt lgkmcnt(0)
	v_add_f32_e32 v32, v32, v34
	ds_bpermute_b32 v34, v26, v32
	s_waitcnt lgkmcnt(0)
	;; [unrolled: 3-line block ×3, first 2 shown]
	v_add_f32_e32 v32, v32, v34
	ds_bpermute_b32 v34, v28, v32
	s_and_saveexec_b32 s6, s5
	s_cbranch_execz .LBB460_40
; %bb.39:                               ;   in Loop: Header=BB460_16 Depth=1
	s_waitcnt lgkmcnt(0)
	v_add_f32_e32 v32, v32, v34
	ds_store_b32 v30, v32
.LBB460_40:                             ;   in Loop: Header=BB460_16 Depth=1
	s_or_b32 exec_lo, exec_lo, s6
	v_mov_b32_e32 v32, 0
	s_waitcnt lgkmcnt(0)
	s_barrier
	buffer_gl0_inv
	s_and_saveexec_b32 s6, s1
	s_cbranch_execnz .LBB460_58
; %bb.41:                               ;   in Loop: Header=BB460_16 Depth=1
	s_or_b32 exec_lo, exec_lo, s6
	s_and_saveexec_b32 s6, s0
	s_cbranch_execnz .LBB460_59
.LBB460_42:                             ;   in Loop: Header=BB460_16 Depth=1
	s_or_b32 exec_lo, exec_lo, s6
	s_and_saveexec_b32 s6, s2
	s_cbranch_execz .LBB460_15
	s_branch .LBB460_60
.LBB460_43:                             ;   in Loop: Header=BB460_16 Depth=1
	s_mul_i32 s28, s19, s18
	s_delay_alu instid0(SALU_CYCLE_1)
	s_ashr_i32 s29, s28, 31
	s_add_i32 s38, s28, s18
	s_lshl_b64 s[28:29], s[28:29], 1
	s_ashr_i32 s39, s38, 31
	v_add_co_u32 v1, vcc_lo, v17, s28
	v_add_co_ci_u32_e32 v2, vcc_lo, s29, v18, vcc_lo
	s_lshl_b64 s[28:29], s[38:39], 1
	s_add_i32 s38, s38, s18
	v_add_co_u32 v3, vcc_lo, v17, s28
	s_ashr_i32 s39, s38, 31
	s_add_i32 s28, s38, s18
	s_lshl_b64 s[38:39], s[38:39], 1
	v_add_co_ci_u32_e32 v4, vcc_lo, s29, v18, vcc_lo
	s_ashr_i32 s29, s28, 31
	v_add_co_u32 v15, vcc_lo, v17, s38
	s_lshl_b64 s[28:29], s[28:29], 1
	v_add_co_ci_u32_e32 v16, vcc_lo, s39, v18, vcc_lo
	s_waitcnt lgkmcnt(0)
	v_add_co_u32 v32, vcc_lo, v17, s28
	v_add_co_ci_u32_e32 v33, vcc_lo, s29, v18, vcc_lo
	flat_load_u16 v40, v[7:8]
	s_clause 0x3
	flat_load_b64 v[34:35], v[1:2]
	flat_load_b64 v[36:37], v[3:4]
	;; [unrolled: 1-line block ×4, first 2 shown]
	s_clause 0x2
	flat_load_u16 v3, v[9:10]
	flat_load_u16 v4, v[11:12]
	flat_load_u16 v32, v[13:14]
	s_waitcnt vmcnt(7) lgkmcnt(7)
	v_cvt_f32_f16_e32 v1, v40
	s_waitcnt vmcnt(6) lgkmcnt(6)
	v_fma_mix_f32 v33, v40, v34, 0 op_sel_hi:[1,1,0]
	s_waitcnt vmcnt(5) lgkmcnt(5)
	v_fma_mix_f32 v41, v40, v36, 0 op_sel_hi:[1,1,0]
	;; [unrolled: 2-line block ×4, first 2 shown]
	s_waitcnt vmcnt(2) lgkmcnt(2)
	v_cvt_f32_f16_e32 v2, v3
	v_fma_mix_f32 v33, v3, v34, v33 op_sel:[0,1,0] op_sel_hi:[1,1,0]
	v_fma_mix_f32 v34, v3, v36, v41 op_sel:[0,1,0] op_sel_hi:[1,1,0]
	;; [unrolled: 1-line block ×4, first 2 shown]
	s_waitcnt vmcnt(1) lgkmcnt(1)
	v_cvt_f32_f16_e32 v3, v4
	v_fma_mix_f32 v33, v4, v35, v33 op_sel_hi:[1,1,0]
	v_fma_mix_f32 v34, v4, v37, v34 op_sel_hi:[1,1,0]
	;; [unrolled: 1-line block ×4, first 2 shown]
	s_waitcnt vmcnt(0) lgkmcnt(0)
	v_cvt_f32_f16_e32 v4, v32
	v_fma_mix_f32 v35, v32, v35, v33 op_sel:[0,1,0] op_sel_hi:[1,1,0]
	v_fma_mix_f32 v34, v32, v37, v34 op_sel:[0,1,0] op_sel_hi:[1,1,0]
	;; [unrolled: 1-line block ×4, first 2 shown]
	s_and_not1_saveexec_b32 s20, s6
	s_cbranch_execz .LBB460_18
.LBB460_44:                             ;   in Loop: Header=BB460_16 Depth=1
	s_waitcnt lgkmcnt(0)
	v_dual_mov_b32 v32, 0 :: v_dual_mov_b32 v33, 0
	v_dual_mov_b32 v34, 0 :: v_dual_mov_b32 v35, 0
	s_and_saveexec_b32 s37, s4
	s_cbranch_execz .LBB460_51
; %bb.45:                               ;   in Loop: Header=BB460_16 Depth=1
	s_and_not1_b32 vcc_lo, exec_lo, s33
	s_cbranch_vccnz .LBB460_48
; %bb.46:                               ;   in Loop: Header=BB460_16 Depth=1
	v_mov_b32_e32 v15, v6
	s_mov_b64 s[28:29], 0
	.p2align	6
.LBB460_47:                             ;   Parent Loop BB460_16 Depth=1
                                        ; =>  This Inner Loop Header: Depth=2
	s_delay_alu instid0(VALU_DEP_1) | instskip(SKIP_1) | instid1(VALU_DEP_1)
	v_ashrrev_i32_e32 v16, 31, v15
	s_cmp_eq_u32 s28, 3
	v_lshlrev_b64 v[32:33], 1, v[15:16]
	s_delay_alu instid0(VALU_DEP_1) | instskip(NEXT) | instid1(VALU_DEP_2)
	v_add_co_u32 v32, vcc_lo, s12, v32
	v_add_co_ci_u32_e32 v33, vcc_lo, s13, v33, vcc_lo
	s_cselect_b32 vcc_lo, -1, 0
	s_cmp_eq_u32 s28, 2
	s_cselect_b32 s6, -1, 0
	flat_load_u16 v16, v[32:33]
	s_cmp_eq_u32 s28, 1
	s_cselect_b32 s7, -1, 0
	s_cmp_eq_u32 s28, 0
	s_waitcnt vmcnt(0) lgkmcnt(0)
	v_cvt_f32_f16_e32 v16, v16
	s_delay_alu instid0(VALU_DEP_1)
	v_dual_cndmask_b32 v4, v4, v16 :: v_dual_add_nc_u32 v15, s11, v15
	s_cselect_b32 vcc_lo, -1, 0
	v_cndmask_b32_e64 v3, v3, v16, s6
	v_cndmask_b32_e64 v2, v2, v16, s7
	v_cndmask_b32_e32 v1, v1, v16, vcc_lo
	s_add_u32 s28, s28, 1
	s_addc_u32 s29, s29, 0
	s_cmp_eq_u32 s17, s28
	s_cbranch_scc0 .LBB460_47
.LBB460_48:                             ;   in Loop: Header=BB460_16 Depth=1
	v_dual_mov_b32 v32, 0 :: v_dual_mov_b32 v33, 0
	v_dual_mov_b32 v34, 0 :: v_dual_mov_b32 v35, 0
	s_and_not1_b32 vcc_lo, exec_lo, s33
	s_cbranch_vccnz .LBB460_51
; %bb.49:                               ;   in Loop: Header=BB460_16 Depth=1
	s_ashr_i32 s23, s22, 31
	v_dual_mov_b32 v35, 0 :: v_dual_mov_b32 v34, 0
	s_lshl_b64 s[6:7], s[22:23], 1
	v_dual_mov_b32 v33, 0 :: v_dual_mov_b32 v32, 0
	v_add_co_u32 v15, vcc_lo, v17, s6
	v_add_co_ci_u32_e32 v16, vcc_lo, s7, v18, vcc_lo
	s_mov_b64 s[28:29], 0
.LBB460_50:                             ;   Parent Loop BB460_16 Depth=1
                                        ; =>  This Inner Loop Header: Depth=2
	s_delay_alu instid0(SALU_CYCLE_1)
	s_cmp_eq_u32 s28, 1
	s_cselect_b32 vcc_lo, -1, 0
	s_cmp_eq_u32 s28, 2
	v_cndmask_b32_e32 v36, v1, v2, vcc_lo
	s_cselect_b32 vcc_lo, -1, 0
	s_cmp_eq_u32 s28, 3
	s_delay_alu instid0(VALU_DEP_1)
	v_cndmask_b32_e32 v42, v36, v3, vcc_lo
	s_cselect_b32 vcc_lo, -1, 0
	s_add_i32 s6, s26, s28
	s_add_i32 s38, s24, s28
	s_ashr_i32 s7, s6, 31
	s_ashr_i32 s39, s38, 31
	s_lshl_b64 s[6:7], s[6:7], 1
	s_add_i32 s40, s35, s28
	v_add_co_u32 v36, s6, v17, s6
	s_lshl_b64 s[38:39], s[38:39], 1
	s_ashr_i32 s41, s40, 31
	v_add_co_ci_u32_e64 v37, s6, s7, v18, s6
	v_add_co_u32 v38, s6, v17, s38
	s_lshl_b64 s[40:41], s[40:41], 1
	v_add_co_ci_u32_e64 v39, s6, s39, v18, s6
	v_add_co_u32 v40, s6, v17, s40
	s_delay_alu instid0(VALU_DEP_1)
	v_add_co_ci_u32_e64 v41, s6, s41, v18, s6
	flat_load_u16 v43, v[15:16]
	s_clause 0x2
	flat_load_u16 v36, v[36:37]
	flat_load_u16 v37, v[38:39]
	;; [unrolled: 1-line block ×3, first 2 shown]
	v_cndmask_b32_e32 v39, v42, v4, vcc_lo
	v_add_co_u32 v15, s6, v15, 2
	s_delay_alu instid0(VALU_DEP_1)
	v_add_co_ci_u32_e64 v16, s6, 0, v16, s6
	s_add_u32 s28, s28, 1
	s_addc_u32 s29, s29, 0
	s_cmp_lg_u32 s17, s28
	s_waitcnt vmcnt(3) lgkmcnt(3)
	v_fma_mix_f32 v35, v39, v43, v35 op_sel_hi:[0,1,0]
	s_waitcnt vmcnt(2) lgkmcnt(2)
	v_fma_mix_f32 v34, v39, v36, v34 op_sel_hi:[0,1,0]
	;; [unrolled: 2-line block ×4, first 2 shown]
	s_cbranch_scc1 .LBB460_50
.LBB460_51:                             ;   in Loop: Header=BB460_16 Depth=1
	s_or_b32 exec_lo, exec_lo, s37
	s_delay_alu instid0(SALU_CYCLE_1)
	s_or_b32 exec_lo, exec_lo, s20
	s_and_saveexec_b32 s6, s0
	s_cbranch_execnz .LBB460_19
	s_branch .LBB460_20
.LBB460_52:                             ;   in Loop: Header=BB460_16 Depth=1
	ds_load_b32 v15, v29
	s_or_b32 exec_lo, exec_lo, s6
	s_and_saveexec_b32 s6, s0
	s_cbranch_execz .LBB460_24
.LBB460_53:                             ;   in Loop: Header=BB460_16 Depth=1
	s_waitcnt lgkmcnt(0)
	ds_bpermute_b32 v16, v26, v15
	s_waitcnt lgkmcnt(0)
	v_add_f32_e32 v15, v15, v16
	ds_bpermute_b32 v16, v27, v15
	s_waitcnt lgkmcnt(0)
	v_add_f32_e32 v15, v15, v16
	;; [unrolled: 3-line block ×3, first 2 shown]
	s_or_b32 exec_lo, exec_lo, s6
	s_and_saveexec_b32 s6, s0
	s_cbranch_execnz .LBB460_25
	s_branch .LBB460_26
.LBB460_54:                             ;   in Loop: Header=BB460_16 Depth=1
	ds_load_b32 v16, v29
	s_or_b32 exec_lo, exec_lo, s6
	s_and_saveexec_b32 s6, s0
	s_cbranch_execz .LBB460_30
.LBB460_55:                             ;   in Loop: Header=BB460_16 Depth=1
	s_waitcnt lgkmcnt(0)
	ds_bpermute_b32 v34, v26, v16
	s_waitcnt lgkmcnt(0)
	v_add_f32_e32 v16, v16, v34
	ds_bpermute_b32 v34, v27, v16
	s_waitcnt lgkmcnt(0)
	v_add_f32_e32 v16, v16, v34
	ds_bpermute_b32 v34, v28, v16
	s_waitcnt lgkmcnt(0)
	v_add_f32_e32 v16, v16, v34
	s_or_b32 exec_lo, exec_lo, s6
	s_and_saveexec_b32 s6, s0
	s_cbranch_execnz .LBB460_31
	s_branch .LBB460_32
.LBB460_56:                             ;   in Loop: Header=BB460_16 Depth=1
	ds_load_b32 v33, v29
	s_or_b32 exec_lo, exec_lo, s6
	s_and_saveexec_b32 s6, s0
	s_cbranch_execz .LBB460_36
.LBB460_57:                             ;   in Loop: Header=BB460_16 Depth=1
	s_waitcnt lgkmcnt(0)
	ds_bpermute_b32 v34, v26, v33
	s_waitcnt lgkmcnt(0)
	v_add_f32_e32 v33, v33, v34
	ds_bpermute_b32 v34, v27, v33
	s_waitcnt lgkmcnt(0)
	v_add_f32_e32 v33, v33, v34
	;; [unrolled: 3-line block ×3, first 2 shown]
	s_or_b32 exec_lo, exec_lo, s6
	s_and_saveexec_b32 s6, s0
	s_cbranch_execnz .LBB460_37
	s_branch .LBB460_38
.LBB460_58:                             ;   in Loop: Header=BB460_16 Depth=1
	ds_load_b32 v32, v29
	s_or_b32 exec_lo, exec_lo, s6
	s_and_saveexec_b32 s6, s0
	s_cbranch_execz .LBB460_42
.LBB460_59:                             ;   in Loop: Header=BB460_16 Depth=1
	s_waitcnt lgkmcnt(0)
	ds_bpermute_b32 v34, v26, v32
	s_waitcnt lgkmcnt(0)
	v_add_f32_e32 v32, v32, v34
	ds_bpermute_b32 v34, v27, v32
	s_waitcnt lgkmcnt(0)
	v_add_f32_e32 v32, v32, v34
	;; [unrolled: 3-line block ×3, first 2 shown]
	s_or_b32 exec_lo, exec_lo, s6
	s_and_saveexec_b32 s6, s2
	s_cbranch_execz .LBB460_15
.LBB460_60:                             ;   in Loop: Header=BB460_16 Depth=1
	s_mul_i32 s7, s19, s16
	v_dual_mul_f32 v15, s10, v15 :: v_dual_mul_f32 v16, s10, v16
	s_add_i32 s20, s7, s14
	v_mul_f32_e32 v33, s10, v33
	s_lshl_b64 s[28:29], s[20:21], 2
	s_delay_alu instid0(SALU_CYCLE_1)
	s_add_u32 s28, s30, s28
	s_addc_u32 s29, s31, s29
	s_add_i32 s20, s20, s16
	global_store_b32 v31, v15, s[28:29]
	s_lshl_b64 s[38:39], s[20:21], 2
	s_waitcnt lgkmcnt(0)
	v_mul_f32_e32 v15, s10, v32
	s_add_u32 s38, s30, s38
	s_addc_u32 s39, s31, s39
	s_add_i32 s20, s20, s16
	global_store_b32 v31, v16, s[38:39]
	s_lshl_b64 s[40:41], s[20:21], 2
	s_delay_alu instid0(SALU_CYCLE_1) | instskip(SKIP_2) | instid1(SALU_CYCLE_1)
	s_add_u32 s28, s30, s40
	s_addc_u32 s29, s31, s41
	s_add_i32 s20, s20, s16
	s_lshl_b64 s[40:41], s[20:21], 2
	s_delay_alu instid0(SALU_CYCLE_1)
	s_add_u32 s38, s30, s40
	s_addc_u32 s39, s31, s41
	s_clause 0x1
	global_store_b32 v31, v33, s[28:29]
	global_store_b32 v31, v15, s[38:39]
	s_branch .LBB460_15
.LBB460_61:
	s_mov_b32 s19, 0
                                        ; implicit-def: $vgpr1_vgpr2_vgpr3_vgpr4
.LBB460_62:
	s_delay_alu instid0(SALU_CYCLE_1)
	s_cmp_ge_i32 s19, s9
	s_cbranch_scc1 .LBB460_86
; %bb.63:
	v_cmp_gt_u32_e32 vcc_lo, 16, v21
	v_cmp_ge_i32_e64 s1, s8, v23
	v_cmp_gt_u32_e64 s2, 32, v0
	v_cmp_gt_u32_e64 s4, 8, v0
	v_cmp_eq_u32_e64 s5, 0, v0
	v_cndmask_b32_e64 v6, 0, 1, vcc_lo
	v_cmp_gt_u32_e32 vcc_lo, 24, v21
	v_cmp_ge_i32_e64 s0, s8, v22
	s_cmp_gt_i32 s17, 0
	s_mov_b32 s15, 0
	v_lshlrev_b32_e32 v6, 4, v6
	v_cndmask_b32_e64 v7, 0, 1, vcc_lo
	v_cmp_gt_u32_e32 vcc_lo, 28, v21
	s_cselect_b32 s8, -1, 0
	v_lshlrev_b32_e32 v16, 2, v19
	s_delay_alu instid0(VALU_DEP_3)
	v_dual_mov_b32 v0, 0 :: v_dual_lshlrev_b32 v7, 3, v7
	v_cndmask_b32_e64 v8, 0, 1, vcc_lo
	v_cmp_gt_u32_e32 vcc_lo, 30, v21
	v_add_lshl_u32 v22, v6, v21, 2
	v_ashrrev_i32_e32 v6, 31, v5
	v_add_lshl_u32 v23, v7, v21, 2
	v_lshlrev_b32_e32 v8, 2, v8
	v_cndmask_b32_e64 v9, 0, 1, vcc_lo
	v_cmp_ne_u32_e32 vcc_lo, 31, v21
	v_add_nc_u32_e32 v7, s11, v5
	v_lshlrev_b64 v[11:12], 1, v[5:6]
	v_add_lshl_u32 v24, v8, v21, 2
	v_lshlrev_b32_e32 v9, 1, v9
	v_add_co_ci_u32_e32 v10, vcc_lo, 0, v21, vcc_lo
	v_ashrrev_i32_e32 v8, 31, v7
	v_add_co_u32 v6, vcc_lo, s12, v11
	s_delay_alu instid0(VALU_DEP_4) | instskip(SKIP_4) | instid1(VALU_DEP_4)
	v_add_lshl_u32 v21, v9, v21, 2
	v_add_nc_u32_e32 v9, s11, v7
	v_lshlrev_b32_e32 v25, 2, v10
	v_lshlrev_b64 v[13:14], 1, v[7:8]
	v_add_co_ci_u32_e32 v7, vcc_lo, s13, v12, vcc_lo
	v_add_nc_u32_e32 v26, s11, v9
	v_ashrrev_i32_e32 v10, 31, v9
	v_cmp_eq_u32_e64 s3, 0, v19
	v_add_co_u32 v8, vcc_lo, s12, v13
	s_delay_alu instid0(VALU_DEP_4) | instskip(NEXT) | instid1(VALU_DEP_4)
	v_ashrrev_i32_e32 v27, 31, v26
	v_lshlrev_b64 v[10:11], 1, v[9:10]
	v_add_co_ci_u32_e32 v9, vcc_lo, s13, v14, vcc_lo
	v_and_b32_e32 v19, 28, v20
	s_delay_alu instid0(VALU_DEP_4) | instskip(SKIP_1) | instid1(VALU_DEP_4)
	v_lshlrev_b64 v[12:13], 1, v[26:27]
	s_lshl_b64 s[6:7], s[14:15], 2
	v_add_co_u32 v10, vcc_lo, s12, v10
	v_add_co_ci_u32_e32 v11, vcc_lo, s13, v11, vcc_lo
	s_delay_alu instid0(VALU_DEP_3) | instskip(NEXT) | instid1(VALU_DEP_4)
	v_add_co_u32 v12, vcc_lo, s12, v12
	v_add_co_ci_u32_e32 v13, vcc_lo, s13, v13, vcc_lo
	s_add_u32 s14, s30, s6
	s_addc_u32 s24, s31, s7
	s_mul_i32 s20, s19, s18
	s_branch .LBB460_65
.LBB460_64:                             ;   in Loop: Header=BB460_65 Depth=1
	s_or_b32 exec_lo, exec_lo, s6
	s_add_i32 s19, s19, 1
	s_add_i32 s20, s20, s18
	s_cmp_ge_i32 s19, s9
	s_cbranch_scc1 .LBB460_86
.LBB460_65:                             ; =>This Loop Header: Depth=1
                                        ;     Child Loop BB460_78 Depth 2
                                        ;     Child Loop BB460_81 Depth 2
	v_mov_b32_e32 v20, s15
	s_and_saveexec_b32 s6, s0
	s_delay_alu instid0(SALU_CYCLE_1)
	s_xor_b32 s6, exec_lo, s6
	s_cbranch_execnz .LBB460_74
; %bb.66:                               ;   in Loop: Header=BB460_65 Depth=1
	s_and_not1_saveexec_b32 s25, s6
	s_cbranch_execnz .LBB460_75
.LBB460_67:                             ;   in Loop: Header=BB460_65 Depth=1
	s_or_b32 exec_lo, exec_lo, s25
	s_and_saveexec_b32 s6, s2
	s_cbranch_execz .LBB460_69
.LBB460_68:                             ;   in Loop: Header=BB460_65 Depth=1
	ds_store_b32 v16, v0
.LBB460_69:                             ;   in Loop: Header=BB460_65 Depth=1
	s_or_b32 exec_lo, exec_lo, s6
	s_waitcnt lgkmcnt(0)
	ds_bpermute_b32 v14, v22, v20
	s_waitcnt lgkmcnt(0)
	s_waitcnt_vscnt null, 0x0
	s_barrier
	buffer_gl0_inv
	v_add_f32_e32 v14, v20, v14
	ds_bpermute_b32 v15, v23, v14
	s_waitcnt lgkmcnt(0)
	v_add_f32_e32 v14, v14, v15
	ds_bpermute_b32 v15, v24, v14
	s_waitcnt lgkmcnt(0)
	;; [unrolled: 3-line block ×3, first 2 shown]
	v_add_f32_e32 v14, v14, v15
	ds_bpermute_b32 v15, v25, v14
	s_and_saveexec_b32 s6, s3
	s_cbranch_execz .LBB460_71
; %bb.70:                               ;   in Loop: Header=BB460_65 Depth=1
	s_waitcnt lgkmcnt(0)
	v_add_f32_e32 v14, v14, v15
	ds_store_b32 v19, v14
.LBB460_71:                             ;   in Loop: Header=BB460_65 Depth=1
	s_or_b32 exec_lo, exec_lo, s6
	v_mov_b32_e32 v14, 0
	s_waitcnt lgkmcnt(0)
	s_barrier
	buffer_gl0_inv
	s_and_saveexec_b32 s6, s4
	s_cbranch_execnz .LBB460_83
; %bb.72:                               ;   in Loop: Header=BB460_65 Depth=1
	s_or_b32 exec_lo, exec_lo, s6
	s_and_saveexec_b32 s6, s2
	s_cbranch_execnz .LBB460_84
.LBB460_73:                             ;   in Loop: Header=BB460_65 Depth=1
	s_or_b32 exec_lo, exec_lo, s6
	s_and_saveexec_b32 s6, s5
	s_cbranch_execz .LBB460_64
	s_branch .LBB460_85
.LBB460_74:                             ;   in Loop: Header=BB460_65 Depth=1
	s_mul_i32 s22, s19, s18
	s_delay_alu instid0(SALU_CYCLE_1) | instskip(NEXT) | instid1(SALU_CYCLE_1)
	s_ashr_i32 s23, s22, 31
	s_lshl_b64 s[22:23], s[22:23], 1
	s_delay_alu instid0(SALU_CYCLE_1)
	v_add_co_u32 v1, vcc_lo, v17, s22
	v_add_co_ci_u32_e32 v2, vcc_lo, s23, v18, vcc_lo
	s_waitcnt lgkmcnt(0)
	flat_load_b64 v[14:15], v[1:2]
	s_clause 0x3
	flat_load_u16 v1, v[6:7]
	flat_load_u16 v2, v[8:9]
	;; [unrolled: 1-line block ×4, first 2 shown]
	s_waitcnt vmcnt(3) lgkmcnt(3)
	v_fma_mix_f32 v4, v1, v14, 0 op_sel_hi:[1,1,0]
	v_cvt_f32_f16_e32 v1, v1
	s_waitcnt vmcnt(2) lgkmcnt(2)
	s_delay_alu instid0(VALU_DEP_2) | instskip(SKIP_2) | instid1(VALU_DEP_2)
	v_fma_mix_f32 v4, v2, v14, v4 op_sel:[0,1,0] op_sel_hi:[1,1,0]
	v_cvt_f32_f16_e32 v2, v2
	s_waitcnt vmcnt(1) lgkmcnt(1)
	v_fma_mix_f32 v14, v3, v15, v4 op_sel_hi:[1,1,0]
	v_cvt_f32_f16_e32 v3, v3
	s_waitcnt vmcnt(0) lgkmcnt(0)
	v_cvt_f32_f16_e32 v4, v20
	s_delay_alu instid0(VALU_DEP_3)
	v_fma_mix_f32 v20, v20, v15, v14 op_sel:[0,1,0] op_sel_hi:[1,1,0]
	s_and_not1_saveexec_b32 s25, s6
	s_cbranch_execz .LBB460_67
.LBB460_75:                             ;   in Loop: Header=BB460_65 Depth=1
	s_and_saveexec_b32 s26, s1
	s_cbranch_execz .LBB460_82
; %bb.76:                               ;   in Loop: Header=BB460_65 Depth=1
	s_and_not1_b32 vcc_lo, exec_lo, s8
	s_cbranch_vccnz .LBB460_79
; %bb.77:                               ;   in Loop: Header=BB460_65 Depth=1
	s_waitcnt lgkmcnt(0)
	v_mov_b32_e32 v14, v5
	s_mov_b64 s[22:23], 0
	.p2align	6
.LBB460_78:                             ;   Parent Loop BB460_65 Depth=1
                                        ; =>  This Inner Loop Header: Depth=2
	s_delay_alu instid0(VALU_DEP_1) | instskip(SKIP_1) | instid1(VALU_DEP_1)
	v_ashrrev_i32_e32 v15, 31, v14
	s_cmp_eq_u32 s22, 3
	v_lshlrev_b64 v[26:27], 1, v[14:15]
	s_delay_alu instid0(VALU_DEP_1) | instskip(NEXT) | instid1(VALU_DEP_2)
	v_add_co_u32 v26, vcc_lo, s12, v26
	v_add_co_ci_u32_e32 v27, vcc_lo, s13, v27, vcc_lo
	s_cselect_b32 vcc_lo, -1, 0
	s_cmp_eq_u32 s22, 2
	s_cselect_b32 s6, -1, 0
	flat_load_u16 v15, v[26:27]
	s_cmp_eq_u32 s22, 1
	s_cselect_b32 s7, -1, 0
	s_cmp_eq_u32 s22, 0
	s_waitcnt vmcnt(0) lgkmcnt(0)
	v_cvt_f32_f16_e32 v15, v15
	s_delay_alu instid0(VALU_DEP_1)
	v_cndmask_b32_e32 v4, v4, v15, vcc_lo
	s_cselect_b32 vcc_lo, -1, 0
	v_dual_cndmask_b32 v1, v1, v15 :: v_dual_add_nc_u32 v14, s11, v14
	v_cndmask_b32_e64 v3, v3, v15, s6
	v_cndmask_b32_e64 v2, v2, v15, s7
	s_add_u32 s22, s22, 1
	s_addc_u32 s23, s23, 0
	s_cmp_eq_u32 s17, s22
	s_cbranch_scc0 .LBB460_78
.LBB460_79:                             ;   in Loop: Header=BB460_65 Depth=1
	s_and_not1_b32 vcc_lo, exec_lo, s8
	s_cbranch_vccnz .LBB460_82
; %bb.80:                               ;   in Loop: Header=BB460_65 Depth=1
	s_ashr_i32 s21, s20, 31
	s_delay_alu instid0(SALU_CYCLE_1)
	s_lshl_b64 s[6:7], s[20:21], 1
	s_waitcnt lgkmcnt(0)
	v_add_co_u32 v14, vcc_lo, v17, s6
	v_add_co_ci_u32_e32 v15, vcc_lo, s7, v18, vcc_lo
	s_mov_b64 s[6:7], 0
	.p2align	6
.LBB460_81:                             ;   Parent Loop BB460_65 Depth=1
                                        ; =>  This Inner Loop Header: Depth=2
	flat_load_u16 v26, v[14:15]
	s_cmp_eq_u32 s6, 1
	s_cselect_b32 vcc_lo, -1, 0
	s_cmp_eq_u32 s6, 2
	v_cndmask_b32_e32 v27, v1, v2, vcc_lo
	s_cselect_b32 vcc_lo, -1, 0
	s_cmp_eq_u32 s6, 3
	s_delay_alu instid0(VALU_DEP_1)
	v_cndmask_b32_e32 v27, v27, v3, vcc_lo
	s_cselect_b32 vcc_lo, -1, 0
	s_add_u32 s6, s6, 1
	s_addc_u32 s7, s7, 0
	s_cmp_lg_u32 s17, s6
	v_cndmask_b32_e32 v27, v27, v4, vcc_lo
	v_add_co_u32 v14, vcc_lo, v14, 2
	v_add_co_ci_u32_e32 v15, vcc_lo, 0, v15, vcc_lo
	s_waitcnt vmcnt(0) lgkmcnt(0)
	s_delay_alu instid0(VALU_DEP_3)
	v_fma_mix_f32 v20, v27, v26, v20 op_sel_hi:[0,1,0]
	s_cbranch_scc1 .LBB460_81
.LBB460_82:                             ;   in Loop: Header=BB460_65 Depth=1
	s_or_b32 exec_lo, exec_lo, s26
	s_delay_alu instid0(SALU_CYCLE_1)
	s_or_b32 exec_lo, exec_lo, s25
	s_and_saveexec_b32 s6, s2
	s_cbranch_execnz .LBB460_68
	s_branch .LBB460_69
.LBB460_83:                             ;   in Loop: Header=BB460_65 Depth=1
	ds_load_b32 v14, v16
	s_or_b32 exec_lo, exec_lo, s6
	s_and_saveexec_b32 s6, s2
	s_cbranch_execz .LBB460_73
.LBB460_84:                             ;   in Loop: Header=BB460_65 Depth=1
	s_waitcnt lgkmcnt(0)
	ds_bpermute_b32 v15, v24, v14
	s_waitcnt lgkmcnt(0)
	v_add_f32_e32 v14, v14, v15
	ds_bpermute_b32 v15, v21, v14
	s_waitcnt lgkmcnt(0)
	v_add_f32_e32 v14, v14, v15
	;; [unrolled: 3-line block ×3, first 2 shown]
	s_or_b32 exec_lo, exec_lo, s6
	s_and_saveexec_b32 s6, s5
	s_cbranch_execz .LBB460_64
.LBB460_85:                             ;   in Loop: Header=BB460_65 Depth=1
	s_mul_hi_u32 s23, s19, s16
	s_mul_i32 s22, s19, s16
	s_waitcnt lgkmcnt(0)
	v_mul_f32_e32 v14, s10, v14
	s_lshl_b64 s[22:23], s[22:23], 2
	s_delay_alu instid0(SALU_CYCLE_1)
	s_add_u32 s22, s14, s22
	s_addc_u32 s23, s24, s23
	global_store_b32 v0, v14, s[22:23]
	s_branch .LBB460_64
.LBB460_86:
	s_nop 0
	s_sendmsg sendmsg(MSG_DEALLOC_VGPRS)
	s_endpgm
	.section	.rodata,"a",@progbits
	.p2align	6, 0x0
	.amdhsa_kernel _ZL23rocblas_gemvt_sn_kernelILb1ELi256ELi4EiPKDF16_ffEviiT4_lPKT3_lilS5_lilPT5_i
		.amdhsa_group_segment_fixed_size 128
		.amdhsa_private_segment_fixed_size 0
		.amdhsa_kernarg_size 360
		.amdhsa_user_sgpr_count 14
		.amdhsa_user_sgpr_dispatch_ptr 0
		.amdhsa_user_sgpr_queue_ptr 0
		.amdhsa_user_sgpr_kernarg_segment_ptr 1
		.amdhsa_user_sgpr_dispatch_id 0
		.amdhsa_user_sgpr_private_segment_size 0
		.amdhsa_wavefront_size32 1
		.amdhsa_uses_dynamic_stack 0
		.amdhsa_enable_private_segment 0
		.amdhsa_system_sgpr_workgroup_id_x 1
		.amdhsa_system_sgpr_workgroup_id_y 0
		.amdhsa_system_sgpr_workgroup_id_z 1
		.amdhsa_system_sgpr_workgroup_info 0
		.amdhsa_system_vgpr_workitem_id 0
		.amdhsa_next_free_vgpr 44
		.amdhsa_next_free_sgpr 42
		.amdhsa_reserve_vcc 1
		.amdhsa_float_round_mode_32 0
		.amdhsa_float_round_mode_16_64 0
		.amdhsa_float_denorm_mode_32 3
		.amdhsa_float_denorm_mode_16_64 3
		.amdhsa_dx10_clamp 1
		.amdhsa_ieee_mode 1
		.amdhsa_fp16_overflow 0
		.amdhsa_workgroup_processor_mode 1
		.amdhsa_memory_ordered 1
		.amdhsa_forward_progress 0
		.amdhsa_shared_vgpr_count 0
		.amdhsa_exception_fp_ieee_invalid_op 0
		.amdhsa_exception_fp_denorm_src 0
		.amdhsa_exception_fp_ieee_div_zero 0
		.amdhsa_exception_fp_ieee_overflow 0
		.amdhsa_exception_fp_ieee_underflow 0
		.amdhsa_exception_fp_ieee_inexact 0
		.amdhsa_exception_int_div_zero 0
	.end_amdhsa_kernel
	.section	.text._ZL23rocblas_gemvt_sn_kernelILb1ELi256ELi4EiPKDF16_ffEviiT4_lPKT3_lilS5_lilPT5_i,"axG",@progbits,_ZL23rocblas_gemvt_sn_kernelILb1ELi256ELi4EiPKDF16_ffEviiT4_lPKT3_lilS5_lilPT5_i,comdat
.Lfunc_end460:
	.size	_ZL23rocblas_gemvt_sn_kernelILb1ELi256ELi4EiPKDF16_ffEviiT4_lPKT3_lilS5_lilPT5_i, .Lfunc_end460-_ZL23rocblas_gemvt_sn_kernelILb1ELi256ELi4EiPKDF16_ffEviiT4_lPKT3_lilS5_lilPT5_i
                                        ; -- End function
	.section	.AMDGPU.csdata,"",@progbits
; Kernel info:
; codeLenInByte = 4236
; NumSgprs: 44
; NumVgprs: 44
; ScratchSize: 0
; MemoryBound: 0
; FloatMode: 240
; IeeeMode: 1
; LDSByteSize: 128 bytes/workgroup (compile time only)
; SGPRBlocks: 5
; VGPRBlocks: 5
; NumSGPRsForWavesPerEU: 44
; NumVGPRsForWavesPerEU: 44
; Occupancy: 16
; WaveLimiterHint : 0
; COMPUTE_PGM_RSRC2:SCRATCH_EN: 0
; COMPUTE_PGM_RSRC2:USER_SGPR: 14
; COMPUTE_PGM_RSRC2:TRAP_HANDLER: 0
; COMPUTE_PGM_RSRC2:TGID_X_EN: 1
; COMPUTE_PGM_RSRC2:TGID_Y_EN: 0
; COMPUTE_PGM_RSRC2:TGID_Z_EN: 1
; COMPUTE_PGM_RSRC2:TIDIG_COMP_CNT: 0
	.section	.text._ZL23rocblas_gemvt_sn_kernelILb1ELi256ELi4ElPKDF16_ffEviiT4_lPKT3_lilS5_lilPT5_i,"axG",@progbits,_ZL23rocblas_gemvt_sn_kernelILb1ELi256ELi4ElPKDF16_ffEviiT4_lPKT3_lilS5_lilPT5_i,comdat
	.globl	_ZL23rocblas_gemvt_sn_kernelILb1ELi256ELi4ElPKDF16_ffEviiT4_lPKT3_lilS5_lilPT5_i ; -- Begin function _ZL23rocblas_gemvt_sn_kernelILb1ELi256ELi4ElPKDF16_ffEviiT4_lPKT3_lilS5_lilPT5_i
	.p2align	8
	.type	_ZL23rocblas_gemvt_sn_kernelILb1ELi256ELi4ElPKDF16_ffEviiT4_lPKT3_lilS5_lilPT5_i,@function
_ZL23rocblas_gemvt_sn_kernelILb1ELi256ELi4ElPKDF16_ffEviiT4_lPKT3_lilS5_lilPT5_i: ; @_ZL23rocblas_gemvt_sn_kernelILb1ELi256ELi4ElPKDF16_ffEviiT4_lPKT3_lilS5_lilPT5_i
; %bb.0:
	s_load_b128 s[8:11], s[0:1], 0x0
	s_mov_b32 s2, s15
	s_mov_b32 s3, 0
	s_waitcnt lgkmcnt(0)
	v_cmp_neq_f32_e64 s5, s10, 0
	v_cmp_eq_f32_e64 s4, s10, 0
	s_delay_alu instid0(VALU_DEP_2)
	s_and_b32 vcc_lo, exec_lo, s5
	s_cbranch_vccnz .LBB461_2
; %bb.1:
	s_mov_b64 s[18:19], 0
	s_and_not1_b32 vcc_lo, exec_lo, s3
	s_cbranch_vccz .LBB461_3
	s_branch .LBB461_4
.LBB461_2:
	s_mov_b32 s3, -1
                                        ; implicit-def: $sgpr18_sgpr19
.LBB461_3:
	s_load_b128 s[16:19], s[0:1], 0x18
	s_mov_b32 s3, 0
	s_delay_alu instid0(SALU_CYCLE_1)
	s_lshl_b64 s[6:7], s[2:3], 3
	s_waitcnt lgkmcnt(0)
	s_add_u32 s6, s16, s6
	s_addc_u32 s7, s17, s7
	s_lshl_b64 s[12:13], s[18:19], 1
	s_load_b64 s[6:7], s[6:7], 0x0
	s_waitcnt lgkmcnt(0)
	s_add_u32 s18, s6, s12
	s_addc_u32 s19, s7, s13
.LBB461_4:
	s_and_not1_b32 vcc_lo, exec_lo, s5
	s_cbranch_vccnz .LBB461_6
; %bb.5:
	s_load_b128 s[20:23], s[0:1], 0x38
	s_lshl_b64 s[6:7], s[2:3], 3
	s_waitcnt lgkmcnt(0)
	s_add_u32 s6, s20, s6
	s_addc_u32 s7, s21, s7
	s_lshl_b64 s[12:13], s[22:23], 1
	s_load_b64 s[6:7], s[6:7], 0x0
	s_waitcnt lgkmcnt(0)
	s_add_u32 s20, s6, s12
	s_addc_u32 s21, s7, s13
	s_branch .LBB461_7
.LBB461_6:
	s_mov_b64 s[20:21], 0
.LBB461_7:
	s_clause 0x1
	s_load_b32 s12, s[0:1], 0x68
	s_load_b64 s[16:17], s[0:1], 0x58
	s_ashr_i32 s6, s9, 31
	s_mul_hi_u32 s5, s2, s9
	s_mul_i32 s7, s2, s6
	s_mul_i32 s3, s3, s9
	s_add_i32 s5, s5, s7
	s_mul_i32 s2, s2, s9
	s_add_i32 s3, s5, s3
	s_mov_b32 s13, 0
	s_waitcnt lgkmcnt(0)
	s_mul_i32 s3, s3, s12
	s_mul_hi_u32 s5, s2, s12
	s_mul_i32 s2, s2, s12
	s_add_i32 s3, s5, s3
	s_delay_alu instid0(SALU_CYCLE_1) | instskip(NEXT) | instid1(SALU_CYCLE_1)
	s_lshl_b64 s[2:3], s[2:3], 2
	s_add_u32 s33, s16, s2
	s_addc_u32 s36, s17, s3
	s_and_not1_b32 vcc_lo, exec_lo, s4
	s_mov_b32 s2, -1
	s_cbranch_vccnz .LBB461_12
; %bb.8:
	v_cmp_eq_u32_e32 vcc_lo, 0, v0
	s_cmp_gt_i32 s9, 0
	s_cselect_b32 s2, -1, 0
	s_delay_alu instid0(SALU_CYCLE_1) | instskip(NEXT) | instid1(SALU_CYCLE_1)
	s_and_b32 s2, vcc_lo, s2
	s_and_saveexec_b32 s7, s2
	s_cbranch_execz .LBB461_11
; %bb.9:
	s_mov_b32 s15, 0
	v_mov_b32_e32 v1, 0
	s_lshl_b64 s[2:3], s[14:15], 2
	s_mov_b32 s11, s9
	s_add_u32 s2, s33, s2
	s_addc_u32 s3, s36, s3
	s_lshl_b64 s[4:5], s[12:13], 2
.LBB461_10:                             ; =>This Inner Loop Header: Depth=1
	s_add_i32 s11, s11, -1
	global_store_b32 v1, v1, s[2:3]
	s_add_u32 s2, s2, s4
	s_addc_u32 s3, s3, s5
	s_cmp_eq_u32 s11, 0
	s_cbranch_scc0 .LBB461_10
.LBB461_11:
	s_or_b32 exec_lo, exec_lo, s7
	s_mov_b32 s2, 0
.LBB461_12:
	s_delay_alu instid0(SALU_CYCLE_1)
	s_and_not1_b32 vcc_lo, exec_lo, s2
	s_cbranch_vccnz .LBB461_86
; %bb.13:
	s_lshl_b32 s2, s14, 10
	s_clause 0x1
	s_load_b32 s16, s[0:1], 0x28
	s_load_b32 s22, s[0:1], 0x48
	v_lshl_or_b32 v9, v0, 2, s2
	s_ashr_i32 s2, s8, 31
	s_lshr_b32 s1, s6, 30
	s_lshr_b32 s0, s2, 30
	s_add_i32 s1, s9, s1
	v_ashrrev_i32_e32 v10, 31, v9
	s_add_i32 s0, s8, s0
	s_and_b32 s13, s1, -4
	s_and_b32 s0, s0, -4
	v_add_nc_u32_e32 v28, 4, v9
	v_lshlrev_b64 v[7:8], 1, v[9:10]
	s_sub_i32 s11, s8, s0
	v_and_b32_e32 v25, 31, v0
	v_add_nc_u32_e32 v29, s11, v9
	v_cmp_gt_u32_e64 s0, 32, v0
	v_mbcnt_lo_u32_b32 v27, -1, 0
	v_add_co_u32 v5, vcc_lo, s18, v7
	v_add_co_ci_u32_e32 v6, vcc_lo, s19, v8, vcc_lo
	v_cmp_gt_u32_e64 s1, 8, v0
	v_lshrrev_b32_e32 v26, 3, v0
	v_cmp_eq_u32_e64 s2, 0, v0
	v_or_b32_e32 v24, 1, v9
	v_or_b32_e32 v23, 2, v9
	;; [unrolled: 1-line block ×3, first 2 shown]
	s_waitcnt lgkmcnt(0)
	s_ashr_i32 s17, s16, 31
	s_ashr_i32 s23, s22, 31
	s_cmp_lt_i32 s13, 1
	s_cbranch_scc1 .LBB461_61
; %bb.14:
	v_cmp_gt_u32_e32 vcc_lo, 16, v27
	v_mad_i64_i32 v[12:13], null, s22, v23, 0
	v_mad_i64_i32 v[14:15], null, s22, v22, 0
	v_cndmask_b32_e64 v1, 0, 1, vcc_lo
	v_cmp_gt_u32_e32 vcc_lo, 24, v27
	s_mov_b32 s15, 0
	s_cmp_gt_i32 s11, 0
	v_cmp_ge_i32_e64 s3, s8, v28
	v_lshlrev_b32_e32 v1, 4, v1
	v_cndmask_b32_e64 v2, 0, 1, vcc_lo
	v_cmp_gt_u32_e32 vcc_lo, 28, v27
	v_cmp_ge_i32_e64 s4, s8, v29
	s_cselect_b32 s37, -1, 0
	s_delay_alu instid0(VALU_DEP_3)
	v_dual_mov_b32 v37, 0 :: v_dual_lshlrev_b32 v2, 3, v2
	v_cndmask_b32_e64 v3, 0, 1, vcc_lo
	v_cmp_gt_u32_e32 vcc_lo, 30, v27
	v_cmp_eq_u32_e64 s5, 0, v25
	v_lshlrev_b32_e32 v35, 2, v25
	v_add_lshl_u32 v31, v2, v27, 2
	v_lshlrev_b32_e32 v3, 2, v3
	v_cndmask_b32_e64 v4, 0, 1, vcc_lo
	v_cmp_ne_u32_e32 vcc_lo, 31, v27
	v_dual_mov_b32 v19, v6 :: v_dual_mov_b32 v18, v5
	v_add_lshl_u32 v30, v1, v27, 2
	s_delay_alu instid0(VALU_DEP_4) | instskip(SKIP_3) | instid1(VALU_DEP_4)
	v_lshlrev_b32_e32 v4, 1, v4
	v_mad_i64_i32 v[1:2], null, s22, v9, 0
	v_add_lshl_u32 v32, v3, v27, 2
	v_add_co_ci_u32_e32 v10, vcc_lo, 0, v27, vcc_lo
	v_add_lshl_u32 v33, v4, v27, 2
	v_mad_i64_i32 v[3:4], null, s22, v24, 0
	v_lshlrev_b64 v[1:2], 1, v[1:2]
	s_delay_alu instid0(VALU_DEP_4) | instskip(SKIP_4) | instid1(VALU_DEP_4)
	v_lshlrev_b32_e32 v34, 2, v10
	s_lshl_b64 s[6:7], s[14:15], 2
	v_and_b32_e32 v36, 28, v26
	s_add_u32 s38, s33, s6
	s_addc_u32 s39, s36, s7
	v_lshlrev_b64 v[3:4], 1, v[3:4]
	v_add_co_u32 v10, vcc_lo, s20, v1
	v_add_co_ci_u32_e32 v11, vcc_lo, s21, v2, vcc_lo
	v_lshlrev_b64 v[1:2], 1, v[12:13]
	s_delay_alu instid0(VALU_DEP_4) | instskip(SKIP_2) | instid1(VALU_DEP_4)
	v_add_co_u32 v12, vcc_lo, s20, v3
	v_add_co_ci_u32_e32 v13, vcc_lo, s21, v4, vcc_lo
	v_lshlrev_b64 v[3:4], 1, v[14:15]
	v_add_co_u32 v14, vcc_lo, s20, v1
	v_add_co_ci_u32_e32 v15, vcc_lo, s21, v2, vcc_lo
	s_lshl_b64 s[24:25], s[22:23], 1
	s_delay_alu instid0(VALU_DEP_3) | instskip(NEXT) | instid1(VALU_DEP_4)
	v_add_co_u32 v16, vcc_lo, s20, v3
	v_add_co_ci_u32_e32 v17, vcc_lo, s21, v4, vcc_lo
	s_mul_hi_i32 s40, s16, 6
	s_mul_i32 s41, s16, 6
	s_lshl_b64 s[26:27], s[16:17], 3
	s_lshl_b64 s[28:29], s[16:17], 2
	;; [unrolled: 1-line block ×3, first 2 shown]
                                        ; implicit-def: $vgpr1_vgpr2_vgpr3_vgpr4
	s_branch .LBB461_16
.LBB461_15:                             ;   in Loop: Header=BB461_16 Depth=1
	s_or_b32 exec_lo, exec_lo, s6
	v_add_co_u32 v18, vcc_lo, v18, s26
	v_add_co_ci_u32_e32 v19, vcc_lo, s27, v19, vcc_lo
	s_add_i32 s15, s15, 4
	s_delay_alu instid0(SALU_CYCLE_1)
	s_cmp_ge_i32 s15, s13
	s_cbranch_scc1 .LBB461_62
.LBB461_16:                             ; =>This Loop Header: Depth=1
                                        ;     Child Loop BB461_47 Depth 2
                                        ;     Child Loop BB461_50 Depth 2
                                        ; implicit-def: $vgpr38
                                        ; implicit-def: $vgpr39
                                        ; implicit-def: $vgpr40
                                        ; implicit-def: $vgpr41
	s_and_saveexec_b32 s6, s3
	s_delay_alu instid0(SALU_CYCLE_1)
	s_xor_b32 s6, exec_lo, s6
	s_cbranch_execnz .LBB461_43
; %bb.17:                               ;   in Loop: Header=BB461_16 Depth=1
	s_and_not1_saveexec_b32 s42, s6
	s_cbranch_execnz .LBB461_44
.LBB461_18:                             ;   in Loop: Header=BB461_16 Depth=1
	s_or_b32 exec_lo, exec_lo, s42
	s_and_saveexec_b32 s6, s0
	s_cbranch_execz .LBB461_20
.LBB461_19:                             ;   in Loop: Header=BB461_16 Depth=1
	ds_store_b32 v35, v37
.LBB461_20:                             ;   in Loop: Header=BB461_16 Depth=1
	s_or_b32 exec_lo, exec_lo, s6
	ds_bpermute_b32 v20, v30, v41
	s_waitcnt lgkmcnt(0)
	s_waitcnt_vscnt null, 0x0
	s_barrier
	buffer_gl0_inv
	v_add_f32_e32 v20, v41, v20
	ds_bpermute_b32 v21, v31, v20
	s_waitcnt lgkmcnt(0)
	v_add_f32_e32 v20, v20, v21
	ds_bpermute_b32 v21, v32, v20
	s_waitcnt lgkmcnt(0)
	;; [unrolled: 3-line block ×3, first 2 shown]
	v_add_f32_e32 v20, v20, v21
	ds_bpermute_b32 v21, v34, v20
	s_and_saveexec_b32 s6, s5
	s_cbranch_execz .LBB461_22
; %bb.21:                               ;   in Loop: Header=BB461_16 Depth=1
	s_waitcnt lgkmcnt(0)
	v_add_f32_e32 v20, v20, v21
	ds_store_b32 v36, v20
.LBB461_22:                             ;   in Loop: Header=BB461_16 Depth=1
	s_or_b32 exec_lo, exec_lo, s6
	v_mov_b32_e32 v20, 0
	s_waitcnt lgkmcnt(0)
	s_barrier
	buffer_gl0_inv
	s_and_saveexec_b32 s6, s1
	s_cbranch_execnz .LBB461_52
; %bb.23:                               ;   in Loop: Header=BB461_16 Depth=1
	s_or_b32 exec_lo, exec_lo, s6
	s_and_saveexec_b32 s6, s0
	s_cbranch_execnz .LBB461_53
.LBB461_24:                             ;   in Loop: Header=BB461_16 Depth=1
	s_or_b32 exec_lo, exec_lo, s6
	s_and_saveexec_b32 s6, s0
	s_cbranch_execz .LBB461_26
.LBB461_25:                             ;   in Loop: Header=BB461_16 Depth=1
	ds_store_b32 v35, v37
.LBB461_26:                             ;   in Loop: Header=BB461_16 Depth=1
	s_or_b32 exec_lo, exec_lo, s6
	ds_bpermute_b32 v21, v30, v40
	s_waitcnt lgkmcnt(0)
	s_barrier
	buffer_gl0_inv
	v_add_f32_e32 v21, v40, v21
	ds_bpermute_b32 v40, v31, v21
	s_waitcnt lgkmcnt(0)
	v_add_f32_e32 v21, v21, v40
	ds_bpermute_b32 v40, v32, v21
	s_waitcnt lgkmcnt(0)
	;; [unrolled: 3-line block ×3, first 2 shown]
	v_add_f32_e32 v21, v21, v40
	ds_bpermute_b32 v40, v34, v21
	s_and_saveexec_b32 s6, s5
	s_cbranch_execz .LBB461_28
; %bb.27:                               ;   in Loop: Header=BB461_16 Depth=1
	s_waitcnt lgkmcnt(0)
	v_add_f32_e32 v21, v21, v40
	ds_store_b32 v36, v21
.LBB461_28:                             ;   in Loop: Header=BB461_16 Depth=1
	s_or_b32 exec_lo, exec_lo, s6
	v_mov_b32_e32 v21, 0
	s_waitcnt lgkmcnt(0)
	s_barrier
	buffer_gl0_inv
	s_and_saveexec_b32 s6, s1
	s_cbranch_execnz .LBB461_54
; %bb.29:                               ;   in Loop: Header=BB461_16 Depth=1
	s_or_b32 exec_lo, exec_lo, s6
	s_and_saveexec_b32 s6, s0
	s_cbranch_execnz .LBB461_55
.LBB461_30:                             ;   in Loop: Header=BB461_16 Depth=1
	s_or_b32 exec_lo, exec_lo, s6
	s_and_saveexec_b32 s6, s0
	s_cbranch_execz .LBB461_32
.LBB461_31:                             ;   in Loop: Header=BB461_16 Depth=1
	ds_store_b32 v35, v37
.LBB461_32:                             ;   in Loop: Header=BB461_16 Depth=1
	s_or_b32 exec_lo, exec_lo, s6
	ds_bpermute_b32 v40, v30, v39
	s_waitcnt lgkmcnt(0)
	s_barrier
	buffer_gl0_inv
	v_add_f32_e32 v39, v39, v40
	ds_bpermute_b32 v40, v31, v39
	s_waitcnt lgkmcnt(0)
	v_add_f32_e32 v39, v39, v40
	ds_bpermute_b32 v40, v32, v39
	s_waitcnt lgkmcnt(0)
	v_add_f32_e32 v39, v39, v40
	ds_bpermute_b32 v40, v33, v39
	s_waitcnt lgkmcnt(0)
	v_add_f32_e32 v39, v39, v40
	ds_bpermute_b32 v40, v34, v39
	s_and_saveexec_b32 s6, s5
	s_cbranch_execz .LBB461_34
; %bb.33:                               ;   in Loop: Header=BB461_16 Depth=1
	s_waitcnt lgkmcnt(0)
	v_add_f32_e32 v39, v39, v40
	ds_store_b32 v36, v39
.LBB461_34:                             ;   in Loop: Header=BB461_16 Depth=1
	s_or_b32 exec_lo, exec_lo, s6
	v_mov_b32_e32 v39, 0
	s_waitcnt lgkmcnt(0)
	s_barrier
	buffer_gl0_inv
	s_and_saveexec_b32 s6, s1
	s_cbranch_execnz .LBB461_56
; %bb.35:                               ;   in Loop: Header=BB461_16 Depth=1
	s_or_b32 exec_lo, exec_lo, s6
	s_and_saveexec_b32 s6, s0
	s_cbranch_execnz .LBB461_57
.LBB461_36:                             ;   in Loop: Header=BB461_16 Depth=1
	s_or_b32 exec_lo, exec_lo, s6
	s_and_saveexec_b32 s6, s0
	s_cbranch_execz .LBB461_38
.LBB461_37:                             ;   in Loop: Header=BB461_16 Depth=1
	ds_store_b32 v35, v37
.LBB461_38:                             ;   in Loop: Header=BB461_16 Depth=1
	s_or_b32 exec_lo, exec_lo, s6
	ds_bpermute_b32 v40, v30, v38
	s_waitcnt lgkmcnt(0)
	s_barrier
	buffer_gl0_inv
	v_add_f32_e32 v38, v38, v40
	ds_bpermute_b32 v40, v31, v38
	s_waitcnt lgkmcnt(0)
	v_add_f32_e32 v38, v38, v40
	ds_bpermute_b32 v40, v32, v38
	s_waitcnt lgkmcnt(0)
	;; [unrolled: 3-line block ×3, first 2 shown]
	v_add_f32_e32 v38, v38, v40
	ds_bpermute_b32 v40, v34, v38
	s_and_saveexec_b32 s6, s5
	s_cbranch_execz .LBB461_40
; %bb.39:                               ;   in Loop: Header=BB461_16 Depth=1
	s_waitcnt lgkmcnt(0)
	v_add_f32_e32 v38, v38, v40
	ds_store_b32 v36, v38
.LBB461_40:                             ;   in Loop: Header=BB461_16 Depth=1
	s_or_b32 exec_lo, exec_lo, s6
	v_mov_b32_e32 v38, 0
	s_waitcnt lgkmcnt(0)
	s_barrier
	buffer_gl0_inv
	s_and_saveexec_b32 s6, s1
	s_cbranch_execnz .LBB461_58
; %bb.41:                               ;   in Loop: Header=BB461_16 Depth=1
	s_or_b32 exec_lo, exec_lo, s6
	s_and_saveexec_b32 s6, s0
	s_cbranch_execnz .LBB461_59
.LBB461_42:                             ;   in Loop: Header=BB461_16 Depth=1
	s_or_b32 exec_lo, exec_lo, s6
	s_and_saveexec_b32 s6, s2
	s_cbranch_execz .LBB461_15
	s_branch .LBB461_60
.LBB461_43:                             ;   in Loop: Header=BB461_16 Depth=1
	s_mul_i32 s7, s15, s17
	s_mul_hi_u32 s34, s15, s16
	s_delay_alu instid0(SALU_CYCLE_1)
	s_add_i32 s35, s34, s7
	s_mul_i32 s34, s15, s16
	s_or_b32 s7, s15, 1
	s_lshl_b64 s[34:35], s[34:35], 1
	s_mul_i32 s42, s7, s17
	s_mul_hi_u32 s43, s7, s16
	v_add_co_u32 v1, vcc_lo, v5, s34
	v_add_co_ci_u32_e32 v2, vcc_lo, s35, v6, vcc_lo
	s_add_i32 s35, s43, s42
	s_mul_i32 s34, s7, s16
	s_or_b32 s7, s15, 2
	s_lshl_b64 s[34:35], s[34:35], 1
	s_mul_i32 s42, s7, s17
	s_mul_hi_u32 s43, s7, s16
	v_add_co_u32 v3, vcc_lo, v5, s34
	v_add_co_ci_u32_e32 v4, vcc_lo, s35, v6, vcc_lo
	s_add_i32 s35, s43, s42
	s_or_b32 s42, s15, 3
	s_mul_i32 s34, s7, s16
	s_mul_i32 s7, s42, s17
	s_mul_hi_u32 s43, s42, s16
	s_lshl_b64 s[34:35], s[34:35], 1
	s_add_i32 s43, s43, s7
	s_mul_i32 s42, s42, s16
	v_add_co_u32 v20, vcc_lo, v5, s34
	v_add_co_ci_u32_e32 v21, vcc_lo, s35, v6, vcc_lo
	s_lshl_b64 s[34:35], s[42:43], 1
	s_waitcnt lgkmcnt(0)
	v_add_co_u32 v38, vcc_lo, v5, s34
	v_add_co_ci_u32_e32 v39, vcc_lo, s35, v6, vcc_lo
	flat_load_u16 v46, v[10:11]
	s_clause 0x3
	flat_load_b64 v[40:41], v[1:2]
	flat_load_b64 v[42:43], v[3:4]
	flat_load_b64 v[20:21], v[20:21]
	flat_load_b64 v[44:45], v[38:39]
	s_clause 0x2
	flat_load_u16 v3, v[12:13]
	flat_load_u16 v4, v[14:15]
	;; [unrolled: 1-line block ×3, first 2 shown]
	s_waitcnt vmcnt(7) lgkmcnt(7)
	v_cvt_f32_f16_e32 v1, v46
	s_waitcnt vmcnt(6) lgkmcnt(6)
	v_fma_mix_f32 v39, v46, v40, 0 op_sel_hi:[1,1,0]
	s_waitcnt vmcnt(5) lgkmcnt(5)
	v_fma_mix_f32 v47, v46, v42, 0 op_sel_hi:[1,1,0]
	;; [unrolled: 2-line block ×4, first 2 shown]
	s_waitcnt vmcnt(2) lgkmcnt(2)
	v_cvt_f32_f16_e32 v2, v3
	v_fma_mix_f32 v39, v3, v40, v39 op_sel:[0,1,0] op_sel_hi:[1,1,0]
	v_fma_mix_f32 v40, v3, v42, v47 op_sel:[0,1,0] op_sel_hi:[1,1,0]
	;; [unrolled: 1-line block ×4, first 2 shown]
	s_waitcnt vmcnt(1) lgkmcnt(1)
	v_cvt_f32_f16_e32 v3, v4
	v_fma_mix_f32 v39, v4, v41, v39 op_sel_hi:[1,1,0]
	v_fma_mix_f32 v40, v4, v43, v40 op_sel_hi:[1,1,0]
	;; [unrolled: 1-line block ×4, first 2 shown]
	s_waitcnt vmcnt(0) lgkmcnt(0)
	v_cvt_f32_f16_e32 v4, v38
	v_fma_mix_f32 v41, v38, v41, v39 op_sel:[0,1,0] op_sel_hi:[1,1,0]
	v_fma_mix_f32 v40, v38, v43, v40 op_sel:[0,1,0] op_sel_hi:[1,1,0]
	;; [unrolled: 1-line block ×4, first 2 shown]
	s_and_not1_saveexec_b32 s42, s6
	s_cbranch_execz .LBB461_18
.LBB461_44:                             ;   in Loop: Header=BB461_16 Depth=1
	s_waitcnt lgkmcnt(0)
	v_dual_mov_b32 v38, 0 :: v_dual_mov_b32 v39, 0
	v_dual_mov_b32 v40, 0 :: v_dual_mov_b32 v41, 0
	s_and_saveexec_b32 s43, s4
	s_cbranch_execz .LBB461_51
; %bb.45:                               ;   in Loop: Header=BB461_16 Depth=1
	s_and_not1_b32 vcc_lo, exec_lo, s37
	s_cbranch_vccnz .LBB461_48
; %bb.46:                               ;   in Loop: Header=BB461_16 Depth=1
	v_dual_mov_b32 v21, v11 :: v_dual_mov_b32 v20, v10
	s_mov_b64 s[34:35], 0
	.p2align	6
.LBB461_47:                             ;   Parent Loop BB461_16 Depth=1
                                        ; =>  This Inner Loop Header: Depth=2
	flat_load_u16 v38, v[20:21]
	v_add_co_u32 v20, vcc_lo, v20, s24
	s_cmp_eq_u32 s34, 3
	v_add_co_ci_u32_e32 v21, vcc_lo, s25, v21, vcc_lo
	s_cselect_b32 vcc_lo, -1, 0
	s_cmp_eq_u32 s34, 2
	s_cselect_b32 s6, -1, 0
	s_cmp_eq_u32 s34, 1
	s_cselect_b32 s7, -1, 0
	s_cmp_eq_u32 s34, 0
	s_waitcnt vmcnt(0) lgkmcnt(0)
	v_cvt_f32_f16_e32 v38, v38
	s_delay_alu instid0(VALU_DEP_1)
	v_cndmask_b32_e32 v4, v4, v38, vcc_lo
	s_cselect_b32 vcc_lo, -1, 0
	v_cndmask_b32_e64 v3, v3, v38, s6
	v_cndmask_b32_e64 v2, v2, v38, s7
	v_cndmask_b32_e32 v1, v1, v38, vcc_lo
	s_add_u32 s34, s34, 1
	s_addc_u32 s35, s35, 0
	s_cmp_eq_u32 s11, s34
	s_cbranch_scc0 .LBB461_47
.LBB461_48:                             ;   in Loop: Header=BB461_16 Depth=1
	v_dual_mov_b32 v38, 0 :: v_dual_mov_b32 v39, 0
	v_dual_mov_b32 v40, 0 :: v_dual_mov_b32 v41, 0
	s_and_not1_b32 vcc_lo, exec_lo, s37
	s_cbranch_vccnz .LBB461_51
; %bb.49:                               ;   in Loop: Header=BB461_16 Depth=1
	v_dual_mov_b32 v21, v19 :: v_dual_mov_b32 v40, 0
	v_dual_mov_b32 v41, 0 :: v_dual_mov_b32 v20, v18
	;; [unrolled: 1-line block ×3, first 2 shown]
	s_mov_b64 s[34:35], 0
	s_set_inst_prefetch_distance 0x1
	.p2align	6
.LBB461_50:                             ;   Parent Loop BB461_16 Depth=1
                                        ; =>  This Inner Loop Header: Depth=2
	s_delay_alu instid0(VALU_DEP_2)
	v_add_co_u32 v42, vcc_lo, v20, s30
	v_add_co_ci_u32_e32 v43, vcc_lo, s31, v21, vcc_lo
	v_add_co_u32 v44, vcc_lo, v20, s28
	v_add_co_ci_u32_e32 v45, vcc_lo, s29, v21, vcc_lo
	;; [unrolled: 2-line block ×3, first 2 shown]
	s_clause 0x3
	flat_load_u16 v48, v[20:21]
	flat_load_u16 v42, v[42:43]
	;; [unrolled: 1-line block ×4, first 2 shown]
	s_cmp_eq_u32 s34, 1
	v_add_co_u32 v20, s6, v20, 2
	s_cselect_b32 vcc_lo, -1, 0
	s_cmp_eq_u32 s34, 2
	v_cndmask_b32_e32 v45, v1, v2, vcc_lo
	s_cselect_b32 vcc_lo, -1, 0
	s_cmp_eq_u32 s34, 3
	v_add_co_ci_u32_e64 v21, s6, 0, v21, s6
	s_delay_alu instid0(VALU_DEP_2)
	v_cndmask_b32_e32 v45, v45, v3, vcc_lo
	s_cselect_b32 vcc_lo, -1, 0
	s_add_u32 s34, s34, 1
	s_addc_u32 s35, s35, 0
	s_cmp_lg_u32 s11, s34
	v_cndmask_b32_e32 v45, v45, v4, vcc_lo
	s_waitcnt vmcnt(3) lgkmcnt(3)
	s_delay_alu instid0(VALU_DEP_1)
	v_fma_mix_f32 v41, v45, v48, v41 op_sel_hi:[0,1,0]
	s_waitcnt vmcnt(2) lgkmcnt(2)
	v_fma_mix_f32 v40, v45, v42, v40 op_sel_hi:[0,1,0]
	s_waitcnt vmcnt(1) lgkmcnt(1)
	;; [unrolled: 2-line block ×3, first 2 shown]
	v_fma_mix_f32 v38, v45, v44, v38 op_sel_hi:[0,1,0]
	s_cbranch_scc1 .LBB461_50
.LBB461_51:                             ;   in Loop: Header=BB461_16 Depth=1
	s_set_inst_prefetch_distance 0x2
	s_or_b32 exec_lo, exec_lo, s43
	s_delay_alu instid0(SALU_CYCLE_1)
	s_or_b32 exec_lo, exec_lo, s42
	s_and_saveexec_b32 s6, s0
	s_cbranch_execnz .LBB461_19
	s_branch .LBB461_20
.LBB461_52:                             ;   in Loop: Header=BB461_16 Depth=1
	ds_load_b32 v20, v35
	s_or_b32 exec_lo, exec_lo, s6
	s_and_saveexec_b32 s6, s0
	s_cbranch_execz .LBB461_24
.LBB461_53:                             ;   in Loop: Header=BB461_16 Depth=1
	s_waitcnt lgkmcnt(0)
	ds_bpermute_b32 v21, v32, v20
	s_waitcnt lgkmcnt(0)
	v_add_f32_e32 v20, v20, v21
	ds_bpermute_b32 v21, v33, v20
	s_waitcnt lgkmcnt(0)
	v_add_f32_e32 v20, v20, v21
	;; [unrolled: 3-line block ×3, first 2 shown]
	s_or_b32 exec_lo, exec_lo, s6
	s_and_saveexec_b32 s6, s0
	s_cbranch_execnz .LBB461_25
	s_branch .LBB461_26
.LBB461_54:                             ;   in Loop: Header=BB461_16 Depth=1
	ds_load_b32 v21, v35
	s_or_b32 exec_lo, exec_lo, s6
	s_and_saveexec_b32 s6, s0
	s_cbranch_execz .LBB461_30
.LBB461_55:                             ;   in Loop: Header=BB461_16 Depth=1
	s_waitcnt lgkmcnt(0)
	ds_bpermute_b32 v40, v32, v21
	s_waitcnt lgkmcnt(0)
	v_add_f32_e32 v21, v21, v40
	ds_bpermute_b32 v40, v33, v21
	s_waitcnt lgkmcnt(0)
	v_add_f32_e32 v21, v21, v40
	;; [unrolled: 3-line block ×3, first 2 shown]
	s_or_b32 exec_lo, exec_lo, s6
	s_and_saveexec_b32 s6, s0
	s_cbranch_execnz .LBB461_31
	s_branch .LBB461_32
.LBB461_56:                             ;   in Loop: Header=BB461_16 Depth=1
	ds_load_b32 v39, v35
	s_or_b32 exec_lo, exec_lo, s6
	s_and_saveexec_b32 s6, s0
	s_cbranch_execz .LBB461_36
.LBB461_57:                             ;   in Loop: Header=BB461_16 Depth=1
	s_waitcnt lgkmcnt(0)
	ds_bpermute_b32 v40, v32, v39
	s_waitcnt lgkmcnt(0)
	v_add_f32_e32 v39, v39, v40
	ds_bpermute_b32 v40, v33, v39
	s_waitcnt lgkmcnt(0)
	v_add_f32_e32 v39, v39, v40
	;; [unrolled: 3-line block ×3, first 2 shown]
	s_or_b32 exec_lo, exec_lo, s6
	s_and_saveexec_b32 s6, s0
	s_cbranch_execnz .LBB461_37
	s_branch .LBB461_38
.LBB461_58:                             ;   in Loop: Header=BB461_16 Depth=1
	ds_load_b32 v38, v35
	s_or_b32 exec_lo, exec_lo, s6
	s_and_saveexec_b32 s6, s0
	s_cbranch_execz .LBB461_42
.LBB461_59:                             ;   in Loop: Header=BB461_16 Depth=1
	s_waitcnt lgkmcnt(0)
	ds_bpermute_b32 v40, v32, v38
	s_waitcnt lgkmcnt(0)
	v_add_f32_e32 v38, v38, v40
	ds_bpermute_b32 v40, v33, v38
	s_waitcnt lgkmcnt(0)
	v_add_f32_e32 v38, v38, v40
	;; [unrolled: 3-line block ×3, first 2 shown]
	s_or_b32 exec_lo, exec_lo, s6
	s_and_saveexec_b32 s6, s2
	s_cbranch_execz .LBB461_15
.LBB461_60:                             ;   in Loop: Header=BB461_16 Depth=1
	s_mul_hi_u32 s35, s15, s12
	s_mul_i32 s34, s15, s12
	v_dual_mul_f32 v20, s10, v20 :: v_dual_mul_f32 v21, s10, v21
	s_lshl_b64 s[34:35], s[34:35], 2
	s_waitcnt lgkmcnt(0)
	v_mul_f32_e32 v38, s10, v38
	s_add_u32 s34, s38, s34
	s_addc_u32 s35, s39, s35
	s_or_b32 s7, s15, 1
	global_store_b32 v37, v20, s[34:35]
	s_mul_hi_u32 s43, s7, s12
	s_mul_i32 s42, s7, s12
	v_mul_f32_e32 v20, s10, v39
	s_lshl_b64 s[42:43], s[42:43], 2
	s_delay_alu instid0(SALU_CYCLE_1)
	s_add_u32 s42, s38, s42
	s_addc_u32 s43, s39, s43
	s_or_b32 s7, s15, 2
	global_store_b32 v37, v21, s[42:43]
	s_mul_hi_u32 s45, s7, s12
	s_mul_i32 s44, s7, s12
	s_delay_alu instid0(SALU_CYCLE_1) | instskip(NEXT) | instid1(SALU_CYCLE_1)
	s_lshl_b64 s[44:45], s[44:45], 2
	s_add_u32 s34, s38, s44
	s_addc_u32 s35, s39, s45
	s_or_b32 s7, s15, 3
	s_delay_alu instid0(SALU_CYCLE_1) | instskip(SKIP_1) | instid1(SALU_CYCLE_1)
	s_mul_hi_u32 s45, s7, s12
	s_mul_i32 s44, s7, s12
	s_lshl_b64 s[44:45], s[44:45], 2
	s_delay_alu instid0(SALU_CYCLE_1)
	s_add_u32 s42, s38, s44
	s_addc_u32 s43, s39, s45
	s_clause 0x1
	global_store_b32 v37, v20, s[34:35]
	global_store_b32 v37, v38, s[42:43]
	s_branch .LBB461_15
.LBB461_61:
	s_mov_b32 s15, 0
                                        ; implicit-def: $vgpr1_vgpr2_vgpr3_vgpr4
.LBB461_62:
	s_delay_alu instid0(SALU_CYCLE_1)
	s_cmp_ge_i32 s15, s9
	s_cbranch_scc1 .LBB461_86
; %bb.63:
	v_cmp_gt_u32_e32 vcc_lo, 16, v27
	v_cmp_ge_i32_e64 s0, s8, v28
	v_cmp_ge_i32_e64 s1, s8, v29
	v_mad_i64_i32 v[16:17], null, s22, v22, 0
	v_cndmask_b32_e64 v10, 0, 1, vcc_lo
	v_cmp_gt_u32_e32 vcc_lo, 24, v27
	s_cmp_gt_i32 s11, 0
	s_mov_b32 s25, 0
	s_mov_b32 s24, s14
	v_lshlrev_b32_e32 v10, 4, v10
	v_cndmask_b32_e64 v11, 0, 1, vcc_lo
	v_cmp_gt_u32_e32 vcc_lo, 28, v27
	s_cselect_b32 s8, -1, 0
	s_lshl_b64 s[6:7], s[24:25], 2
	v_add_lshl_u32 v20, v10, v27, 2
	v_lshlrev_b32_e32 v11, 3, v11
	v_cndmask_b32_e64 v12, 0, 1, vcc_lo
	v_cmp_gt_u32_e32 vcc_lo, 30, v27
	s_add_u32 s13, s33, s6
	s_addc_u32 s14, s36, s7
	v_add_lshl_u32 v21, v11, v27, 2
	v_lshlrev_b32_e32 v12, 2, v12
	v_cndmask_b32_e64 v13, 0, 1, vcc_lo
	v_cmp_ne_u32_e32 vcc_lo, 31, v27
	v_mad_i64_i32 v[10:11], null, s22, v9, 0
	s_delay_alu instid0(VALU_DEP_4) | instskip(NEXT) | instid1(VALU_DEP_4)
	v_add_lshl_u32 v28, v12, v27, 2
	v_lshlrev_b32_e32 v13, 1, v13
	v_add_co_ci_u32_e32 v14, vcc_lo, 0, v27, vcc_lo
	s_mul_i32 s6, s17, s15
	s_mul_hi_u32 s7, s16, s15
	s_delay_alu instid0(VALU_DEP_2)
	v_add_lshl_u32 v27, v13, v27, 2
	v_mad_i64_i32 v[12:13], null, s22, v24, 0
	v_lshlrev_b32_e32 v29, 2, v14
	v_mad_i64_i32 v[14:15], null, s22, v23, 0
	v_lshlrev_b64 v[9:10], 1, v[10:11]
	s_add_i32 s7, s7, s6
	s_mul_i32 s6, s16, s15
	s_delay_alu instid0(VALU_DEP_4)
	v_lshlrev_b64 v[11:12], 1, v[12:13]
	s_lshl_b64 s[6:7], s[6:7], 1
	v_cmp_gt_u32_e64 s2, 32, v0
	v_add_co_u32 v9, vcc_lo, s20, v9
	v_lshlrev_b64 v[13:14], 1, v[14:15]
	v_add_co_ci_u32_e32 v10, vcc_lo, s21, v10, vcc_lo
	v_add_co_u32 v11, vcc_lo, s20, v11
	v_lshlrev_b64 v[15:16], 1, v[16:17]
	v_add_co_ci_u32_e32 v12, vcc_lo, s21, v12, vcc_lo
	v_add_co_u32 v13, vcc_lo, s20, v13
	v_add_co_ci_u32_e32 v14, vcc_lo, s21, v14, vcc_lo
	s_delay_alu instid0(VALU_DEP_4)
	v_add_co_u32 v15, vcc_lo, s20, v15
	v_add_co_ci_u32_e32 v16, vcc_lo, s21, v16, vcc_lo
	s_lshl_b64 s[20:21], s[22:23], 1
	s_add_u32 s6, s18, s6
	s_addc_u32 s7, s19, s7
	v_add_co_u32 v7, vcc_lo, s6, v7
	v_lshlrev_b32_e32 v19, 2, v25
	v_cmp_eq_u32_e64 s3, 0, v25
	v_and_b32_e32 v25, 28, v26
	v_cmp_gt_u32_e64 s4, 8, v0
	v_cmp_eq_u32_e64 s5, 0, v0
	v_mov_b32_e32 v0, 0
	v_add_co_ci_u32_e32 v8, vcc_lo, s7, v8, vcc_lo
	s_lshl_b64 s[18:19], s[16:17], 1
	s_branch .LBB461_65
.LBB461_64:                             ;   in Loop: Header=BB461_65 Depth=1
	s_or_b32 exec_lo, exec_lo, s6
	v_add_co_u32 v7, vcc_lo, v7, s18
	v_add_co_ci_u32_e32 v8, vcc_lo, s19, v8, vcc_lo
	s_add_i32 s15, s15, 1
	s_delay_alu instid0(SALU_CYCLE_1)
	s_cmp_ge_i32 s15, s9
	s_cbranch_scc1 .LBB461_86
.LBB461_65:                             ; =>This Loop Header: Depth=1
                                        ;     Child Loop BB461_78 Depth 2
                                        ;     Child Loop BB461_81 Depth 2
	v_mov_b32_e32 v22, s25
	s_and_saveexec_b32 s6, s0
	s_delay_alu instid0(SALU_CYCLE_1)
	s_xor_b32 s6, exec_lo, s6
	s_cbranch_execnz .LBB461_74
; %bb.66:                               ;   in Loop: Header=BB461_65 Depth=1
	s_and_not1_saveexec_b32 s24, s6
	s_cbranch_execnz .LBB461_75
.LBB461_67:                             ;   in Loop: Header=BB461_65 Depth=1
	s_or_b32 exec_lo, exec_lo, s24
	s_and_saveexec_b32 s6, s2
	s_cbranch_execz .LBB461_69
.LBB461_68:                             ;   in Loop: Header=BB461_65 Depth=1
	ds_store_b32 v19, v0
.LBB461_69:                             ;   in Loop: Header=BB461_65 Depth=1
	s_or_b32 exec_lo, exec_lo, s6
	s_waitcnt lgkmcnt(0)
	ds_bpermute_b32 v17, v20, v22
	s_waitcnt lgkmcnt(0)
	s_waitcnt_vscnt null, 0x0
	s_barrier
	buffer_gl0_inv
	v_add_f32_e32 v17, v22, v17
	ds_bpermute_b32 v18, v21, v17
	s_waitcnt lgkmcnt(0)
	v_add_f32_e32 v17, v17, v18
	ds_bpermute_b32 v18, v28, v17
	s_waitcnt lgkmcnt(0)
	;; [unrolled: 3-line block ×3, first 2 shown]
	v_add_f32_e32 v17, v17, v18
	ds_bpermute_b32 v18, v29, v17
	s_and_saveexec_b32 s6, s3
	s_cbranch_execz .LBB461_71
; %bb.70:                               ;   in Loop: Header=BB461_65 Depth=1
	s_waitcnt lgkmcnt(0)
	v_add_f32_e32 v17, v17, v18
	ds_store_b32 v25, v17
.LBB461_71:                             ;   in Loop: Header=BB461_65 Depth=1
	s_or_b32 exec_lo, exec_lo, s6
	v_mov_b32_e32 v17, 0
	s_waitcnt lgkmcnt(0)
	s_barrier
	buffer_gl0_inv
	s_and_saveexec_b32 s6, s4
	s_cbranch_execnz .LBB461_83
; %bb.72:                               ;   in Loop: Header=BB461_65 Depth=1
	s_or_b32 exec_lo, exec_lo, s6
	s_and_saveexec_b32 s6, s2
	s_cbranch_execnz .LBB461_84
.LBB461_73:                             ;   in Loop: Header=BB461_65 Depth=1
	s_or_b32 exec_lo, exec_lo, s6
	s_and_saveexec_b32 s6, s5
	s_cbranch_execz .LBB461_64
	s_branch .LBB461_85
.LBB461_74:                             ;   in Loop: Header=BB461_65 Depth=1
	s_mul_i32 s7, s15, s17
	s_mul_hi_u32 s23, s15, s16
	s_mul_i32 s22, s15, s16
	s_add_i32 s23, s23, s7
	s_delay_alu instid0(SALU_CYCLE_1) | instskip(NEXT) | instid1(SALU_CYCLE_1)
	s_lshl_b64 s[22:23], s[22:23], 1
	v_add_co_u32 v1, vcc_lo, v5, s22
	v_add_co_ci_u32_e32 v2, vcc_lo, s23, v6, vcc_lo
	s_waitcnt lgkmcnt(0)
	flat_load_b64 v[17:18], v[1:2]
	s_clause 0x3
	flat_load_u16 v1, v[9:10]
	flat_load_u16 v2, v[11:12]
	;; [unrolled: 1-line block ×4, first 2 shown]
	s_waitcnt vmcnt(3) lgkmcnt(3)
	v_fma_mix_f32 v4, v1, v17, 0 op_sel_hi:[1,1,0]
	v_cvt_f32_f16_e32 v1, v1
	s_waitcnt vmcnt(2) lgkmcnt(2)
	s_delay_alu instid0(VALU_DEP_2) | instskip(SKIP_2) | instid1(VALU_DEP_2)
	v_fma_mix_f32 v4, v2, v17, v4 op_sel:[0,1,0] op_sel_hi:[1,1,0]
	v_cvt_f32_f16_e32 v2, v2
	s_waitcnt vmcnt(1) lgkmcnt(1)
	v_fma_mix_f32 v17, v3, v18, v4 op_sel_hi:[1,1,0]
	v_cvt_f32_f16_e32 v3, v3
	s_waitcnt vmcnt(0) lgkmcnt(0)
	v_cvt_f32_f16_e32 v4, v22
	s_delay_alu instid0(VALU_DEP_3)
	v_fma_mix_f32 v22, v22, v18, v17 op_sel:[0,1,0] op_sel_hi:[1,1,0]
	s_and_not1_saveexec_b32 s24, s6
	s_cbranch_execz .LBB461_67
.LBB461_75:                             ;   in Loop: Header=BB461_65 Depth=1
	s_and_saveexec_b32 s26, s1
	s_cbranch_execz .LBB461_82
; %bb.76:                               ;   in Loop: Header=BB461_65 Depth=1
	s_and_not1_b32 vcc_lo, exec_lo, s8
	s_cbranch_vccnz .LBB461_79
; %bb.77:                               ;   in Loop: Header=BB461_65 Depth=1
	s_waitcnt lgkmcnt(0)
	v_dual_mov_b32 v18, v10 :: v_dual_mov_b32 v17, v9
	s_mov_b64 s[22:23], 0
	.p2align	6
.LBB461_78:                             ;   Parent Loop BB461_65 Depth=1
                                        ; =>  This Inner Loop Header: Depth=2
	flat_load_u16 v23, v[17:18]
	v_add_co_u32 v17, vcc_lo, v17, s20
	s_cmp_eq_u32 s22, 3
	v_add_co_ci_u32_e32 v18, vcc_lo, s21, v18, vcc_lo
	s_cselect_b32 vcc_lo, -1, 0
	s_cmp_eq_u32 s22, 2
	s_cselect_b32 s6, -1, 0
	s_cmp_eq_u32 s22, 1
	s_cselect_b32 s7, -1, 0
	s_cmp_eq_u32 s22, 0
	s_waitcnt vmcnt(0) lgkmcnt(0)
	v_cvt_f32_f16_e32 v23, v23
	s_delay_alu instid0(VALU_DEP_1)
	v_cndmask_b32_e32 v4, v4, v23, vcc_lo
	s_cselect_b32 vcc_lo, -1, 0
	v_cndmask_b32_e64 v3, v3, v23, s6
	v_cndmask_b32_e64 v2, v2, v23, s7
	v_cndmask_b32_e32 v1, v1, v23, vcc_lo
	s_add_u32 s22, s22, 1
	s_addc_u32 s23, s23, 0
	s_cmp_eq_u32 s11, s22
	s_cbranch_scc0 .LBB461_78
.LBB461_79:                             ;   in Loop: Header=BB461_65 Depth=1
	s_and_not1_b32 vcc_lo, exec_lo, s8
	s_cbranch_vccnz .LBB461_82
; %bb.80:                               ;   in Loop: Header=BB461_65 Depth=1
	s_waitcnt lgkmcnt(0)
	v_dual_mov_b32 v18, v8 :: v_dual_mov_b32 v17, v7
	s_mov_b64 s[6:7], 0
	.p2align	6
.LBB461_81:                             ;   Parent Loop BB461_65 Depth=1
                                        ; =>  This Inner Loop Header: Depth=2
	flat_load_u16 v23, v[17:18]
	s_cmp_eq_u32 s6, 1
	s_cselect_b32 vcc_lo, -1, 0
	s_cmp_eq_u32 s6, 2
	v_cndmask_b32_e32 v24, v1, v2, vcc_lo
	s_cselect_b32 vcc_lo, -1, 0
	s_cmp_eq_u32 s6, 3
	s_delay_alu instid0(VALU_DEP_1)
	v_cndmask_b32_e32 v24, v24, v3, vcc_lo
	s_cselect_b32 vcc_lo, -1, 0
	s_add_u32 s6, s6, 1
	s_addc_u32 s7, s7, 0
	s_cmp_lg_u32 s11, s6
	v_cndmask_b32_e32 v24, v24, v4, vcc_lo
	v_add_co_u32 v17, vcc_lo, v17, 2
	v_add_co_ci_u32_e32 v18, vcc_lo, 0, v18, vcc_lo
	s_waitcnt vmcnt(0) lgkmcnt(0)
	s_delay_alu instid0(VALU_DEP_3)
	v_fma_mix_f32 v22, v24, v23, v22 op_sel_hi:[0,1,0]
	s_cbranch_scc1 .LBB461_81
.LBB461_82:                             ;   in Loop: Header=BB461_65 Depth=1
	s_or_b32 exec_lo, exec_lo, s26
	s_delay_alu instid0(SALU_CYCLE_1)
	s_or_b32 exec_lo, exec_lo, s24
	s_and_saveexec_b32 s6, s2
	s_cbranch_execnz .LBB461_68
	s_branch .LBB461_69
.LBB461_83:                             ;   in Loop: Header=BB461_65 Depth=1
	ds_load_b32 v17, v19
	s_or_b32 exec_lo, exec_lo, s6
	s_and_saveexec_b32 s6, s2
	s_cbranch_execz .LBB461_73
.LBB461_84:                             ;   in Loop: Header=BB461_65 Depth=1
	s_waitcnt lgkmcnt(0)
	ds_bpermute_b32 v18, v28, v17
	s_waitcnt lgkmcnt(0)
	v_add_f32_e32 v17, v17, v18
	ds_bpermute_b32 v18, v27, v17
	s_waitcnt lgkmcnt(0)
	v_add_f32_e32 v17, v17, v18
	;; [unrolled: 3-line block ×3, first 2 shown]
	s_or_b32 exec_lo, exec_lo, s6
	s_and_saveexec_b32 s6, s5
	s_cbranch_execz .LBB461_64
.LBB461_85:                             ;   in Loop: Header=BB461_65 Depth=1
	s_mul_hi_u32 s23, s15, s12
	s_mul_i32 s22, s15, s12
	s_waitcnt lgkmcnt(0)
	v_mul_f32_e32 v17, s10, v17
	s_lshl_b64 s[22:23], s[22:23], 2
	s_delay_alu instid0(SALU_CYCLE_1)
	s_add_u32 s22, s13, s22
	s_addc_u32 s23, s14, s23
	global_store_b32 v0, v17, s[22:23]
	s_branch .LBB461_64
.LBB461_86:
	s_nop 0
	s_sendmsg sendmsg(MSG_DEALLOC_VGPRS)
	s_endpgm
	.section	.rodata,"a",@progbits
	.p2align	6, 0x0
	.amdhsa_kernel _ZL23rocblas_gemvt_sn_kernelILb1ELi256ELi4ElPKDF16_ffEviiT4_lPKT3_lilS5_lilPT5_i
		.amdhsa_group_segment_fixed_size 128
		.amdhsa_private_segment_fixed_size 0
		.amdhsa_kernarg_size 360
		.amdhsa_user_sgpr_count 14
		.amdhsa_user_sgpr_dispatch_ptr 0
		.amdhsa_user_sgpr_queue_ptr 0
		.amdhsa_user_sgpr_kernarg_segment_ptr 1
		.amdhsa_user_sgpr_dispatch_id 0
		.amdhsa_user_sgpr_private_segment_size 0
		.amdhsa_wavefront_size32 1
		.amdhsa_uses_dynamic_stack 0
		.amdhsa_enable_private_segment 0
		.amdhsa_system_sgpr_workgroup_id_x 1
		.amdhsa_system_sgpr_workgroup_id_y 0
		.amdhsa_system_sgpr_workgroup_id_z 1
		.amdhsa_system_sgpr_workgroup_info 0
		.amdhsa_system_vgpr_workitem_id 0
		.amdhsa_next_free_vgpr 49
		.amdhsa_next_free_sgpr 46
		.amdhsa_reserve_vcc 1
		.amdhsa_float_round_mode_32 0
		.amdhsa_float_round_mode_16_64 0
		.amdhsa_float_denorm_mode_32 3
		.amdhsa_float_denorm_mode_16_64 3
		.amdhsa_dx10_clamp 1
		.amdhsa_ieee_mode 1
		.amdhsa_fp16_overflow 0
		.amdhsa_workgroup_processor_mode 1
		.amdhsa_memory_ordered 1
		.amdhsa_forward_progress 0
		.amdhsa_shared_vgpr_count 0
		.amdhsa_exception_fp_ieee_invalid_op 0
		.amdhsa_exception_fp_denorm_src 0
		.amdhsa_exception_fp_ieee_div_zero 0
		.amdhsa_exception_fp_ieee_overflow 0
		.amdhsa_exception_fp_ieee_underflow 0
		.amdhsa_exception_fp_ieee_inexact 0
		.amdhsa_exception_int_div_zero 0
	.end_amdhsa_kernel
	.section	.text._ZL23rocblas_gemvt_sn_kernelILb1ELi256ELi4ElPKDF16_ffEviiT4_lPKT3_lilS5_lilPT5_i,"axG",@progbits,_ZL23rocblas_gemvt_sn_kernelILb1ELi256ELi4ElPKDF16_ffEviiT4_lPKT3_lilS5_lilPT5_i,comdat
.Lfunc_end461:
	.size	_ZL23rocblas_gemvt_sn_kernelILb1ELi256ELi4ElPKDF16_ffEviiT4_lPKT3_lilS5_lilPT5_i, .Lfunc_end461-_ZL23rocblas_gemvt_sn_kernelILb1ELi256ELi4ElPKDF16_ffEviiT4_lPKT3_lilS5_lilPT5_i
                                        ; -- End function
	.section	.AMDGPU.csdata,"",@progbits
; Kernel info:
; codeLenInByte = 4264
; NumSgprs: 48
; NumVgprs: 49
; ScratchSize: 0
; MemoryBound: 0
; FloatMode: 240
; IeeeMode: 1
; LDSByteSize: 128 bytes/workgroup (compile time only)
; SGPRBlocks: 5
; VGPRBlocks: 6
; NumSGPRsForWavesPerEU: 48
; NumVGPRsForWavesPerEU: 49
; Occupancy: 16
; WaveLimiterHint : 0
; COMPUTE_PGM_RSRC2:SCRATCH_EN: 0
; COMPUTE_PGM_RSRC2:USER_SGPR: 14
; COMPUTE_PGM_RSRC2:TRAP_HANDLER: 0
; COMPUTE_PGM_RSRC2:TGID_X_EN: 1
; COMPUTE_PGM_RSRC2:TGID_Y_EN: 0
; COMPUTE_PGM_RSRC2:TGID_Z_EN: 1
; COMPUTE_PGM_RSRC2:TIDIG_COMP_CNT: 0
	.section	.text._ZL20rocblas_gemvt_kernelILb1ELi256EPKDF16_PKfKPDF16_EviiT2_lPKT1_lilS9_lilS6_lPT3_lili,"axG",@progbits,_ZL20rocblas_gemvt_kernelILb1ELi256EPKDF16_PKfKPDF16_EviiT2_lPKT1_lilS9_lilS6_lPT3_lili,comdat
	.globl	_ZL20rocblas_gemvt_kernelILb1ELi256EPKDF16_PKfKPDF16_EviiT2_lPKT1_lilS9_lilS6_lPT3_lili ; -- Begin function _ZL20rocblas_gemvt_kernelILb1ELi256EPKDF16_PKfKPDF16_EviiT2_lPKT1_lilS9_lilS6_lPT3_lili
	.p2align	8
	.type	_ZL20rocblas_gemvt_kernelILb1ELi256EPKDF16_PKfKPDF16_EviiT2_lPKT1_lilS9_lilS6_lPT3_lili,@function
_ZL20rocblas_gemvt_kernelILb1ELi256EPKDF16_PKfKPDF16_EviiT2_lPKT1_lilS9_lilS6_lPT3_lili: ; @_ZL20rocblas_gemvt_kernelILb1ELi256EPKDF16_PKfKPDF16_EviiT2_lPKT1_lilS9_lilS6_lPT3_lili
; %bb.0:
	s_clause 0x1
	s_load_b256 s[16:23], s[0:1], 0x8
	s_load_b256 s[4:11], s[0:1], 0x58
	s_waitcnt lgkmcnt(0)
	s_mul_i32 s3, s15, s19
	s_mul_hi_u32 s13, s15, s18
	s_mul_i32 s12, s15, s18
	s_add_i32 s13, s13, s3
	s_mul_i32 s3, s15, s7
	s_lshl_b64 s[12:13], s[12:13], 2
	s_mul_hi_u32 s7, s15, s6
	s_add_u32 s12, s16, s12
	s_addc_u32 s13, s17, s13
	s_add_i32 s7, s7, s3
	s_mul_i32 s6, s15, s6
	s_delay_alu instid0(SALU_CYCLE_1) | instskip(NEXT) | instid1(SALU_CYCLE_1)
	s_lshl_b64 s[6:7], s[6:7], 2
	s_add_u32 s4, s4, s6
	s_addc_u32 s5, s5, s7
	s_load_b32 s13, s[12:13], 0x0
	s_load_b32 s12, s[4:5], 0x0
	s_waitcnt lgkmcnt(0)
	v_cmp_eq_f32_e64 s16, s13, 0
	v_cmp_eq_f32_e64 s3, s12, 1.0
	s_delay_alu instid0(VALU_DEP_1) | instskip(NEXT) | instid1(SALU_CYCLE_1)
	s_and_b32 s3, s16, s3
	s_and_b32 vcc_lo, exec_lo, s3
	s_mov_b32 s3, 0
	s_cbranch_vccnz .LBB462_41
; %bb.1:
	s_mov_b32 s2, s15
	v_cmp_neq_f32_e64 s15, s13, 0
	s_mov_b64 s[4:5], 0
	s_and_b32 vcc_lo, exec_lo, s16
	s_mov_b64 s[6:7], 0
	s_cbranch_vccnz .LBB462_3
; %bb.2:
	s_lshl_b64 s[6:7], s[2:3], 3
	s_delay_alu instid0(SALU_CYCLE_1)
	s_add_u32 s6, s20, s6
	s_addc_u32 s7, s21, s7
	s_lshl_b64 s[18:19], s[22:23], 1
	s_load_b64 s[6:7], s[6:7], 0x0
	s_waitcnt lgkmcnt(0)
	s_add_u32 s6, s6, s18
	s_addc_u32 s7, s7, s19
.LBB462_3:
	s_and_not1_b32 vcc_lo, exec_lo, s15
	s_cbranch_vccnz .LBB462_5
; %bb.4:
	s_load_b128 s[20:23], s[0:1], 0x38
	s_lshl_b64 s[4:5], s[2:3], 3
	s_waitcnt lgkmcnt(0)
	s_add_u32 s4, s20, s4
	s_addc_u32 s5, s21, s5
	s_lshl_b64 s[18:19], s[22:23], 1
	s_load_b64 s[4:5], s[4:5], 0x0
	s_waitcnt lgkmcnt(0)
	s_add_u32 s4, s4, s18
	s_addc_u32 s5, s5, s19
.LBB462_5:
	s_lshl_b64 s[2:3], s[2:3], 3
	s_delay_alu instid0(SALU_CYCLE_1)
	s_add_u32 s2, s8, s2
	s_addc_u32 s3, s9, s3
	s_lshl_b64 s[10:11], s[10:11], 1
	s_load_b64 s[8:9], s[2:3], 0x0
	s_load_b32 s15, s[0:1], 0x78
	v_cmp_eq_u32_e64 s2, 0, v0
	s_waitcnt lgkmcnt(0)
	s_add_u32 s10, s8, s10
	s_addc_u32 s11, s9, s11
	s_and_not1_b32 vcc_lo, exec_lo, s16
	s_cbranch_vccnz .LBB462_9
; %bb.6:
	s_mov_b32 s3, 0
	s_mov_b32 s16, 0
                                        ; implicit-def: $vgpr1
                                        ; implicit-def: $sgpr8_sgpr9
	s_and_saveexec_b32 s17, s2
	s_cbranch_execz .LBB462_10
; %bb.7:
	v_cmp_eq_f32_e64 s2, s12, 0
	s_mul_hi_i32 s9, s15, s14
	s_mul_i32 s8, s15, s14
	s_delay_alu instid0(VALU_DEP_1)
	s_and_b32 vcc_lo, exec_lo, s2
	s_cbranch_vccnz .LBB462_11
; %bb.8:
	s_lshl_b64 s[18:19], s[8:9], 1
	v_mov_b32_e32 v1, 0
	s_add_u32 s18, s10, s18
	s_addc_u32 s19, s11, s19
	global_load_u16 v1, v1, s[18:19]
	s_waitcnt vmcnt(0)
	v_fma_mixlo_f16 v1, s12, v1, 0 op_sel_hi:[0,1,0]
	s_branch .LBB462_12
.LBB462_9:
	s_mov_b32 s16, 0
                                        ; implicit-def: $vgpr1
                                        ; implicit-def: $sgpr8_sgpr9
	s_cbranch_execnz .LBB462_13
	s_branch .LBB462_39
.LBB462_10:
	s_or_b32 exec_lo, exec_lo, s17
	s_delay_alu instid0(SALU_CYCLE_1)
	s_and_b32 vcc_lo, exec_lo, s3
	s_cbranch_vccnz .LBB462_13
	s_branch .LBB462_39
.LBB462_11:
	v_mov_b32_e32 v1, 0
.LBB462_12:
	s_mov_b32 s16, exec_lo
	s_or_b32 exec_lo, exec_lo, s17
	s_delay_alu instid0(SALU_CYCLE_1)
	s_and_b32 vcc_lo, exec_lo, s3
	s_cbranch_vccz .LBB462_39
.LBB462_13:
	s_clause 0x2
	s_load_b32 s2, s[0:1], 0x28
	s_load_b32 s3, s[0:1], 0x0
	;; [unrolled: 1-line block ×3, first 2 shown]
	v_mov_b32_e32 v7, 0
	s_waitcnt lgkmcnt(0)
	s_mul_hi_i32 s9, s2, s14
	v_cmp_gt_i32_e32 vcc_lo, s3, v0
	s_mul_i32 s8, s2, s14
	s_delay_alu instid0(SALU_CYCLE_1) | instskip(NEXT) | instid1(SALU_CYCLE_1)
	s_lshl_b64 s[8:9], s[8:9], 1
	s_add_u32 s1, s8, s6
	v_cndmask_b32_e32 v1, 0, v0, vcc_lo
	s_addc_u32 s2, s9, s7
	s_ashr_i32 s6, s3, 31
	s_mov_b32 s8, 0
	s_lshr_b32 s6, s6, 24
	v_lshlrev_b32_e32 v1, 1, v1
	s_add_i32 s6, s3, s6
	s_delay_alu instid0(VALU_DEP_1) | instskip(NEXT) | instid1(VALU_DEP_1)
	v_add_co_u32 v1, s1, s1, v1
	v_add_co_ci_u32_e64 v2, null, s2, 0, s1
	s_and_b32 s2, s6, 0xffffff00
	s_cmpk_lt_i32 s3, 0x100
	s_cbranch_scc1 .LBB462_16
; %bb.14:
	v_mad_i64_i32 v[3:4], null, s0, v0, 0
	v_dual_mov_b32 v7, 0 :: v_dual_mov_b32 v6, v2
	v_mov_b32_e32 v5, v1
	s_ashr_i32 s1, s0, 31
	s_delay_alu instid0(SALU_CYCLE_1) | instskip(NEXT) | instid1(VALU_DEP_3)
	s_lshl_b64 s[6:7], s[0:1], 9
	v_lshlrev_b64 v[3:4], 1, v[3:4]
	s_delay_alu instid0(VALU_DEP_1) | instskip(NEXT) | instid1(VALU_DEP_2)
	v_add_co_u32 v3, vcc_lo, s4, v3
	v_add_co_ci_u32_e32 v4, vcc_lo, s5, v4, vcc_lo
	.p2align	6
.LBB462_15:                             ; =>This Inner Loop Header: Depth=1
	flat_load_u16 v8, v[5:6]
	flat_load_u16 v9, v[3:4]
	v_add_co_u32 v3, vcc_lo, v3, s6
	v_add_co_ci_u32_e32 v4, vcc_lo, s7, v4, vcc_lo
	v_add_co_u32 v5, vcc_lo, 0x200, v5
	v_add_co_ci_u32_e32 v6, vcc_lo, 0, v6, vcc_lo
	s_addk_i32 s8, 0x100
	s_delay_alu instid0(SALU_CYCLE_1) | instskip(SKIP_2) | instid1(VALU_DEP_1)
	s_cmp_ge_i32 s8, s2
	s_waitcnt vmcnt(0) lgkmcnt(0)
	v_mul_f16_e32 v8, v8, v9
	v_cvt_f32_f16_e32 v8, v8
	s_delay_alu instid0(VALU_DEP_1)
	v_add_f32_e32 v7, v7, v8
	s_cbranch_scc0 .LBB462_15
.LBB462_16:
	v_add_nc_u32_e32 v3, s2, v0
	s_mov_b32 s1, exec_lo
	s_delay_alu instid0(VALU_DEP_1)
	v_cmpx_gt_i32_e64 s3, v3
	s_cbranch_execz .LBB462_18
; %bb.17:
	v_mad_i64_i32 v[4:5], null, s0, v3, 0
	s_ashr_i32 s3, s2, 31
	s_delay_alu instid0(SALU_CYCLE_1) | instskip(NEXT) | instid1(SALU_CYCLE_1)
	s_lshl_b64 s[2:3], s[2:3], 1
	v_add_co_u32 v1, vcc_lo, v1, s2
	s_delay_alu instid0(VALU_DEP_2) | instskip(SKIP_1) | instid1(VALU_DEP_2)
	v_lshlrev_b64 v[3:4], 1, v[4:5]
	v_add_co_ci_u32_e32 v2, vcc_lo, s3, v2, vcc_lo
	v_add_co_u32 v3, vcc_lo, s4, v3
	s_delay_alu instid0(VALU_DEP_3) | instskip(SKIP_4) | instid1(VALU_DEP_1)
	v_add_co_ci_u32_e32 v4, vcc_lo, s5, v4, vcc_lo
	flat_load_u16 v1, v[1:2]
	flat_load_u16 v2, v[3:4]
	s_waitcnt vmcnt(0) lgkmcnt(0)
	v_mul_f16_e32 v1, v1, v2
	v_cvt_f32_f16_e32 v1, v1
	s_delay_alu instid0(VALU_DEP_1)
	v_add_f32_e32 v7, v7, v1
.LBB462_18:
	s_or_b32 exec_lo, exec_lo, s1
	v_lshlrev_b32_e32 v1, 2, v0
	s_mov_b32 s0, exec_lo
	ds_store_b32 v1, v7
	s_waitcnt lgkmcnt(0)
	s_barrier
	buffer_gl0_inv
	v_cmpx_gt_u32_e32 0x80, v0
	s_cbranch_execz .LBB462_20
; %bb.19:
	ds_load_2addr_stride64_b32 v[2:3], v1 offset1:2
	s_waitcnt lgkmcnt(0)
	v_add_f32_e32 v2, v3, v2
	ds_store_b32 v1, v2
.LBB462_20:
	s_or_b32 exec_lo, exec_lo, s0
	s_delay_alu instid0(SALU_CYCLE_1)
	s_mov_b32 s0, exec_lo
	s_waitcnt lgkmcnt(0)
	s_barrier
	buffer_gl0_inv
	v_cmpx_gt_u32_e32 64, v0
	s_cbranch_execz .LBB462_22
; %bb.21:
	ds_load_2addr_stride64_b32 v[2:3], v1 offset1:1
	s_waitcnt lgkmcnt(0)
	v_add_f32_e32 v2, v3, v2
	ds_store_b32 v1, v2
.LBB462_22:
	s_or_b32 exec_lo, exec_lo, s0
	s_delay_alu instid0(SALU_CYCLE_1)
	s_mov_b32 s0, exec_lo
	s_waitcnt lgkmcnt(0)
	s_barrier
	buffer_gl0_inv
	v_cmpx_gt_u32_e32 32, v0
	s_cbranch_execz .LBB462_24
; %bb.23:
	ds_load_2addr_b32 v[2:3], v1 offset1:32
	s_waitcnt lgkmcnt(0)
	v_add_f32_e32 v2, v3, v2
	ds_store_b32 v1, v2
.LBB462_24:
	s_or_b32 exec_lo, exec_lo, s0
	s_delay_alu instid0(SALU_CYCLE_1)
	s_mov_b32 s0, exec_lo
	s_waitcnt lgkmcnt(0)
	s_barrier
	buffer_gl0_inv
	v_cmpx_gt_u32_e32 16, v0
	s_cbranch_execz .LBB462_26
; %bb.25:
	ds_load_2addr_b32 v[2:3], v1 offset1:16
	s_waitcnt lgkmcnt(0)
	v_add_f32_e32 v2, v3, v2
	ds_store_b32 v1, v2
.LBB462_26:
	;; [unrolled: 14-line block ×5, first 2 shown]
	s_or_b32 exec_lo, exec_lo, s0
	v_cmp_eq_u32_e32 vcc_lo, 0, v0
	s_waitcnt lgkmcnt(0)
	s_barrier
	buffer_gl0_inv
	s_and_saveexec_b32 s0, vcc_lo
	s_cbranch_execz .LBB462_34
; %bb.33:
	v_mov_b32_e32 v2, 0
	ds_load_b64 v[0:1], v2
	s_waitcnt lgkmcnt(0)
	v_add_f32_e32 v0, v1, v0
	ds_store_b32 v2, v0
.LBB462_34:
	s_or_b32 exec_lo, exec_lo, s0
	s_waitcnt lgkmcnt(0)
	s_barrier
	buffer_gl0_inv
                                        ; implicit-def: $vgpr1
                                        ; implicit-def: $sgpr8_sgpr9
	s_and_saveexec_b32 s0, vcc_lo
	s_cbranch_execz .LBB462_38
; %bb.35:
	v_mov_b32_e32 v1, 0
	v_cmp_eq_f32_e64 s1, s12, 0
	s_mul_hi_i32 s9, s15, s14
	s_mul_i32 s8, s15, s14
	ds_load_b32 v0, v1
	s_and_b32 vcc_lo, exec_lo, s1
	s_waitcnt lgkmcnt(0)
	v_mul_f32_e32 v0, s13, v0
	s_cbranch_vccnz .LBB462_37
; %bb.36:
	s_lshl_b64 s[2:3], s[8:9], 1
	s_delay_alu instid0(SALU_CYCLE_1)
	s_add_u32 s2, s10, s2
	s_addc_u32 s3, s11, s3
	global_load_u16 v1, v1, s[2:3]
	s_waitcnt vmcnt(0)
	v_fma_mix_f32 v0, s12, v1, v0 op_sel_hi:[0,1,0]
.LBB462_37:
	s_delay_alu instid0(VALU_DEP_1)
	v_cvt_f16_f32_e32 v1, v0
	s_or_b32 s16, s16, exec_lo
.LBB462_38:
	s_or_b32 exec_lo, exec_lo, s0
.LBB462_39:
	s_and_saveexec_b32 s0, s16
	s_cbranch_execz .LBB462_41
; %bb.40:
	s_lshl_b64 s[0:1], s[8:9], 1
	v_mov_b32_e32 v0, 0
	s_add_u32 s0, s10, s0
	s_addc_u32 s1, s11, s1
	global_store_b16 v0, v1, s[0:1]
.LBB462_41:
	s_nop 0
	s_sendmsg sendmsg(MSG_DEALLOC_VGPRS)
	s_endpgm
	.section	.rodata,"a",@progbits
	.p2align	6, 0x0
	.amdhsa_kernel _ZL20rocblas_gemvt_kernelILb1ELi256EPKDF16_PKfKPDF16_EviiT2_lPKT1_lilS9_lilS6_lPT3_lili
		.amdhsa_group_segment_fixed_size 1024
		.amdhsa_private_segment_fixed_size 0
		.amdhsa_kernarg_size 140
		.amdhsa_user_sgpr_count 14
		.amdhsa_user_sgpr_dispatch_ptr 0
		.amdhsa_user_sgpr_queue_ptr 0
		.amdhsa_user_sgpr_kernarg_segment_ptr 1
		.amdhsa_user_sgpr_dispatch_id 0
		.amdhsa_user_sgpr_private_segment_size 0
		.amdhsa_wavefront_size32 1
		.amdhsa_uses_dynamic_stack 0
		.amdhsa_enable_private_segment 0
		.amdhsa_system_sgpr_workgroup_id_x 1
		.amdhsa_system_sgpr_workgroup_id_y 0
		.amdhsa_system_sgpr_workgroup_id_z 1
		.amdhsa_system_sgpr_workgroup_info 0
		.amdhsa_system_vgpr_workitem_id 0
		.amdhsa_next_free_vgpr 10
		.amdhsa_next_free_sgpr 24
		.amdhsa_reserve_vcc 1
		.amdhsa_float_round_mode_32 0
		.amdhsa_float_round_mode_16_64 0
		.amdhsa_float_denorm_mode_32 3
		.amdhsa_float_denorm_mode_16_64 3
		.amdhsa_dx10_clamp 1
		.amdhsa_ieee_mode 1
		.amdhsa_fp16_overflow 0
		.amdhsa_workgroup_processor_mode 1
		.amdhsa_memory_ordered 1
		.amdhsa_forward_progress 0
		.amdhsa_shared_vgpr_count 0
		.amdhsa_exception_fp_ieee_invalid_op 0
		.amdhsa_exception_fp_denorm_src 0
		.amdhsa_exception_fp_ieee_div_zero 0
		.amdhsa_exception_fp_ieee_overflow 0
		.amdhsa_exception_fp_ieee_underflow 0
		.amdhsa_exception_fp_ieee_inexact 0
		.amdhsa_exception_int_div_zero 0
	.end_amdhsa_kernel
	.section	.text._ZL20rocblas_gemvt_kernelILb1ELi256EPKDF16_PKfKPDF16_EviiT2_lPKT1_lilS9_lilS6_lPT3_lili,"axG",@progbits,_ZL20rocblas_gemvt_kernelILb1ELi256EPKDF16_PKfKPDF16_EviiT2_lPKT1_lilS9_lilS6_lPT3_lili,comdat
.Lfunc_end462:
	.size	_ZL20rocblas_gemvt_kernelILb1ELi256EPKDF16_PKfKPDF16_EviiT2_lPKT1_lilS9_lilS6_lPT3_lili, .Lfunc_end462-_ZL20rocblas_gemvt_kernelILb1ELi256EPKDF16_PKfKPDF16_EviiT2_lPKT1_lilS9_lilS6_lPT3_lili
                                        ; -- End function
	.section	.AMDGPU.csdata,"",@progbits
; Kernel info:
; codeLenInByte = 1508
; NumSgprs: 26
; NumVgprs: 10
; ScratchSize: 0
; MemoryBound: 0
; FloatMode: 240
; IeeeMode: 1
; LDSByteSize: 1024 bytes/workgroup (compile time only)
; SGPRBlocks: 3
; VGPRBlocks: 1
; NumSGPRsForWavesPerEU: 26
; NumVGPRsForWavesPerEU: 10
; Occupancy: 16
; WaveLimiterHint : 1
; COMPUTE_PGM_RSRC2:SCRATCH_EN: 0
; COMPUTE_PGM_RSRC2:USER_SGPR: 14
; COMPUTE_PGM_RSRC2:TRAP_HANDLER: 0
; COMPUTE_PGM_RSRC2:TGID_X_EN: 1
; COMPUTE_PGM_RSRC2:TGID_Y_EN: 0
; COMPUTE_PGM_RSRC2:TGID_Z_EN: 1
; COMPUTE_PGM_RSRC2:TIDIG_COMP_CNT: 0
	.section	.text._ZL20rocblas_gemvt_kernelILb1ELi256EPKDF16_fKPDF16_EviiT2_lPKT1_lilS7_lilS4_lPT3_lili,"axG",@progbits,_ZL20rocblas_gemvt_kernelILb1ELi256EPKDF16_fKPDF16_EviiT2_lPKT1_lilS7_lilS4_lPT3_lili,comdat
	.globl	_ZL20rocblas_gemvt_kernelILb1ELi256EPKDF16_fKPDF16_EviiT2_lPKT1_lilS7_lilS4_lPT3_lili ; -- Begin function _ZL20rocblas_gemvt_kernelILb1ELi256EPKDF16_fKPDF16_EviiT2_lPKT1_lilS7_lilS4_lPT3_lili
	.p2align	8
	.type	_ZL20rocblas_gemvt_kernelILb1ELi256EPKDF16_fKPDF16_EviiT2_lPKT1_lilS7_lilS4_lPT3_lili,@function
_ZL20rocblas_gemvt_kernelILb1ELi256EPKDF16_fKPDF16_EviiT2_lPKT1_lilS7_lilS4_lPT3_lili: ; @_ZL20rocblas_gemvt_kernelILb1ELi256EPKDF16_fKPDF16_EviiT2_lPKT1_lilS7_lilS4_lPT3_lili
; %bb.0:
	s_clause 0x1
	s_load_b32 s11, s[0:1], 0x8
	s_load_b32 s10, s[0:1], 0x58
	s_waitcnt lgkmcnt(0)
	v_cmp_eq_f32_e64 s8, s11, 0
	v_cmp_eq_f32_e64 s3, s10, 1.0
	s_delay_alu instid0(VALU_DEP_1) | instskip(NEXT) | instid1(SALU_CYCLE_1)
	s_and_b32 s3, s8, s3
	s_and_b32 vcc_lo, exec_lo, s3
	s_cbranch_vccnz .LBB463_44
; %bb.1:
	v_cmp_neq_f32_e64 s4, s11, 0
	s_mov_b32 s2, s15
	s_delay_alu instid0(VALU_DEP_1)
	s_and_b32 vcc_lo, exec_lo, s4
	s_cbranch_vccnz .LBB463_3
; %bb.2:
	s_mov_b32 s3, 0
	s_mov_b64 s[6:7], 0
	s_cbranch_execz .LBB463_4
	s_branch .LBB463_5
.LBB463_3:
	s_mov_b32 s3, -1
                                        ; implicit-def: $sgpr6_sgpr7
.LBB463_4:
	s_load_b128 s[16:19], s[0:1], 0x18
	s_mov_b32 s3, 0
	s_delay_alu instid0(SALU_CYCLE_1)
	s_lshl_b64 s[6:7], s[2:3], 3
	s_waitcnt lgkmcnt(0)
	s_add_u32 s6, s16, s6
	s_addc_u32 s7, s17, s7
	s_lshl_b64 s[12:13], s[18:19], 1
	s_load_b64 s[6:7], s[6:7], 0x0
	s_waitcnt lgkmcnt(0)
	s_add_u32 s6, s6, s12
	s_addc_u32 s7, s7, s13
.LBB463_5:
	s_and_not1_b32 vcc_lo, exec_lo, s4
	s_cbranch_vccnz .LBB463_7
; %bb.6:
	s_load_b128 s[16:19], s[0:1], 0x38
	s_lshl_b64 s[4:5], s[2:3], 3
	s_waitcnt lgkmcnt(0)
	s_add_u32 s4, s16, s4
	s_addc_u32 s5, s17, s5
	s_lshl_b64 s[12:13], s[18:19], 1
	s_load_b64 s[4:5], s[4:5], 0x0
	s_waitcnt lgkmcnt(0)
	s_add_u32 s4, s4, s12
	s_addc_u32 s5, s5, s13
	s_branch .LBB463_8
.LBB463_7:
	s_mov_b64 s[4:5], 0
.LBB463_8:
	s_clause 0x1
	s_load_b128 s[16:19], s[0:1], 0x68
	s_load_b32 s15, s[0:1], 0x78
	s_lshl_b64 s[2:3], s[2:3], 3
	s_waitcnt lgkmcnt(0)
	s_add_u32 s2, s16, s2
	s_addc_u32 s3, s17, s3
	s_lshl_b64 s[16:17], s[18:19], 1
	s_load_b64 s[12:13], s[2:3], 0x0
	v_cmp_eq_u32_e64 s2, 0, v0
	s_waitcnt lgkmcnt(0)
	s_add_u32 s12, s12, s16
	s_addc_u32 s13, s13, s17
	s_and_not1_b32 vcc_lo, exec_lo, s8
	s_cbranch_vccnz .LBB463_12
; %bb.9:
	s_mov_b32 s3, 0
	s_mov_b32 s16, 0
                                        ; implicit-def: $vgpr1
                                        ; implicit-def: $sgpr8_sgpr9
	s_and_saveexec_b32 s17, s2
	s_cbranch_execz .LBB463_13
; %bb.10:
	v_cmp_eq_f32_e64 s2, s10, 0
	s_mul_hi_i32 s9, s15, s14
	s_mul_i32 s8, s15, s14
	s_delay_alu instid0(VALU_DEP_1)
	s_and_b32 vcc_lo, exec_lo, s2
	s_cbranch_vccnz .LBB463_14
; %bb.11:
	s_lshl_b64 s[18:19], s[8:9], 1
	v_mov_b32_e32 v1, 0
	s_add_u32 s18, s12, s18
	s_addc_u32 s19, s13, s19
	global_load_u16 v1, v1, s[18:19]
	s_waitcnt vmcnt(0)
	v_fma_mixlo_f16 v1, v1, s10, 0 op_sel_hi:[1,0,0]
	s_branch .LBB463_15
.LBB463_12:
	s_mov_b32 s16, 0
                                        ; implicit-def: $vgpr1
                                        ; implicit-def: $sgpr8_sgpr9
	s_cbranch_execnz .LBB463_16
	s_branch .LBB463_42
.LBB463_13:
	s_or_b32 exec_lo, exec_lo, s17
	s_delay_alu instid0(SALU_CYCLE_1)
	s_and_b32 vcc_lo, exec_lo, s3
	s_cbranch_vccnz .LBB463_16
	s_branch .LBB463_42
.LBB463_14:
	v_mov_b32_e32 v1, 0
.LBB463_15:
	s_mov_b32 s16, exec_lo
	s_or_b32 exec_lo, exec_lo, s17
	s_delay_alu instid0(SALU_CYCLE_1)
	s_and_b32 vcc_lo, exec_lo, s3
	s_cbranch_vccz .LBB463_42
.LBB463_16:
	s_clause 0x2
	s_load_b32 s2, s[0:1], 0x28
	s_load_b32 s3, s[0:1], 0x0
	;; [unrolled: 1-line block ×3, first 2 shown]
	v_mov_b32_e32 v7, 0
	s_waitcnt lgkmcnt(0)
	s_mul_hi_i32 s9, s2, s14
	v_cmp_gt_i32_e32 vcc_lo, s3, v0
	s_mul_i32 s8, s2, s14
	s_delay_alu instid0(SALU_CYCLE_1) | instskip(NEXT) | instid1(SALU_CYCLE_1)
	s_lshl_b64 s[8:9], s[8:9], 1
	s_add_u32 s1, s8, s6
	v_cndmask_b32_e32 v1, 0, v0, vcc_lo
	s_addc_u32 s2, s9, s7
	s_ashr_i32 s6, s3, 31
	s_mov_b32 s8, 0
	s_lshr_b32 s6, s6, 24
	v_lshlrev_b32_e32 v1, 1, v1
	s_add_i32 s6, s3, s6
	s_delay_alu instid0(VALU_DEP_1) | instskip(NEXT) | instid1(VALU_DEP_1)
	v_add_co_u32 v1, s1, s1, v1
	v_add_co_ci_u32_e64 v2, null, s2, 0, s1
	s_and_b32 s2, s6, 0xffffff00
	s_cmpk_lt_i32 s3, 0x100
	s_cbranch_scc1 .LBB463_19
; %bb.17:
	v_mad_i64_i32 v[3:4], null, s0, v0, 0
	v_dual_mov_b32 v7, 0 :: v_dual_mov_b32 v6, v2
	v_mov_b32_e32 v5, v1
	s_ashr_i32 s1, s0, 31
	s_delay_alu instid0(SALU_CYCLE_1) | instskip(NEXT) | instid1(VALU_DEP_3)
	s_lshl_b64 s[6:7], s[0:1], 9
	v_lshlrev_b64 v[3:4], 1, v[3:4]
	s_delay_alu instid0(VALU_DEP_1) | instskip(NEXT) | instid1(VALU_DEP_2)
	v_add_co_u32 v3, vcc_lo, s4, v3
	v_add_co_ci_u32_e32 v4, vcc_lo, s5, v4, vcc_lo
	.p2align	6
.LBB463_18:                             ; =>This Inner Loop Header: Depth=1
	flat_load_u16 v8, v[5:6]
	flat_load_u16 v9, v[3:4]
	v_add_co_u32 v3, vcc_lo, v3, s6
	v_add_co_ci_u32_e32 v4, vcc_lo, s7, v4, vcc_lo
	v_add_co_u32 v5, vcc_lo, 0x200, v5
	v_add_co_ci_u32_e32 v6, vcc_lo, 0, v6, vcc_lo
	s_addk_i32 s8, 0x100
	s_delay_alu instid0(SALU_CYCLE_1) | instskip(SKIP_2) | instid1(VALU_DEP_1)
	s_cmp_ge_i32 s8, s2
	s_waitcnt vmcnt(0) lgkmcnt(0)
	v_mul_f16_e32 v8, v8, v9
	v_cvt_f32_f16_e32 v8, v8
	s_delay_alu instid0(VALU_DEP_1)
	v_add_f32_e32 v7, v7, v8
	s_cbranch_scc0 .LBB463_18
.LBB463_19:
	v_add_nc_u32_e32 v3, s2, v0
	s_mov_b32 s1, exec_lo
	s_delay_alu instid0(VALU_DEP_1)
	v_cmpx_gt_i32_e64 s3, v3
	s_cbranch_execz .LBB463_21
; %bb.20:
	v_mad_i64_i32 v[4:5], null, s0, v3, 0
	s_ashr_i32 s3, s2, 31
	s_delay_alu instid0(SALU_CYCLE_1) | instskip(NEXT) | instid1(SALU_CYCLE_1)
	s_lshl_b64 s[2:3], s[2:3], 1
	v_add_co_u32 v1, vcc_lo, v1, s2
	s_delay_alu instid0(VALU_DEP_2) | instskip(SKIP_1) | instid1(VALU_DEP_2)
	v_lshlrev_b64 v[3:4], 1, v[4:5]
	v_add_co_ci_u32_e32 v2, vcc_lo, s3, v2, vcc_lo
	v_add_co_u32 v3, vcc_lo, s4, v3
	s_delay_alu instid0(VALU_DEP_3) | instskip(SKIP_4) | instid1(VALU_DEP_1)
	v_add_co_ci_u32_e32 v4, vcc_lo, s5, v4, vcc_lo
	flat_load_u16 v1, v[1:2]
	flat_load_u16 v2, v[3:4]
	s_waitcnt vmcnt(0) lgkmcnt(0)
	v_mul_f16_e32 v1, v1, v2
	v_cvt_f32_f16_e32 v1, v1
	s_delay_alu instid0(VALU_DEP_1)
	v_add_f32_e32 v7, v7, v1
.LBB463_21:
	s_or_b32 exec_lo, exec_lo, s1
	v_lshlrev_b32_e32 v1, 2, v0
	s_mov_b32 s0, exec_lo
	ds_store_b32 v1, v7
	s_waitcnt lgkmcnt(0)
	s_barrier
	buffer_gl0_inv
	v_cmpx_gt_u32_e32 0x80, v0
	s_cbranch_execz .LBB463_23
; %bb.22:
	ds_load_2addr_stride64_b32 v[2:3], v1 offset1:2
	s_waitcnt lgkmcnt(0)
	v_add_f32_e32 v2, v3, v2
	ds_store_b32 v1, v2
.LBB463_23:
	s_or_b32 exec_lo, exec_lo, s0
	s_delay_alu instid0(SALU_CYCLE_1)
	s_mov_b32 s0, exec_lo
	s_waitcnt lgkmcnt(0)
	s_barrier
	buffer_gl0_inv
	v_cmpx_gt_u32_e32 64, v0
	s_cbranch_execz .LBB463_25
; %bb.24:
	ds_load_2addr_stride64_b32 v[2:3], v1 offset1:1
	s_waitcnt lgkmcnt(0)
	v_add_f32_e32 v2, v3, v2
	ds_store_b32 v1, v2
.LBB463_25:
	s_or_b32 exec_lo, exec_lo, s0
	s_delay_alu instid0(SALU_CYCLE_1)
	s_mov_b32 s0, exec_lo
	s_waitcnt lgkmcnt(0)
	s_barrier
	buffer_gl0_inv
	v_cmpx_gt_u32_e32 32, v0
	s_cbranch_execz .LBB463_27
; %bb.26:
	ds_load_2addr_b32 v[2:3], v1 offset1:32
	s_waitcnt lgkmcnt(0)
	v_add_f32_e32 v2, v3, v2
	ds_store_b32 v1, v2
.LBB463_27:
	s_or_b32 exec_lo, exec_lo, s0
	s_delay_alu instid0(SALU_CYCLE_1)
	s_mov_b32 s0, exec_lo
	s_waitcnt lgkmcnt(0)
	s_barrier
	buffer_gl0_inv
	v_cmpx_gt_u32_e32 16, v0
	s_cbranch_execz .LBB463_29
; %bb.28:
	ds_load_2addr_b32 v[2:3], v1 offset1:16
	s_waitcnt lgkmcnt(0)
	v_add_f32_e32 v2, v3, v2
	ds_store_b32 v1, v2
.LBB463_29:
	;; [unrolled: 14-line block ×5, first 2 shown]
	s_or_b32 exec_lo, exec_lo, s0
	v_cmp_eq_u32_e32 vcc_lo, 0, v0
	s_waitcnt lgkmcnt(0)
	s_barrier
	buffer_gl0_inv
	s_and_saveexec_b32 s0, vcc_lo
	s_cbranch_execz .LBB463_37
; %bb.36:
	v_mov_b32_e32 v2, 0
	ds_load_b64 v[0:1], v2
	s_waitcnt lgkmcnt(0)
	v_add_f32_e32 v0, v1, v0
	ds_store_b32 v2, v0
.LBB463_37:
	s_or_b32 exec_lo, exec_lo, s0
	s_waitcnt lgkmcnt(0)
	s_barrier
	buffer_gl0_inv
                                        ; implicit-def: $vgpr1
                                        ; implicit-def: $sgpr8_sgpr9
	s_and_saveexec_b32 s0, vcc_lo
	s_cbranch_execz .LBB463_41
; %bb.38:
	v_mov_b32_e32 v1, 0
	v_cmp_eq_f32_e64 s1, s10, 0
	s_mul_hi_i32 s9, s15, s14
	s_mul_i32 s8, s15, s14
	ds_load_b32 v0, v1
	s_and_b32 vcc_lo, exec_lo, s1
	s_waitcnt lgkmcnt(0)
	v_mul_f32_e32 v0, s11, v0
	s_cbranch_vccnz .LBB463_40
; %bb.39:
	s_lshl_b64 s[2:3], s[8:9], 1
	s_delay_alu instid0(SALU_CYCLE_1)
	s_add_u32 s2, s12, s2
	s_addc_u32 s3, s13, s3
	global_load_u16 v1, v1, s[2:3]
	s_waitcnt vmcnt(0)
	v_fma_mix_f32 v0, v1, s10, v0 op_sel_hi:[1,0,0]
.LBB463_40:
	s_delay_alu instid0(VALU_DEP_1)
	v_cvt_f16_f32_e32 v1, v0
	s_or_b32 s16, s16, exec_lo
.LBB463_41:
	s_or_b32 exec_lo, exec_lo, s0
.LBB463_42:
	s_and_saveexec_b32 s0, s16
	s_cbranch_execz .LBB463_44
; %bb.43:
	s_lshl_b64 s[0:1], s[8:9], 1
	v_mov_b32_e32 v0, 0
	s_add_u32 s0, s12, s0
	s_addc_u32 s1, s13, s1
	global_store_b16 v0, v1, s[0:1]
.LBB463_44:
	s_nop 0
	s_sendmsg sendmsg(MSG_DEALLOC_VGPRS)
	s_endpgm
	.section	.rodata,"a",@progbits
	.p2align	6, 0x0
	.amdhsa_kernel _ZL20rocblas_gemvt_kernelILb1ELi256EPKDF16_fKPDF16_EviiT2_lPKT1_lilS7_lilS4_lPT3_lili
		.amdhsa_group_segment_fixed_size 1024
		.amdhsa_private_segment_fixed_size 0
		.amdhsa_kernarg_size 140
		.amdhsa_user_sgpr_count 14
		.amdhsa_user_sgpr_dispatch_ptr 0
		.amdhsa_user_sgpr_queue_ptr 0
		.amdhsa_user_sgpr_kernarg_segment_ptr 1
		.amdhsa_user_sgpr_dispatch_id 0
		.amdhsa_user_sgpr_private_segment_size 0
		.amdhsa_wavefront_size32 1
		.amdhsa_uses_dynamic_stack 0
		.amdhsa_enable_private_segment 0
		.amdhsa_system_sgpr_workgroup_id_x 1
		.amdhsa_system_sgpr_workgroup_id_y 0
		.amdhsa_system_sgpr_workgroup_id_z 1
		.amdhsa_system_sgpr_workgroup_info 0
		.amdhsa_system_vgpr_workitem_id 0
		.amdhsa_next_free_vgpr 10
		.amdhsa_next_free_sgpr 20
		.amdhsa_reserve_vcc 1
		.amdhsa_float_round_mode_32 0
		.amdhsa_float_round_mode_16_64 0
		.amdhsa_float_denorm_mode_32 3
		.amdhsa_float_denorm_mode_16_64 3
		.amdhsa_dx10_clamp 1
		.amdhsa_ieee_mode 1
		.amdhsa_fp16_overflow 0
		.amdhsa_workgroup_processor_mode 1
		.amdhsa_memory_ordered 1
		.amdhsa_forward_progress 0
		.amdhsa_shared_vgpr_count 0
		.amdhsa_exception_fp_ieee_invalid_op 0
		.amdhsa_exception_fp_denorm_src 0
		.amdhsa_exception_fp_ieee_div_zero 0
		.amdhsa_exception_fp_ieee_overflow 0
		.amdhsa_exception_fp_ieee_underflow 0
		.amdhsa_exception_fp_ieee_inexact 0
		.amdhsa_exception_int_div_zero 0
	.end_amdhsa_kernel
	.section	.text._ZL20rocblas_gemvt_kernelILb1ELi256EPKDF16_fKPDF16_EviiT2_lPKT1_lilS7_lilS4_lPT3_lili,"axG",@progbits,_ZL20rocblas_gemvt_kernelILb1ELi256EPKDF16_fKPDF16_EviiT2_lPKT1_lilS7_lilS4_lPT3_lili,comdat
.Lfunc_end463:
	.size	_ZL20rocblas_gemvt_kernelILb1ELi256EPKDF16_fKPDF16_EviiT2_lPKT1_lilS7_lilS4_lPT3_lili, .Lfunc_end463-_ZL20rocblas_gemvt_kernelILb1ELi256EPKDF16_fKPDF16_EviiT2_lPKT1_lilS7_lilS4_lPT3_lili
                                        ; -- End function
	.section	.AMDGPU.csdata,"",@progbits
; Kernel info:
; codeLenInByte = 1476
; NumSgprs: 22
; NumVgprs: 10
; ScratchSize: 0
; MemoryBound: 0
; FloatMode: 240
; IeeeMode: 1
; LDSByteSize: 1024 bytes/workgroup (compile time only)
; SGPRBlocks: 2
; VGPRBlocks: 1
; NumSGPRsForWavesPerEU: 22
; NumVGPRsForWavesPerEU: 10
; Occupancy: 16
; WaveLimiterHint : 1
; COMPUTE_PGM_RSRC2:SCRATCH_EN: 0
; COMPUTE_PGM_RSRC2:USER_SGPR: 14
; COMPUTE_PGM_RSRC2:TRAP_HANDLER: 0
; COMPUTE_PGM_RSRC2:TGID_X_EN: 1
; COMPUTE_PGM_RSRC2:TGID_Y_EN: 0
; COMPUTE_PGM_RSRC2:TGID_Z_EN: 1
; COMPUTE_PGM_RSRC2:TIDIG_COMP_CNT: 0
	.section	.text._ZL32rocblas_gemvt_warp_reduce_kernelILb1ELi1024EiPKDF16_PKfKPDF16_EviiT3_lPKT2_lT1_lS9_lSA_lS6_lPT4_lSA_li,"axG",@progbits,_ZL32rocblas_gemvt_warp_reduce_kernelILb1ELi1024EiPKDF16_PKfKPDF16_EviiT3_lPKT2_lT1_lS9_lSA_lS6_lPT4_lSA_li,comdat
	.globl	_ZL32rocblas_gemvt_warp_reduce_kernelILb1ELi1024EiPKDF16_PKfKPDF16_EviiT3_lPKT2_lT1_lS9_lSA_lS6_lPT4_lSA_li ; -- Begin function _ZL32rocblas_gemvt_warp_reduce_kernelILb1ELi1024EiPKDF16_PKfKPDF16_EviiT3_lPKT2_lT1_lS9_lSA_lS6_lPT4_lSA_li
	.p2align	8
	.type	_ZL32rocblas_gemvt_warp_reduce_kernelILb1ELi1024EiPKDF16_PKfKPDF16_EviiT3_lPKT2_lT1_lS9_lSA_lS6_lPT4_lSA_li,@function
_ZL32rocblas_gemvt_warp_reduce_kernelILb1ELi1024EiPKDF16_PKfKPDF16_EviiT3_lPKT2_lT1_lS9_lSA_lS6_lPT4_lSA_li: ; @_ZL32rocblas_gemvt_warp_reduce_kernelILb1ELi1024EiPKDF16_PKfKPDF16_EviiT3_lPKT2_lT1_lS9_lSA_lS6_lPT4_lSA_li
; %bb.0:
	s_clause 0x1
	s_load_b256 s[16:23], s[0:1], 0x8
	s_load_b256 s[4:11], s[0:1], 0x58
	s_mov_b32 s2, s15
	s_waitcnt lgkmcnt(0)
	s_mul_i32 s3, s15, s19
	s_mul_hi_u32 s13, s15, s18
	s_mul_i32 s12, s15, s18
	s_add_i32 s13, s13, s3
	s_mul_i32 s3, s15, s7
	s_lshl_b64 s[12:13], s[12:13], 2
	s_mul_hi_u32 s7, s15, s6
	s_add_u32 s12, s16, s12
	s_addc_u32 s13, s17, s13
	s_add_i32 s7, s7, s3
	s_mul_i32 s6, s15, s6
	s_delay_alu instid0(SALU_CYCLE_1) | instskip(NEXT) | instid1(SALU_CYCLE_1)
	s_lshl_b64 s[6:7], s[6:7], 2
	s_add_u32 s4, s4, s6
	s_addc_u32 s5, s5, s7
	s_load_b32 s13, s[12:13], 0x0
	s_load_b32 s12, s[4:5], 0x0
	s_waitcnt lgkmcnt(0)
	v_cmp_eq_f32_e64 s15, s13, 0
	v_cmp_eq_f32_e64 s3, s12, 1.0
	s_delay_alu instid0(VALU_DEP_1) | instskip(NEXT) | instid1(SALU_CYCLE_1)
	s_and_b32 s3, s15, s3
	s_and_b32 vcc_lo, exec_lo, s3
	s_mov_b32 s3, 0
	s_cbranch_vccnz .LBB464_34
; %bb.1:
	v_cmp_neq_f32_e64 s16, s13, 0
	s_mov_b64 s[4:5], 0
	s_and_b32 vcc_lo, exec_lo, s15
	s_mov_b64 s[6:7], 0
	s_cbranch_vccnz .LBB464_3
; %bb.2:
	s_lshl_b64 s[6:7], s[2:3], 3
	s_delay_alu instid0(SALU_CYCLE_1)
	s_add_u32 s6, s20, s6
	s_addc_u32 s7, s21, s7
	s_lshl_b64 s[18:19], s[22:23], 1
	s_load_b64 s[6:7], s[6:7], 0x0
	s_waitcnt lgkmcnt(0)
	s_add_u32 s6, s6, s18
	s_addc_u32 s7, s7, s19
.LBB464_3:
	s_and_not1_b32 vcc_lo, exec_lo, s16
	s_cbranch_vccnz .LBB464_5
; %bb.4:
	s_load_b128 s[16:19], s[0:1], 0x38
	s_lshl_b64 s[4:5], s[2:3], 3
	s_waitcnt lgkmcnt(0)
	s_add_u32 s4, s16, s4
	s_addc_u32 s5, s17, s5
	s_lshl_b64 s[16:17], s[18:19], 1
	s_load_b64 s[4:5], s[4:5], 0x0
	s_waitcnt lgkmcnt(0)
	s_add_u32 s4, s4, s16
	s_addc_u32 s5, s5, s17
.LBB464_5:
	s_lshl_b64 s[2:3], s[2:3], 3
	s_delay_alu instid0(SALU_CYCLE_1)
	s_add_u32 s2, s8, s2
	s_addc_u32 s3, s9, s3
	s_lshl_b64 s[10:11], s[10:11], 1
	s_load_b64 s[8:9], s[2:3], 0x0
	s_load_b32 s16, s[0:1], 0x78
	v_cmp_eq_u32_e64 s2, 0, v0
	s_waitcnt lgkmcnt(0)
	s_add_u32 s10, s8, s10
	s_addc_u32 s11, s9, s11
	s_and_not1_b32 vcc_lo, exec_lo, s15
	s_cbranch_vccnz .LBB464_9
; %bb.6:
	s_mov_b32 s3, 0
	s_mov_b32 s15, 0
                                        ; implicit-def: $vgpr1
                                        ; implicit-def: $sgpr8_sgpr9
	s_and_saveexec_b32 s17, s2
	s_cbranch_execz .LBB464_10
; %bb.7:
	v_cmp_eq_f32_e64 s2, s12, 0
	s_mul_i32 s8, s14, s16
	s_delay_alu instid0(SALU_CYCLE_1) | instskip(NEXT) | instid1(VALU_DEP_1)
	s_ashr_i32 s9, s8, 31
	s_and_b32 vcc_lo, exec_lo, s2
	s_cbranch_vccnz .LBB464_11
; %bb.8:
	s_lshl_b64 s[18:19], s[8:9], 1
	v_mov_b32_e32 v1, 0
	s_add_u32 s18, s10, s18
	s_addc_u32 s19, s11, s19
	global_load_u16 v1, v1, s[18:19]
	s_waitcnt vmcnt(0)
	v_fma_mixlo_f16 v1, s12, v1, 0 op_sel_hi:[0,1,0]
	s_branch .LBB464_12
.LBB464_9:
	s_mov_b32 s15, 0
                                        ; implicit-def: $vgpr1
                                        ; implicit-def: $sgpr8_sgpr9
	s_cbranch_execnz .LBB464_13
	s_branch .LBB464_32
.LBB464_10:
	s_or_b32 exec_lo, exec_lo, s17
	s_delay_alu instid0(SALU_CYCLE_1)
	s_and_b32 vcc_lo, exec_lo, s3
	s_cbranch_vccnz .LBB464_13
	s_branch .LBB464_32
.LBB464_11:
	v_mov_b32_e32 v1, 0
.LBB464_12:
	s_mov_b32 s15, exec_lo
	s_or_b32 exec_lo, exec_lo, s17
	s_delay_alu instid0(SALU_CYCLE_1)
	s_and_b32 vcc_lo, exec_lo, s3
	s_cbranch_vccz .LBB464_32
.LBB464_13:
	s_clause 0x2
	s_load_b32 s2, s[0:1], 0x28
	s_load_b32 s3, s[0:1], 0x0
	;; [unrolled: 1-line block ×3, first 2 shown]
	v_mov_b32_e32 v7, 0
	s_waitcnt lgkmcnt(0)
	s_mul_i32 s8, s14, s2
	v_cmp_gt_i32_e32 vcc_lo, s3, v0
	s_ashr_i32 s9, s8, 31
	s_delay_alu instid0(SALU_CYCLE_1)
	s_lshl_b64 s[8:9], s[8:9], 1
	v_cndmask_b32_e32 v1, 0, v0, vcc_lo
	s_add_u32 s0, s8, s6
	s_addc_u32 s6, s9, s7
	s_ashr_i32 s2, s3, 31
	s_mov_b32 s7, 0
	v_lshlrev_b32_e32 v1, 1, v1
	s_lshr_b32 s2, s2, 22
	s_delay_alu instid0(SALU_CYCLE_1) | instskip(NEXT) | instid1(SALU_CYCLE_1)
	s_add_i32 s2, s3, s2
	s_and_b32 s2, s2, 0xfffffc00
	s_delay_alu instid0(VALU_DEP_1) | instskip(NEXT) | instid1(VALU_DEP_1)
	v_add_co_u32 v1, s0, s0, v1
	v_add_co_ci_u32_e64 v2, null, s6, 0, s0
	s_mov_b32 s6, exec_lo
	v_cmpx_gt_i32_e64 s2, v0
	s_cbranch_execz .LBB464_17
; %bb.14:
	v_mul_lo_u32 v3, v0, s1
	v_dual_mov_b32 v7, 0 :: v_dual_mov_b32 v6, v2
	v_dual_mov_b32 v5, v1 :: v_dual_mov_b32 v8, v0
	s_lshl_b32 s8, s1, 10
	.p2align	6
.LBB464_15:                             ; =>This Inner Loop Header: Depth=1
	s_delay_alu instid0(VALU_DEP_3) | instskip(NEXT) | instid1(VALU_DEP_2)
	v_ashrrev_i32_e32 v4, 31, v3
	v_add_nc_u32_e32 v8, 0x400, v8
	s_delay_alu instid0(VALU_DEP_2) | instskip(NEXT) | instid1(VALU_DEP_2)
	v_lshlrev_b64 v[9:10], 1, v[3:4]
	v_cmp_le_i32_e64 s0, s2, v8
	v_add_nc_u32_e32 v3, s8, v3
	s_delay_alu instid0(VALU_DEP_2) | instskip(NEXT) | instid1(VALU_DEP_3)
	s_or_b32 s7, s0, s7
	v_add_co_u32 v9, vcc_lo, s4, v9
	s_delay_alu instid0(VALU_DEP_4)
	v_add_co_ci_u32_e32 v10, vcc_lo, s5, v10, vcc_lo
	flat_load_u16 v4, v[5:6]
	flat_load_u16 v9, v[9:10]
	v_add_co_u32 v5, vcc_lo, 0x800, v5
	v_add_co_ci_u32_e32 v6, vcc_lo, 0, v6, vcc_lo
	s_waitcnt vmcnt(0) lgkmcnt(0)
	v_mul_f16_e32 v4, v4, v9
	s_delay_alu instid0(VALU_DEP_1) | instskip(NEXT) | instid1(VALU_DEP_1)
	v_cvt_f32_f16_e32 v4, v4
	v_add_f32_e32 v7, v7, v4
	s_and_not1_b32 exec_lo, exec_lo, s7
	s_cbranch_execnz .LBB464_15
; %bb.16:
	s_or_b32 exec_lo, exec_lo, s7
.LBB464_17:
	s_delay_alu instid0(SALU_CYCLE_1) | instskip(SKIP_2) | instid1(VALU_DEP_1)
	s_or_b32 exec_lo, exec_lo, s6
	v_or_b32_e32 v3, s2, v0
	s_mov_b32 s0, exec_lo
	v_cmpx_gt_i32_e64 s3, v3
	s_cbranch_execz .LBB464_19
; %bb.18:
	v_mul_lo_u32 v3, v3, s1
	s_ashr_i32 s3, s2, 31
	s_delay_alu instid0(SALU_CYCLE_1) | instskip(NEXT) | instid1(SALU_CYCLE_1)
	s_lshl_b64 s[2:3], s[2:3], 1
	v_add_co_u32 v1, vcc_lo, v1, s2
	v_add_co_ci_u32_e32 v2, vcc_lo, s3, v2, vcc_lo
	s_delay_alu instid0(VALU_DEP_3) | instskip(NEXT) | instid1(VALU_DEP_1)
	v_ashrrev_i32_e32 v4, 31, v3
	v_lshlrev_b64 v[3:4], 1, v[3:4]
	s_delay_alu instid0(VALU_DEP_1) | instskip(NEXT) | instid1(VALU_DEP_2)
	v_add_co_u32 v3, vcc_lo, s4, v3
	v_add_co_ci_u32_e32 v4, vcc_lo, s5, v4, vcc_lo
	flat_load_u16 v1, v[1:2]
	flat_load_u16 v2, v[3:4]
	s_waitcnt vmcnt(0) lgkmcnt(0)
	v_mul_f16_e32 v1, v1, v2
	s_delay_alu instid0(VALU_DEP_1) | instskip(NEXT) | instid1(VALU_DEP_1)
	v_cvt_f32_f16_e32 v1, v1
	v_add_f32_e32 v7, v7, v1
.LBB464_19:
	s_or_b32 exec_lo, exec_lo, s0
	v_and_b32_e32 v6, 31, v0
	v_cmp_gt_u32_e32 vcc_lo, 32, v0
	s_delay_alu instid0(VALU_DEP_2)
	v_lshlrev_b32_e32 v1, 2, v6
	s_and_saveexec_b32 s0, vcc_lo
	s_cbranch_execz .LBB464_21
; %bb.20:
	v_mov_b32_e32 v2, 0
	ds_store_b32 v1, v2
.LBB464_21:
	s_or_b32 exec_lo, exec_lo, s0
	v_mbcnt_lo_u32_b32 v8, -1, 0
	s_mov_b32 s1, exec_lo
	s_waitcnt lgkmcnt(0)
	s_barrier
	buffer_gl0_inv
	v_cmp_gt_u32_e64 s0, 16, v8
	s_delay_alu instid0(VALU_DEP_1) | instskip(SKIP_1) | instid1(VALU_DEP_2)
	v_cndmask_b32_e64 v2, 0, 1, s0
	v_cmp_gt_u32_e64 s0, 24, v8
	v_lshlrev_b32_e32 v2, 4, v2
	s_delay_alu instid0(VALU_DEP_2) | instskip(SKIP_1) | instid1(VALU_DEP_3)
	v_cndmask_b32_e64 v3, 0, 1, s0
	v_cmp_gt_u32_e64 s0, 28, v8
	v_add_lshl_u32 v2, v2, v8, 2
	s_delay_alu instid0(VALU_DEP_3)
	v_lshlrev_b32_e32 v3, 3, v3
	ds_bpermute_b32 v4, v2, v7
	v_add_lshl_u32 v3, v3, v8, 2
	s_waitcnt lgkmcnt(0)
	v_add_f32_e32 v5, v7, v4
	v_cndmask_b32_e64 v4, 0, 1, s0
	v_cmp_gt_u32_e64 s0, 30, v8
	ds_bpermute_b32 v7, v3, v5
	s_waitcnt lgkmcnt(0)
	v_dual_add_f32 v7, v5, v7 :: v_dual_lshlrev_b32 v4, 2, v4
	s_delay_alu instid0(VALU_DEP_1)
	v_add_lshl_u32 v4, v4, v8, 2
	v_cndmask_b32_e64 v5, 0, 1, s0
	v_cmp_ne_u32_e64 s0, 31, v8
	ds_bpermute_b32 v9, v4, v7
	v_lshlrev_b32_e32 v5, 1, v5
	v_add_co_ci_u32_e64 v10, s0, 0, v8, s0
	s_delay_alu instid0(VALU_DEP_2)
	v_add_lshl_u32 v5, v5, v8, 2
	s_waitcnt lgkmcnt(0)
	v_add_f32_e32 v7, v7, v9
	ds_bpermute_b32 v9, v5, v7
	s_waitcnt lgkmcnt(0)
	v_dual_add_f32 v8, v7, v9 :: v_dual_lshlrev_b32 v7, 2, v10
	ds_bpermute_b32 v9, v7, v8
	v_cmpx_eq_u32_e32 0, v6
	s_cbranch_execz .LBB464_23
; %bb.22:
	v_lshrrev_b32_e32 v6, 3, v0
	s_waitcnt lgkmcnt(0)
	v_add_f32_e32 v8, v8, v9
	s_delay_alu instid0(VALU_DEP_2)
	v_and_b32_e32 v6, 0x7c, v6
	ds_store_b32 v6, v8
.LBB464_23:
	s_or_b32 exec_lo, exec_lo, s1
	v_mov_b32_e32 v6, 0
	s_waitcnt lgkmcnt(0)
	s_barrier
	buffer_gl0_inv
	s_and_saveexec_b32 s0, vcc_lo
	s_cbranch_execz .LBB464_25
; %bb.24:
	ds_load_b32 v6, v1
.LBB464_25:
	s_or_b32 exec_lo, exec_lo, s0
	s_and_saveexec_b32 s0, vcc_lo
	s_cbranch_execz .LBB464_27
; %bb.26:
	s_waitcnt lgkmcnt(0)
	ds_bpermute_b32 v1, v2, v6
	s_waitcnt lgkmcnt(0)
	v_add_f32_e32 v1, v6, v1
	ds_bpermute_b32 v2, v3, v1
	s_waitcnt lgkmcnt(0)
	v_add_f32_e32 v1, v1, v2
	;; [unrolled: 3-line block ×5, first 2 shown]
.LBB464_27:
	s_or_b32 exec_lo, exec_lo, s0
	s_delay_alu instid0(SALU_CYCLE_1)
	s_mov_b32 s0, exec_lo
                                        ; implicit-def: $vgpr1
                                        ; implicit-def: $sgpr8_sgpr9
	v_cmpx_eq_u32_e32 0, v0
	s_cbranch_execz .LBB464_31
; %bb.28:
	v_cmp_eq_f32_e64 s1, s12, 0
	s_waitcnt lgkmcnt(0)
	v_mul_f32_e32 v0, s13, v6
	s_mul_i32 s8, s14, s16
	s_delay_alu instid0(SALU_CYCLE_1)
	s_ashr_i32 s9, s8, 31
	s_and_b32 vcc_lo, exec_lo, s1
	s_cbranch_vccnz .LBB464_30
; %bb.29:
	s_lshl_b64 s[2:3], s[8:9], 1
	v_mov_b32_e32 v1, 0
	s_add_u32 s2, s10, s2
	s_addc_u32 s3, s11, s3
	global_load_u16 v1, v1, s[2:3]
	s_waitcnt vmcnt(0)
	v_fma_mix_f32 v0, s12, v1, v0 op_sel_hi:[0,1,0]
.LBB464_30:
	s_delay_alu instid0(VALU_DEP_1)
	v_cvt_f16_f32_e32 v1, v0
	s_or_b32 s15, s15, exec_lo
.LBB464_31:
	s_or_b32 exec_lo, exec_lo, s0
.LBB464_32:
	s_and_saveexec_b32 s0, s15
	s_cbranch_execz .LBB464_34
; %bb.33:
	s_lshl_b64 s[0:1], s[8:9], 1
	v_mov_b32_e32 v0, 0
	s_add_u32 s0, s10, s0
	s_addc_u32 s1, s11, s1
	global_store_b16 v0, v1, s[0:1]
.LBB464_34:
	s_nop 0
	s_sendmsg sendmsg(MSG_DEALLOC_VGPRS)
	s_endpgm
	.section	.rodata,"a",@progbits
	.p2align	6, 0x0
	.amdhsa_kernel _ZL32rocblas_gemvt_warp_reduce_kernelILb1ELi1024EiPKDF16_PKfKPDF16_EviiT3_lPKT2_lT1_lS9_lSA_lS6_lPT4_lSA_li
		.amdhsa_group_segment_fixed_size 128
		.amdhsa_private_segment_fixed_size 0
		.amdhsa_kernarg_size 140
		.amdhsa_user_sgpr_count 14
		.amdhsa_user_sgpr_dispatch_ptr 0
		.amdhsa_user_sgpr_queue_ptr 0
		.amdhsa_user_sgpr_kernarg_segment_ptr 1
		.amdhsa_user_sgpr_dispatch_id 0
		.amdhsa_user_sgpr_private_segment_size 0
		.amdhsa_wavefront_size32 1
		.amdhsa_uses_dynamic_stack 0
		.amdhsa_enable_private_segment 0
		.amdhsa_system_sgpr_workgroup_id_x 1
		.amdhsa_system_sgpr_workgroup_id_y 0
		.amdhsa_system_sgpr_workgroup_id_z 1
		.amdhsa_system_sgpr_workgroup_info 0
		.amdhsa_system_vgpr_workitem_id 0
		.amdhsa_next_free_vgpr 11
		.amdhsa_next_free_sgpr 24
		.amdhsa_reserve_vcc 1
		.amdhsa_float_round_mode_32 0
		.amdhsa_float_round_mode_16_64 0
		.amdhsa_float_denorm_mode_32 3
		.amdhsa_float_denorm_mode_16_64 3
		.amdhsa_dx10_clamp 1
		.amdhsa_ieee_mode 1
		.amdhsa_fp16_overflow 0
		.amdhsa_workgroup_processor_mode 1
		.amdhsa_memory_ordered 1
		.amdhsa_forward_progress 0
		.amdhsa_shared_vgpr_count 0
		.amdhsa_exception_fp_ieee_invalid_op 0
		.amdhsa_exception_fp_denorm_src 0
		.amdhsa_exception_fp_ieee_div_zero 0
		.amdhsa_exception_fp_ieee_overflow 0
		.amdhsa_exception_fp_ieee_underflow 0
		.amdhsa_exception_fp_ieee_inexact 0
		.amdhsa_exception_int_div_zero 0
	.end_amdhsa_kernel
	.section	.text._ZL32rocblas_gemvt_warp_reduce_kernelILb1ELi1024EiPKDF16_PKfKPDF16_EviiT3_lPKT2_lT1_lS9_lSA_lS6_lPT4_lSA_li,"axG",@progbits,_ZL32rocblas_gemvt_warp_reduce_kernelILb1ELi1024EiPKDF16_PKfKPDF16_EviiT3_lPKT2_lT1_lS9_lSA_lS6_lPT4_lSA_li,comdat
.Lfunc_end464:
	.size	_ZL32rocblas_gemvt_warp_reduce_kernelILb1ELi1024EiPKDF16_PKfKPDF16_EviiT3_lPKT2_lT1_lS9_lSA_lS6_lPT4_lSA_li, .Lfunc_end464-_ZL32rocblas_gemvt_warp_reduce_kernelILb1ELi1024EiPKDF16_PKfKPDF16_EviiT3_lPKT2_lT1_lS9_lSA_lS6_lPT4_lSA_li
                                        ; -- End function
	.section	.AMDGPU.csdata,"",@progbits
; Kernel info:
; codeLenInByte = 1512
; NumSgprs: 26
; NumVgprs: 11
; ScratchSize: 0
; MemoryBound: 0
; FloatMode: 240
; IeeeMode: 1
; LDSByteSize: 128 bytes/workgroup (compile time only)
; SGPRBlocks: 3
; VGPRBlocks: 1
; NumSGPRsForWavesPerEU: 26
; NumVGPRsForWavesPerEU: 11
; Occupancy: 16
; WaveLimiterHint : 1
; COMPUTE_PGM_RSRC2:SCRATCH_EN: 0
; COMPUTE_PGM_RSRC2:USER_SGPR: 14
; COMPUTE_PGM_RSRC2:TRAP_HANDLER: 0
; COMPUTE_PGM_RSRC2:TGID_X_EN: 1
; COMPUTE_PGM_RSRC2:TGID_Y_EN: 0
; COMPUTE_PGM_RSRC2:TGID_Z_EN: 1
; COMPUTE_PGM_RSRC2:TIDIG_COMP_CNT: 0
	.section	.text._ZL32rocblas_gemvt_warp_reduce_kernelILb1ELi1024ElPKDF16_PKfKPDF16_EviiT3_lPKT2_lT1_lS9_lSA_lS6_lPT4_lSA_li,"axG",@progbits,_ZL32rocblas_gemvt_warp_reduce_kernelILb1ELi1024ElPKDF16_PKfKPDF16_EviiT3_lPKT2_lT1_lS9_lSA_lS6_lPT4_lSA_li,comdat
	.globl	_ZL32rocblas_gemvt_warp_reduce_kernelILb1ELi1024ElPKDF16_PKfKPDF16_EviiT3_lPKT2_lT1_lS9_lSA_lS6_lPT4_lSA_li ; -- Begin function _ZL32rocblas_gemvt_warp_reduce_kernelILb1ELi1024ElPKDF16_PKfKPDF16_EviiT3_lPKT2_lT1_lS9_lSA_lS6_lPT4_lSA_li
	.p2align	8
	.type	_ZL32rocblas_gemvt_warp_reduce_kernelILb1ELi1024ElPKDF16_PKfKPDF16_EviiT3_lPKT2_lT1_lS9_lSA_lS6_lPT4_lSA_li,@function
_ZL32rocblas_gemvt_warp_reduce_kernelILb1ELi1024ElPKDF16_PKfKPDF16_EviiT3_lPKT2_lT1_lS9_lSA_lS6_lPT4_lSA_li: ; @_ZL32rocblas_gemvt_warp_reduce_kernelILb1ELi1024ElPKDF16_PKfKPDF16_EviiT3_lPKT2_lT1_lS9_lSA_lS6_lPT4_lSA_li
; %bb.0:
	s_clause 0x1
	s_load_b256 s[16:23], s[0:1], 0x8
	s_load_b256 s[4:11], s[0:1], 0x58
	s_mov_b32 s2, s15
	s_waitcnt lgkmcnt(0)
	s_mul_i32 s3, s15, s19
	s_mul_hi_u32 s13, s15, s18
	s_mul_i32 s12, s15, s18
	s_add_i32 s13, s13, s3
	s_mul_i32 s3, s15, s7
	s_lshl_b64 s[12:13], s[12:13], 2
	s_mul_hi_u32 s7, s15, s6
	s_add_u32 s12, s16, s12
	s_addc_u32 s13, s17, s13
	s_add_i32 s7, s7, s3
	s_mul_i32 s6, s15, s6
	s_delay_alu instid0(SALU_CYCLE_1) | instskip(NEXT) | instid1(SALU_CYCLE_1)
	s_lshl_b64 s[6:7], s[6:7], 2
	s_add_u32 s4, s4, s6
	s_addc_u32 s5, s5, s7
	s_load_b32 s28, s[12:13], 0x0
	s_load_b32 s15, s[4:5], 0x0
	s_waitcnt lgkmcnt(0)
	v_cmp_eq_f32_e64 s29, s28, 0
	v_cmp_eq_f32_e64 s3, s15, 1.0
	s_delay_alu instid0(VALU_DEP_1) | instskip(NEXT) | instid1(SALU_CYCLE_1)
	s_and_b32 s3, s29, s3
	s_and_b32 vcc_lo, exec_lo, s3
	s_mov_b32 s3, 0
	s_cbranch_vccnz .LBB465_34
; %bb.1:
	s_clause 0x1
	s_load_b64 s[24:25], s[0:1], 0x28
	s_load_b64 s[12:13], s[0:1], 0x78
	v_cmp_neq_f32_e64 s30, s28, 0
	s_mov_b64 s[16:17], 0
	s_and_b32 vcc_lo, exec_lo, s29
	s_mov_b64 s[26:27], 0
	s_cbranch_vccnz .LBB465_3
; %bb.2:
	s_lshl_b64 s[4:5], s[2:3], 3
	s_delay_alu instid0(SALU_CYCLE_1)
	s_add_u32 s4, s20, s4
	s_addc_u32 s5, s21, s5
	s_lshl_b64 s[6:7], s[22:23], 1
	s_load_b64 s[4:5], s[4:5], 0x0
	s_waitcnt lgkmcnt(0)
	s_add_u32 s26, s4, s6
	s_addc_u32 s27, s5, s7
.LBB465_3:
	s_clause 0x1
	s_load_b128 s[4:7], s[0:1], 0x38
	s_load_b64 s[18:19], s[0:1], 0x48
	s_and_not1_b32 vcc_lo, exec_lo, s30
	s_cbranch_vccnz .LBB465_5
; %bb.4:
	s_lshl_b64 s[16:17], s[2:3], 3
	s_waitcnt lgkmcnt(0)
	s_add_u32 s4, s4, s16
	s_addc_u32 s5, s5, s17
	s_lshl_b64 s[6:7], s[6:7], 1
	s_load_b64 s[4:5], s[4:5], 0x0
	s_waitcnt lgkmcnt(0)
	s_add_u32 s16, s4, s6
	s_addc_u32 s17, s5, s7
.LBB465_5:
	s_lshl_b64 s[2:3], s[2:3], 3
	s_delay_alu instid0(SALU_CYCLE_1)
	s_add_u32 s2, s8, s2
	s_addc_u32 s3, s9, s3
	s_waitcnt lgkmcnt(0)
	s_lshl_b64 s[6:7], s[10:11], 1
	s_load_b64 s[4:5], s[2:3], 0x0
	v_cmp_eq_u32_e64 s2, 0, v0
	s_waitcnt lgkmcnt(0)
	s_add_u32 s6, s4, s6
	s_addc_u32 s7, s5, s7
	s_and_not1_b32 vcc_lo, exec_lo, s29
	s_cbranch_vccnz .LBB465_9
; %bb.6:
	s_mov_b32 s3, 0
	s_mov_b32 s8, 0
                                        ; implicit-def: $vgpr1
                                        ; implicit-def: $sgpr4_sgpr5
	s_and_saveexec_b32 s9, s2
	s_cbranch_execz .LBB465_10
; %bb.7:
	v_cmp_eq_f32_e64 s2, s15, 0
	s_mul_i32 s4, s14, s13
	s_mul_hi_u32 s5, s14, s12
	s_ashr_i32 s8, s14, 31
	s_add_i32 s4, s5, s4
	s_mul_i32 s8, s8, s12
	s_and_b32 vcc_lo, exec_lo, s2
	s_add_i32 s5, s4, s8
	s_mul_i32 s4, s14, s12
	s_cbranch_vccnz .LBB465_11
; %bb.8:
	s_lshl_b64 s[10:11], s[4:5], 1
	v_mov_b32_e32 v1, 0
	s_add_u32 s10, s6, s10
	s_addc_u32 s11, s7, s11
	global_load_u16 v1, v1, s[10:11]
	s_waitcnt vmcnt(0)
	v_fma_mixlo_f16 v1, s15, v1, 0 op_sel_hi:[0,1,0]
	s_branch .LBB465_12
.LBB465_9:
	s_mov_b32 s8, 0
                                        ; implicit-def: $vgpr1
                                        ; implicit-def: $sgpr4_sgpr5
	s_cbranch_execnz .LBB465_13
	s_branch .LBB465_32
.LBB465_10:
	s_or_b32 exec_lo, exec_lo, s9
	s_delay_alu instid0(SALU_CYCLE_1)
	s_and_b32 vcc_lo, exec_lo, s3
	s_cbranch_vccnz .LBB465_13
	s_branch .LBB465_32
.LBB465_11:
	v_mov_b32_e32 v1, 0
.LBB465_12:
	s_mov_b32 s8, exec_lo
	s_or_b32 exec_lo, exec_lo, s9
	s_delay_alu instid0(SALU_CYCLE_1)
	s_and_b32 vcc_lo, exec_lo, s3
	s_cbranch_vccz .LBB465_32
.LBB465_13:
	s_load_b32 s3, s[0:1], 0x0
	s_mul_i32 s0, s14, s25
	s_mul_hi_u32 s2, s14, s24
	s_ashr_i32 s1, s14, 31
	s_add_i32 s0, s2, s0
	s_mul_i32 s2, s1, s24
	s_mul_i32 s4, s14, s24
	s_add_i32 s5, s0, s2
	v_mov_b32_e32 v7, 0
	s_lshl_b64 s[4:5], s[4:5], 1
	s_mov_b32 s10, 0
	s_add_u32 s0, s4, s26
	s_addc_u32 s4, s5, s27
	s_mov_b32 s9, exec_lo
	s_waitcnt lgkmcnt(0)
	v_cmp_gt_i32_e32 vcc_lo, s3, v0
	s_ashr_i32 s2, s3, 31
	s_delay_alu instid0(SALU_CYCLE_1) | instskip(NEXT) | instid1(SALU_CYCLE_1)
	s_lshr_b32 s2, s2, 22
	s_add_i32 s2, s3, s2
	v_cndmask_b32_e32 v1, 0, v0, vcc_lo
	s_and_b32 s2, s2, 0xfffffc00
	s_delay_alu instid0(VALU_DEP_1) | instskip(NEXT) | instid1(VALU_DEP_1)
	v_lshlrev_b32_e32 v1, 1, v1
	v_add_co_u32 v1, s0, s0, v1
	s_delay_alu instid0(VALU_DEP_1)
	v_add_co_ci_u32_e64 v2, null, s4, 0, s0
	v_cmpx_gt_i32_e64 s2, v0
	s_cbranch_execz .LBB465_17
; %bb.14:
	v_mad_u64_u32 v[3:4], null, s18, v0, 0
	v_mov_b32_e32 v8, v0
	s_lshl_b64 s[4:5], s[18:19], 11
	v_mov_b32_e32 v7, 0
	s_delay_alu instid0(VALU_DEP_3) | instskip(NEXT) | instid1(VALU_DEP_1)
	v_mad_u64_u32 v[5:6], null, s19, v0, v[4:5]
	v_mov_b32_e32 v4, v5
	s_delay_alu instid0(VALU_DEP_1) | instskip(SKIP_1) | instid1(VALU_DEP_2)
	v_lshlrev_b64 v[5:6], 1, v[3:4]
	v_dual_mov_b32 v4, v2 :: v_dual_mov_b32 v3, v1
	v_add_co_u32 v5, vcc_lo, s16, v5
	s_delay_alu instid0(VALU_DEP_3)
	v_add_co_ci_u32_e32 v6, vcc_lo, s17, v6, vcc_lo
	.p2align	6
.LBB465_15:                             ; =>This Inner Loop Header: Depth=1
	flat_load_u16 v9, v[3:4]
	flat_load_u16 v10, v[5:6]
	v_add_co_u32 v3, vcc_lo, 0x800, v3
	v_add_co_ci_u32_e32 v4, vcc_lo, 0, v4, vcc_lo
	v_add_co_u32 v5, vcc_lo, v5, s4
	v_add_co_ci_u32_e32 v6, vcc_lo, s5, v6, vcc_lo
	s_waitcnt vmcnt(0) lgkmcnt(0)
	v_mul_f16_e32 v9, v9, v10
	s_delay_alu instid0(VALU_DEP_1) | instskip(NEXT) | instid1(VALU_DEP_1)
	v_cvt_f32_f16_e32 v9, v9
	v_dual_add_f32 v7, v7, v9 :: v_dual_add_nc_u32 v8, 0x400, v8
	s_delay_alu instid0(VALU_DEP_1) | instskip(NEXT) | instid1(VALU_DEP_1)
	v_cmp_le_i32_e64 s0, s2, v8
	s_or_b32 s10, s0, s10
	s_delay_alu instid0(SALU_CYCLE_1)
	s_and_not1_b32 exec_lo, exec_lo, s10
	s_cbranch_execnz .LBB465_15
; %bb.16:
	s_or_b32 exec_lo, exec_lo, s10
.LBB465_17:
	s_delay_alu instid0(SALU_CYCLE_1) | instskip(SKIP_2) | instid1(VALU_DEP_1)
	s_or_b32 exec_lo, exec_lo, s9
	v_or_b32_e32 v3, s2, v0
	s_mov_b32 s0, exec_lo
	v_cmpx_gt_i32_e64 s3, v3
	s_cbranch_execz .LBB465_19
; %bb.18:
	v_ashrrev_i32_e32 v6, 31, v3
	v_mul_lo_u32 v8, v3, s19
	v_mad_u64_u32 v[4:5], null, v3, s18, 0
	s_ashr_i32 s3, s2, 31
	s_delay_alu instid0(VALU_DEP_3) | instskip(SKIP_1) | instid1(SALU_CYCLE_1)
	v_mul_lo_u32 v3, v6, s18
	s_lshl_b64 s[2:3], s[2:3], 1
	v_add_co_u32 v1, vcc_lo, v1, s2
	v_add_co_ci_u32_e32 v2, vcc_lo, s3, v2, vcc_lo
	s_delay_alu instid0(VALU_DEP_3) | instskip(NEXT) | instid1(VALU_DEP_1)
	v_add3_u32 v5, v5, v8, v3
	v_lshlrev_b64 v[3:4], 1, v[4:5]
	s_delay_alu instid0(VALU_DEP_1) | instskip(NEXT) | instid1(VALU_DEP_2)
	v_add_co_u32 v3, vcc_lo, s16, v3
	v_add_co_ci_u32_e32 v4, vcc_lo, s17, v4, vcc_lo
	flat_load_u16 v1, v[1:2]
	flat_load_u16 v2, v[3:4]
	s_waitcnt vmcnt(0) lgkmcnt(0)
	v_mul_f16_e32 v1, v1, v2
	s_delay_alu instid0(VALU_DEP_1) | instskip(NEXT) | instid1(VALU_DEP_1)
	v_cvt_f32_f16_e32 v1, v1
	v_add_f32_e32 v7, v7, v1
.LBB465_19:
	s_or_b32 exec_lo, exec_lo, s0
	v_and_b32_e32 v6, 31, v0
	v_cmp_gt_u32_e32 vcc_lo, 32, v0
	s_delay_alu instid0(VALU_DEP_2)
	v_lshlrev_b32_e32 v1, 2, v6
	s_and_saveexec_b32 s0, vcc_lo
	s_cbranch_execz .LBB465_21
; %bb.20:
	v_mov_b32_e32 v2, 0
	ds_store_b32 v1, v2
.LBB465_21:
	s_or_b32 exec_lo, exec_lo, s0
	v_mbcnt_lo_u32_b32 v8, -1, 0
	s_mov_b32 s2, exec_lo
	s_waitcnt lgkmcnt(0)
	s_barrier
	buffer_gl0_inv
	v_cmp_gt_u32_e64 s0, 16, v8
	s_delay_alu instid0(VALU_DEP_1) | instskip(SKIP_1) | instid1(VALU_DEP_2)
	v_cndmask_b32_e64 v2, 0, 1, s0
	v_cmp_gt_u32_e64 s0, 24, v8
	v_lshlrev_b32_e32 v2, 4, v2
	s_delay_alu instid0(VALU_DEP_2) | instskip(SKIP_1) | instid1(VALU_DEP_3)
	v_cndmask_b32_e64 v3, 0, 1, s0
	v_cmp_gt_u32_e64 s0, 28, v8
	v_add_lshl_u32 v2, v2, v8, 2
	s_delay_alu instid0(VALU_DEP_3)
	v_lshlrev_b32_e32 v3, 3, v3
	ds_bpermute_b32 v4, v2, v7
	v_add_lshl_u32 v3, v3, v8, 2
	s_waitcnt lgkmcnt(0)
	v_add_f32_e32 v5, v7, v4
	v_cndmask_b32_e64 v4, 0, 1, s0
	v_cmp_gt_u32_e64 s0, 30, v8
	ds_bpermute_b32 v7, v3, v5
	s_waitcnt lgkmcnt(0)
	v_dual_add_f32 v7, v5, v7 :: v_dual_lshlrev_b32 v4, 2, v4
	s_delay_alu instid0(VALU_DEP_1)
	v_add_lshl_u32 v4, v4, v8, 2
	v_cndmask_b32_e64 v5, 0, 1, s0
	v_cmp_ne_u32_e64 s0, 31, v8
	ds_bpermute_b32 v9, v4, v7
	v_lshlrev_b32_e32 v5, 1, v5
	v_add_co_ci_u32_e64 v10, s0, 0, v8, s0
	s_delay_alu instid0(VALU_DEP_2)
	v_add_lshl_u32 v5, v5, v8, 2
	s_waitcnt lgkmcnt(0)
	v_add_f32_e32 v7, v7, v9
	ds_bpermute_b32 v9, v5, v7
	s_waitcnt lgkmcnt(0)
	v_dual_add_f32 v8, v7, v9 :: v_dual_lshlrev_b32 v7, 2, v10
	ds_bpermute_b32 v9, v7, v8
	v_cmpx_eq_u32_e32 0, v6
	s_cbranch_execz .LBB465_23
; %bb.22:
	v_lshrrev_b32_e32 v6, 3, v0
	s_waitcnt lgkmcnt(0)
	v_add_f32_e32 v8, v8, v9
	s_delay_alu instid0(VALU_DEP_2)
	v_and_b32_e32 v6, 0x7c, v6
	ds_store_b32 v6, v8
.LBB465_23:
	s_or_b32 exec_lo, exec_lo, s2
	v_mov_b32_e32 v6, 0
	s_waitcnt lgkmcnt(0)
	s_barrier
	buffer_gl0_inv
	s_and_saveexec_b32 s0, vcc_lo
	s_cbranch_execz .LBB465_25
; %bb.24:
	ds_load_b32 v6, v1
.LBB465_25:
	s_or_b32 exec_lo, exec_lo, s0
	s_and_saveexec_b32 s0, vcc_lo
	s_cbranch_execz .LBB465_27
; %bb.26:
	s_waitcnt lgkmcnt(0)
	ds_bpermute_b32 v1, v2, v6
	s_waitcnt lgkmcnt(0)
	v_add_f32_e32 v1, v6, v1
	ds_bpermute_b32 v2, v3, v1
	s_waitcnt lgkmcnt(0)
	v_add_f32_e32 v1, v1, v2
	ds_bpermute_b32 v2, v4, v1
	s_waitcnt lgkmcnt(0)
	v_add_f32_e32 v1, v1, v2
	ds_bpermute_b32 v2, v5, v1
	s_waitcnt lgkmcnt(0)
	v_add_f32_e32 v1, v1, v2
	ds_bpermute_b32 v2, v7, v1
	s_waitcnt lgkmcnt(0)
	v_add_f32_e32 v6, v1, v2
.LBB465_27:
	s_or_b32 exec_lo, exec_lo, s0
	s_delay_alu instid0(SALU_CYCLE_1)
	s_mov_b32 s0, exec_lo
                                        ; implicit-def: $vgpr1
                                        ; implicit-def: $sgpr4_sgpr5
	v_cmpx_eq_u32_e32 0, v0
	s_cbranch_execz .LBB465_31
; %bb.28:
	v_cmp_eq_f32_e64 s4, s15, 0
	s_mul_i32 s2, s14, s13
	s_mul_hi_u32 s3, s14, s12
	s_waitcnt lgkmcnt(0)
	v_mul_f32_e32 v0, s28, v6
	s_add_i32 s2, s3, s2
	s_mul_i32 s1, s1, s12
	s_and_b32 vcc_lo, exec_lo, s4
	s_add_i32 s5, s2, s1
	s_mul_i32 s4, s14, s12
	s_cbranch_vccnz .LBB465_30
; %bb.29:
	s_lshl_b64 s[2:3], s[4:5], 1
	v_mov_b32_e32 v1, 0
	s_add_u32 s2, s6, s2
	s_addc_u32 s3, s7, s3
	global_load_u16 v1, v1, s[2:3]
	s_waitcnt vmcnt(0)
	v_fma_mix_f32 v0, s15, v1, v0 op_sel_hi:[0,1,0]
.LBB465_30:
	s_delay_alu instid0(VALU_DEP_1)
	v_cvt_f16_f32_e32 v1, v0
	s_or_b32 s8, s8, exec_lo
.LBB465_31:
	s_or_b32 exec_lo, exec_lo, s0
.LBB465_32:
	s_and_saveexec_b32 s0, s8
	s_cbranch_execz .LBB465_34
; %bb.33:
	s_lshl_b64 s[0:1], s[4:5], 1
	v_mov_b32_e32 v0, 0
	s_add_u32 s0, s6, s0
	s_addc_u32 s1, s7, s1
	global_store_b16 v0, v1, s[0:1]
.LBB465_34:
	s_nop 0
	s_sendmsg sendmsg(MSG_DEALLOC_VGPRS)
	s_endpgm
	.section	.rodata,"a",@progbits
	.p2align	6, 0x0
	.amdhsa_kernel _ZL32rocblas_gemvt_warp_reduce_kernelILb1ELi1024ElPKDF16_PKfKPDF16_EviiT3_lPKT2_lT1_lS9_lSA_lS6_lPT4_lSA_li
		.amdhsa_group_segment_fixed_size 128
		.amdhsa_private_segment_fixed_size 0
		.amdhsa_kernarg_size 140
		.amdhsa_user_sgpr_count 14
		.amdhsa_user_sgpr_dispatch_ptr 0
		.amdhsa_user_sgpr_queue_ptr 0
		.amdhsa_user_sgpr_kernarg_segment_ptr 1
		.amdhsa_user_sgpr_dispatch_id 0
		.amdhsa_user_sgpr_private_segment_size 0
		.amdhsa_wavefront_size32 1
		.amdhsa_uses_dynamic_stack 0
		.amdhsa_enable_private_segment 0
		.amdhsa_system_sgpr_workgroup_id_x 1
		.amdhsa_system_sgpr_workgroup_id_y 0
		.amdhsa_system_sgpr_workgroup_id_z 1
		.amdhsa_system_sgpr_workgroup_info 0
		.amdhsa_system_vgpr_workitem_id 0
		.amdhsa_next_free_vgpr 11
		.amdhsa_next_free_sgpr 31
		.amdhsa_reserve_vcc 1
		.amdhsa_float_round_mode_32 0
		.amdhsa_float_round_mode_16_64 0
		.amdhsa_float_denorm_mode_32 3
		.amdhsa_float_denorm_mode_16_64 3
		.amdhsa_dx10_clamp 1
		.amdhsa_ieee_mode 1
		.amdhsa_fp16_overflow 0
		.amdhsa_workgroup_processor_mode 1
		.amdhsa_memory_ordered 1
		.amdhsa_forward_progress 0
		.amdhsa_shared_vgpr_count 0
		.amdhsa_exception_fp_ieee_invalid_op 0
		.amdhsa_exception_fp_denorm_src 0
		.amdhsa_exception_fp_ieee_div_zero 0
		.amdhsa_exception_fp_ieee_overflow 0
		.amdhsa_exception_fp_ieee_underflow 0
		.amdhsa_exception_fp_ieee_inexact 0
		.amdhsa_exception_int_div_zero 0
	.end_amdhsa_kernel
	.section	.text._ZL32rocblas_gemvt_warp_reduce_kernelILb1ELi1024ElPKDF16_PKfKPDF16_EviiT3_lPKT2_lT1_lS9_lSA_lS6_lPT4_lSA_li,"axG",@progbits,_ZL32rocblas_gemvt_warp_reduce_kernelILb1ELi1024ElPKDF16_PKfKPDF16_EviiT3_lPKT2_lT1_lS9_lSA_lS6_lPT4_lSA_li,comdat
.Lfunc_end465:
	.size	_ZL32rocblas_gemvt_warp_reduce_kernelILb1ELi1024ElPKDF16_PKfKPDF16_EviiT3_lPKT2_lT1_lS9_lSA_lS6_lPT4_lSA_li, .Lfunc_end465-_ZL32rocblas_gemvt_warp_reduce_kernelILb1ELi1024ElPKDF16_PKfKPDF16_EviiT3_lPKT2_lT1_lS9_lSA_lS6_lPT4_lSA_li
                                        ; -- End function
	.section	.AMDGPU.csdata,"",@progbits
; Kernel info:
; codeLenInByte = 1612
; NumSgprs: 33
; NumVgprs: 11
; ScratchSize: 0
; MemoryBound: 0
; FloatMode: 240
; IeeeMode: 1
; LDSByteSize: 128 bytes/workgroup (compile time only)
; SGPRBlocks: 4
; VGPRBlocks: 1
; NumSGPRsForWavesPerEU: 33
; NumVGPRsForWavesPerEU: 11
; Occupancy: 16
; WaveLimiterHint : 1
; COMPUTE_PGM_RSRC2:SCRATCH_EN: 0
; COMPUTE_PGM_RSRC2:USER_SGPR: 14
; COMPUTE_PGM_RSRC2:TRAP_HANDLER: 0
; COMPUTE_PGM_RSRC2:TGID_X_EN: 1
; COMPUTE_PGM_RSRC2:TGID_Y_EN: 0
; COMPUTE_PGM_RSRC2:TGID_Z_EN: 1
; COMPUTE_PGM_RSRC2:TIDIG_COMP_CNT: 0
	.section	.text._ZL32rocblas_gemvt_warp_reduce_kernelILb1ELi1024EiPKDF16_fKPDF16_EviiT3_lPKT2_lT1_lS7_lS8_lS4_lPT4_lS8_li,"axG",@progbits,_ZL32rocblas_gemvt_warp_reduce_kernelILb1ELi1024EiPKDF16_fKPDF16_EviiT3_lPKT2_lT1_lS7_lS8_lS4_lPT4_lS8_li,comdat
	.globl	_ZL32rocblas_gemvt_warp_reduce_kernelILb1ELi1024EiPKDF16_fKPDF16_EviiT3_lPKT2_lT1_lS7_lS8_lS4_lPT4_lS8_li ; -- Begin function _ZL32rocblas_gemvt_warp_reduce_kernelILb1ELi1024EiPKDF16_fKPDF16_EviiT3_lPKT2_lT1_lS7_lS8_lS4_lPT4_lS8_li
	.p2align	8
	.type	_ZL32rocblas_gemvt_warp_reduce_kernelILb1ELi1024EiPKDF16_fKPDF16_EviiT3_lPKT2_lT1_lS7_lS8_lS4_lPT4_lS8_li,@function
_ZL32rocblas_gemvt_warp_reduce_kernelILb1ELi1024EiPKDF16_fKPDF16_EviiT3_lPKT2_lT1_lS7_lS8_lS4_lPT4_lS8_li: ; @_ZL32rocblas_gemvt_warp_reduce_kernelILb1ELi1024EiPKDF16_fKPDF16_EviiT3_lPKT2_lT1_lS7_lS8_lS4_lPT4_lS8_li
; %bb.0:
	s_clause 0x1
	s_load_b32 s11, s[0:1], 0x8
	s_load_b32 s10, s[0:1], 0x58
	s_waitcnt lgkmcnt(0)
	v_cmp_eq_f32_e64 s8, s11, 0
	v_cmp_eq_f32_e64 s3, s10, 1.0
	s_delay_alu instid0(VALU_DEP_1) | instskip(NEXT) | instid1(SALU_CYCLE_1)
	s_and_b32 s3, s8, s3
	s_and_b32 vcc_lo, exec_lo, s3
	s_cbranch_vccnz .LBB466_37
; %bb.1:
	v_cmp_neq_f32_e64 s4, s11, 0
	s_mov_b32 s2, s15
	s_delay_alu instid0(VALU_DEP_1)
	s_and_b32 vcc_lo, exec_lo, s4
	s_cbranch_vccnz .LBB466_3
; %bb.2:
	s_mov_b32 s3, 0
	s_mov_b64 s[6:7], 0
	s_cbranch_execz .LBB466_4
	s_branch .LBB466_5
.LBB466_3:
	s_mov_b32 s3, -1
                                        ; implicit-def: $sgpr6_sgpr7
.LBB466_4:
	s_load_b128 s[16:19], s[0:1], 0x18
	s_mov_b32 s3, 0
	s_delay_alu instid0(SALU_CYCLE_1)
	s_lshl_b64 s[6:7], s[2:3], 3
	s_waitcnt lgkmcnt(0)
	s_add_u32 s6, s16, s6
	s_addc_u32 s7, s17, s7
	s_lshl_b64 s[12:13], s[18:19], 1
	s_load_b64 s[6:7], s[6:7], 0x0
	s_waitcnt lgkmcnt(0)
	s_add_u32 s6, s6, s12
	s_addc_u32 s7, s7, s13
.LBB466_5:
	s_and_not1_b32 vcc_lo, exec_lo, s4
	s_cbranch_vccnz .LBB466_7
; %bb.6:
	s_load_b128 s[16:19], s[0:1], 0x38
	s_lshl_b64 s[4:5], s[2:3], 3
	s_waitcnt lgkmcnt(0)
	s_add_u32 s4, s16, s4
	s_addc_u32 s5, s17, s5
	s_lshl_b64 s[12:13], s[18:19], 1
	s_load_b64 s[4:5], s[4:5], 0x0
	s_waitcnt lgkmcnt(0)
	s_add_u32 s4, s4, s12
	s_addc_u32 s5, s5, s13
	s_branch .LBB466_8
.LBB466_7:
	s_mov_b64 s[4:5], 0
.LBB466_8:
	s_clause 0x1
	s_load_b128 s[16:19], s[0:1], 0x68
	s_load_b32 s15, s[0:1], 0x78
	s_lshl_b64 s[2:3], s[2:3], 3
	s_waitcnt lgkmcnt(0)
	s_add_u32 s2, s16, s2
	s_addc_u32 s3, s17, s3
	s_lshl_b64 s[16:17], s[18:19], 1
	s_load_b64 s[12:13], s[2:3], 0x0
	v_cmp_eq_u32_e64 s2, 0, v0
	s_waitcnt lgkmcnt(0)
	s_add_u32 s12, s12, s16
	s_addc_u32 s13, s13, s17
	s_and_not1_b32 vcc_lo, exec_lo, s8
	s_cbranch_vccnz .LBB466_12
; %bb.9:
	s_mov_b32 s3, 0
	s_mov_b32 s16, 0
                                        ; implicit-def: $vgpr1
                                        ; implicit-def: $sgpr8_sgpr9
	s_and_saveexec_b32 s17, s2
	s_cbranch_execz .LBB466_13
; %bb.10:
	v_cmp_eq_f32_e64 s2, s10, 0
	s_mul_i32 s8, s14, s15
	s_delay_alu instid0(SALU_CYCLE_1) | instskip(NEXT) | instid1(VALU_DEP_1)
	s_ashr_i32 s9, s8, 31
	s_and_b32 vcc_lo, exec_lo, s2
	s_cbranch_vccnz .LBB466_14
; %bb.11:
	s_lshl_b64 s[18:19], s[8:9], 1
	v_mov_b32_e32 v1, 0
	s_add_u32 s18, s12, s18
	s_addc_u32 s19, s13, s19
	global_load_u16 v1, v1, s[18:19]
	s_waitcnt vmcnt(0)
	v_fma_mixlo_f16 v1, v1, s10, 0 op_sel_hi:[1,0,0]
	s_branch .LBB466_15
.LBB466_12:
	s_mov_b32 s16, 0
                                        ; implicit-def: $vgpr1
                                        ; implicit-def: $sgpr8_sgpr9
	s_cbranch_execnz .LBB466_16
	s_branch .LBB466_35
.LBB466_13:
	s_or_b32 exec_lo, exec_lo, s17
	s_delay_alu instid0(SALU_CYCLE_1)
	s_and_b32 vcc_lo, exec_lo, s3
	s_cbranch_vccnz .LBB466_16
	s_branch .LBB466_35
.LBB466_14:
	v_mov_b32_e32 v1, 0
.LBB466_15:
	s_mov_b32 s16, exec_lo
	s_or_b32 exec_lo, exec_lo, s17
	s_delay_alu instid0(SALU_CYCLE_1)
	s_and_b32 vcc_lo, exec_lo, s3
	s_cbranch_vccz .LBB466_35
.LBB466_16:
	s_clause 0x2
	s_load_b32 s2, s[0:1], 0x28
	s_load_b32 s3, s[0:1], 0x0
	;; [unrolled: 1-line block ×3, first 2 shown]
	v_mov_b32_e32 v7, 0
	s_waitcnt lgkmcnt(0)
	s_mul_i32 s8, s14, s2
	v_cmp_gt_i32_e32 vcc_lo, s3, v0
	s_ashr_i32 s9, s8, 31
	s_delay_alu instid0(SALU_CYCLE_1)
	s_lshl_b64 s[8:9], s[8:9], 1
	v_cndmask_b32_e32 v1, 0, v0, vcc_lo
	s_add_u32 s0, s8, s6
	s_addc_u32 s6, s9, s7
	s_ashr_i32 s2, s3, 31
	s_mov_b32 s7, 0
	v_lshlrev_b32_e32 v1, 1, v1
	s_lshr_b32 s2, s2, 22
	s_delay_alu instid0(SALU_CYCLE_1) | instskip(NEXT) | instid1(SALU_CYCLE_1)
	s_add_i32 s2, s3, s2
	s_and_b32 s2, s2, 0xfffffc00
	s_delay_alu instid0(VALU_DEP_1) | instskip(NEXT) | instid1(VALU_DEP_1)
	v_add_co_u32 v1, s0, s0, v1
	v_add_co_ci_u32_e64 v2, null, s6, 0, s0
	s_mov_b32 s6, exec_lo
	v_cmpx_gt_i32_e64 s2, v0
	s_cbranch_execz .LBB466_20
; %bb.17:
	v_mul_lo_u32 v3, v0, s1
	v_dual_mov_b32 v7, 0 :: v_dual_mov_b32 v6, v2
	v_dual_mov_b32 v5, v1 :: v_dual_mov_b32 v8, v0
	s_lshl_b32 s8, s1, 10
	.p2align	6
.LBB466_18:                             ; =>This Inner Loop Header: Depth=1
	s_delay_alu instid0(VALU_DEP_3) | instskip(NEXT) | instid1(VALU_DEP_2)
	v_ashrrev_i32_e32 v4, 31, v3
	v_add_nc_u32_e32 v8, 0x400, v8
	s_delay_alu instid0(VALU_DEP_2) | instskip(NEXT) | instid1(VALU_DEP_2)
	v_lshlrev_b64 v[9:10], 1, v[3:4]
	v_cmp_le_i32_e64 s0, s2, v8
	v_add_nc_u32_e32 v3, s8, v3
	s_delay_alu instid0(VALU_DEP_2) | instskip(NEXT) | instid1(VALU_DEP_3)
	s_or_b32 s7, s0, s7
	v_add_co_u32 v9, vcc_lo, s4, v9
	s_delay_alu instid0(VALU_DEP_4)
	v_add_co_ci_u32_e32 v10, vcc_lo, s5, v10, vcc_lo
	flat_load_u16 v4, v[5:6]
	flat_load_u16 v9, v[9:10]
	v_add_co_u32 v5, vcc_lo, 0x800, v5
	v_add_co_ci_u32_e32 v6, vcc_lo, 0, v6, vcc_lo
	s_waitcnt vmcnt(0) lgkmcnt(0)
	v_mul_f16_e32 v4, v4, v9
	s_delay_alu instid0(VALU_DEP_1) | instskip(NEXT) | instid1(VALU_DEP_1)
	v_cvt_f32_f16_e32 v4, v4
	v_add_f32_e32 v7, v7, v4
	s_and_not1_b32 exec_lo, exec_lo, s7
	s_cbranch_execnz .LBB466_18
; %bb.19:
	s_or_b32 exec_lo, exec_lo, s7
.LBB466_20:
	s_delay_alu instid0(SALU_CYCLE_1) | instskip(SKIP_2) | instid1(VALU_DEP_1)
	s_or_b32 exec_lo, exec_lo, s6
	v_or_b32_e32 v3, s2, v0
	s_mov_b32 s0, exec_lo
	v_cmpx_gt_i32_e64 s3, v3
	s_cbranch_execz .LBB466_22
; %bb.21:
	v_mul_lo_u32 v3, v3, s1
	s_ashr_i32 s3, s2, 31
	s_delay_alu instid0(SALU_CYCLE_1) | instskip(NEXT) | instid1(SALU_CYCLE_1)
	s_lshl_b64 s[2:3], s[2:3], 1
	v_add_co_u32 v1, vcc_lo, v1, s2
	v_add_co_ci_u32_e32 v2, vcc_lo, s3, v2, vcc_lo
	s_delay_alu instid0(VALU_DEP_3) | instskip(NEXT) | instid1(VALU_DEP_1)
	v_ashrrev_i32_e32 v4, 31, v3
	v_lshlrev_b64 v[3:4], 1, v[3:4]
	s_delay_alu instid0(VALU_DEP_1) | instskip(NEXT) | instid1(VALU_DEP_2)
	v_add_co_u32 v3, vcc_lo, s4, v3
	v_add_co_ci_u32_e32 v4, vcc_lo, s5, v4, vcc_lo
	flat_load_u16 v1, v[1:2]
	flat_load_u16 v2, v[3:4]
	s_waitcnt vmcnt(0) lgkmcnt(0)
	v_mul_f16_e32 v1, v1, v2
	s_delay_alu instid0(VALU_DEP_1) | instskip(NEXT) | instid1(VALU_DEP_1)
	v_cvt_f32_f16_e32 v1, v1
	v_add_f32_e32 v7, v7, v1
.LBB466_22:
	s_or_b32 exec_lo, exec_lo, s0
	v_and_b32_e32 v6, 31, v0
	v_cmp_gt_u32_e32 vcc_lo, 32, v0
	s_delay_alu instid0(VALU_DEP_2)
	v_lshlrev_b32_e32 v1, 2, v6
	s_and_saveexec_b32 s0, vcc_lo
	s_cbranch_execz .LBB466_24
; %bb.23:
	v_mov_b32_e32 v2, 0
	ds_store_b32 v1, v2
.LBB466_24:
	s_or_b32 exec_lo, exec_lo, s0
	v_mbcnt_lo_u32_b32 v8, -1, 0
	s_mov_b32 s1, exec_lo
	s_waitcnt lgkmcnt(0)
	s_barrier
	buffer_gl0_inv
	v_cmp_gt_u32_e64 s0, 16, v8
	s_delay_alu instid0(VALU_DEP_1) | instskip(SKIP_1) | instid1(VALU_DEP_2)
	v_cndmask_b32_e64 v2, 0, 1, s0
	v_cmp_gt_u32_e64 s0, 24, v8
	v_lshlrev_b32_e32 v2, 4, v2
	s_delay_alu instid0(VALU_DEP_2) | instskip(SKIP_1) | instid1(VALU_DEP_3)
	v_cndmask_b32_e64 v3, 0, 1, s0
	v_cmp_gt_u32_e64 s0, 28, v8
	v_add_lshl_u32 v2, v2, v8, 2
	s_delay_alu instid0(VALU_DEP_3)
	v_lshlrev_b32_e32 v3, 3, v3
	ds_bpermute_b32 v4, v2, v7
	v_add_lshl_u32 v3, v3, v8, 2
	s_waitcnt lgkmcnt(0)
	v_add_f32_e32 v5, v7, v4
	v_cndmask_b32_e64 v4, 0, 1, s0
	v_cmp_gt_u32_e64 s0, 30, v8
	ds_bpermute_b32 v7, v3, v5
	s_waitcnt lgkmcnt(0)
	v_dual_add_f32 v7, v5, v7 :: v_dual_lshlrev_b32 v4, 2, v4
	s_delay_alu instid0(VALU_DEP_1)
	v_add_lshl_u32 v4, v4, v8, 2
	v_cndmask_b32_e64 v5, 0, 1, s0
	v_cmp_ne_u32_e64 s0, 31, v8
	ds_bpermute_b32 v9, v4, v7
	v_lshlrev_b32_e32 v5, 1, v5
	v_add_co_ci_u32_e64 v10, s0, 0, v8, s0
	s_delay_alu instid0(VALU_DEP_2)
	v_add_lshl_u32 v5, v5, v8, 2
	s_waitcnt lgkmcnt(0)
	v_add_f32_e32 v7, v7, v9
	ds_bpermute_b32 v9, v5, v7
	s_waitcnt lgkmcnt(0)
	v_dual_add_f32 v8, v7, v9 :: v_dual_lshlrev_b32 v7, 2, v10
	ds_bpermute_b32 v9, v7, v8
	v_cmpx_eq_u32_e32 0, v6
	s_cbranch_execz .LBB466_26
; %bb.25:
	v_lshrrev_b32_e32 v6, 3, v0
	s_waitcnt lgkmcnt(0)
	v_add_f32_e32 v8, v8, v9
	s_delay_alu instid0(VALU_DEP_2)
	v_and_b32_e32 v6, 0x7c, v6
	ds_store_b32 v6, v8
.LBB466_26:
	s_or_b32 exec_lo, exec_lo, s1
	v_mov_b32_e32 v6, 0
	s_waitcnt lgkmcnt(0)
	s_barrier
	buffer_gl0_inv
	s_and_saveexec_b32 s0, vcc_lo
	s_cbranch_execz .LBB466_28
; %bb.27:
	ds_load_b32 v6, v1
.LBB466_28:
	s_or_b32 exec_lo, exec_lo, s0
	s_and_saveexec_b32 s0, vcc_lo
	s_cbranch_execz .LBB466_30
; %bb.29:
	s_waitcnt lgkmcnt(0)
	ds_bpermute_b32 v1, v2, v6
	s_waitcnt lgkmcnt(0)
	v_add_f32_e32 v1, v6, v1
	ds_bpermute_b32 v2, v3, v1
	s_waitcnt lgkmcnt(0)
	v_add_f32_e32 v1, v1, v2
	;; [unrolled: 3-line block ×5, first 2 shown]
.LBB466_30:
	s_or_b32 exec_lo, exec_lo, s0
	s_delay_alu instid0(SALU_CYCLE_1)
	s_mov_b32 s0, exec_lo
                                        ; implicit-def: $vgpr1
                                        ; implicit-def: $sgpr8_sgpr9
	v_cmpx_eq_u32_e32 0, v0
	s_cbranch_execz .LBB466_34
; %bb.31:
	v_cmp_eq_f32_e64 s1, s10, 0
	s_waitcnt lgkmcnt(0)
	v_mul_f32_e32 v0, s11, v6
	s_mul_i32 s8, s14, s15
	s_delay_alu instid0(SALU_CYCLE_1)
	s_ashr_i32 s9, s8, 31
	s_and_b32 vcc_lo, exec_lo, s1
	s_cbranch_vccnz .LBB466_33
; %bb.32:
	s_lshl_b64 s[2:3], s[8:9], 1
	v_mov_b32_e32 v1, 0
	s_add_u32 s2, s12, s2
	s_addc_u32 s3, s13, s3
	global_load_u16 v1, v1, s[2:3]
	s_waitcnt vmcnt(0)
	v_fma_mix_f32 v0, v1, s10, v0 op_sel_hi:[1,0,0]
.LBB466_33:
	s_delay_alu instid0(VALU_DEP_1)
	v_cvt_f16_f32_e32 v1, v0
	s_or_b32 s16, s16, exec_lo
.LBB466_34:
	s_or_b32 exec_lo, exec_lo, s0
.LBB466_35:
	s_and_saveexec_b32 s0, s16
	s_cbranch_execz .LBB466_37
; %bb.36:
	s_lshl_b64 s[0:1], s[8:9], 1
	v_mov_b32_e32 v0, 0
	s_add_u32 s0, s12, s0
	s_addc_u32 s1, s13, s1
	global_store_b16 v0, v1, s[0:1]
.LBB466_37:
	s_nop 0
	s_sendmsg sendmsg(MSG_DEALLOC_VGPRS)
	s_endpgm
	.section	.rodata,"a",@progbits
	.p2align	6, 0x0
	.amdhsa_kernel _ZL32rocblas_gemvt_warp_reduce_kernelILb1ELi1024EiPKDF16_fKPDF16_EviiT3_lPKT2_lT1_lS7_lS8_lS4_lPT4_lS8_li
		.amdhsa_group_segment_fixed_size 128
		.amdhsa_private_segment_fixed_size 0
		.amdhsa_kernarg_size 140
		.amdhsa_user_sgpr_count 14
		.amdhsa_user_sgpr_dispatch_ptr 0
		.amdhsa_user_sgpr_queue_ptr 0
		.amdhsa_user_sgpr_kernarg_segment_ptr 1
		.amdhsa_user_sgpr_dispatch_id 0
		.amdhsa_user_sgpr_private_segment_size 0
		.amdhsa_wavefront_size32 1
		.amdhsa_uses_dynamic_stack 0
		.amdhsa_enable_private_segment 0
		.amdhsa_system_sgpr_workgroup_id_x 1
		.amdhsa_system_sgpr_workgroup_id_y 0
		.amdhsa_system_sgpr_workgroup_id_z 1
		.amdhsa_system_sgpr_workgroup_info 0
		.amdhsa_system_vgpr_workitem_id 0
		.amdhsa_next_free_vgpr 11
		.amdhsa_next_free_sgpr 20
		.amdhsa_reserve_vcc 1
		.amdhsa_float_round_mode_32 0
		.amdhsa_float_round_mode_16_64 0
		.amdhsa_float_denorm_mode_32 3
		.amdhsa_float_denorm_mode_16_64 3
		.amdhsa_dx10_clamp 1
		.amdhsa_ieee_mode 1
		.amdhsa_fp16_overflow 0
		.amdhsa_workgroup_processor_mode 1
		.amdhsa_memory_ordered 1
		.amdhsa_forward_progress 0
		.amdhsa_shared_vgpr_count 0
		.amdhsa_exception_fp_ieee_invalid_op 0
		.amdhsa_exception_fp_denorm_src 0
		.amdhsa_exception_fp_ieee_div_zero 0
		.amdhsa_exception_fp_ieee_overflow 0
		.amdhsa_exception_fp_ieee_underflow 0
		.amdhsa_exception_fp_ieee_inexact 0
		.amdhsa_exception_int_div_zero 0
	.end_amdhsa_kernel
	.section	.text._ZL32rocblas_gemvt_warp_reduce_kernelILb1ELi1024EiPKDF16_fKPDF16_EviiT3_lPKT2_lT1_lS7_lS8_lS4_lPT4_lS8_li,"axG",@progbits,_ZL32rocblas_gemvt_warp_reduce_kernelILb1ELi1024EiPKDF16_fKPDF16_EviiT3_lPKT2_lT1_lS7_lS8_lS4_lPT4_lS8_li,comdat
.Lfunc_end466:
	.size	_ZL32rocblas_gemvt_warp_reduce_kernelILb1ELi1024EiPKDF16_fKPDF16_EviiT3_lPKT2_lT1_lS7_lS8_lS4_lPT4_lS8_li, .Lfunc_end466-_ZL32rocblas_gemvt_warp_reduce_kernelILb1ELi1024EiPKDF16_fKPDF16_EviiT3_lPKT2_lT1_lS7_lS8_lS4_lPT4_lS8_li
                                        ; -- End function
	.section	.AMDGPU.csdata,"",@progbits
; Kernel info:
; codeLenInByte = 1480
; NumSgprs: 22
; NumVgprs: 11
; ScratchSize: 0
; MemoryBound: 0
; FloatMode: 240
; IeeeMode: 1
; LDSByteSize: 128 bytes/workgroup (compile time only)
; SGPRBlocks: 2
; VGPRBlocks: 1
; NumSGPRsForWavesPerEU: 22
; NumVGPRsForWavesPerEU: 11
; Occupancy: 16
; WaveLimiterHint : 1
; COMPUTE_PGM_RSRC2:SCRATCH_EN: 0
; COMPUTE_PGM_RSRC2:USER_SGPR: 14
; COMPUTE_PGM_RSRC2:TRAP_HANDLER: 0
; COMPUTE_PGM_RSRC2:TGID_X_EN: 1
; COMPUTE_PGM_RSRC2:TGID_Y_EN: 0
; COMPUTE_PGM_RSRC2:TGID_Z_EN: 1
; COMPUTE_PGM_RSRC2:TIDIG_COMP_CNT: 0
	.section	.text._ZL32rocblas_gemvt_warp_reduce_kernelILb1ELi1024ElPKDF16_fKPDF16_EviiT3_lPKT2_lT1_lS7_lS8_lS4_lPT4_lS8_li,"axG",@progbits,_ZL32rocblas_gemvt_warp_reduce_kernelILb1ELi1024ElPKDF16_fKPDF16_EviiT3_lPKT2_lT1_lS7_lS8_lS4_lPT4_lS8_li,comdat
	.globl	_ZL32rocblas_gemvt_warp_reduce_kernelILb1ELi1024ElPKDF16_fKPDF16_EviiT3_lPKT2_lT1_lS7_lS8_lS4_lPT4_lS8_li ; -- Begin function _ZL32rocblas_gemvt_warp_reduce_kernelILb1ELi1024ElPKDF16_fKPDF16_EviiT3_lPKT2_lT1_lS7_lS8_lS4_lPT4_lS8_li
	.p2align	8
	.type	_ZL32rocblas_gemvt_warp_reduce_kernelILb1ELi1024ElPKDF16_fKPDF16_EviiT3_lPKT2_lT1_lS7_lS8_lS4_lPT4_lS8_li,@function
_ZL32rocblas_gemvt_warp_reduce_kernelILb1ELi1024ElPKDF16_fKPDF16_EviiT3_lPKT2_lT1_lS7_lS8_lS4_lPT4_lS8_li: ; @_ZL32rocblas_gemvt_warp_reduce_kernelILb1ELi1024ElPKDF16_fKPDF16_EviiT3_lPKT2_lT1_lS7_lS8_lS4_lPT4_lS8_li
; %bb.0:
	s_mov_b32 s2, s15
	s_clause 0x1
	s_load_b32 s18, s[0:1], 0x8
	s_load_b32 s15, s[0:1], 0x58
	s_waitcnt lgkmcnt(0)
	v_cmp_eq_f32_e64 s16, s18, 0
	v_cmp_eq_f32_e64 s3, s15, 1.0
	s_delay_alu instid0(VALU_DEP_1) | instskip(NEXT) | instid1(SALU_CYCLE_1)
	s_and_b32 s3, s16, s3
	s_and_b32 vcc_lo, exec_lo, s3
	s_cbranch_vccnz .LBB467_37
; %bb.1:
	s_clause 0x1
	s_load_b128 s[4:7], s[0:1], 0x18
	s_load_b64 s[10:11], s[0:1], 0x28
	v_cmp_neq_f32_e64 s17, s18, 0
	s_delay_alu instid0(VALU_DEP_1)
	s_and_b32 vcc_lo, exec_lo, s17
	s_cbranch_vccnz .LBB467_3
; %bb.2:
	s_mov_b32 s3, 0
	s_mov_b64 s[12:13], 0
	s_cbranch_execz .LBB467_4
	s_branch .LBB467_5
.LBB467_3:
	s_mov_b32 s3, -1
                                        ; implicit-def: $sgpr12_sgpr13
.LBB467_4:
	s_mov_b32 s3, 0
	s_delay_alu instid0(SALU_CYCLE_1)
	s_lshl_b64 s[8:9], s[2:3], 3
	s_waitcnt lgkmcnt(0)
	s_add_u32 s4, s4, s8
	s_addc_u32 s5, s5, s9
	s_lshl_b64 s[6:7], s[6:7], 1
	s_load_b64 s[4:5], s[4:5], 0x0
	s_waitcnt lgkmcnt(0)
	s_add_u32 s12, s4, s6
	s_addc_u32 s13, s5, s7
.LBB467_5:
	s_waitcnt lgkmcnt(0)
	s_clause 0x1
	s_load_b128 s[4:7], s[0:1], 0x38
	s_load_b64 s[8:9], s[0:1], 0x48
	s_and_not1_b32 vcc_lo, exec_lo, s17
	s_cbranch_vccnz .LBB467_7
; %bb.6:
	s_lshl_b64 s[20:21], s[2:3], 3
	s_waitcnt lgkmcnt(0)
	s_add_u32 s4, s4, s20
	s_addc_u32 s5, s5, s21
	s_lshl_b64 s[6:7], s[6:7], 1
	s_load_b64 s[4:5], s[4:5], 0x0
	s_waitcnt lgkmcnt(0)
	s_add_u32 s6, s4, s6
	s_addc_u32 s7, s5, s7
	s_branch .LBB467_8
.LBB467_7:
	s_waitcnt lgkmcnt(0)
	s_mov_b64 s[6:7], 0
.LBB467_8:
	s_clause 0x1
	s_load_b128 s[20:23], s[0:1], 0x68
	s_load_b64 s[4:5], s[0:1], 0x78
	s_lshl_b64 s[2:3], s[2:3], 3
	s_waitcnt lgkmcnt(0)
	s_add_u32 s2, s20, s2
	s_addc_u32 s3, s21, s3
	s_lshl_b64 s[22:23], s[22:23], 1
	s_load_b64 s[20:21], s[2:3], 0x0
	v_cmp_eq_u32_e64 s2, 0, v0
	s_waitcnt lgkmcnt(0)
	s_add_u32 s19, s20, s22
	s_addc_u32 s20, s21, s23
	s_and_not1_b32 vcc_lo, exec_lo, s16
	s_cbranch_vccnz .LBB467_12
; %bb.9:
	s_mov_b32 s3, 0
	s_mov_b32 s21, 0
                                        ; implicit-def: $vgpr1
                                        ; implicit-def: $sgpr16_sgpr17
	s_and_saveexec_b32 s22, s2
	s_cbranch_execz .LBB467_13
; %bb.10:
	v_cmp_eq_f32_e64 s2, s15, 0
	s_mul_i32 s16, s14, s5
	s_mul_hi_u32 s17, s14, s4
	s_ashr_i32 s21, s14, 31
	s_add_i32 s16, s17, s16
	s_mul_i32 s21, s21, s4
	s_and_b32 vcc_lo, exec_lo, s2
	s_add_i32 s17, s16, s21
	s_mul_i32 s16, s14, s4
	s_cbranch_vccnz .LBB467_14
; %bb.11:
	s_lshl_b64 s[24:25], s[16:17], 1
	v_mov_b32_e32 v1, 0
	s_add_u32 s24, s19, s24
	s_addc_u32 s25, s20, s25
	global_load_u16 v1, v1, s[24:25]
	s_waitcnt vmcnt(0)
	v_fma_mixlo_f16 v1, v1, s15, 0 op_sel_hi:[1,0,0]
	s_branch .LBB467_15
.LBB467_12:
	s_mov_b32 s21, 0
                                        ; implicit-def: $vgpr1
                                        ; implicit-def: $sgpr16_sgpr17
	s_cbranch_execnz .LBB467_16
	s_branch .LBB467_35
.LBB467_13:
	s_or_b32 exec_lo, exec_lo, s22
	s_delay_alu instid0(SALU_CYCLE_1)
	s_and_b32 vcc_lo, exec_lo, s3
	s_cbranch_vccnz .LBB467_16
	s_branch .LBB467_35
.LBB467_14:
	v_mov_b32_e32 v1, 0
.LBB467_15:
	s_mov_b32 s21, exec_lo
	s_or_b32 exec_lo, exec_lo, s22
	s_delay_alu instid0(SALU_CYCLE_1)
	s_and_b32 vcc_lo, exec_lo, s3
	s_cbranch_vccz .LBB467_35
.LBB467_16:
	s_load_b32 s3, s[0:1], 0x0
	s_mul_i32 s0, s14, s11
	s_mul_hi_u32 s2, s14, s10
	s_ashr_i32 s1, s14, 31
	s_add_i32 s0, s2, s0
	s_mul_i32 s2, s1, s10
	s_mul_i32 s10, s14, s10
	s_add_i32 s11, s0, s2
	v_mov_b32_e32 v7, 0
	s_lshl_b64 s[10:11], s[10:11], 1
	s_delay_alu instid0(SALU_CYCLE_1)
	s_add_u32 s0, s10, s12
	s_addc_u32 s10, s11, s13
	s_mov_b32 s13, 0
	s_mov_b32 s12, exec_lo
	s_waitcnt lgkmcnt(0)
	v_cmp_gt_i32_e32 vcc_lo, s3, v0
	s_ashr_i32 s2, s3, 31
	s_delay_alu instid0(SALU_CYCLE_1) | instskip(NEXT) | instid1(SALU_CYCLE_1)
	s_lshr_b32 s2, s2, 22
	s_add_i32 s2, s3, s2
	v_cndmask_b32_e32 v1, 0, v0, vcc_lo
	s_and_b32 s2, s2, 0xfffffc00
	s_delay_alu instid0(VALU_DEP_1) | instskip(NEXT) | instid1(VALU_DEP_1)
	v_lshlrev_b32_e32 v1, 1, v1
	v_add_co_u32 v1, s0, s0, v1
	s_delay_alu instid0(VALU_DEP_1)
	v_add_co_ci_u32_e64 v2, null, s10, 0, s0
	v_cmpx_gt_i32_e64 s2, v0
	s_cbranch_execz .LBB467_20
; %bb.17:
	v_mad_u64_u32 v[3:4], null, s8, v0, 0
	v_mov_b32_e32 v8, v0
	s_lshl_b64 s[10:11], s[8:9], 11
	v_mov_b32_e32 v7, 0
	s_delay_alu instid0(VALU_DEP_3) | instskip(NEXT) | instid1(VALU_DEP_1)
	v_mad_u64_u32 v[5:6], null, s9, v0, v[4:5]
	v_mov_b32_e32 v4, v5
	s_delay_alu instid0(VALU_DEP_1) | instskip(SKIP_1) | instid1(VALU_DEP_2)
	v_lshlrev_b64 v[5:6], 1, v[3:4]
	v_dual_mov_b32 v4, v2 :: v_dual_mov_b32 v3, v1
	v_add_co_u32 v5, vcc_lo, s6, v5
	s_delay_alu instid0(VALU_DEP_3)
	v_add_co_ci_u32_e32 v6, vcc_lo, s7, v6, vcc_lo
	.p2align	6
.LBB467_18:                             ; =>This Inner Loop Header: Depth=1
	flat_load_u16 v9, v[3:4]
	flat_load_u16 v10, v[5:6]
	v_add_co_u32 v3, vcc_lo, 0x800, v3
	v_add_co_ci_u32_e32 v4, vcc_lo, 0, v4, vcc_lo
	v_add_co_u32 v5, vcc_lo, v5, s10
	v_add_co_ci_u32_e32 v6, vcc_lo, s11, v6, vcc_lo
	s_waitcnt vmcnt(0) lgkmcnt(0)
	v_mul_f16_e32 v9, v9, v10
	s_delay_alu instid0(VALU_DEP_1) | instskip(NEXT) | instid1(VALU_DEP_1)
	v_cvt_f32_f16_e32 v9, v9
	v_dual_add_f32 v7, v7, v9 :: v_dual_add_nc_u32 v8, 0x400, v8
	s_delay_alu instid0(VALU_DEP_1) | instskip(NEXT) | instid1(VALU_DEP_1)
	v_cmp_le_i32_e64 s0, s2, v8
	s_or_b32 s13, s0, s13
	s_delay_alu instid0(SALU_CYCLE_1)
	s_and_not1_b32 exec_lo, exec_lo, s13
	s_cbranch_execnz .LBB467_18
; %bb.19:
	s_or_b32 exec_lo, exec_lo, s13
.LBB467_20:
	s_delay_alu instid0(SALU_CYCLE_1) | instskip(SKIP_2) | instid1(VALU_DEP_1)
	s_or_b32 exec_lo, exec_lo, s12
	v_or_b32_e32 v3, s2, v0
	s_mov_b32 s0, exec_lo
	v_cmpx_gt_i32_e64 s3, v3
	s_cbranch_execz .LBB467_22
; %bb.21:
	v_ashrrev_i32_e32 v6, 31, v3
	v_mul_lo_u32 v8, v3, s9
	v_mad_u64_u32 v[4:5], null, v3, s8, 0
	s_ashr_i32 s3, s2, 31
	s_delay_alu instid0(VALU_DEP_3) | instskip(SKIP_1) | instid1(SALU_CYCLE_1)
	v_mul_lo_u32 v3, v6, s8
	s_lshl_b64 s[2:3], s[2:3], 1
	v_add_co_u32 v1, vcc_lo, v1, s2
	v_add_co_ci_u32_e32 v2, vcc_lo, s3, v2, vcc_lo
	s_delay_alu instid0(VALU_DEP_3) | instskip(NEXT) | instid1(VALU_DEP_1)
	v_add3_u32 v5, v5, v8, v3
	v_lshlrev_b64 v[3:4], 1, v[4:5]
	s_delay_alu instid0(VALU_DEP_1) | instskip(NEXT) | instid1(VALU_DEP_2)
	v_add_co_u32 v3, vcc_lo, s6, v3
	v_add_co_ci_u32_e32 v4, vcc_lo, s7, v4, vcc_lo
	flat_load_u16 v1, v[1:2]
	flat_load_u16 v2, v[3:4]
	s_waitcnt vmcnt(0) lgkmcnt(0)
	v_mul_f16_e32 v1, v1, v2
	s_delay_alu instid0(VALU_DEP_1) | instskip(NEXT) | instid1(VALU_DEP_1)
	v_cvt_f32_f16_e32 v1, v1
	v_add_f32_e32 v7, v7, v1
.LBB467_22:
	s_or_b32 exec_lo, exec_lo, s0
	v_and_b32_e32 v6, 31, v0
	v_cmp_gt_u32_e32 vcc_lo, 32, v0
	s_delay_alu instid0(VALU_DEP_2)
	v_lshlrev_b32_e32 v1, 2, v6
	s_and_saveexec_b32 s0, vcc_lo
	s_cbranch_execz .LBB467_24
; %bb.23:
	v_mov_b32_e32 v2, 0
	ds_store_b32 v1, v2
.LBB467_24:
	s_or_b32 exec_lo, exec_lo, s0
	v_mbcnt_lo_u32_b32 v8, -1, 0
	s_mov_b32 s2, exec_lo
	s_waitcnt lgkmcnt(0)
	s_barrier
	buffer_gl0_inv
	v_cmp_gt_u32_e64 s0, 16, v8
	s_delay_alu instid0(VALU_DEP_1) | instskip(SKIP_1) | instid1(VALU_DEP_2)
	v_cndmask_b32_e64 v2, 0, 1, s0
	v_cmp_gt_u32_e64 s0, 24, v8
	v_lshlrev_b32_e32 v2, 4, v2
	s_delay_alu instid0(VALU_DEP_2) | instskip(SKIP_1) | instid1(VALU_DEP_3)
	v_cndmask_b32_e64 v3, 0, 1, s0
	v_cmp_gt_u32_e64 s0, 28, v8
	v_add_lshl_u32 v2, v2, v8, 2
	s_delay_alu instid0(VALU_DEP_3)
	v_lshlrev_b32_e32 v3, 3, v3
	ds_bpermute_b32 v4, v2, v7
	v_add_lshl_u32 v3, v3, v8, 2
	s_waitcnt lgkmcnt(0)
	v_add_f32_e32 v5, v7, v4
	v_cndmask_b32_e64 v4, 0, 1, s0
	v_cmp_gt_u32_e64 s0, 30, v8
	ds_bpermute_b32 v7, v3, v5
	s_waitcnt lgkmcnt(0)
	v_dual_add_f32 v7, v5, v7 :: v_dual_lshlrev_b32 v4, 2, v4
	s_delay_alu instid0(VALU_DEP_1)
	v_add_lshl_u32 v4, v4, v8, 2
	v_cndmask_b32_e64 v5, 0, 1, s0
	v_cmp_ne_u32_e64 s0, 31, v8
	ds_bpermute_b32 v9, v4, v7
	v_lshlrev_b32_e32 v5, 1, v5
	v_add_co_ci_u32_e64 v10, s0, 0, v8, s0
	s_delay_alu instid0(VALU_DEP_2)
	v_add_lshl_u32 v5, v5, v8, 2
	s_waitcnt lgkmcnt(0)
	v_add_f32_e32 v7, v7, v9
	ds_bpermute_b32 v9, v5, v7
	s_waitcnt lgkmcnt(0)
	v_dual_add_f32 v8, v7, v9 :: v_dual_lshlrev_b32 v7, 2, v10
	ds_bpermute_b32 v9, v7, v8
	v_cmpx_eq_u32_e32 0, v6
	s_cbranch_execz .LBB467_26
; %bb.25:
	v_lshrrev_b32_e32 v6, 3, v0
	s_waitcnt lgkmcnt(0)
	v_add_f32_e32 v8, v8, v9
	s_delay_alu instid0(VALU_DEP_2)
	v_and_b32_e32 v6, 0x7c, v6
	ds_store_b32 v6, v8
.LBB467_26:
	s_or_b32 exec_lo, exec_lo, s2
	v_mov_b32_e32 v6, 0
	s_waitcnt lgkmcnt(0)
	s_barrier
	buffer_gl0_inv
	s_and_saveexec_b32 s0, vcc_lo
	s_cbranch_execz .LBB467_28
; %bb.27:
	ds_load_b32 v6, v1
.LBB467_28:
	s_or_b32 exec_lo, exec_lo, s0
	s_and_saveexec_b32 s0, vcc_lo
	s_cbranch_execz .LBB467_30
; %bb.29:
	s_waitcnt lgkmcnt(0)
	ds_bpermute_b32 v1, v2, v6
	s_waitcnt lgkmcnt(0)
	v_add_f32_e32 v1, v6, v1
	ds_bpermute_b32 v2, v3, v1
	s_waitcnt lgkmcnt(0)
	v_add_f32_e32 v1, v1, v2
	;; [unrolled: 3-line block ×5, first 2 shown]
.LBB467_30:
	s_or_b32 exec_lo, exec_lo, s0
	s_delay_alu instid0(SALU_CYCLE_1)
	s_mov_b32 s0, exec_lo
                                        ; implicit-def: $vgpr1
                                        ; implicit-def: $sgpr16_sgpr17
	v_cmpx_eq_u32_e32 0, v0
	s_cbranch_execz .LBB467_34
; %bb.31:
	s_mul_i32 s2, s14, s5
	v_cmp_eq_f32_e64 s5, s15, 0
	s_mul_hi_u32 s3, s14, s4
	s_waitcnt lgkmcnt(0)
	v_mul_f32_e32 v0, s18, v6
	s_add_i32 s2, s3, s2
	s_mul_i32 s1, s1, s4
	s_and_b32 vcc_lo, exec_lo, s5
	s_add_i32 s17, s2, s1
	s_mul_i32 s16, s14, s4
	s_cbranch_vccnz .LBB467_33
; %bb.32:
	s_lshl_b64 s[2:3], s[16:17], 1
	v_mov_b32_e32 v1, 0
	s_add_u32 s2, s19, s2
	s_addc_u32 s3, s20, s3
	global_load_u16 v1, v1, s[2:3]
	s_waitcnt vmcnt(0)
	v_fma_mix_f32 v0, v1, s15, v0 op_sel_hi:[1,0,0]
.LBB467_33:
	s_delay_alu instid0(VALU_DEP_1)
	v_cvt_f16_f32_e32 v1, v0
	s_or_b32 s21, s21, exec_lo
.LBB467_34:
	s_or_b32 exec_lo, exec_lo, s0
.LBB467_35:
	s_and_saveexec_b32 s0, s21
	s_cbranch_execz .LBB467_37
; %bb.36:
	s_lshl_b64 s[0:1], s[16:17], 1
	v_mov_b32_e32 v0, 0
	s_add_u32 s0, s19, s0
	s_addc_u32 s1, s20, s1
	global_store_b16 v0, v1, s[0:1]
.LBB467_37:
	s_nop 0
	s_sendmsg sendmsg(MSG_DEALLOC_VGPRS)
	s_endpgm
	.section	.rodata,"a",@progbits
	.p2align	6, 0x0
	.amdhsa_kernel _ZL32rocblas_gemvt_warp_reduce_kernelILb1ELi1024ElPKDF16_fKPDF16_EviiT3_lPKT2_lT1_lS7_lS8_lS4_lPT4_lS8_li
		.amdhsa_group_segment_fixed_size 128
		.amdhsa_private_segment_fixed_size 0
		.amdhsa_kernarg_size 140
		.amdhsa_user_sgpr_count 14
		.amdhsa_user_sgpr_dispatch_ptr 0
		.amdhsa_user_sgpr_queue_ptr 0
		.amdhsa_user_sgpr_kernarg_segment_ptr 1
		.amdhsa_user_sgpr_dispatch_id 0
		.amdhsa_user_sgpr_private_segment_size 0
		.amdhsa_wavefront_size32 1
		.amdhsa_uses_dynamic_stack 0
		.amdhsa_enable_private_segment 0
		.amdhsa_system_sgpr_workgroup_id_x 1
		.amdhsa_system_sgpr_workgroup_id_y 0
		.amdhsa_system_sgpr_workgroup_id_z 1
		.amdhsa_system_sgpr_workgroup_info 0
		.amdhsa_system_vgpr_workitem_id 0
		.amdhsa_next_free_vgpr 11
		.amdhsa_next_free_sgpr 26
		.amdhsa_reserve_vcc 1
		.amdhsa_float_round_mode_32 0
		.amdhsa_float_round_mode_16_64 0
		.amdhsa_float_denorm_mode_32 3
		.amdhsa_float_denorm_mode_16_64 3
		.amdhsa_dx10_clamp 1
		.amdhsa_ieee_mode 1
		.amdhsa_fp16_overflow 0
		.amdhsa_workgroup_processor_mode 1
		.amdhsa_memory_ordered 1
		.amdhsa_forward_progress 0
		.amdhsa_shared_vgpr_count 0
		.amdhsa_exception_fp_ieee_invalid_op 0
		.amdhsa_exception_fp_denorm_src 0
		.amdhsa_exception_fp_ieee_div_zero 0
		.amdhsa_exception_fp_ieee_overflow 0
		.amdhsa_exception_fp_ieee_underflow 0
		.amdhsa_exception_fp_ieee_inexact 0
		.amdhsa_exception_int_div_zero 0
	.end_amdhsa_kernel
	.section	.text._ZL32rocblas_gemvt_warp_reduce_kernelILb1ELi1024ElPKDF16_fKPDF16_EviiT3_lPKT2_lT1_lS7_lS8_lS4_lPT4_lS8_li,"axG",@progbits,_ZL32rocblas_gemvt_warp_reduce_kernelILb1ELi1024ElPKDF16_fKPDF16_EviiT3_lPKT2_lT1_lS7_lS8_lS4_lPT4_lS8_li,comdat
.Lfunc_end467:
	.size	_ZL32rocblas_gemvt_warp_reduce_kernelILb1ELi1024ElPKDF16_fKPDF16_EviiT3_lPKT2_lT1_lS7_lS8_lS4_lPT4_lS8_li, .Lfunc_end467-_ZL32rocblas_gemvt_warp_reduce_kernelILb1ELi1024ElPKDF16_fKPDF16_EviiT3_lPKT2_lT1_lS7_lS8_lS4_lPT4_lS8_li
                                        ; -- End function
	.section	.AMDGPU.csdata,"",@progbits
; Kernel info:
; codeLenInByte = 1588
; NumSgprs: 28
; NumVgprs: 11
; ScratchSize: 0
; MemoryBound: 0
; FloatMode: 240
; IeeeMode: 1
; LDSByteSize: 128 bytes/workgroup (compile time only)
; SGPRBlocks: 3
; VGPRBlocks: 1
; NumSGPRsForWavesPerEU: 28
; NumVGPRsForWavesPerEU: 11
; Occupancy: 16
; WaveLimiterHint : 1
; COMPUTE_PGM_RSRC2:SCRATCH_EN: 0
; COMPUTE_PGM_RSRC2:USER_SGPR: 14
; COMPUTE_PGM_RSRC2:TRAP_HANDLER: 0
; COMPUTE_PGM_RSRC2:TGID_X_EN: 1
; COMPUTE_PGM_RSRC2:TGID_Y_EN: 0
; COMPUTE_PGM_RSRC2:TGID_Z_EN: 1
; COMPUTE_PGM_RSRC2:TIDIG_COMP_CNT: 0
	.section	.text._ZL34rocblas_gemvn_sm_mn_batched_kernelILi32ELi24EDF16_PKffEviiT2_lPKT1_lilS5_lilS2_lPT3_lili,"axG",@progbits,_ZL34rocblas_gemvn_sm_mn_batched_kernelILi32ELi24EDF16_PKffEviiT2_lPKT1_lilS5_lilS2_lPT3_lili,comdat
	.globl	_ZL34rocblas_gemvn_sm_mn_batched_kernelILi32ELi24EDF16_PKffEviiT2_lPKT1_lilS5_lilS2_lPT3_lili ; -- Begin function _ZL34rocblas_gemvn_sm_mn_batched_kernelILi32ELi24EDF16_PKffEviiT2_lPKT1_lilS5_lilS2_lPT3_lili
	.p2align	8
	.type	_ZL34rocblas_gemvn_sm_mn_batched_kernelILi32ELi24EDF16_PKffEviiT2_lPKT1_lilS5_lilS2_lPT3_lili,@function
_ZL34rocblas_gemvn_sm_mn_batched_kernelILi32ELi24EDF16_PKffEviiT2_lPKT1_lilS5_lilS2_lPT3_lili: ; @_ZL34rocblas_gemvn_sm_mn_batched_kernelILi32ELi24EDF16_PKffEviiT2_lPKT1_lilS5_lilS2_lPT3_lili
; %bb.0:
	s_endpgm
	.section	.rodata,"a",@progbits
	.p2align	6, 0x0
	.amdhsa_kernel _ZL34rocblas_gemvn_sm_mn_batched_kernelILi32ELi24EDF16_PKffEviiT2_lPKT1_lilS5_lilS2_lPT3_lili
		.amdhsa_group_segment_fixed_size 0
		.amdhsa_private_segment_fixed_size 0
		.amdhsa_kernarg_size 140
		.amdhsa_user_sgpr_count 15
		.amdhsa_user_sgpr_dispatch_ptr 0
		.amdhsa_user_sgpr_queue_ptr 0
		.amdhsa_user_sgpr_kernarg_segment_ptr 1
		.amdhsa_user_sgpr_dispatch_id 0
		.amdhsa_user_sgpr_private_segment_size 0
		.amdhsa_wavefront_size32 1
		.amdhsa_uses_dynamic_stack 0
		.amdhsa_enable_private_segment 0
		.amdhsa_system_sgpr_workgroup_id_x 1
		.amdhsa_system_sgpr_workgroup_id_y 0
		.amdhsa_system_sgpr_workgroup_id_z 0
		.amdhsa_system_sgpr_workgroup_info 0
		.amdhsa_system_vgpr_workitem_id 0
		.amdhsa_next_free_vgpr 1
		.amdhsa_next_free_sgpr 1
		.amdhsa_reserve_vcc 0
		.amdhsa_float_round_mode_32 0
		.amdhsa_float_round_mode_16_64 0
		.amdhsa_float_denorm_mode_32 3
		.amdhsa_float_denorm_mode_16_64 3
		.amdhsa_dx10_clamp 1
		.amdhsa_ieee_mode 1
		.amdhsa_fp16_overflow 0
		.amdhsa_workgroup_processor_mode 1
		.amdhsa_memory_ordered 1
		.amdhsa_forward_progress 0
		.amdhsa_shared_vgpr_count 0
		.amdhsa_exception_fp_ieee_invalid_op 0
		.amdhsa_exception_fp_denorm_src 0
		.amdhsa_exception_fp_ieee_div_zero 0
		.amdhsa_exception_fp_ieee_overflow 0
		.amdhsa_exception_fp_ieee_underflow 0
		.amdhsa_exception_fp_ieee_inexact 0
		.amdhsa_exception_int_div_zero 0
	.end_amdhsa_kernel
	.section	.text._ZL34rocblas_gemvn_sm_mn_batched_kernelILi32ELi24EDF16_PKffEviiT2_lPKT1_lilS5_lilS2_lPT3_lili,"axG",@progbits,_ZL34rocblas_gemvn_sm_mn_batched_kernelILi32ELi24EDF16_PKffEviiT2_lPKT1_lilS5_lilS2_lPT3_lili,comdat
.Lfunc_end468:
	.size	_ZL34rocblas_gemvn_sm_mn_batched_kernelILi32ELi24EDF16_PKffEviiT2_lPKT1_lilS5_lilS2_lPT3_lili, .Lfunc_end468-_ZL34rocblas_gemvn_sm_mn_batched_kernelILi32ELi24EDF16_PKffEviiT2_lPKT1_lilS5_lilS2_lPT3_lili
                                        ; -- End function
	.section	.AMDGPU.csdata,"",@progbits
; Kernel info:
; codeLenInByte = 4
; NumSgprs: 0
; NumVgprs: 0
; ScratchSize: 0
; MemoryBound: 0
; FloatMode: 240
; IeeeMode: 1
; LDSByteSize: 0 bytes/workgroup (compile time only)
; SGPRBlocks: 0
; VGPRBlocks: 0
; NumSGPRsForWavesPerEU: 1
; NumVGPRsForWavesPerEU: 1
; Occupancy: 12
; WaveLimiterHint : 0
; COMPUTE_PGM_RSRC2:SCRATCH_EN: 0
; COMPUTE_PGM_RSRC2:USER_SGPR: 15
; COMPUTE_PGM_RSRC2:TRAP_HANDLER: 0
; COMPUTE_PGM_RSRC2:TGID_X_EN: 1
; COMPUTE_PGM_RSRC2:TGID_Y_EN: 0
; COMPUTE_PGM_RSRC2:TGID_Z_EN: 0
; COMPUTE_PGM_RSRC2:TIDIG_COMP_CNT: 0
	.section	.text._ZL34rocblas_gemvn_sm_mn_batched_kernelILi32ELi24EDF16_ffEviiT2_lPKT1_lilS3_lilS0_lPT3_lili,"axG",@progbits,_ZL34rocblas_gemvn_sm_mn_batched_kernelILi32ELi24EDF16_ffEviiT2_lPKT1_lilS3_lilS0_lPT3_lili,comdat
	.globl	_ZL34rocblas_gemvn_sm_mn_batched_kernelILi32ELi24EDF16_ffEviiT2_lPKT1_lilS3_lilS0_lPT3_lili ; -- Begin function _ZL34rocblas_gemvn_sm_mn_batched_kernelILi32ELi24EDF16_ffEviiT2_lPKT1_lilS3_lilS0_lPT3_lili
	.p2align	8
	.type	_ZL34rocblas_gemvn_sm_mn_batched_kernelILi32ELi24EDF16_ffEviiT2_lPKT1_lilS3_lilS0_lPT3_lili,@function
_ZL34rocblas_gemvn_sm_mn_batched_kernelILi32ELi24EDF16_ffEviiT2_lPKT1_lilS3_lilS0_lPT3_lili: ; @_ZL34rocblas_gemvn_sm_mn_batched_kernelILi32ELi24EDF16_ffEviiT2_lPKT1_lilS3_lilS0_lPT3_lili
; %bb.0:
	s_endpgm
	.section	.rodata,"a",@progbits
	.p2align	6, 0x0
	.amdhsa_kernel _ZL34rocblas_gemvn_sm_mn_batched_kernelILi32ELi24EDF16_ffEviiT2_lPKT1_lilS3_lilS0_lPT3_lili
		.amdhsa_group_segment_fixed_size 0
		.amdhsa_private_segment_fixed_size 0
		.amdhsa_kernarg_size 140
		.amdhsa_user_sgpr_count 15
		.amdhsa_user_sgpr_dispatch_ptr 0
		.amdhsa_user_sgpr_queue_ptr 0
		.amdhsa_user_sgpr_kernarg_segment_ptr 1
		.amdhsa_user_sgpr_dispatch_id 0
		.amdhsa_user_sgpr_private_segment_size 0
		.amdhsa_wavefront_size32 1
		.amdhsa_uses_dynamic_stack 0
		.amdhsa_enable_private_segment 0
		.amdhsa_system_sgpr_workgroup_id_x 1
		.amdhsa_system_sgpr_workgroup_id_y 0
		.amdhsa_system_sgpr_workgroup_id_z 0
		.amdhsa_system_sgpr_workgroup_info 0
		.amdhsa_system_vgpr_workitem_id 0
		.amdhsa_next_free_vgpr 1
		.amdhsa_next_free_sgpr 1
		.amdhsa_reserve_vcc 0
		.amdhsa_float_round_mode_32 0
		.amdhsa_float_round_mode_16_64 0
		.amdhsa_float_denorm_mode_32 3
		.amdhsa_float_denorm_mode_16_64 3
		.amdhsa_dx10_clamp 1
		.amdhsa_ieee_mode 1
		.amdhsa_fp16_overflow 0
		.amdhsa_workgroup_processor_mode 1
		.amdhsa_memory_ordered 1
		.amdhsa_forward_progress 0
		.amdhsa_shared_vgpr_count 0
		.amdhsa_exception_fp_ieee_invalid_op 0
		.amdhsa_exception_fp_denorm_src 0
		.amdhsa_exception_fp_ieee_div_zero 0
		.amdhsa_exception_fp_ieee_overflow 0
		.amdhsa_exception_fp_ieee_underflow 0
		.amdhsa_exception_fp_ieee_inexact 0
		.amdhsa_exception_int_div_zero 0
	.end_amdhsa_kernel
	.section	.text._ZL34rocblas_gemvn_sm_mn_batched_kernelILi32ELi24EDF16_ffEviiT2_lPKT1_lilS3_lilS0_lPT3_lili,"axG",@progbits,_ZL34rocblas_gemvn_sm_mn_batched_kernelILi32ELi24EDF16_ffEviiT2_lPKT1_lilS3_lilS0_lPT3_lili,comdat
.Lfunc_end469:
	.size	_ZL34rocblas_gemvn_sm_mn_batched_kernelILi32ELi24EDF16_ffEviiT2_lPKT1_lilS3_lilS0_lPT3_lili, .Lfunc_end469-_ZL34rocblas_gemvn_sm_mn_batched_kernelILi32ELi24EDF16_ffEviiT2_lPKT1_lilS3_lilS0_lPT3_lili
                                        ; -- End function
	.section	.AMDGPU.csdata,"",@progbits
; Kernel info:
; codeLenInByte = 4
; NumSgprs: 0
; NumVgprs: 0
; ScratchSize: 0
; MemoryBound: 0
; FloatMode: 240
; IeeeMode: 1
; LDSByteSize: 0 bytes/workgroup (compile time only)
; SGPRBlocks: 0
; VGPRBlocks: 0
; NumSGPRsForWavesPerEU: 1
; NumVGPRsForWavesPerEU: 1
; Occupancy: 12
; WaveLimiterHint : 0
; COMPUTE_PGM_RSRC2:SCRATCH_EN: 0
; COMPUTE_PGM_RSRC2:USER_SGPR: 15
; COMPUTE_PGM_RSRC2:TRAP_HANDLER: 0
; COMPUTE_PGM_RSRC2:TGID_X_EN: 1
; COMPUTE_PGM_RSRC2:TGID_Y_EN: 0
; COMPUTE_PGM_RSRC2:TGID_Z_EN: 0
; COMPUTE_PGM_RSRC2:TIDIG_COMP_CNT: 0
	.section	.text._ZL20rocblas_gemvn_kernelILi64ELi4EiDF16_PKffEviiT3_lPKT2_lT1_lS5_lS6_lS2_lPT4_lS6_li,"axG",@progbits,_ZL20rocblas_gemvn_kernelILi64ELi4EiDF16_PKffEviiT3_lPKT2_lT1_lS5_lS6_lS2_lPT4_lS6_li,comdat
	.globl	_ZL20rocblas_gemvn_kernelILi64ELi4EiDF16_PKffEviiT3_lPKT2_lT1_lS5_lS6_lS2_lPT4_lS6_li ; -- Begin function _ZL20rocblas_gemvn_kernelILi64ELi4EiDF16_PKffEviiT3_lPKT2_lT1_lS5_lS6_lS2_lPT4_lS6_li
	.p2align	8
	.type	_ZL20rocblas_gemvn_kernelILi64ELi4EiDF16_PKffEviiT3_lPKT2_lT1_lS5_lS6_lS2_lPT4_lS6_li,@function
_ZL20rocblas_gemvn_kernelILi64ELi4EiDF16_PKffEviiT3_lPKT2_lT1_lS5_lS6_lS2_lPT4_lS6_li: ; @_ZL20rocblas_gemvn_kernelILi64ELi4EiDF16_PKffEviiT3_lPKT2_lT1_lS5_lS6_lS2_lPT4_lS6_li
; %bb.0:
	s_load_b64 s[2:3], s[0:1], 0x9c
	s_waitcnt lgkmcnt(0)
	s_lshr_b32 s4, s2, 16
	s_and_b32 s2, s2, 0xffff
	s_and_b32 s3, s3, 0xffff
	s_mul_i32 s2, s4, s2
	s_delay_alu instid0(SALU_CYCLE_1) | instskip(NEXT) | instid1(SALU_CYCLE_1)
	s_mul_i32 s2, s2, s3
	s_cmpk_lg_i32 s2, 0x100
	s_cbranch_scc1 .LBB470_50
; %bb.1:
	s_clause 0x1
	s_load_b256 s[16:23], s[0:1], 0x8
	s_load_b256 s[4:11], s[0:1], 0x50
	s_waitcnt lgkmcnt(0)
	s_mul_i32 s3, s15, s19
	s_mul_hi_u32 s12, s15, s18
	s_mul_i32 s2, s15, s18
	s_add_i32 s3, s12, s3
	s_mul_i32 s9, s15, s9
	s_lshl_b64 s[2:3], s[2:3], 2
	s_mul_hi_u32 s12, s15, s8
	s_add_u32 s2, s16, s2
	s_addc_u32 s3, s17, s3
	s_add_i32 s9, s12, s9
	s_mul_i32 s8, s15, s8
	s_mov_b32 s16, 0
	s_lshl_b64 s[8:9], s[8:9], 2
	s_delay_alu instid0(SALU_CYCLE_1)
	s_add_u32 s6, s6, s8
	s_addc_u32 s7, s7, s9
	s_load_b32 s13, s[2:3], 0x0
	s_load_b32 s12, s[6:7], 0x0
	s_waitcnt lgkmcnt(0)
	v_cmp_eq_f32_e64 s2, s13, 0
	v_cmp_eq_f32_e64 s3, s12, 1.0
	s_delay_alu instid0(VALU_DEP_1) | instskip(NEXT) | instid1(SALU_CYCLE_1)
	s_and_b32 s2, s2, s3
	s_and_b32 vcc_lo, exec_lo, s2
	s_cbranch_vccnz .LBB470_50
; %bb.2:
	s_clause 0x3
	s_load_b64 s[2:3], s[0:1], 0x80
	s_load_b64 s[8:9], s[0:1], 0x70
	s_load_b32 s17, s[0:1], 0x78
	s_load_b64 s[6:7], s[0:1], 0x0
	v_and_b32_e32 v1, 0x3ff, v0
	v_bfe_u32 v13, v0, 10, 10
	s_delay_alu instid0(VALU_DEP_1)
	v_lshl_add_u32 v0, v13, 6, v1
	s_waitcnt lgkmcnt(0)
	s_mul_i32 s3, s15, s3
	s_mul_hi_u32 s18, s15, s2
	s_mul_i32 s2, s15, s2
	s_add_i32 s3, s18, s3
	v_cmp_neq_f32_e64 s18, s13, 0
	s_lshl_b64 s[2:3], s[2:3], 2
	s_delay_alu instid0(SALU_CYCLE_1) | instskip(SKIP_2) | instid1(SALU_CYCLE_1)
	s_add_u32 s10, s10, s2
	s_addc_u32 s11, s11, s3
	s_lshl_b64 s[2:3], s[8:9], 2
	s_add_u32 s8, s10, s2
	v_cmp_gt_u32_e64 s2, 0x100, v0
	s_addc_u32 s9, s11, s3
	s_and_b32 vcc_lo, exec_lo, s18
	s_cbranch_vccnz .LBB470_9
; %bb.3:
	s_mov_b32 s3, 0
                                        ; implicit-def: $vgpr3
                                        ; implicit-def: $vgpr4_vgpr5
	s_and_saveexec_b32 s10, s2
	s_cbranch_execz .LBB470_10
; %bb.4:
	v_lshl_or_b32 v2, s14, 8, v0
	v_mov_b32_e32 v3, 0
	s_ashr_i32 s19, s6, 31
	s_mov_b32 s18, s6
	s_mov_b32 s11, 0
	s_mov_b32 s2, exec_lo
                                        ; implicit-def: $vgpr4_vgpr5
	v_cmpx_gt_i64_e64 s[18:19], v[2:3]
	s_cbranch_execz .LBB470_8
; %bb.5:
	v_mad_u64_u32 v[4:5], null, s17, v2, 0
	s_ashr_i32 s11, s17, 31
	s_delay_alu instid0(VALU_DEP_1) | instid1(SALU_CYCLE_1)
	v_mad_u64_u32 v[6:7], null, s11, v2, v[5:6]
	v_cmp_eq_f32_e64 s11, s12, 0
	s_delay_alu instid0(VALU_DEP_1) | instskip(NEXT) | instid1(VALU_DEP_2)
	s_and_b32 vcc_lo, exec_lo, s11
	v_mov_b32_e32 v5, v6
	s_cbranch_vccnz .LBB470_7
; %bb.6:
	s_delay_alu instid0(VALU_DEP_1) | instskip(NEXT) | instid1(VALU_DEP_1)
	v_lshlrev_b64 v[2:3], 2, v[4:5]
	v_add_co_u32 v2, vcc_lo, s8, v2
	s_delay_alu instid0(VALU_DEP_2)
	v_add_co_ci_u32_e32 v3, vcc_lo, s9, v3, vcc_lo
	global_load_b32 v2, v[2:3], off
	s_waitcnt vmcnt(0)
	v_mul_f32_e32 v3, s12, v2
.LBB470_7:
	s_mov_b32 s11, exec_lo
.LBB470_8:
	s_or_b32 exec_lo, exec_lo, s2
	s_delay_alu instid0(SALU_CYCLE_1) | instskip(SKIP_1) | instid1(SALU_CYCLE_1)
	s_and_b32 s16, s11, exec_lo
	s_or_b32 exec_lo, exec_lo, s10
	s_and_b32 vcc_lo, exec_lo, s3
	s_cbranch_vccnz .LBB470_11
	s_branch .LBB470_48
.LBB470_9:
                                        ; implicit-def: $vgpr3
                                        ; implicit-def: $vgpr4_vgpr5
	s_cbranch_execnz .LBB470_11
	s_branch .LBB470_48
.LBB470_10:
	s_or_b32 exec_lo, exec_lo, s10
	s_delay_alu instid0(SALU_CYCLE_1)
	s_and_b32 vcc_lo, exec_lo, s3
	s_cbranch_vccz .LBB470_48
.LBB470_11:
	s_clause 0x2
	s_load_b128 s[24:27], s[0:1], 0x30
	s_load_b32 s18, s[0:1], 0x28
	s_load_b64 s[2:3], s[0:1], 0x40
	s_mul_i32 s5, s15, s5
	v_dual_mov_b32 v18, 0 :: v_dual_lshlrev_b32 v19, 2, v13
	v_dual_mov_b32 v15, 0 :: v_dual_mov_b32 v14, 0
	s_waitcnt lgkmcnt(0)
	s_mul_i32 s11, s15, s25
	s_mul_hi_u32 s19, s15, s24
	s_mul_i32 s10, s15, s24
	s_add_i32 s11, s19, s11
	s_mul_hi_u32 s19, s15, s4
	s_lshl_b64 s[10:11], s[10:11], 1
	s_delay_alu instid0(SALU_CYCLE_1) | instskip(SKIP_4) | instid1(SALU_CYCLE_1)
	s_add_u32 s24, s20, s10
	s_mul_i32 s20, s15, s4
	s_load_b32 s4, s[0:1], 0x48
	s_addc_u32 s21, s21, s11
	s_lshl_b64 s[10:11], s[22:23], 1
	s_add_u32 s10, s24, s10
	s_addc_u32 s11, s21, s11
	s_add_i32 s21, s19, s5
	s_delay_alu instid0(SALU_CYCLE_1) | instskip(SKIP_4) | instid1(SALU_CYCLE_1)
	s_lshl_b64 s[0:1], s[20:21], 1
	s_mov_b32 s20, exec_lo
	s_add_u32 s5, s26, s0
	s_addc_u32 s19, s27, s1
	s_lshl_b64 s[0:1], s[2:3], 1
	s_add_u32 s15, s5, s0
	s_addc_u32 s19, s19, s1
	s_ashr_i32 s0, s7, 31
	s_lshl_b32 s5, s14, 8
	s_lshr_b32 s0, s0, 28
	v_dual_mov_b32 v17, 0 :: v_dual_add_nc_u32 v16, s5, v1
	s_add_i32 s0, s7, s0
	s_delay_alu instid0(SALU_CYCLE_1) | instskip(NEXT) | instid1(SALU_CYCLE_1)
	s_and_b32 s14, s0, -16
	v_cmpx_gt_i32_e64 s14, v19
	s_cbranch_execz .LBB470_23
; %bb.12:
	v_mul_lo_u32 v3, s18, v19
	v_dual_mov_b32 v17, 0 :: v_dual_add_nc_u32 v2, 64, v16
	v_add_nc_u32_e32 v6, 2, v19
	v_dual_mov_b32 v18, 0 :: v_dual_add_nc_u32 v5, 0xc0, v16
	s_delay_alu instid0(VALU_DEP_3)
	v_cmp_gt_i32_e64 s0, s6, v2
	v_dual_mov_b32 v15, 0 :: v_dual_add_nc_u32 v4, 0x80, v16
	v_add3_u32 v20, v3, s18, v1
	v_mad_u64_u32 v[2:3], null, s18, v6, v[1:2]
	v_cmp_gt_i32_e64 s2, s6, v5
	v_mul_lo_u32 v5, v13, s18
	v_dual_mov_b32 v14, 0 :: v_dual_add_nc_u32 v7, 3, v19
	s_waitcnt lgkmcnt(0)
	v_mul_lo_u32 v8, v13, s4
	v_cmp_gt_i32_e64 s1, s6, v4
	v_mul_lo_u32 v22, s4, v6
	v_mad_u64_u32 v[3:4], null, s18, v7, v[1:2]
	v_lshl_add_u32 v21, v5, 2, v1
	v_mad_u64_u32 v[4:5], null, s4, v19, s[4:5]
	v_mul_lo_u32 v23, s4, v7
	v_cmp_gt_i32_e32 vcc_lo, s6, v16
	v_lshlrev_b32_e32 v24, 2, v8
	s_lshl_b32 s21, s18, 4
	s_lshl_b32 s23, s4, 4
	s_mov_b32 s22, 0
	s_mov_b32 s24, 0
	s_branch .LBB470_17
.LBB470_13:                             ;   in Loop: Header=BB470_17 Depth=1
	s_or_b32 exec_lo, exec_lo, s27
	s_waitcnt vmcnt(3)
	v_fma_mix_f32 v5, v37, v41, v15 op_sel_hi:[0,1,0]
	s_waitcnt vmcnt(2)
	s_delay_alu instid0(VALU_DEP_1) | instskip(SKIP_1) | instid1(VALU_DEP_1)
	v_fma_mix_f32 v5, v38, v42, v5 op_sel_hi:[0,1,0]
	s_waitcnt vmcnt(1)
	v_fma_mix_f32 v5, v39, v43, v5 op_sel_hi:[0,1,0]
	s_waitcnt vmcnt(0)
	s_delay_alu instid0(VALU_DEP_1)
	v_fma_mix_f32 v15, v40, v44, v5 op_sel_hi:[0,1,0]
.LBB470_14:                             ;   in Loop: Header=BB470_17 Depth=1
	s_or_b32 exec_lo, exec_lo, s26
	s_waitcnt vmcnt(3)
	v_fma_mix_f32 v5, v37, v33, v17 op_sel_hi:[0,1,0]
	s_waitcnt vmcnt(2)
	s_delay_alu instid0(VALU_DEP_1) | instskip(SKIP_1) | instid1(VALU_DEP_1)
	v_fma_mix_f32 v5, v38, v34, v5 op_sel_hi:[0,1,0]
	s_waitcnt vmcnt(1)
	v_fma_mix_f32 v5, v39, v35, v5 op_sel_hi:[0,1,0]
	s_waitcnt vmcnt(0)
	s_delay_alu instid0(VALU_DEP_1)
	v_fma_mix_f32 v17, v40, v36, v5 op_sel_hi:[0,1,0]
.LBB470_15:                             ;   in Loop: Header=BB470_17 Depth=1
	s_or_b32 exec_lo, exec_lo, s3
	s_waitcnt vmcnt(3)
	v_fma_mix_f32 v5, v25, v29, v18 op_sel_hi:[1,1,0]
	s_waitcnt vmcnt(2)
	s_delay_alu instid0(VALU_DEP_1) | instskip(SKIP_1) | instid1(VALU_DEP_1)
	v_fma_mix_f32 v5, v26, v30, v5 op_sel_hi:[1,1,0]
	s_waitcnt vmcnt(1)
	v_fma_mix_f32 v5, v27, v31, v5 op_sel_hi:[1,1,0]
	s_waitcnt vmcnt(0)
	s_delay_alu instid0(VALU_DEP_1)
	v_fma_mix_f32 v18, v28, v32, v5 op_sel_hi:[1,1,0]
.LBB470_16:                             ;   in Loop: Header=BB470_17 Depth=1
	s_or_b32 exec_lo, exec_lo, s25
	v_add_nc_u32_e32 v19, 16, v19
	v_add_nc_u32_e32 v20, s21, v20
	;; [unrolled: 1-line block ×5, first 2 shown]
	v_cmp_le_i32_e64 s3, s14, v19
	s_add_i32 s24, s24, s23
	s_delay_alu instid0(VALU_DEP_1) | instskip(NEXT) | instid1(SALU_CYCLE_1)
	s_or_b32 s22, s3, s22
	s_and_not1_b32 exec_lo, exec_lo, s22
	s_cbranch_execz .LBB470_22
.LBB470_17:                             ; =>This Inner Loop Header: Depth=1
	s_and_saveexec_b32 s25, vcc_lo
	s_cbranch_execz .LBB470_16
; %bb.18:                               ;   in Loop: Header=BB470_17 Depth=1
	v_add_nc_u32_e32 v5, s24, v24
	v_add_nc_u32_e32 v7, s24, v4
	;; [unrolled: 1-line block ×5, first 2 shown]
	v_ashrrev_i32_e32 v6, 31, v5
	v_ashrrev_i32_e32 v8, 31, v7
	;; [unrolled: 1-line block ×5, first 2 shown]
	v_lshlrev_b64 v[5:6], 1, v[5:6]
	v_lshlrev_b64 v[7:8], 1, v[7:8]
	;; [unrolled: 1-line block ×3, first 2 shown]
	s_delay_alu instid0(VALU_DEP_3) | instskip(NEXT) | instid1(VALU_DEP_1)
	v_add_co_u32 v27, s3, s15, v5
	v_add_co_ci_u32_e64 v28, s3, s19, v6, s3
	s_delay_alu instid0(VALU_DEP_4)
	v_add_co_u32 v29, s3, s15, v7
	v_add_nc_u32_e32 v7, s5, v20
	v_add_co_ci_u32_e64 v30, s3, s19, v8, s3
	v_lshlrev_b64 v[5:6], 1, v[11:12]
	v_add_co_u32 v31, s3, s15, v9
	v_add_nc_u32_e32 v11, s5, v2
	v_add_co_ci_u32_e64 v32, s3, s19, v10, s3
	v_lshlrev_b64 v[9:10], 1, v[25:26]
	v_ashrrev_i32_e32 v8, 31, v7
	v_add_nc_u32_e32 v25, s5, v3
	v_add_co_u32 v33, s3, s15, v5
	v_ashrrev_i32_e32 v12, 31, v11
	v_add_co_ci_u32_e64 v34, s3, s19, v6, s3
	v_lshlrev_b64 v[7:8], 1, v[7:8]
	v_add_co_u32 v5, s3, s10, v9
	v_ashrrev_i32_e32 v26, 31, v25
	v_add_co_ci_u32_e64 v6, s3, s11, v10, s3
	v_lshlrev_b64 v[9:10], 1, v[11:12]
	v_add_co_u32 v7, s3, s10, v7
	s_delay_alu instid0(VALU_DEP_4) | instskip(SKIP_1) | instid1(VALU_DEP_4)
	v_lshlrev_b64 v[11:12], 1, v[25:26]
	v_add_co_ci_u32_e64 v8, s3, s11, v8, s3
	v_add_co_u32 v9, s3, s10, v9
	s_delay_alu instid0(VALU_DEP_1) | instskip(NEXT) | instid1(VALU_DEP_4)
	v_add_co_ci_u32_e64 v10, s3, s11, v10, s3
	v_add_co_u32 v11, s3, s10, v11
	s_delay_alu instid0(VALU_DEP_1)
	v_add_co_ci_u32_e64 v12, s3, s11, v12, s3
	s_clause 0x3
	global_load_u16 v25, v[27:28], off
	global_load_u16 v26, v[29:30], off
	;; [unrolled: 1-line block ×4, first 2 shown]
	s_clause 0x3
	global_load_u16 v29, v[5:6], off
	global_load_u16 v30, v[7:8], off
	;; [unrolled: 1-line block ×4, first 2 shown]
	s_and_saveexec_b32 s3, s0
	s_cbranch_execz .LBB470_15
; %bb.19:                               ;   in Loop: Header=BB470_17 Depth=1
	s_clause 0x3
	global_load_u16 v33, v[5:6], off offset:128
	global_load_u16 v34, v[7:8], off offset:128
	;; [unrolled: 1-line block ×4, first 2 shown]
	s_waitcnt vmcnt(11)
	v_cvt_f32_f16_e32 v37, v25
	s_waitcnt vmcnt(10)
	v_cvt_f32_f16_e32 v38, v26
	;; [unrolled: 2-line block ×4, first 2 shown]
	s_and_saveexec_b32 s26, s1
	s_cbranch_execz .LBB470_14
; %bb.20:                               ;   in Loop: Header=BB470_17 Depth=1
	s_clause 0x3
	global_load_u16 v41, v[5:6], off offset:256
	global_load_u16 v42, v[7:8], off offset:256
	;; [unrolled: 1-line block ×4, first 2 shown]
	s_and_saveexec_b32 s27, s2
	s_cbranch_execz .LBB470_13
; %bb.21:                               ;   in Loop: Header=BB470_17 Depth=1
	s_clause 0x3
	global_load_u16 v5, v[5:6], off offset:384
	global_load_u16 v6, v[7:8], off offset:384
	;; [unrolled: 1-line block ×4, first 2 shown]
	s_waitcnt vmcnt(3)
	v_fma_mix_f32 v5, v37, v5, v14 op_sel_hi:[0,1,0]
	s_waitcnt vmcnt(2)
	s_delay_alu instid0(VALU_DEP_1) | instskip(SKIP_1) | instid1(VALU_DEP_1)
	v_fma_mix_f32 v5, v38, v6, v5 op_sel_hi:[0,1,0]
	s_waitcnt vmcnt(1)
	v_fma_mix_f32 v5, v39, v7, v5 op_sel_hi:[0,1,0]
	s_waitcnt vmcnt(0)
	s_delay_alu instid0(VALU_DEP_1)
	v_fma_mix_f32 v14, v40, v8, v5 op_sel_hi:[0,1,0]
	s_branch .LBB470_13
.LBB470_22:
	s_or_b32 exec_lo, exec_lo, s22
.LBB470_23:
	s_delay_alu instid0(SALU_CYCLE_1) | instskip(SKIP_1) | instid1(SALU_CYCLE_1)
	s_or_b32 exec_lo, exec_lo, s20
	s_sub_i32 s0, s7, s14
	s_cmp_lt_i32 s0, 1
	s_cbranch_scc1 .LBB470_41
; %bb.24:
	v_cmp_gt_i32_e32 vcc_lo, s7, v19
	v_dual_mov_b32 v10, 0 :: v_dual_mov_b32 v11, 0
	v_or_b32_e32 v2, 1, v19
	v_mov_b32_e32 v12, 0
	v_mov_b32_e32 v20, 0
	s_and_saveexec_b32 s1, vcc_lo
	s_cbranch_execz .LBB470_32
; %bb.25:
	s_waitcnt lgkmcnt(0)
	v_mul_lo_u32 v3, v19, s4
	v_dual_mov_b32 v12, 0 :: v_dual_mov_b32 v11, 0
	v_mov_b32_e32 v10, 0
	s_mov_b32 s2, exec_lo
	s_delay_alu instid0(VALU_DEP_3) | instskip(NEXT) | instid1(VALU_DEP_1)
	v_ashrrev_i32_e32 v4, 31, v3
	v_lshlrev_b64 v[3:4], 1, v[3:4]
	s_delay_alu instid0(VALU_DEP_1) | instskip(NEXT) | instid1(VALU_DEP_1)
	v_add_co_u32 v3, s0, s15, v3
	v_add_co_ci_u32_e64 v4, s0, s19, v4, s0
	global_load_u16 v3, v[3:4], off
	v_cmpx_gt_i32_e64 s7, v2
	s_cbranch_execz .LBB470_31
; %bb.26:
	v_mul_lo_u32 v4, v2, s4
	v_dual_mov_b32 v11, 0 :: v_dual_mov_b32 v10, 0
	s_mov_b32 s3, exec_lo
	s_delay_alu instid0(VALU_DEP_2) | instskip(NEXT) | instid1(VALU_DEP_1)
	v_ashrrev_i32_e32 v5, 31, v4
	v_lshlrev_b64 v[4:5], 1, v[4:5]
	s_delay_alu instid0(VALU_DEP_1) | instskip(NEXT) | instid1(VALU_DEP_1)
	v_add_co_u32 v4, s0, s15, v4
	v_add_co_ci_u32_e64 v5, s0, s19, v5, s0
	global_load_u16 v4, v[4:5], off
	v_or_b32_e32 v5, 2, v19
	s_delay_alu instid0(VALU_DEP_1)
	v_cmpx_gt_i32_e64 s7, v5
	s_cbranch_execz .LBB470_30
; %bb.27:
	v_mul_lo_u32 v5, v5, s4
	v_mov_b32_e32 v10, 0
	s_mov_b32 s14, exec_lo
	s_delay_alu instid0(VALU_DEP_2) | instskip(NEXT) | instid1(VALU_DEP_1)
	v_ashrrev_i32_e32 v6, 31, v5
	v_lshlrev_b64 v[5:6], 1, v[5:6]
	s_delay_alu instid0(VALU_DEP_1) | instskip(NEXT) | instid1(VALU_DEP_1)
	v_add_co_u32 v5, s0, s15, v5
	v_add_co_ci_u32_e64 v6, s0, s19, v6, s0
	global_load_u16 v5, v[5:6], off
	v_or_b32_e32 v6, 3, v19
	s_delay_alu instid0(VALU_DEP_1)
	v_cmpx_gt_i32_e64 s7, v6
	s_cbranch_execz .LBB470_29
; %bb.28:
	v_mul_lo_u32 v6, v6, s4
	s_delay_alu instid0(VALU_DEP_1) | instskip(NEXT) | instid1(VALU_DEP_1)
	v_ashrrev_i32_e32 v7, 31, v6
	v_lshlrev_b64 v[6:7], 1, v[6:7]
	s_delay_alu instid0(VALU_DEP_1) | instskip(NEXT) | instid1(VALU_DEP_1)
	v_add_co_u32 v6, s0, s15, v6
	v_add_co_ci_u32_e64 v7, s0, s19, v7, s0
	global_load_u16 v6, v[6:7], off
	s_waitcnt vmcnt(0)
	v_cvt_f32_f16_e32 v10, v6
.LBB470_29:
	s_or_b32 exec_lo, exec_lo, s14
	s_waitcnt vmcnt(0)
	v_cvt_f32_f16_e32 v11, v5
.LBB470_30:
	s_or_b32 exec_lo, exec_lo, s3
	s_waitcnt vmcnt(0)
	v_cvt_f32_f16_e32 v12, v4
.LBB470_31:
	s_or_b32 exec_lo, exec_lo, s2
	s_waitcnt vmcnt(0)
	v_cvt_f32_f16_e32 v20, v3
.LBB470_32:
	s_or_b32 exec_lo, exec_lo, s1
	s_delay_alu instid0(SALU_CYCLE_1)
	s_mov_b32 s1, exec_lo
	v_cmpx_gt_i32_e64 s6, v16
	s_cbranch_execz .LBB470_40
; %bb.33:
	v_mul_lo_u32 v3, v19, s18
	v_mul_lo_u32 v5, v2, s18
	v_or_b32_e32 v4, 2, v19
	v_or_b32_e32 v6, 3, v19
	s_mov_b32 s0, exec_lo
	s_delay_alu instid0(VALU_DEP_2)
	v_mul_lo_u32 v7, v4, s18
	v_cndmask_b32_e32 v3, 0, v3, vcc_lo
	v_cmp_gt_i32_e32 vcc_lo, s7, v2
	v_mul_lo_u32 v8, v6, s18
	v_cndmask_b32_e32 v5, 0, v5, vcc_lo
	v_cmp_gt_i32_e32 vcc_lo, s7, v4
	s_delay_alu instid0(VALU_DEP_2) | instskip(SKIP_2) | instid1(VALU_DEP_3)
	v_add_nc_u32_e32 v4, v5, v16
	v_dual_cndmask_b32 v7, 0, v7 :: v_dual_add_nc_u32 v2, v3, v16
	v_cmp_gt_i32_e32 vcc_lo, s7, v6
	v_ashrrev_i32_e32 v5, 31, v4
	s_delay_alu instid0(VALU_DEP_3) | instskip(SKIP_2) | instid1(VALU_DEP_4)
	v_ashrrev_i32_e32 v3, 31, v2
	v_cndmask_b32_e32 v8, 0, v8, vcc_lo
	v_add_nc_u32_e32 v6, v7, v16
	v_lshlrev_b64 v[4:5], 1, v[4:5]
	s_delay_alu instid0(VALU_DEP_4) | instskip(NEXT) | instid1(VALU_DEP_4)
	v_lshlrev_b64 v[2:3], 1, v[2:3]
	v_add_nc_u32_e32 v8, v8, v16
	s_delay_alu instid0(VALU_DEP_4) | instskip(NEXT) | instid1(VALU_DEP_3)
	v_ashrrev_i32_e32 v7, 31, v6
	v_add_co_u32 v2, vcc_lo, s10, v2
	s_delay_alu instid0(VALU_DEP_2)
	v_lshlrev_b64 v[6:7], 1, v[6:7]
	v_add_co_ci_u32_e32 v3, vcc_lo, s11, v3, vcc_lo
	v_ashrrev_i32_e32 v9, 31, v8
	v_add_co_u32 v4, vcc_lo, s10, v4
	v_add_co_ci_u32_e32 v5, vcc_lo, s11, v5, vcc_lo
	global_load_u16 v21, v[2:3], off
	v_add_co_u32 v6, vcc_lo, s10, v6
	v_add_co_ci_u32_e32 v7, vcc_lo, s11, v7, vcc_lo
	v_lshlrev_b64 v[8:9], 1, v[8:9]
	s_clause 0x1
	global_load_u16 v22, v[4:5], off
	global_load_u16 v23, v[6:7], off
	v_add_co_u32 v8, vcc_lo, s10, v8
	v_add_co_ci_u32_e32 v9, vcc_lo, s11, v9, vcc_lo
	global_load_u16 v19, v[8:9], off
	s_waitcnt vmcnt(3)
	v_fma_mix_f32 v18, v20, v21, v18 op_sel_hi:[0,1,0]
	v_add_nc_u32_e32 v21, 64, v16
	s_waitcnt vmcnt(2)
	s_delay_alu instid0(VALU_DEP_2) | instskip(SKIP_1) | instid1(VALU_DEP_1)
	v_fma_mix_f32 v18, v12, v22, v18 op_sel_hi:[0,1,0]
	s_waitcnt vmcnt(1)
	v_fma_mix_f32 v18, v11, v23, v18 op_sel_hi:[0,1,0]
	v_cmpx_gt_i32_e64 s6, v21
	s_cbranch_execz .LBB470_39
; %bb.34:
	s_clause 0x3
	global_load_u16 v22, v[2:3], off offset:128
	global_load_u16 v23, v[4:5], off offset:128
	;; [unrolled: 1-line block ×4, first 2 shown]
	s_mov_b32 s2, exec_lo
	s_waitcnt vmcnt(3)
	v_fma_mix_f32 v17, v20, v22, v17 op_sel_hi:[0,1,0]
	v_add_nc_u32_e32 v22, 0x80, v16
	s_waitcnt vmcnt(2)
	s_delay_alu instid0(VALU_DEP_2) | instskip(SKIP_1) | instid1(VALU_DEP_1)
	v_fma_mix_f32 v17, v12, v23, v17 op_sel_hi:[0,1,0]
	s_waitcnt vmcnt(1)
	v_fma_mix_f32 v17, v11, v24, v17 op_sel_hi:[0,1,0]
	v_cmpx_gt_i32_e64 s6, v22
	s_cbranch_execz .LBB470_38
; %bb.35:
	s_clause 0x3
	global_load_u16 v23, v[2:3], off offset:256
	global_load_u16 v24, v[4:5], off offset:256
	;; [unrolled: 1-line block ×4, first 2 shown]
	v_add_nc_u32_e32 v16, 0xc0, v16
	s_mov_b32 s3, exec_lo
	s_waitcnt vmcnt(3)
	v_fma_mix_f32 v15, v20, v23, v15 op_sel_hi:[0,1,0]
	s_waitcnt vmcnt(2)
	s_delay_alu instid0(VALU_DEP_1) | instskip(SKIP_1) | instid1(VALU_DEP_1)
	v_fma_mix_f32 v15, v12, v24, v15 op_sel_hi:[0,1,0]
	s_waitcnt vmcnt(1)
	v_fma_mix_f32 v15, v11, v25, v15 op_sel_hi:[0,1,0]
	v_cmpx_gt_i32_e64 s6, v16
	s_cbranch_execz .LBB470_37
; %bb.36:
	s_clause 0x3
	global_load_u16 v2, v[2:3], off offset:384
	global_load_u16 v3, v[4:5], off offset:384
	;; [unrolled: 1-line block ×4, first 2 shown]
	s_waitcnt vmcnt(3)
	v_fma_mix_f32 v2, v20, v2, v14 op_sel_hi:[0,1,0]
	s_waitcnt vmcnt(2)
	s_delay_alu instid0(VALU_DEP_1) | instskip(SKIP_1) | instid1(VALU_DEP_1)
	v_fma_mix_f32 v2, v12, v3, v2 op_sel_hi:[0,1,0]
	s_waitcnt vmcnt(1)
	v_fma_mix_f32 v2, v11, v4, v2 op_sel_hi:[0,1,0]
	s_waitcnt vmcnt(0)
	s_delay_alu instid0(VALU_DEP_1)
	v_fma_mix_f32 v14, v10, v5, v2 op_sel_hi:[0,1,0]
.LBB470_37:
	s_or_b32 exec_lo, exec_lo, s3
	s_waitcnt vmcnt(0)
	v_fma_mix_f32 v15, v10, v22, v15 op_sel_hi:[0,1,0]
.LBB470_38:
	s_or_b32 exec_lo, exec_lo, s2
	s_waitcnt vmcnt(0)
	v_fma_mix_f32 v17, v10, v21, v17 op_sel_hi:[0,1,0]
.LBB470_39:
	s_or_b32 exec_lo, exec_lo, s0
	s_waitcnt vmcnt(0)
	v_fma_mix_f32 v18, v10, v19, v18 op_sel_hi:[0,1,0]
.LBB470_40:
	s_or_b32 exec_lo, exec_lo, s1
.LBB470_41:
	v_lshlrev_b32_e32 v2, 8, v13
	s_mov_b32 s0, exec_lo
                                        ; implicit-def: $vgpr3
                                        ; implicit-def: $vgpr4_vgpr5
	s_delay_alu instid0(VALU_DEP_1)
	v_add_lshl_u32 v1, v2, v1, 2
	ds_store_2addr_stride64_b32 v1, v18, v17 offset1:1
	ds_store_2addr_stride64_b32 v1, v15, v14 offset0:2 offset1:3
	s_waitcnt lgkmcnt(0)
	s_barrier
	buffer_gl0_inv
	v_cmpx_gt_u32_e32 0x100, v0
	s_cbranch_execz .LBB470_47
; %bb.42:
	v_lshlrev_b32_e32 v5, 2, v0
	s_mov_b32 s2, s16
	s_mov_b32 s1, exec_lo
	ds_load_2addr_stride64_b32 v[1:2], v5 offset1:4
	ds_load_2addr_stride64_b32 v[3:4], v5 offset0:8 offset1:12
	s_waitcnt lgkmcnt(1)
	v_add_f32_e32 v1, v1, v2
	s_waitcnt lgkmcnt(0)
	s_delay_alu instid0(VALU_DEP_1) | instskip(SKIP_1) | instid1(VALU_DEP_2)
	v_add_f32_e32 v2, v3, v1
	v_or_b32_e32 v1, s5, v0
                                        ; implicit-def: $vgpr3
	v_add_f32_e32 v0, v4, v2
	ds_store_b32 v5, v0
                                        ; implicit-def: $vgpr4_vgpr5
	v_cmpx_gt_i32_e64 s6, v1
	s_cbranch_execz .LBB470_46
; %bb.43:
	v_mul_lo_u32 v4, v1, s17
	v_cmp_eq_f32_e64 s2, s12, 0
	v_mul_f32_e32 v3, s13, v0
	s_delay_alu instid0(VALU_DEP_2) | instskip(NEXT) | instid1(VALU_DEP_3)
	s_and_b32 vcc_lo, exec_lo, s2
	v_ashrrev_i32_e32 v5, 31, v4
	s_cbranch_vccnz .LBB470_45
; %bb.44:
	s_delay_alu instid0(VALU_DEP_1) | instskip(NEXT) | instid1(VALU_DEP_1)
	v_lshlrev_b64 v[0:1], 2, v[4:5]
	v_add_co_u32 v0, vcc_lo, s8, v0
	s_delay_alu instid0(VALU_DEP_2)
	v_add_co_ci_u32_e32 v1, vcc_lo, s9, v1, vcc_lo
	global_load_b32 v0, v[0:1], off
	s_waitcnt vmcnt(0)
	v_fmac_f32_e32 v3, s12, v0
.LBB470_45:
	s_or_b32 s2, s16, exec_lo
.LBB470_46:
	s_or_b32 exec_lo, exec_lo, s1
	s_delay_alu instid0(SALU_CYCLE_1) | instskip(SKIP_1) | instid1(SALU_CYCLE_1)
	s_and_not1_b32 s1, s16, exec_lo
	s_and_b32 s2, s2, exec_lo
	s_or_b32 s16, s1, s2
.LBB470_47:
	s_or_b32 exec_lo, exec_lo, s0
.LBB470_48:
	s_and_saveexec_b32 s0, s16
	s_cbranch_execz .LBB470_50
; %bb.49:
	v_lshlrev_b64 v[0:1], 2, v[4:5]
	s_delay_alu instid0(VALU_DEP_1) | instskip(NEXT) | instid1(VALU_DEP_2)
	v_add_co_u32 v0, vcc_lo, s8, v0
	v_add_co_ci_u32_e32 v1, vcc_lo, s9, v1, vcc_lo
	global_store_b32 v[0:1], v3, off
.LBB470_50:
	s_nop 0
	s_sendmsg sendmsg(MSG_DEALLOC_VGPRS)
	s_endpgm
	.section	.rodata,"a",@progbits
	.p2align	6, 0x0
	.amdhsa_kernel _ZL20rocblas_gemvn_kernelILi64ELi4EiDF16_PKffEviiT3_lPKT2_lT1_lS5_lS6_lS2_lPT4_lS6_li
		.amdhsa_group_segment_fixed_size 4096
		.amdhsa_private_segment_fixed_size 0
		.amdhsa_kernarg_size 400
		.amdhsa_user_sgpr_count 14
		.amdhsa_user_sgpr_dispatch_ptr 0
		.amdhsa_user_sgpr_queue_ptr 0
		.amdhsa_user_sgpr_kernarg_segment_ptr 1
		.amdhsa_user_sgpr_dispatch_id 0
		.amdhsa_user_sgpr_private_segment_size 0
		.amdhsa_wavefront_size32 1
		.amdhsa_uses_dynamic_stack 0
		.amdhsa_enable_private_segment 0
		.amdhsa_system_sgpr_workgroup_id_x 1
		.amdhsa_system_sgpr_workgroup_id_y 0
		.amdhsa_system_sgpr_workgroup_id_z 1
		.amdhsa_system_sgpr_workgroup_info 0
		.amdhsa_system_vgpr_workitem_id 1
		.amdhsa_next_free_vgpr 45
		.amdhsa_next_free_sgpr 28
		.amdhsa_reserve_vcc 1
		.amdhsa_float_round_mode_32 0
		.amdhsa_float_round_mode_16_64 0
		.amdhsa_float_denorm_mode_32 3
		.amdhsa_float_denorm_mode_16_64 3
		.amdhsa_dx10_clamp 1
		.amdhsa_ieee_mode 1
		.amdhsa_fp16_overflow 0
		.amdhsa_workgroup_processor_mode 1
		.amdhsa_memory_ordered 1
		.amdhsa_forward_progress 0
		.amdhsa_shared_vgpr_count 0
		.amdhsa_exception_fp_ieee_invalid_op 0
		.amdhsa_exception_fp_denorm_src 0
		.amdhsa_exception_fp_ieee_div_zero 0
		.amdhsa_exception_fp_ieee_overflow 0
		.amdhsa_exception_fp_ieee_underflow 0
		.amdhsa_exception_fp_ieee_inexact 0
		.amdhsa_exception_int_div_zero 0
	.end_amdhsa_kernel
	.section	.text._ZL20rocblas_gemvn_kernelILi64ELi4EiDF16_PKffEviiT3_lPKT2_lT1_lS5_lS6_lS2_lPT4_lS6_li,"axG",@progbits,_ZL20rocblas_gemvn_kernelILi64ELi4EiDF16_PKffEviiT3_lPKT2_lT1_lS5_lS6_lS2_lPT4_lS6_li,comdat
.Lfunc_end470:
	.size	_ZL20rocblas_gemvn_kernelILi64ELi4EiDF16_PKffEviiT3_lPKT2_lT1_lS5_lS6_lS2_lPT4_lS6_li, .Lfunc_end470-_ZL20rocblas_gemvn_kernelILi64ELi4EiDF16_PKffEviiT3_lPKT2_lT1_lS5_lS6_lS2_lPT4_lS6_li
                                        ; -- End function
	.section	.AMDGPU.csdata,"",@progbits
; Kernel info:
; codeLenInByte = 3088
; NumSgprs: 30
; NumVgprs: 45
; ScratchSize: 0
; MemoryBound: 0
; FloatMode: 240
; IeeeMode: 1
; LDSByteSize: 4096 bytes/workgroup (compile time only)
; SGPRBlocks: 3
; VGPRBlocks: 5
; NumSGPRsForWavesPerEU: 30
; NumVGPRsForWavesPerEU: 45
; Occupancy: 16
; WaveLimiterHint : 1
; COMPUTE_PGM_RSRC2:SCRATCH_EN: 0
; COMPUTE_PGM_RSRC2:USER_SGPR: 14
; COMPUTE_PGM_RSRC2:TRAP_HANDLER: 0
; COMPUTE_PGM_RSRC2:TGID_X_EN: 1
; COMPUTE_PGM_RSRC2:TGID_Y_EN: 0
; COMPUTE_PGM_RSRC2:TGID_Z_EN: 1
; COMPUTE_PGM_RSRC2:TIDIG_COMP_CNT: 1
	.section	.text._ZL20rocblas_gemvn_kernelILi64ELi4ElDF16_PKffEviiT3_lPKT2_lT1_lS5_lS6_lS2_lPT4_lS6_li,"axG",@progbits,_ZL20rocblas_gemvn_kernelILi64ELi4ElDF16_PKffEviiT3_lPKT2_lT1_lS5_lS6_lS2_lPT4_lS6_li,comdat
	.globl	_ZL20rocblas_gemvn_kernelILi64ELi4ElDF16_PKffEviiT3_lPKT2_lT1_lS5_lS6_lS2_lPT4_lS6_li ; -- Begin function _ZL20rocblas_gemvn_kernelILi64ELi4ElDF16_PKffEviiT3_lPKT2_lT1_lS5_lS6_lS2_lPT4_lS6_li
	.p2align	8
	.type	_ZL20rocblas_gemvn_kernelILi64ELi4ElDF16_PKffEviiT3_lPKT2_lT1_lS5_lS6_lS2_lPT4_lS6_li,@function
_ZL20rocblas_gemvn_kernelILi64ELi4ElDF16_PKffEviiT3_lPKT2_lT1_lS5_lS6_lS2_lPT4_lS6_li: ; @_ZL20rocblas_gemvn_kernelILi64ELi4ElDF16_PKffEviiT3_lPKT2_lT1_lS5_lS6_lS2_lPT4_lS6_li
; %bb.0:
	s_load_b64 s[2:3], s[0:1], 0x9c
	s_waitcnt lgkmcnt(0)
	s_lshr_b32 s4, s2, 16
	s_and_b32 s2, s2, 0xffff
	s_and_b32 s3, s3, 0xffff
	s_mul_i32 s2, s4, s2
	s_delay_alu instid0(SALU_CYCLE_1) | instskip(NEXT) | instid1(SALU_CYCLE_1)
	s_mul_i32 s2, s2, s3
	s_cmpk_lg_i32 s2, 0x100
	s_cbranch_scc1 .LBB471_50
; %bb.1:
	s_clause 0x1
	s_load_b512 s[36:51], s[0:1], 0x8
	s_load_b512 s[16:31], s[0:1], 0x48
	s_waitcnt lgkmcnt(0)
	s_mul_i32 s3, s15, s39
	s_mul_hi_u32 s4, s15, s38
	s_mul_i32 s2, s15, s38
	s_add_i32 s3, s4, s3
	s_mul_i32 s4, s15, s23
	s_lshl_b64 s[2:3], s[2:3], 2
	s_mul_hi_u32 s5, s15, s22
	s_add_u32 s2, s36, s2
	s_addc_u32 s3, s37, s3
	s_add_i32 s5, s5, s4
	s_mul_i32 s4, s15, s22
	s_mov_b32 s23, 0
	s_lshl_b64 s[4:5], s[4:5], 2
	s_delay_alu instid0(SALU_CYCLE_1)
	s_add_u32 s4, s20, s4
	s_addc_u32 s5, s21, s5
	s_load_b32 s22, s[2:3], 0x0
	s_load_b32 s21, s[4:5], 0x0
	s_waitcnt lgkmcnt(0)
	v_cmp_eq_f32_e64 s2, s22, 0
	v_cmp_eq_f32_e64 s3, s21, 1.0
	s_delay_alu instid0(VALU_DEP_1) | instskip(NEXT) | instid1(SALU_CYCLE_1)
	s_and_b32 s2, s2, s3
	s_and_b32 vcc_lo, exec_lo, s2
	s_cbranch_vccnz .LBB471_50
; %bb.2:
	s_load_b64 s[6:7], s[0:1], 0x0
	v_and_b32_e32 v12, 0x3ff, v0
	v_bfe_u32 v13, v0, 10, 10
	s_mul_i32 s2, s15, s31
	s_mul_hi_u32 s3, s15, s30
	s_mul_i32 s0, s15, s30
	s_add_i32 s1, s3, s2
	v_lshl_add_u32 v11, v13, 6, v12
	s_lshl_b64 s[0:1], s[0:1], 2
	v_cmp_neq_f32_e64 s4, s22, 0
	s_add_u32 s2, s24, s0
	s_addc_u32 s3, s25, s1
	s_lshl_b64 s[0:1], s[26:27], 2
	s_delay_alu instid0(SALU_CYCLE_1)
	s_add_u32 s5, s2, s0
	v_cmp_gt_u32_e64 s0, 0x100, v11
	s_addc_u32 s20, s3, s1
	s_and_b32 vcc_lo, exec_lo, s4
	s_cbranch_vccnz .LBB471_9
; %bb.3:
	s_mov_b32 s1, 0
                                        ; implicit-def: $vgpr1
                                        ; implicit-def: $vgpr2_vgpr3
	s_and_saveexec_b32 s2, s0
	s_cbranch_execz .LBB471_10
; %bb.4:
	v_lshl_or_b32 v0, s14, 8, v11
	v_mov_b32_e32 v1, 0
	s_waitcnt lgkmcnt(0)
	s_ashr_i32 s9, s6, 31
	s_mov_b32 s8, s6
	s_mov_b32 s3, 0
	s_mov_b32 s0, exec_lo
                                        ; implicit-def: $vgpr2_vgpr3
	v_cmpx_gt_i64_e64 s[8:9], v[0:1]
	s_cbranch_execz .LBB471_8
; %bb.5:
	v_mad_u64_u32 v[2:3], null, v0, s28, 0
	v_cmp_eq_f32_e64 s3, s21, 0
	s_delay_alu instid0(VALU_DEP_1) | instskip(NEXT) | instid1(VALU_DEP_2)
	s_and_b32 vcc_lo, exec_lo, s3
	v_mad_u64_u32 v[4:5], null, v0, s29, v[3:4]
	s_delay_alu instid0(VALU_DEP_1)
	v_mov_b32_e32 v3, v4
	s_cbranch_vccnz .LBB471_7
; %bb.6:
	s_delay_alu instid0(VALU_DEP_1) | instskip(NEXT) | instid1(VALU_DEP_1)
	v_lshlrev_b64 v[0:1], 2, v[2:3]
	v_add_co_u32 v0, vcc_lo, s5, v0
	s_delay_alu instid0(VALU_DEP_2)
	v_add_co_ci_u32_e32 v1, vcc_lo, s20, v1, vcc_lo
	global_load_b32 v0, v[0:1], off
	s_waitcnt vmcnt(0)
	v_mul_f32_e32 v1, s21, v0
.LBB471_7:
	s_mov_b32 s3, exec_lo
.LBB471_8:
	s_or_b32 exec_lo, exec_lo, s0
	s_delay_alu instid0(SALU_CYCLE_1) | instskip(SKIP_1) | instid1(SALU_CYCLE_1)
	s_and_b32 s23, s3, exec_lo
	s_or_b32 exec_lo, exec_lo, s2
	s_and_b32 vcc_lo, exec_lo, s1
	s_cbranch_vccnz .LBB471_11
	s_branch .LBB471_48
.LBB471_9:
                                        ; implicit-def: $vgpr1
                                        ; implicit-def: $vgpr2_vgpr3
	s_cbranch_execnz .LBB471_11
	s_branch .LBB471_48
.LBB471_10:
	s_or_b32 exec_lo, exec_lo, s2
	s_delay_alu instid0(SALU_CYCLE_1)
	s_and_b32 vcc_lo, exec_lo, s1
	s_cbranch_vccz .LBB471_48
.LBB471_11:
	s_mul_i32 s0, s15, s47
	s_mul_hi_u32 s1, s15, s46
	s_lshl_b32 s24, s14, 8
	s_add_i32 s9, s1, s0
	s_waitcnt lgkmcnt(0)
	s_ashr_i32 s1, s7, 31
	v_dual_mov_b32 v17, 0 :: v_dual_lshlrev_b32 v14, 2, v13
	s_lshr_b32 s1, s1, 28
	v_dual_mov_b32 v15, 0 :: v_dual_add_nc_u32 v0, s24, v12
	v_mov_b32_e32 v18, 0
	v_mov_b32_e32 v16, 0
	s_mul_i32 s0, s15, s19
	s_mul_hi_u32 s2, s15, s18
	s_add_i32 s1, s7, s1
	s_mul_i32 s8, s15, s46
	s_and_b32 s25, s1, -16
	s_add_i32 s11, s2, s0
	s_mul_i32 s10, s15, s18
	s_mov_b32 s26, exec_lo
	v_cmpx_gt_i32_e64 s25, v14
	s_cbranch_execz .LBB471_23
; %bb.12:
	v_lshlrev_b32_e32 v29, 2, v13
	v_mad_u64_u32 v[2:3], null, s16, v13, 0
	v_add_nc_u32_e32 v15, 64, v0
	s_lshl_b64 s[0:1], s[10:11], 1
	s_delay_alu instid0(VALU_DEP_3)
	v_or_b32_e32 v17, 3, v29
	s_lshl_b64 s[12:13], s[50:51], 1
	s_add_u32 s4, s48, s0
	s_addc_u32 s27, s49, s1
	v_cmp_gt_i32_e64 s0, s6, v15
	v_mad_u64_u32 v[4:5], null, s44, v17, 0
	s_lshl_b64 s[18:19], s[42:43], 1
	s_lshl_b64 s[14:15], s[16:17], 5
	;; [unrolled: 1-line block ×3, first 2 shown]
	v_ashrrev_i32_e32 v1, 31, v0
	v_cmp_gt_i32_e32 vcc_lo, s6, v0
	s_delay_alu instid0(VALU_DEP_3) | instskip(SKIP_3) | instid1(VALU_DEP_4)
	v_mad_u64_u32 v[6:7], null, s17, v13, v[3:4]
	v_add_nc_u32_e32 v16, 0x80, v0
	v_mad_u64_u32 v[7:8], null, s16, v17, 0
	v_add_nc_u32_e32 v18, 0xc0, v0
	v_mad_u64_u32 v[9:10], null, s45, v17, v[5:6]
	v_mov_b32_e32 v3, v6
	v_cmp_gt_i32_e64 s1, s6, v16
	s_delay_alu instid0(VALU_DEP_2)
	v_lshlrev_b64 v[15:16], 3, v[2:3]
	v_mov_b32_e32 v3, v8
	v_mov_b32_e32 v5, v9
	v_mad_u64_u32 v[9:10], null, s44, v13, 0
	v_cmp_gt_i32_e64 s2, s6, v18
	v_add_co_u32 v19, s3, s4, v15
	s_delay_alu instid0(VALU_DEP_4) | instskip(SKIP_4) | instid1(VALU_DEP_2)
	v_lshlrev_b64 v[4:5], 1, v[4:5]
	v_add_co_ci_u32_e64 v20, s3, s27, v16, s3
	s_add_u32 s3, s40, s18
	s_addc_u32 s18, s41, s19
	s_add_u32 s19, s3, s30
	v_mad_u64_u32 v[15:16], null, s17, v17, v[3:4]
	v_mov_b32_e32 v3, v10
	s_addc_u32 s18, s18, s31
	v_add_co_u32 v21, s3, s19, v4
	s_delay_alu instid0(VALU_DEP_1) | instskip(NEXT) | instid1(VALU_DEP_4)
	v_add_co_ci_u32_e64 v22, s3, s18, v5, s3
	v_mov_b32_e32 v8, v15
	v_or_b32_e32 v23, 2, v29
	v_mad_u64_u32 v[17:18], null, s45, v13, v[3:4]
	v_mad_u64_u32 v[31:32], null, s44, v29, s[44:45]
	s_delay_alu instid0(VALU_DEP_3)
	v_mad_u64_u32 v[15:16], null, s44, v23, 0
	v_lshlrev_b64 v[4:5], 1, v[7:8]
	v_mad_u64_u32 v[27:28], null, s16, v23, 0
	v_mov_b32_e32 v10, v17
	v_mad_u64_u32 v[17:18], null, s16, v29, s[16:17]
	v_mov_b32_e32 v3, v16
	v_lshlrev_b64 v[1:2], 1, v[0:1]
	v_mov_b32_e32 v6, v28
	s_delay_alu instid0(VALU_DEP_3) | instskip(SKIP_1) | instid1(VALU_DEP_2)
	v_mad_u64_u32 v[7:8], null, s45, v23, v[3:4]
	v_mov_b32_e32 v3, v18
	v_mad_u64_u32 v[25:26], null, s17, v23, v[6:7]
	v_add_co_u32 v23, s3, s4, v4
	s_delay_alu instid0(VALU_DEP_1) | instskip(SKIP_3) | instid1(VALU_DEP_3)
	v_add_co_ci_u32_e64 v24, s3, s27, v5, s3
	v_lshlrev_b64 v[4:5], 3, v[9:10]
	v_mov_b32_e32 v16, v7
	v_mov_b32_e32 v28, v25
	v_mad_u64_u32 v[6:7], null, s17, v29, v[3:4]
	v_add_co_u32 v25, s3, s19, v4
	s_delay_alu instid0(VALU_DEP_1) | instskip(SKIP_1) | instid1(VALU_DEP_4)
	v_add_co_ci_u32_e64 v26, s3, s18, v5, s3
	v_lshlrev_b64 v[4:5], 1, v[15:16]
	v_dual_mov_b32 v3, v32 :: v_dual_mov_b32 v18, v6
	v_dual_mov_b32 v16, 0 :: v_dual_mov_b32 v15, 0
	s_delay_alu instid0(VALU_DEP_2)
	v_mad_u64_u32 v[7:8], null, s45, v29, v[3:4]
	v_lshlrev_b64 v[8:9], 1, v[27:28]
	v_add_co_u32 v27, s3, s19, v4
	v_lshlrev_b64 v[3:4], 1, v[17:18]
	v_add_co_ci_u32_e64 v28, s3, s18, v5, s3
	v_mov_b32_e32 v32, v7
	v_add_co_u32 v29, s3, s4, v8
	s_delay_alu instid0(VALU_DEP_1) | instskip(NEXT) | instid1(VALU_DEP_3)
	v_add_co_ci_u32_e64 v30, s3, s27, v9, s3
	v_lshlrev_b64 v[5:6], 1, v[31:32]
	v_add_co_u32 v31, s3, s4, v3
	s_delay_alu instid0(VALU_DEP_1) | instskip(SKIP_1) | instid1(VALU_DEP_4)
	v_add_co_ci_u32_e64 v32, s3, s27, v4, s3
	v_dual_mov_b32 v18, 0 :: v_dual_mov_b32 v17, 0
	v_add_co_u32 v33, s3, s19, v5
	s_delay_alu instid0(VALU_DEP_1)
	v_add_co_ci_u32_e64 v34, s3, s18, v6, s3
	s_lshl_b64 s[18:19], s[44:45], 5
	s_mov_b32 s27, 0
	s_branch .LBB471_17
.LBB471_13:                             ;   in Loop: Header=BB471_17 Depth=1
	s_or_b32 exec_lo, exec_lo, s31
	s_waitcnt vmcnt(3)
	v_fma_mix_f32 v3, v47, v51, v16 op_sel_hi:[0,1,0]
	s_waitcnt vmcnt(2)
	s_delay_alu instid0(VALU_DEP_1) | instskip(SKIP_1) | instid1(VALU_DEP_1)
	v_fma_mix_f32 v3, v48, v52, v3 op_sel_hi:[0,1,0]
	s_waitcnt vmcnt(1)
	v_fma_mix_f32 v3, v49, v53, v3 op_sel_hi:[0,1,0]
	s_waitcnt vmcnt(0)
	s_delay_alu instid0(VALU_DEP_1)
	v_fma_mix_f32 v16, v50, v54, v3 op_sel_hi:[0,1,0]
.LBB471_14:                             ;   in Loop: Header=BB471_17 Depth=1
	s_or_b32 exec_lo, exec_lo, s30
	s_waitcnt vmcnt(3)
	v_fma_mix_f32 v3, v47, v43, v17 op_sel_hi:[0,1,0]
	s_waitcnt vmcnt(2)
	s_delay_alu instid0(VALU_DEP_1) | instskip(SKIP_1) | instid1(VALU_DEP_1)
	v_fma_mix_f32 v3, v48, v44, v3 op_sel_hi:[0,1,0]
	s_waitcnt vmcnt(1)
	v_fma_mix_f32 v3, v49, v45, v3 op_sel_hi:[0,1,0]
	s_waitcnt vmcnt(0)
	s_delay_alu instid0(VALU_DEP_1)
	v_fma_mix_f32 v17, v50, v46, v3 op_sel_hi:[0,1,0]
.LBB471_15:                             ;   in Loop: Header=BB471_17 Depth=1
	s_or_b32 exec_lo, exec_lo, s3
	s_waitcnt vmcnt(3)
	v_fma_mix_f32 v3, v35, v39, v18 op_sel_hi:[1,1,0]
	s_waitcnt vmcnt(2)
	s_delay_alu instid0(VALU_DEP_1) | instskip(SKIP_1) | instid1(VALU_DEP_1)
	v_fma_mix_f32 v3, v36, v40, v3 op_sel_hi:[1,1,0]
	s_waitcnt vmcnt(1)
	v_fma_mix_f32 v3, v37, v41, v3 op_sel_hi:[1,1,0]
	s_waitcnt vmcnt(0)
	s_delay_alu instid0(VALU_DEP_1)
	v_fma_mix_f32 v18, v38, v42, v3 op_sel_hi:[1,1,0]
.LBB471_16:                             ;   in Loop: Header=BB471_17 Depth=1
	s_or_b32 exec_lo, exec_lo, s4
	v_add_co_u32 v19, s3, v19, s14
	s_delay_alu instid0(VALU_DEP_1) | instskip(SKIP_1) | instid1(VALU_DEP_1)
	v_add_co_ci_u32_e64 v20, s3, s15, v20, s3
	v_add_co_u32 v21, s3, v21, s18
	v_add_co_ci_u32_e64 v22, s3, s19, v22, s3
	v_add_co_u32 v23, s3, v23, s14
	s_delay_alu instid0(VALU_DEP_1) | instskip(SKIP_1) | instid1(VALU_DEP_1)
	v_add_co_ci_u32_e64 v24, s3, s15, v24, s3
	v_add_co_u32 v25, s3, v25, s18
	v_add_co_ci_u32_e64 v26, s3, s19, v26, s3
	v_add_co_u32 v27, s3, v27, s18
	s_delay_alu instid0(VALU_DEP_1) | instskip(SKIP_4) | instid1(VALU_DEP_1)
	v_add_co_ci_u32_e64 v28, s3, s19, v28, s3
	v_add_co_u32 v29, s3, v29, s14
	v_add_nc_u32_e32 v14, 16, v14
	v_add_co_ci_u32_e64 v30, s3, s15, v30, s3
	v_add_co_u32 v31, s3, v31, s14
	v_add_co_ci_u32_e64 v32, s3, s15, v32, s3
	s_delay_alu instid0(VALU_DEP_4) | instskip(SKIP_1) | instid1(VALU_DEP_1)
	v_cmp_le_i32_e64 s3, s25, v14
	v_add_co_u32 v33, s4, v33, s18
	v_add_co_ci_u32_e64 v34, s4, s19, v34, s4
	s_delay_alu instid0(VALU_DEP_3) | instskip(NEXT) | instid1(SALU_CYCLE_1)
	s_or_b32 s27, s3, s27
	s_and_not1_b32 exec_lo, exec_lo, s27
	s_cbranch_execz .LBB471_22
.LBB471_17:                             ; =>This Inner Loop Header: Depth=1
	s_and_saveexec_b32 s4, vcc_lo
	s_cbranch_execz .LBB471_16
; %bb.18:                               ;   in Loop: Header=BB471_17 Depth=1
	v_add_co_u32 v3, s3, v19, s12
	s_delay_alu instid0(VALU_DEP_1) | instskip(SKIP_1) | instid1(VALU_DEP_1)
	v_add_co_ci_u32_e64 v4, s3, s13, v20, s3
	v_add_co_u32 v5, s3, v31, s12
	v_add_co_ci_u32_e64 v6, s3, s13, v32, s3
	v_add_co_u32 v7, s3, v29, s12
	s_delay_alu instid0(VALU_DEP_1) | instskip(SKIP_1) | instid1(VALU_DEP_1)
	v_add_co_ci_u32_e64 v8, s3, s13, v30, s3
	v_add_co_u32 v38, s3, v23, s12
	v_add_co_ci_u32_e64 v39, s3, s13, v24, s3
	global_load_u16 v35, v[3:4], off
	global_load_u16 v36, v[5:6], off
	;; [unrolled: 1-line block ×3, first 2 shown]
	v_add_co_u32 v3, s3, v25, v1
	s_delay_alu instid0(VALU_DEP_1) | instskip(SKIP_1) | instid1(VALU_DEP_1)
	v_add_co_ci_u32_e64 v4, s3, v26, v2, s3
	v_add_co_u32 v5, s3, v33, v1
	v_add_co_ci_u32_e64 v6, s3, v34, v2, s3
	v_add_co_u32 v7, s3, v27, v1
	s_delay_alu instid0(VALU_DEP_1) | instskip(SKIP_1) | instid1(VALU_DEP_1)
	v_add_co_ci_u32_e64 v8, s3, v28, v2, s3
	v_add_co_u32 v9, s3, v21, v1
	v_add_co_ci_u32_e64 v10, s3, v22, v2, s3
	global_load_u16 v38, v[38:39], off
	global_load_u16 v39, v[3:4], off
	;; [unrolled: 1-line block ×5, first 2 shown]
	s_and_saveexec_b32 s3, s0
	s_cbranch_execz .LBB471_15
; %bb.19:                               ;   in Loop: Header=BB471_17 Depth=1
	global_load_u16 v43, v[3:4], off offset:128
	global_load_u16 v44, v[5:6], off offset:128
	;; [unrolled: 1-line block ×4, first 2 shown]
	s_waitcnt vmcnt(11)
	v_cvt_f32_f16_e32 v47, v35
	s_waitcnt vmcnt(10)
	v_cvt_f32_f16_e32 v48, v36
	;; [unrolled: 2-line block ×4, first 2 shown]
	s_and_saveexec_b32 s30, s1
	s_cbranch_execz .LBB471_14
; %bb.20:                               ;   in Loop: Header=BB471_17 Depth=1
	global_load_u16 v51, v[3:4], off offset:256
	global_load_u16 v52, v[5:6], off offset:256
	;; [unrolled: 1-line block ×4, first 2 shown]
	s_and_saveexec_b32 s31, s2
	s_cbranch_execz .LBB471_13
; %bb.21:                               ;   in Loop: Header=BB471_17 Depth=1
	global_load_u16 v3, v[3:4], off offset:384
	global_load_u16 v4, v[5:6], off offset:384
	;; [unrolled: 1-line block ×4, first 2 shown]
	s_waitcnt vmcnt(3)
	v_fma_mix_f32 v3, v47, v3, v15 op_sel_hi:[0,1,0]
	s_waitcnt vmcnt(2)
	s_delay_alu instid0(VALU_DEP_1) | instskip(SKIP_1) | instid1(VALU_DEP_1)
	v_fma_mix_f32 v3, v48, v4, v3 op_sel_hi:[0,1,0]
	s_waitcnt vmcnt(1)
	v_fma_mix_f32 v3, v49, v5, v3 op_sel_hi:[0,1,0]
	s_waitcnt vmcnt(0)
	s_delay_alu instid0(VALU_DEP_1)
	v_fma_mix_f32 v15, v50, v6, v3 op_sel_hi:[0,1,0]
	s_branch .LBB471_13
.LBB471_22:
	s_or_b32 exec_lo, exec_lo, s27
.LBB471_23:
	s_delay_alu instid0(SALU_CYCLE_1) | instskip(SKIP_1) | instid1(SALU_CYCLE_1)
	s_or_b32 exec_lo, exec_lo, s26
	s_sub_i32 s0, s7, s25
	s_cmp_lt_i32 s0, 1
	s_cbranch_scc1 .LBB471_41
; %bb.24:
	v_cmp_gt_i32_e32 vcc_lo, s7, v14
	v_dual_mov_b32 v9, 0 :: v_dual_mov_b32 v10, 0
	v_or_b32_e32 v2, 1, v14
	v_dual_mov_b32 v19, 0 :: v_dual_mov_b32 v20, 0
	s_and_saveexec_b32 s1, vcc_lo
	s_cbranch_execz .LBB471_32
; %bb.25:
	v_mad_u64_u32 v[3:4], null, v14, s16, 0
	s_lshl_b64 s[2:3], s[10:11], 1
	v_mov_b32_e32 v19, 0
	s_add_u32 s0, s48, s2
	s_addc_u32 s2, s49, s3
	s_lshl_b64 s[10:11], s[50:51], 1
	v_mov_b32_e32 v9, 0
	s_delay_alu instid0(VALU_DEP_3) | instskip(SKIP_3) | instid1(VALU_DEP_1)
	v_dual_mov_b32 v1, v4 :: v_dual_mov_b32 v10, 0
	s_add_u32 s3, s0, s10
	s_addc_u32 s4, s2, s11
	s_mov_b32 s2, exec_lo
	v_mad_u64_u32 v[4:5], null, v14, s17, v[1:2]
	s_delay_alu instid0(VALU_DEP_1) | instskip(NEXT) | instid1(VALU_DEP_1)
	v_lshlrev_b64 v[3:4], 1, v[3:4]
	v_add_co_u32 v3, s0, s3, v3
	s_delay_alu instid0(VALU_DEP_1)
	v_add_co_ci_u32_e64 v4, s0, s4, v4, s0
	global_load_u16 v1, v[3:4], off
	v_cmpx_gt_i32_e64 s7, v2
	s_cbranch_execz .LBB471_31
; %bb.26:
	v_mad_u64_u32 v[3:4], null, v2, s16, 0
	v_mov_b32_e32 v10, 0
	s_mov_b32 s10, exec_lo
	v_mov_b32_e32 v9, 0
	s_delay_alu instid0(VALU_DEP_3) | instskip(NEXT) | instid1(VALU_DEP_1)
	v_mad_u64_u32 v[5:6], null, v2, s17, v[4:5]
	v_mov_b32_e32 v4, v5
	s_delay_alu instid0(VALU_DEP_1) | instskip(NEXT) | instid1(VALU_DEP_1)
	v_lshlrev_b64 v[3:4], 1, v[3:4]
	v_add_co_u32 v3, s0, s3, v3
	s_delay_alu instid0(VALU_DEP_1) | instskip(SKIP_2) | instid1(VALU_DEP_1)
	v_add_co_ci_u32_e64 v4, s0, s4, v4, s0
	global_load_u16 v3, v[3:4], off
	v_or_b32_e32 v4, 2, v14
	v_cmpx_gt_i32_e64 s7, v4
	s_cbranch_execz .LBB471_30
; %bb.27:
	v_mad_u64_u32 v[5:6], null, v4, s16, 0
	s_mov_b32 s11, exec_lo
	v_mov_b32_e32 v9, 0
	s_delay_alu instid0(VALU_DEP_2) | instskip(NEXT) | instid1(VALU_DEP_1)
	v_mad_u64_u32 v[7:8], null, v4, s17, v[6:7]
	v_mov_b32_e32 v6, v7
	s_delay_alu instid0(VALU_DEP_1) | instskip(NEXT) | instid1(VALU_DEP_1)
	v_lshlrev_b64 v[4:5], 1, v[5:6]
	v_add_co_u32 v4, s0, s3, v4
	s_delay_alu instid0(VALU_DEP_1) | instskip(SKIP_2) | instid1(VALU_DEP_1)
	v_add_co_ci_u32_e64 v5, s0, s4, v5, s0
	global_load_u16 v4, v[4:5], off
	v_or_b32_e32 v5, 3, v14
	v_cmpx_gt_i32_e64 s7, v5
	s_cbranch_execz .LBB471_29
; %bb.28:
	v_mad_u64_u32 v[6:7], null, v5, s16, 0
	s_delay_alu instid0(VALU_DEP_1) | instskip(NEXT) | instid1(VALU_DEP_1)
	v_mad_u64_u32 v[8:9], null, v5, s17, v[7:8]
	v_mov_b32_e32 v7, v8
	s_delay_alu instid0(VALU_DEP_1) | instskip(NEXT) | instid1(VALU_DEP_1)
	v_lshlrev_b64 v[5:6], 1, v[6:7]
	v_add_co_u32 v5, s0, s3, v5
	s_delay_alu instid0(VALU_DEP_1)
	v_add_co_ci_u32_e64 v6, s0, s4, v6, s0
	global_load_u16 v5, v[5:6], off
	s_waitcnt vmcnt(0)
	v_cvt_f32_f16_e32 v9, v5
.LBB471_29:
	s_or_b32 exec_lo, exec_lo, s11
	s_waitcnt vmcnt(0)
	v_cvt_f32_f16_e32 v10, v4
.LBB471_30:
	s_or_b32 exec_lo, exec_lo, s10
	s_waitcnt vmcnt(0)
	v_cvt_f32_f16_e32 v19, v3
.LBB471_31:
	s_or_b32 exec_lo, exec_lo, s2
	s_waitcnt vmcnt(0)
	v_cvt_f32_f16_e32 v20, v1
.LBB471_32:
	s_or_b32 exec_lo, exec_lo, s1
	s_delay_alu instid0(SALU_CYCLE_1)
	s_mov_b32 s1, exec_lo
	v_cmpx_gt_i32_e64 s6, v0
	s_cbranch_execz .LBB471_40
; %bb.33:
	v_mad_u64_u32 v[3:4], null, v14, s44, 0
	v_mad_u64_u32 v[5:6], null, v2, s44, 0
	v_ashrrev_i32_e32 v1, 31, v0
	s_lshl_b64 s[2:3], s[8:9], 1
	v_or_b32_e32 v28, 2, v14
	s_add_u32 s0, s40, s2
	s_delay_alu instid0(VALU_DEP_4)
	v_cndmask_b32_e32 v3, 0, v3, vcc_lo
	v_lshlrev_b64 v[21:22], 1, v[0:1]
	v_mad_u64_u32 v[7:8], null, v14, s45, v[4:5]
	s_addc_u32 s4, s41, s3
	s_lshl_b64 s[2:3], s[42:43], 1
	v_or_b32_e32 v14, 3, v14
	s_add_u32 s2, s0, s2
	v_mov_b32_e32 v1, v6
	v_mad_u64_u32 v[23:24], null, v28, s44, 0
	s_delay_alu instid0(VALU_DEP_4) | instskip(SKIP_1) | instid1(VALU_DEP_4)
	v_cndmask_b32_e32 v4, 0, v7, vcc_lo
	v_cmp_gt_i32_e32 vcc_lo, s7, v2
	v_mad_u64_u32 v[25:26], null, v2, s45, v[1:2]
	s_addc_u32 s3, s4, s3
	v_mad_u64_u32 v[6:7], null, v14, s44, 0
	v_cndmask_b32_e32 v26, 0, v5, vcc_lo
	v_lshlrev_b64 v[3:4], 1, v[3:4]
	s_delay_alu instid0(VALU_DEP_4) | instskip(NEXT) | instid1(VALU_DEP_2)
	v_cndmask_b32_e32 v27, 0, v25, vcc_lo
	v_add_co_u32 v1, s0, s2, v3
	s_delay_alu instid0(VALU_DEP_1) | instskip(NEXT) | instid1(VALU_DEP_3)
	v_add_co_ci_u32_e64 v2, s0, s3, v4, s0
	v_lshlrev_b64 v[3:4], 1, v[26:27]
	s_delay_alu instid0(VALU_DEP_3) | instskip(NEXT) | instid1(VALU_DEP_3)
	v_add_co_u32 v1, vcc_lo, v1, v21
	v_add_co_ci_u32_e32 v2, vcc_lo, v2, v22, vcc_lo
	v_cmp_gt_i32_e32 vcc_lo, s7, v28
	v_mov_b32_e32 v5, v24
	v_add_co_u32 v3, s0, s2, v3
	s_delay_alu instid0(VALU_DEP_1) | instskip(NEXT) | instid1(VALU_DEP_3)
	v_add_co_ci_u32_e64 v4, s0, s3, v4, s0
	v_mad_u64_u32 v[24:25], null, v28, s45, v[5:6]
	v_mov_b32_e32 v5, v7
	v_cndmask_b32_e32 v7, 0, v23, vcc_lo
	s_mov_b32 s0, exec_lo
	s_delay_alu instid0(VALU_DEP_3) | instskip(NEXT) | instid1(VALU_DEP_3)
	v_cndmask_b32_e32 v8, 0, v24, vcc_lo
	v_mad_u64_u32 v[23:24], null, v14, s45, v[5:6]
	v_add_co_u32 v3, vcc_lo, v3, v21
	v_add_co_ci_u32_e32 v4, vcc_lo, v4, v22, vcc_lo
	v_cmp_gt_i32_e32 vcc_lo, s7, v14
	v_lshlrev_b64 v[7:8], 1, v[7:8]
	s_clause 0x1
	global_load_u16 v24, v[1:2], off
	global_load_u16 v25, v[3:4], off
	v_dual_cndmask_b32 v5, 0, v6 :: v_dual_cndmask_b32 v6, 0, v23
	v_add_co_u32 v14, vcc_lo, s2, v7
	v_add_co_ci_u32_e32 v23, vcc_lo, s3, v8, vcc_lo
	s_delay_alu instid0(VALU_DEP_3) | instskip(NEXT) | instid1(VALU_DEP_3)
	v_lshlrev_b64 v[7:8], 1, v[5:6]
	v_add_co_u32 v5, vcc_lo, v14, v21
	s_delay_alu instid0(VALU_DEP_3) | instskip(NEXT) | instid1(VALU_DEP_3)
	v_add_co_ci_u32_e32 v6, vcc_lo, v23, v22, vcc_lo
	v_add_co_u32 v7, vcc_lo, s2, v7
	s_delay_alu instid0(VALU_DEP_4)
	v_add_co_ci_u32_e32 v8, vcc_lo, s3, v8, vcc_lo
	global_load_u16 v23, v[5:6], off
	v_add_co_u32 v7, vcc_lo, v7, v21
	v_add_co_ci_u32_e32 v8, vcc_lo, v8, v22, vcc_lo
	v_add_nc_u32_e32 v21, 64, v0
	global_load_u16 v14, v[7:8], off
	s_waitcnt vmcnt(3)
	v_fma_mix_f32 v18, v20, v24, v18 op_sel_hi:[0,1,0]
	s_waitcnt vmcnt(2)
	s_delay_alu instid0(VALU_DEP_1) | instskip(SKIP_1) | instid1(VALU_DEP_1)
	v_fma_mix_f32 v18, v19, v25, v18 op_sel_hi:[0,1,0]
	s_waitcnt vmcnt(1)
	v_fma_mix_f32 v18, v10, v23, v18 op_sel_hi:[0,1,0]
	v_cmpx_gt_i32_e64 s6, v21
	s_cbranch_execz .LBB471_39
; %bb.34:
	s_clause 0x3
	global_load_u16 v22, v[1:2], off offset:128
	global_load_u16 v23, v[3:4], off offset:128
	;; [unrolled: 1-line block ×4, first 2 shown]
	s_mov_b32 s2, exec_lo
	s_waitcnt vmcnt(3)
	v_fma_mix_f32 v17, v20, v22, v17 op_sel_hi:[0,1,0]
	v_add_nc_u32_e32 v22, 0x80, v0
	s_waitcnt vmcnt(2)
	s_delay_alu instid0(VALU_DEP_2) | instskip(SKIP_1) | instid1(VALU_DEP_1)
	v_fma_mix_f32 v17, v19, v23, v17 op_sel_hi:[0,1,0]
	s_waitcnt vmcnt(1)
	v_fma_mix_f32 v17, v10, v24, v17 op_sel_hi:[0,1,0]
	v_cmpx_gt_i32_e64 s6, v22
	s_cbranch_execz .LBB471_38
; %bb.35:
	s_clause 0x3
	global_load_u16 v23, v[1:2], off offset:256
	global_load_u16 v24, v[3:4], off offset:256
	;; [unrolled: 1-line block ×4, first 2 shown]
	s_mov_b32 s3, exec_lo
	s_waitcnt vmcnt(3)
	v_fma_mix_f32 v16, v20, v23, v16 op_sel_hi:[0,1,0]
	v_add_nc_u32_e32 v23, 0xc0, v0
	s_waitcnt vmcnt(2)
	s_delay_alu instid0(VALU_DEP_2) | instskip(SKIP_1) | instid1(VALU_DEP_1)
	v_fma_mix_f32 v16, v19, v24, v16 op_sel_hi:[0,1,0]
	s_waitcnt vmcnt(1)
	v_fma_mix_f32 v0, v10, v25, v16 op_sel_hi:[0,1,0]
	v_cmpx_gt_i32_e64 s6, v23
	s_cbranch_execz .LBB471_37
; %bb.36:
	s_clause 0x3
	global_load_u16 v1, v[1:2], off offset:384
	global_load_u16 v2, v[3:4], off offset:384
	;; [unrolled: 1-line block ×4, first 2 shown]
	s_waitcnt vmcnt(3)
	v_fma_mix_f32 v1, v20, v1, v15 op_sel_hi:[0,1,0]
	s_waitcnt vmcnt(2)
	s_delay_alu instid0(VALU_DEP_1) | instskip(SKIP_1) | instid1(VALU_DEP_1)
	v_fma_mix_f32 v1, v19, v2, v1 op_sel_hi:[0,1,0]
	s_waitcnt vmcnt(1)
	v_fma_mix_f32 v1, v10, v3, v1 op_sel_hi:[0,1,0]
	s_waitcnt vmcnt(0)
	s_delay_alu instid0(VALU_DEP_1)
	v_fma_mix_f32 v15, v9, v4, v1 op_sel_hi:[0,1,0]
.LBB471_37:
	s_or_b32 exec_lo, exec_lo, s3
	s_waitcnt vmcnt(0)
	v_fma_mix_f32 v16, v9, v22, v0 op_sel_hi:[0,1,0]
.LBB471_38:
	s_or_b32 exec_lo, exec_lo, s2
	s_waitcnt vmcnt(0)
	v_fma_mix_f32 v17, v9, v21, v17 op_sel_hi:[0,1,0]
.LBB471_39:
	s_or_b32 exec_lo, exec_lo, s0
	s_waitcnt vmcnt(0)
	v_fma_mix_f32 v18, v9, v14, v18 op_sel_hi:[0,1,0]
.LBB471_40:
	s_or_b32 exec_lo, exec_lo, s1
.LBB471_41:
	v_lshlrev_b32_e32 v0, 8, v13
	s_mov_b32 s0, exec_lo
                                        ; implicit-def: $vgpr1
                                        ; implicit-def: $vgpr2_vgpr3
	s_delay_alu instid0(VALU_DEP_1)
	v_add_lshl_u32 v0, v0, v12, 2
	ds_store_2addr_stride64_b32 v0, v18, v17 offset1:1
	ds_store_2addr_stride64_b32 v0, v16, v15 offset0:2 offset1:3
	s_waitcnt lgkmcnt(0)
	s_barrier
	buffer_gl0_inv
	v_cmpx_gt_u32_e32 0x100, v11
	s_cbranch_execz .LBB471_47
; %bb.42:
	v_lshlrev_b32_e32 v5, 2, v11
	v_or_b32_e32 v4, s24, v11
	s_mov_b32 s2, s23
	s_mov_b32 s1, exec_lo
	ds_load_2addr_stride64_b32 v[0:1], v5 offset1:4
	ds_load_2addr_stride64_b32 v[2:3], v5 offset0:8 offset1:12
	s_waitcnt lgkmcnt(1)
	v_add_f32_e32 v0, v0, v1
                                        ; implicit-def: $vgpr1
	s_waitcnt lgkmcnt(0)
	s_delay_alu instid0(VALU_DEP_1) | instskip(NEXT) | instid1(VALU_DEP_1)
	v_add_f32_e32 v0, v2, v0
	v_add_f32_e32 v0, v3, v0
                                        ; implicit-def: $vgpr2_vgpr3
	ds_store_b32 v5, v0
	v_cmpx_gt_i32_e64 s6, v4
	s_cbranch_execz .LBB471_46
; %bb.43:
	v_ashrrev_i32_e32 v1, 31, v4
	v_mul_lo_u32 v5, v4, s29
	v_mad_u64_u32 v[2:3], null, v4, s28, 0
	v_cmp_eq_f32_e64 s2, s21, 0
	s_delay_alu instid0(VALU_DEP_4) | instskip(SKIP_1) | instid1(VALU_DEP_3)
	v_mul_lo_u32 v4, v1, s28
	v_mul_f32_e32 v1, s22, v0
	s_and_b32 vcc_lo, exec_lo, s2
	s_delay_alu instid0(VALU_DEP_2)
	v_add3_u32 v3, v3, v5, v4
	s_cbranch_vccnz .LBB471_45
; %bb.44:
	s_delay_alu instid0(VALU_DEP_1) | instskip(NEXT) | instid1(VALU_DEP_1)
	v_lshlrev_b64 v[4:5], 2, v[2:3]
	v_add_co_u32 v4, vcc_lo, s5, v4
	s_delay_alu instid0(VALU_DEP_2)
	v_add_co_ci_u32_e32 v5, vcc_lo, s20, v5, vcc_lo
	global_load_b32 v0, v[4:5], off
	s_waitcnt vmcnt(0)
	v_fmac_f32_e32 v1, s21, v0
.LBB471_45:
	s_or_b32 s2, s23, exec_lo
.LBB471_46:
	s_or_b32 exec_lo, exec_lo, s1
	s_delay_alu instid0(SALU_CYCLE_1) | instskip(SKIP_1) | instid1(SALU_CYCLE_1)
	s_and_not1_b32 s1, s23, exec_lo
	s_and_b32 s2, s2, exec_lo
	s_or_b32 s23, s1, s2
.LBB471_47:
	s_or_b32 exec_lo, exec_lo, s0
.LBB471_48:
	s_and_saveexec_b32 s0, s23
	s_cbranch_execz .LBB471_50
; %bb.49:
	v_lshlrev_b64 v[2:3], 2, v[2:3]
	s_delay_alu instid0(VALU_DEP_1) | instskip(NEXT) | instid1(VALU_DEP_2)
	v_add_co_u32 v2, vcc_lo, s5, v2
	v_add_co_ci_u32_e32 v3, vcc_lo, s20, v3, vcc_lo
	global_store_b32 v[2:3], v1, off
.LBB471_50:
	s_nop 0
	s_sendmsg sendmsg(MSG_DEALLOC_VGPRS)
	s_endpgm
	.section	.rodata,"a",@progbits
	.p2align	6, 0x0
	.amdhsa_kernel _ZL20rocblas_gemvn_kernelILi64ELi4ElDF16_PKffEviiT3_lPKT2_lT1_lS5_lS6_lS2_lPT4_lS6_li
		.amdhsa_group_segment_fixed_size 4096
		.amdhsa_private_segment_fixed_size 0
		.amdhsa_kernarg_size 400
		.amdhsa_user_sgpr_count 14
		.amdhsa_user_sgpr_dispatch_ptr 0
		.amdhsa_user_sgpr_queue_ptr 0
		.amdhsa_user_sgpr_kernarg_segment_ptr 1
		.amdhsa_user_sgpr_dispatch_id 0
		.amdhsa_user_sgpr_private_segment_size 0
		.amdhsa_wavefront_size32 1
		.amdhsa_uses_dynamic_stack 0
		.amdhsa_enable_private_segment 0
		.amdhsa_system_sgpr_workgroup_id_x 1
		.amdhsa_system_sgpr_workgroup_id_y 0
		.amdhsa_system_sgpr_workgroup_id_z 1
		.amdhsa_system_sgpr_workgroup_info 0
		.amdhsa_system_vgpr_workitem_id 1
		.amdhsa_next_free_vgpr 55
		.amdhsa_next_free_sgpr 52
		.amdhsa_reserve_vcc 1
		.amdhsa_float_round_mode_32 0
		.amdhsa_float_round_mode_16_64 0
		.amdhsa_float_denorm_mode_32 3
		.amdhsa_float_denorm_mode_16_64 3
		.amdhsa_dx10_clamp 1
		.amdhsa_ieee_mode 1
		.amdhsa_fp16_overflow 0
		.amdhsa_workgroup_processor_mode 1
		.amdhsa_memory_ordered 1
		.amdhsa_forward_progress 0
		.amdhsa_shared_vgpr_count 0
		.amdhsa_exception_fp_ieee_invalid_op 0
		.amdhsa_exception_fp_denorm_src 0
		.amdhsa_exception_fp_ieee_div_zero 0
		.amdhsa_exception_fp_ieee_overflow 0
		.amdhsa_exception_fp_ieee_underflow 0
		.amdhsa_exception_fp_ieee_inexact 0
		.amdhsa_exception_int_div_zero 0
	.end_amdhsa_kernel
	.section	.text._ZL20rocblas_gemvn_kernelILi64ELi4ElDF16_PKffEviiT3_lPKT2_lT1_lS5_lS6_lS2_lPT4_lS6_li,"axG",@progbits,_ZL20rocblas_gemvn_kernelILi64ELi4ElDF16_PKffEviiT3_lPKT2_lT1_lS5_lS6_lS2_lPT4_lS6_li,comdat
.Lfunc_end471:
	.size	_ZL20rocblas_gemvn_kernelILi64ELi4ElDF16_PKffEviiT3_lPKT2_lT1_lS5_lS6_lS2_lPT4_lS6_li, .Lfunc_end471-_ZL20rocblas_gemvn_kernelILi64ELi4ElDF16_PKffEviiT3_lPKT2_lT1_lS5_lS6_lS2_lPT4_lS6_li
                                        ; -- End function
	.section	.AMDGPU.csdata,"",@progbits
; Kernel info:
; codeLenInByte = 3540
; NumSgprs: 54
; NumVgprs: 55
; ScratchSize: 0
; MemoryBound: 0
; FloatMode: 240
; IeeeMode: 1
; LDSByteSize: 4096 bytes/workgroup (compile time only)
; SGPRBlocks: 6
; VGPRBlocks: 6
; NumSGPRsForWavesPerEU: 54
; NumVGPRsForWavesPerEU: 55
; Occupancy: 16
; WaveLimiterHint : 0
; COMPUTE_PGM_RSRC2:SCRATCH_EN: 0
; COMPUTE_PGM_RSRC2:USER_SGPR: 14
; COMPUTE_PGM_RSRC2:TRAP_HANDLER: 0
; COMPUTE_PGM_RSRC2:TGID_X_EN: 1
; COMPUTE_PGM_RSRC2:TGID_Y_EN: 0
; COMPUTE_PGM_RSRC2:TGID_Z_EN: 1
; COMPUTE_PGM_RSRC2:TIDIG_COMP_CNT: 1
	.section	.text._ZL20rocblas_gemvn_kernelILi64ELi4EiDF16_ffEviiT3_lPKT2_lT1_lS3_lS4_lS0_lPT4_lS4_li,"axG",@progbits,_ZL20rocblas_gemvn_kernelILi64ELi4EiDF16_ffEviiT3_lPKT2_lT1_lS3_lS4_lS0_lPT4_lS4_li,comdat
	.globl	_ZL20rocblas_gemvn_kernelILi64ELi4EiDF16_ffEviiT3_lPKT2_lT1_lS3_lS4_lS0_lPT4_lS4_li ; -- Begin function _ZL20rocblas_gemvn_kernelILi64ELi4EiDF16_ffEviiT3_lPKT2_lT1_lS3_lS4_lS0_lPT4_lS4_li
	.p2align	8
	.type	_ZL20rocblas_gemvn_kernelILi64ELi4EiDF16_ffEviiT3_lPKT2_lT1_lS3_lS4_lS0_lPT4_lS4_li,@function
_ZL20rocblas_gemvn_kernelILi64ELi4EiDF16_ffEviiT3_lPKT2_lT1_lS3_lS4_lS0_lPT4_lS4_li: ; @_ZL20rocblas_gemvn_kernelILi64ELi4EiDF16_ffEviiT3_lPKT2_lT1_lS3_lS4_lS0_lPT4_lS4_li
; %bb.0:
	s_load_b64 s[2:3], s[0:1], 0x9c
	s_waitcnt lgkmcnt(0)
	s_lshr_b32 s4, s2, 16
	s_and_b32 s2, s2, 0xffff
	s_and_b32 s3, s3, 0xffff
	s_mul_i32 s2, s4, s2
	s_delay_alu instid0(SALU_CYCLE_1) | instskip(NEXT) | instid1(SALU_CYCLE_1)
	s_mul_i32 s2, s2, s3
	s_cmpk_lg_i32 s2, 0x100
	s_cbranch_scc1 .LBB472_50
; %bb.1:
	s_clause 0x1
	s_load_b128 s[4:7], s[0:1], 0x0
	s_load_b32 s13, s[0:1], 0x58
	s_mov_b32 s16, 0
	s_waitcnt lgkmcnt(0)
	v_cmp_eq_f32_e64 s2, s6, 0
	v_cmp_eq_f32_e64 s3, s13, 1.0
	s_delay_alu instid0(VALU_DEP_1) | instskip(NEXT) | instid1(SALU_CYCLE_1)
	s_and_b32 s2, s2, s3
	s_and_b32 vcc_lo, exec_lo, s2
	s_cbranch_vccnz .LBB472_50
; %bb.2:
	s_clause 0x2
	s_load_b64 s[2:3], s[0:1], 0x80
	s_load_b128 s[8:11], s[0:1], 0x68
	s_load_b32 s17, s[0:1], 0x78
	v_and_b32_e32 v1, 0x3ff, v0
	v_bfe_u32 v13, v0, 10, 10
	v_cmp_neq_f32_e64 s18, s6, 0
	s_delay_alu instid0(VALU_DEP_2)
	v_lshl_add_u32 v0, v13, 6, v1
	s_waitcnt lgkmcnt(0)
	s_mul_i32 s3, s15, s3
	s_mul_hi_u32 s7, s15, s2
	s_mul_i32 s2, s15, s2
	s_add_i32 s3, s7, s3
	s_delay_alu instid0(SALU_CYCLE_1) | instskip(NEXT) | instid1(SALU_CYCLE_1)
	s_lshl_b64 s[2:3], s[2:3], 2
	s_add_u32 s7, s8, s2
	s_addc_u32 s8, s9, s3
	s_lshl_b64 s[2:3], s[10:11], 2
	s_delay_alu instid0(SALU_CYCLE_1)
	s_add_u32 s7, s7, s2
	v_cmp_gt_u32_e64 s2, 0x100, v0
	s_addc_u32 s12, s8, s3
	s_and_b32 vcc_lo, exec_lo, s18
	s_cbranch_vccnz .LBB472_9
; %bb.3:
	s_mov_b32 s3, 0
                                        ; implicit-def: $vgpr3
                                        ; implicit-def: $vgpr4_vgpr5
	s_and_saveexec_b32 s8, s2
	s_cbranch_execz .LBB472_10
; %bb.4:
	v_lshl_or_b32 v2, s14, 8, v0
	v_mov_b32_e32 v3, 0
	s_ashr_i32 s11, s4, 31
	s_mov_b32 s10, s4
	s_mov_b32 s9, 0
	s_mov_b32 s2, exec_lo
                                        ; implicit-def: $vgpr4_vgpr5
	v_cmpx_gt_i64_e64 s[10:11], v[2:3]
	s_cbranch_execz .LBB472_8
; %bb.5:
	v_mad_u64_u32 v[4:5], null, s17, v2, 0
	s_ashr_i32 s9, s17, 31
	s_delay_alu instid0(VALU_DEP_1) | instid1(SALU_CYCLE_1)
	v_mad_u64_u32 v[6:7], null, s9, v2, v[5:6]
	v_cmp_eq_f32_e64 s9, s13, 0
	s_delay_alu instid0(VALU_DEP_1) | instskip(NEXT) | instid1(VALU_DEP_2)
	s_and_b32 vcc_lo, exec_lo, s9
	v_mov_b32_e32 v5, v6
	s_cbranch_vccnz .LBB472_7
; %bb.6:
	s_delay_alu instid0(VALU_DEP_1) | instskip(NEXT) | instid1(VALU_DEP_1)
	v_lshlrev_b64 v[2:3], 2, v[4:5]
	v_add_co_u32 v2, vcc_lo, s7, v2
	s_delay_alu instid0(VALU_DEP_2)
	v_add_co_ci_u32_e32 v3, vcc_lo, s12, v3, vcc_lo
	global_load_b32 v2, v[2:3], off
	s_waitcnt vmcnt(0)
	v_mul_f32_e32 v3, s13, v2
.LBB472_7:
	s_mov_b32 s9, exec_lo
.LBB472_8:
	s_or_b32 exec_lo, exec_lo, s2
	s_delay_alu instid0(SALU_CYCLE_1) | instskip(SKIP_1) | instid1(SALU_CYCLE_1)
	s_and_b32 s16, s9, exec_lo
	s_or_b32 exec_lo, exec_lo, s8
	s_and_b32 vcc_lo, exec_lo, s3
	s_cbranch_vccnz .LBB472_11
	s_branch .LBB472_48
.LBB472_9:
                                        ; implicit-def: $vgpr3
                                        ; implicit-def: $vgpr4_vgpr5
	s_cbranch_execnz .LBB472_11
	s_branch .LBB472_48
.LBB472_10:
	s_or_b32 exec_lo, exec_lo, s8
	s_delay_alu instid0(SALU_CYCLE_1)
	s_and_b32 vcc_lo, exec_lo, s3
	s_cbranch_vccz .LBB472_48
.LBB472_11:
	s_clause 0x4
	s_load_b128 s[8:11], s[0:1], 0x30
	s_load_b64 s[2:3], s[0:1], 0x50
	s_load_b128 s[20:23], s[0:1], 0x18
	s_load_b32 s19, s[0:1], 0x28
	s_load_b64 s[24:25], s[0:1], 0x40
	v_dual_mov_b32 v18, 0 :: v_dual_lshlrev_b32 v19, 2, v13
	v_dual_mov_b32 v15, 0 :: v_dual_mov_b32 v14, 0
	s_waitcnt lgkmcnt(0)
	s_mul_i32 s9, s15, s9
	s_mul_hi_u32 s18, s15, s8
	s_mul_i32 s8, s15, s8
	s_add_i32 s9, s18, s9
	s_mul_i32 s3, s15, s3
	s_lshl_b64 s[8:9], s[8:9], 1
	s_mul_hi_u32 s26, s15, s2
	s_add_u32 s18, s20, s8
	s_addc_u32 s20, s21, s9
	s_lshl_b64 s[8:9], s[22:23], 1
	s_mul_i32 s2, s15, s2
	s_add_u32 s15, s18, s8
	s_load_b32 s8, s[0:1], 0x48
	s_addc_u32 s18, s20, s9
	s_add_i32 s3, s26, s3
	s_mov_b32 s20, exec_lo
	s_lshl_b64 s[0:1], s[2:3], 1
	s_delay_alu instid0(SALU_CYCLE_1) | instskip(SKIP_2) | instid1(SALU_CYCLE_1)
	s_add_u32 s2, s10, s0
	s_addc_u32 s3, s11, s1
	s_lshl_b64 s[0:1], s[24:25], 1
	s_add_u32 s10, s2, s0
	s_addc_u32 s11, s3, s1
	s_ashr_i32 s0, s5, 31
	s_lshl_b32 s9, s14, 8
	s_lshr_b32 s0, s0, 28
	v_dual_mov_b32 v17, 0 :: v_dual_add_nc_u32 v16, s9, v1
	s_add_i32 s0, s5, s0
	s_delay_alu instid0(SALU_CYCLE_1) | instskip(NEXT) | instid1(SALU_CYCLE_1)
	s_and_b32 s14, s0, -16
	v_cmpx_gt_i32_e64 s14, v19
	s_cbranch_execz .LBB472_23
; %bb.12:
	v_mul_lo_u32 v3, s19, v19
	v_dual_mov_b32 v17, 0 :: v_dual_add_nc_u32 v2, 64, v16
	v_add_nc_u32_e32 v6, 2, v19
	v_dual_mov_b32 v18, 0 :: v_dual_add_nc_u32 v5, 0xc0, v16
	s_delay_alu instid0(VALU_DEP_3)
	v_cmp_gt_i32_e64 s0, s4, v2
	v_dual_mov_b32 v15, 0 :: v_dual_add_nc_u32 v4, 0x80, v16
	v_add3_u32 v20, v3, s19, v1
	v_mad_u64_u32 v[2:3], null, s19, v6, v[1:2]
	v_cmp_gt_i32_e64 s2, s4, v5
	v_mul_lo_u32 v5, v13, s19
	v_dual_mov_b32 v14, 0 :: v_dual_add_nc_u32 v7, 3, v19
	s_waitcnt lgkmcnt(0)
	v_mul_lo_u32 v8, v13, s8
	v_cmp_gt_i32_e64 s1, s4, v4
	v_mul_lo_u32 v22, s8, v6
	v_mad_u64_u32 v[3:4], null, s19, v7, v[1:2]
	v_lshl_add_u32 v21, v5, 2, v1
	v_mad_u64_u32 v[4:5], null, s8, v19, s[8:9]
	v_mul_lo_u32 v23, s8, v7
	v_cmp_gt_i32_e32 vcc_lo, s4, v16
	v_lshlrev_b32_e32 v24, 2, v8
	s_lshl_b32 s21, s19, 4
	s_lshl_b32 s23, s8, 4
	s_mov_b32 s22, 0
	s_mov_b32 s24, 0
	s_branch .LBB472_17
.LBB472_13:                             ;   in Loop: Header=BB472_17 Depth=1
	s_or_b32 exec_lo, exec_lo, s27
	s_waitcnt vmcnt(3)
	v_fma_mix_f32 v5, v37, v41, v15 op_sel_hi:[0,1,0]
	s_waitcnt vmcnt(2)
	s_delay_alu instid0(VALU_DEP_1) | instskip(SKIP_1) | instid1(VALU_DEP_1)
	v_fma_mix_f32 v5, v38, v42, v5 op_sel_hi:[0,1,0]
	s_waitcnt vmcnt(1)
	v_fma_mix_f32 v5, v39, v43, v5 op_sel_hi:[0,1,0]
	s_waitcnt vmcnt(0)
	s_delay_alu instid0(VALU_DEP_1)
	v_fma_mix_f32 v15, v40, v44, v5 op_sel_hi:[0,1,0]
.LBB472_14:                             ;   in Loop: Header=BB472_17 Depth=1
	s_or_b32 exec_lo, exec_lo, s26
	s_waitcnt vmcnt(3)
	v_fma_mix_f32 v5, v37, v33, v17 op_sel_hi:[0,1,0]
	s_waitcnt vmcnt(2)
	s_delay_alu instid0(VALU_DEP_1) | instskip(SKIP_1) | instid1(VALU_DEP_1)
	v_fma_mix_f32 v5, v38, v34, v5 op_sel_hi:[0,1,0]
	s_waitcnt vmcnt(1)
	v_fma_mix_f32 v5, v39, v35, v5 op_sel_hi:[0,1,0]
	s_waitcnt vmcnt(0)
	s_delay_alu instid0(VALU_DEP_1)
	v_fma_mix_f32 v17, v40, v36, v5 op_sel_hi:[0,1,0]
.LBB472_15:                             ;   in Loop: Header=BB472_17 Depth=1
	s_or_b32 exec_lo, exec_lo, s3
	s_waitcnt vmcnt(3)
	v_fma_mix_f32 v5, v25, v29, v18 op_sel_hi:[1,1,0]
	s_waitcnt vmcnt(2)
	s_delay_alu instid0(VALU_DEP_1) | instskip(SKIP_1) | instid1(VALU_DEP_1)
	v_fma_mix_f32 v5, v26, v30, v5 op_sel_hi:[1,1,0]
	s_waitcnt vmcnt(1)
	v_fma_mix_f32 v5, v27, v31, v5 op_sel_hi:[1,1,0]
	s_waitcnt vmcnt(0)
	s_delay_alu instid0(VALU_DEP_1)
	v_fma_mix_f32 v18, v28, v32, v5 op_sel_hi:[1,1,0]
.LBB472_16:                             ;   in Loop: Header=BB472_17 Depth=1
	s_or_b32 exec_lo, exec_lo, s25
	v_add_nc_u32_e32 v19, 16, v19
	v_add_nc_u32_e32 v20, s21, v20
	v_add_nc_u32_e32 v2, s21, v2
	v_add_nc_u32_e32 v3, s21, v3
	v_add_nc_u32_e32 v21, s21, v21
	v_cmp_le_i32_e64 s3, s14, v19
	s_add_i32 s24, s24, s23
	s_delay_alu instid0(VALU_DEP_1) | instskip(NEXT) | instid1(SALU_CYCLE_1)
	s_or_b32 s22, s3, s22
	s_and_not1_b32 exec_lo, exec_lo, s22
	s_cbranch_execz .LBB472_22
.LBB472_17:                             ; =>This Inner Loop Header: Depth=1
	s_and_saveexec_b32 s25, vcc_lo
	s_cbranch_execz .LBB472_16
; %bb.18:                               ;   in Loop: Header=BB472_17 Depth=1
	v_add_nc_u32_e32 v5, s24, v24
	v_add_nc_u32_e32 v7, s24, v4
	;; [unrolled: 1-line block ×5, first 2 shown]
	v_ashrrev_i32_e32 v6, 31, v5
	v_ashrrev_i32_e32 v8, 31, v7
	;; [unrolled: 1-line block ×5, first 2 shown]
	v_lshlrev_b64 v[5:6], 1, v[5:6]
	v_lshlrev_b64 v[7:8], 1, v[7:8]
	;; [unrolled: 1-line block ×3, first 2 shown]
	s_delay_alu instid0(VALU_DEP_3) | instskip(NEXT) | instid1(VALU_DEP_1)
	v_add_co_u32 v27, s3, s10, v5
	v_add_co_ci_u32_e64 v28, s3, s11, v6, s3
	s_delay_alu instid0(VALU_DEP_4)
	v_add_co_u32 v29, s3, s10, v7
	v_add_nc_u32_e32 v7, s9, v20
	v_add_co_ci_u32_e64 v30, s3, s11, v8, s3
	v_lshlrev_b64 v[5:6], 1, v[11:12]
	v_add_co_u32 v31, s3, s10, v9
	v_add_nc_u32_e32 v11, s9, v2
	v_add_co_ci_u32_e64 v32, s3, s11, v10, s3
	v_lshlrev_b64 v[9:10], 1, v[25:26]
	v_ashrrev_i32_e32 v8, 31, v7
	v_add_nc_u32_e32 v25, s9, v3
	v_add_co_u32 v33, s3, s10, v5
	v_ashrrev_i32_e32 v12, 31, v11
	v_add_co_ci_u32_e64 v34, s3, s11, v6, s3
	v_lshlrev_b64 v[7:8], 1, v[7:8]
	v_add_co_u32 v5, s3, s15, v9
	v_ashrrev_i32_e32 v26, 31, v25
	v_add_co_ci_u32_e64 v6, s3, s18, v10, s3
	v_lshlrev_b64 v[9:10], 1, v[11:12]
	v_add_co_u32 v7, s3, s15, v7
	s_delay_alu instid0(VALU_DEP_4) | instskip(SKIP_1) | instid1(VALU_DEP_4)
	v_lshlrev_b64 v[11:12], 1, v[25:26]
	v_add_co_ci_u32_e64 v8, s3, s18, v8, s3
	v_add_co_u32 v9, s3, s15, v9
	s_delay_alu instid0(VALU_DEP_1) | instskip(NEXT) | instid1(VALU_DEP_4)
	v_add_co_ci_u32_e64 v10, s3, s18, v10, s3
	v_add_co_u32 v11, s3, s15, v11
	s_delay_alu instid0(VALU_DEP_1)
	v_add_co_ci_u32_e64 v12, s3, s18, v12, s3
	s_clause 0x3
	global_load_u16 v25, v[27:28], off
	global_load_u16 v26, v[29:30], off
	global_load_u16 v27, v[31:32], off
	global_load_u16 v28, v[33:34], off
	s_clause 0x3
	global_load_u16 v29, v[5:6], off
	global_load_u16 v30, v[7:8], off
	;; [unrolled: 1-line block ×4, first 2 shown]
	s_and_saveexec_b32 s3, s0
	s_cbranch_execz .LBB472_15
; %bb.19:                               ;   in Loop: Header=BB472_17 Depth=1
	s_clause 0x3
	global_load_u16 v33, v[5:6], off offset:128
	global_load_u16 v34, v[7:8], off offset:128
	;; [unrolled: 1-line block ×4, first 2 shown]
	s_waitcnt vmcnt(11)
	v_cvt_f32_f16_e32 v37, v25
	s_waitcnt vmcnt(10)
	v_cvt_f32_f16_e32 v38, v26
	;; [unrolled: 2-line block ×4, first 2 shown]
	s_and_saveexec_b32 s26, s1
	s_cbranch_execz .LBB472_14
; %bb.20:                               ;   in Loop: Header=BB472_17 Depth=1
	s_clause 0x3
	global_load_u16 v41, v[5:6], off offset:256
	global_load_u16 v42, v[7:8], off offset:256
	;; [unrolled: 1-line block ×4, first 2 shown]
	s_and_saveexec_b32 s27, s2
	s_cbranch_execz .LBB472_13
; %bb.21:                               ;   in Loop: Header=BB472_17 Depth=1
	s_clause 0x3
	global_load_u16 v5, v[5:6], off offset:384
	global_load_u16 v6, v[7:8], off offset:384
	;; [unrolled: 1-line block ×4, first 2 shown]
	s_waitcnt vmcnt(3)
	v_fma_mix_f32 v5, v37, v5, v14 op_sel_hi:[0,1,0]
	s_waitcnt vmcnt(2)
	s_delay_alu instid0(VALU_DEP_1) | instskip(SKIP_1) | instid1(VALU_DEP_1)
	v_fma_mix_f32 v5, v38, v6, v5 op_sel_hi:[0,1,0]
	s_waitcnt vmcnt(1)
	v_fma_mix_f32 v5, v39, v7, v5 op_sel_hi:[0,1,0]
	s_waitcnt vmcnt(0)
	s_delay_alu instid0(VALU_DEP_1)
	v_fma_mix_f32 v14, v40, v8, v5 op_sel_hi:[0,1,0]
	s_branch .LBB472_13
.LBB472_22:
	s_or_b32 exec_lo, exec_lo, s22
.LBB472_23:
	s_delay_alu instid0(SALU_CYCLE_1) | instskip(SKIP_1) | instid1(SALU_CYCLE_1)
	s_or_b32 exec_lo, exec_lo, s20
	s_sub_i32 s0, s5, s14
	s_cmp_lt_i32 s0, 1
	s_cbranch_scc1 .LBB472_41
; %bb.24:
	v_cmp_gt_i32_e32 vcc_lo, s5, v19
	v_dual_mov_b32 v10, 0 :: v_dual_mov_b32 v11, 0
	v_or_b32_e32 v2, 1, v19
	v_mov_b32_e32 v12, 0
	v_mov_b32_e32 v20, 0
	s_and_saveexec_b32 s1, vcc_lo
	s_cbranch_execz .LBB472_32
; %bb.25:
	s_waitcnt lgkmcnt(0)
	v_mul_lo_u32 v3, v19, s8
	v_dual_mov_b32 v12, 0 :: v_dual_mov_b32 v11, 0
	v_mov_b32_e32 v10, 0
	s_mov_b32 s2, exec_lo
	s_delay_alu instid0(VALU_DEP_3) | instskip(NEXT) | instid1(VALU_DEP_1)
	v_ashrrev_i32_e32 v4, 31, v3
	v_lshlrev_b64 v[3:4], 1, v[3:4]
	s_delay_alu instid0(VALU_DEP_1) | instskip(NEXT) | instid1(VALU_DEP_1)
	v_add_co_u32 v3, s0, s10, v3
	v_add_co_ci_u32_e64 v4, s0, s11, v4, s0
	global_load_u16 v3, v[3:4], off
	v_cmpx_gt_i32_e64 s5, v2
	s_cbranch_execz .LBB472_31
; %bb.26:
	v_mul_lo_u32 v4, v2, s8
	v_dual_mov_b32 v11, 0 :: v_dual_mov_b32 v10, 0
	s_mov_b32 s3, exec_lo
	s_delay_alu instid0(VALU_DEP_2) | instskip(NEXT) | instid1(VALU_DEP_1)
	v_ashrrev_i32_e32 v5, 31, v4
	v_lshlrev_b64 v[4:5], 1, v[4:5]
	s_delay_alu instid0(VALU_DEP_1) | instskip(NEXT) | instid1(VALU_DEP_1)
	v_add_co_u32 v4, s0, s10, v4
	v_add_co_ci_u32_e64 v5, s0, s11, v5, s0
	global_load_u16 v4, v[4:5], off
	v_or_b32_e32 v5, 2, v19
	s_delay_alu instid0(VALU_DEP_1)
	v_cmpx_gt_i32_e64 s5, v5
	s_cbranch_execz .LBB472_30
; %bb.27:
	v_mul_lo_u32 v5, v5, s8
	v_mov_b32_e32 v10, 0
	s_mov_b32 s14, exec_lo
	s_delay_alu instid0(VALU_DEP_2) | instskip(NEXT) | instid1(VALU_DEP_1)
	v_ashrrev_i32_e32 v6, 31, v5
	v_lshlrev_b64 v[5:6], 1, v[5:6]
	s_delay_alu instid0(VALU_DEP_1) | instskip(NEXT) | instid1(VALU_DEP_1)
	v_add_co_u32 v5, s0, s10, v5
	v_add_co_ci_u32_e64 v6, s0, s11, v6, s0
	global_load_u16 v5, v[5:6], off
	v_or_b32_e32 v6, 3, v19
	s_delay_alu instid0(VALU_DEP_1)
	v_cmpx_gt_i32_e64 s5, v6
	s_cbranch_execz .LBB472_29
; %bb.28:
	v_mul_lo_u32 v6, v6, s8
	s_delay_alu instid0(VALU_DEP_1) | instskip(NEXT) | instid1(VALU_DEP_1)
	v_ashrrev_i32_e32 v7, 31, v6
	v_lshlrev_b64 v[6:7], 1, v[6:7]
	s_delay_alu instid0(VALU_DEP_1) | instskip(NEXT) | instid1(VALU_DEP_1)
	v_add_co_u32 v6, s0, s10, v6
	v_add_co_ci_u32_e64 v7, s0, s11, v7, s0
	global_load_u16 v6, v[6:7], off
	s_waitcnt vmcnt(0)
	v_cvt_f32_f16_e32 v10, v6
.LBB472_29:
	s_or_b32 exec_lo, exec_lo, s14
	s_waitcnt vmcnt(0)
	v_cvt_f32_f16_e32 v11, v5
.LBB472_30:
	s_or_b32 exec_lo, exec_lo, s3
	s_waitcnt vmcnt(0)
	v_cvt_f32_f16_e32 v12, v4
.LBB472_31:
	s_or_b32 exec_lo, exec_lo, s2
	s_waitcnt vmcnt(0)
	v_cvt_f32_f16_e32 v20, v3
.LBB472_32:
	s_or_b32 exec_lo, exec_lo, s1
	s_delay_alu instid0(SALU_CYCLE_1)
	s_mov_b32 s1, exec_lo
	v_cmpx_gt_i32_e64 s4, v16
	s_cbranch_execz .LBB472_40
; %bb.33:
	v_mul_lo_u32 v3, v19, s19
	v_mul_lo_u32 v5, v2, s19
	v_or_b32_e32 v4, 2, v19
	v_or_b32_e32 v6, 3, v19
	s_mov_b32 s0, exec_lo
	s_delay_alu instid0(VALU_DEP_2)
	v_mul_lo_u32 v7, v4, s19
	v_cndmask_b32_e32 v3, 0, v3, vcc_lo
	v_cmp_gt_i32_e32 vcc_lo, s5, v2
	v_mul_lo_u32 v8, v6, s19
	v_cndmask_b32_e32 v5, 0, v5, vcc_lo
	v_cmp_gt_i32_e32 vcc_lo, s5, v4
	s_delay_alu instid0(VALU_DEP_2) | instskip(SKIP_2) | instid1(VALU_DEP_3)
	v_add_nc_u32_e32 v4, v5, v16
	v_dual_cndmask_b32 v7, 0, v7 :: v_dual_add_nc_u32 v2, v3, v16
	v_cmp_gt_i32_e32 vcc_lo, s5, v6
	v_ashrrev_i32_e32 v5, 31, v4
	s_delay_alu instid0(VALU_DEP_3) | instskip(SKIP_2) | instid1(VALU_DEP_4)
	v_ashrrev_i32_e32 v3, 31, v2
	v_cndmask_b32_e32 v8, 0, v8, vcc_lo
	v_add_nc_u32_e32 v6, v7, v16
	v_lshlrev_b64 v[4:5], 1, v[4:5]
	s_delay_alu instid0(VALU_DEP_4) | instskip(NEXT) | instid1(VALU_DEP_4)
	v_lshlrev_b64 v[2:3], 1, v[2:3]
	v_add_nc_u32_e32 v8, v8, v16
	s_delay_alu instid0(VALU_DEP_4) | instskip(NEXT) | instid1(VALU_DEP_3)
	v_ashrrev_i32_e32 v7, 31, v6
	v_add_co_u32 v2, vcc_lo, s15, v2
	s_delay_alu instid0(VALU_DEP_2)
	v_lshlrev_b64 v[6:7], 1, v[6:7]
	v_add_co_ci_u32_e32 v3, vcc_lo, s18, v3, vcc_lo
	v_ashrrev_i32_e32 v9, 31, v8
	v_add_co_u32 v4, vcc_lo, s15, v4
	v_add_co_ci_u32_e32 v5, vcc_lo, s18, v5, vcc_lo
	global_load_u16 v21, v[2:3], off
	v_add_co_u32 v6, vcc_lo, s15, v6
	v_add_co_ci_u32_e32 v7, vcc_lo, s18, v7, vcc_lo
	v_lshlrev_b64 v[8:9], 1, v[8:9]
	s_clause 0x1
	global_load_u16 v22, v[4:5], off
	global_load_u16 v23, v[6:7], off
	v_add_co_u32 v8, vcc_lo, s15, v8
	v_add_co_ci_u32_e32 v9, vcc_lo, s18, v9, vcc_lo
	global_load_u16 v19, v[8:9], off
	s_waitcnt vmcnt(3)
	v_fma_mix_f32 v18, v20, v21, v18 op_sel_hi:[0,1,0]
	v_add_nc_u32_e32 v21, 64, v16
	s_waitcnt vmcnt(2)
	s_delay_alu instid0(VALU_DEP_2) | instskip(SKIP_1) | instid1(VALU_DEP_1)
	v_fma_mix_f32 v18, v12, v22, v18 op_sel_hi:[0,1,0]
	s_waitcnt vmcnt(1)
	v_fma_mix_f32 v18, v11, v23, v18 op_sel_hi:[0,1,0]
	v_cmpx_gt_i32_e64 s4, v21
	s_cbranch_execz .LBB472_39
; %bb.34:
	s_clause 0x3
	global_load_u16 v22, v[2:3], off offset:128
	global_load_u16 v23, v[4:5], off offset:128
	;; [unrolled: 1-line block ×4, first 2 shown]
	s_mov_b32 s2, exec_lo
	s_waitcnt vmcnt(3)
	v_fma_mix_f32 v17, v20, v22, v17 op_sel_hi:[0,1,0]
	v_add_nc_u32_e32 v22, 0x80, v16
	s_waitcnt vmcnt(2)
	s_delay_alu instid0(VALU_DEP_2) | instskip(SKIP_1) | instid1(VALU_DEP_1)
	v_fma_mix_f32 v17, v12, v23, v17 op_sel_hi:[0,1,0]
	s_waitcnt vmcnt(1)
	v_fma_mix_f32 v17, v11, v24, v17 op_sel_hi:[0,1,0]
	v_cmpx_gt_i32_e64 s4, v22
	s_cbranch_execz .LBB472_38
; %bb.35:
	s_clause 0x3
	global_load_u16 v23, v[2:3], off offset:256
	global_load_u16 v24, v[4:5], off offset:256
	;; [unrolled: 1-line block ×4, first 2 shown]
	v_add_nc_u32_e32 v16, 0xc0, v16
	s_mov_b32 s3, exec_lo
	s_waitcnt vmcnt(3)
	v_fma_mix_f32 v15, v20, v23, v15 op_sel_hi:[0,1,0]
	s_waitcnt vmcnt(2)
	s_delay_alu instid0(VALU_DEP_1) | instskip(SKIP_1) | instid1(VALU_DEP_1)
	v_fma_mix_f32 v15, v12, v24, v15 op_sel_hi:[0,1,0]
	s_waitcnt vmcnt(1)
	v_fma_mix_f32 v15, v11, v25, v15 op_sel_hi:[0,1,0]
	v_cmpx_gt_i32_e64 s4, v16
	s_cbranch_execz .LBB472_37
; %bb.36:
	s_clause 0x3
	global_load_u16 v2, v[2:3], off offset:384
	global_load_u16 v3, v[4:5], off offset:384
	;; [unrolled: 1-line block ×4, first 2 shown]
	s_waitcnt vmcnt(3)
	v_fma_mix_f32 v2, v20, v2, v14 op_sel_hi:[0,1,0]
	s_waitcnt vmcnt(2)
	s_delay_alu instid0(VALU_DEP_1) | instskip(SKIP_1) | instid1(VALU_DEP_1)
	v_fma_mix_f32 v2, v12, v3, v2 op_sel_hi:[0,1,0]
	s_waitcnt vmcnt(1)
	v_fma_mix_f32 v2, v11, v4, v2 op_sel_hi:[0,1,0]
	s_waitcnt vmcnt(0)
	s_delay_alu instid0(VALU_DEP_1)
	v_fma_mix_f32 v14, v10, v5, v2 op_sel_hi:[0,1,0]
.LBB472_37:
	s_or_b32 exec_lo, exec_lo, s3
	s_waitcnt vmcnt(0)
	v_fma_mix_f32 v15, v10, v22, v15 op_sel_hi:[0,1,0]
.LBB472_38:
	s_or_b32 exec_lo, exec_lo, s2
	s_waitcnt vmcnt(0)
	v_fma_mix_f32 v17, v10, v21, v17 op_sel_hi:[0,1,0]
.LBB472_39:
	s_or_b32 exec_lo, exec_lo, s0
	s_waitcnt vmcnt(0)
	v_fma_mix_f32 v18, v10, v19, v18 op_sel_hi:[0,1,0]
.LBB472_40:
	s_or_b32 exec_lo, exec_lo, s1
.LBB472_41:
	v_lshlrev_b32_e32 v2, 8, v13
	s_mov_b32 s0, exec_lo
                                        ; implicit-def: $vgpr3
                                        ; implicit-def: $vgpr4_vgpr5
	s_delay_alu instid0(VALU_DEP_1)
	v_add_lshl_u32 v1, v2, v1, 2
	ds_store_2addr_stride64_b32 v1, v18, v17 offset1:1
	ds_store_2addr_stride64_b32 v1, v15, v14 offset0:2 offset1:3
	s_waitcnt lgkmcnt(0)
	s_barrier
	buffer_gl0_inv
	v_cmpx_gt_u32_e32 0x100, v0
	s_cbranch_execz .LBB472_47
; %bb.42:
	v_lshlrev_b32_e32 v5, 2, v0
	s_mov_b32 s2, s16
	s_mov_b32 s1, exec_lo
	ds_load_2addr_stride64_b32 v[1:2], v5 offset1:4
	ds_load_2addr_stride64_b32 v[3:4], v5 offset0:8 offset1:12
	s_waitcnt lgkmcnt(1)
	v_add_f32_e32 v1, v1, v2
	s_waitcnt lgkmcnt(0)
	s_delay_alu instid0(VALU_DEP_1) | instskip(SKIP_1) | instid1(VALU_DEP_2)
	v_add_f32_e32 v2, v3, v1
	v_or_b32_e32 v1, s9, v0
                                        ; implicit-def: $vgpr3
	v_add_f32_e32 v0, v4, v2
	ds_store_b32 v5, v0
                                        ; implicit-def: $vgpr4_vgpr5
	v_cmpx_gt_i32_e64 s4, v1
	s_cbranch_execz .LBB472_46
; %bb.43:
	v_mul_lo_u32 v4, v1, s17
	v_cmp_eq_f32_e64 s2, s13, 0
	v_mul_f32_e32 v3, s6, v0
	s_delay_alu instid0(VALU_DEP_2) | instskip(NEXT) | instid1(VALU_DEP_3)
	s_and_b32 vcc_lo, exec_lo, s2
	v_ashrrev_i32_e32 v5, 31, v4
	s_cbranch_vccnz .LBB472_45
; %bb.44:
	s_delay_alu instid0(VALU_DEP_1) | instskip(NEXT) | instid1(VALU_DEP_1)
	v_lshlrev_b64 v[0:1], 2, v[4:5]
	v_add_co_u32 v0, vcc_lo, s7, v0
	s_delay_alu instid0(VALU_DEP_2)
	v_add_co_ci_u32_e32 v1, vcc_lo, s12, v1, vcc_lo
	global_load_b32 v0, v[0:1], off
	s_waitcnt vmcnt(0)
	v_fmac_f32_e32 v3, s13, v0
.LBB472_45:
	s_or_b32 s2, s16, exec_lo
.LBB472_46:
	s_or_b32 exec_lo, exec_lo, s1
	s_delay_alu instid0(SALU_CYCLE_1) | instskip(SKIP_1) | instid1(SALU_CYCLE_1)
	s_and_not1_b32 s1, s16, exec_lo
	s_and_b32 s2, s2, exec_lo
	s_or_b32 s16, s1, s2
.LBB472_47:
	s_or_b32 exec_lo, exec_lo, s0
.LBB472_48:
	s_and_saveexec_b32 s0, s16
	s_cbranch_execz .LBB472_50
; %bb.49:
	v_lshlrev_b64 v[0:1], 2, v[4:5]
	s_delay_alu instid0(VALU_DEP_1) | instskip(NEXT) | instid1(VALU_DEP_2)
	v_add_co_u32 v0, vcc_lo, s7, v0
	v_add_co_ci_u32_e32 v1, vcc_lo, s12, v1, vcc_lo
	global_store_b32 v[0:1], v3, off
.LBB472_50:
	s_nop 0
	s_sendmsg sendmsg(MSG_DEALLOC_VGPRS)
	s_endpgm
	.section	.rodata,"a",@progbits
	.p2align	6, 0x0
	.amdhsa_kernel _ZL20rocblas_gemvn_kernelILi64ELi4EiDF16_ffEviiT3_lPKT2_lT1_lS3_lS4_lS0_lPT4_lS4_li
		.amdhsa_group_segment_fixed_size 4096
		.amdhsa_private_segment_fixed_size 0
		.amdhsa_kernarg_size 400
		.amdhsa_user_sgpr_count 14
		.amdhsa_user_sgpr_dispatch_ptr 0
		.amdhsa_user_sgpr_queue_ptr 0
		.amdhsa_user_sgpr_kernarg_segment_ptr 1
		.amdhsa_user_sgpr_dispatch_id 0
		.amdhsa_user_sgpr_private_segment_size 0
		.amdhsa_wavefront_size32 1
		.amdhsa_uses_dynamic_stack 0
		.amdhsa_enable_private_segment 0
		.amdhsa_system_sgpr_workgroup_id_x 1
		.amdhsa_system_sgpr_workgroup_id_y 0
		.amdhsa_system_sgpr_workgroup_id_z 1
		.amdhsa_system_sgpr_workgroup_info 0
		.amdhsa_system_vgpr_workitem_id 1
		.amdhsa_next_free_vgpr 45
		.amdhsa_next_free_sgpr 28
		.amdhsa_reserve_vcc 1
		.amdhsa_float_round_mode_32 0
		.amdhsa_float_round_mode_16_64 0
		.amdhsa_float_denorm_mode_32 3
		.amdhsa_float_denorm_mode_16_64 3
		.amdhsa_dx10_clamp 1
		.amdhsa_ieee_mode 1
		.amdhsa_fp16_overflow 0
		.amdhsa_workgroup_processor_mode 1
		.amdhsa_memory_ordered 1
		.amdhsa_forward_progress 0
		.amdhsa_shared_vgpr_count 0
		.amdhsa_exception_fp_ieee_invalid_op 0
		.amdhsa_exception_fp_denorm_src 0
		.amdhsa_exception_fp_ieee_div_zero 0
		.amdhsa_exception_fp_ieee_overflow 0
		.amdhsa_exception_fp_ieee_underflow 0
		.amdhsa_exception_fp_ieee_inexact 0
		.amdhsa_exception_int_div_zero 0
	.end_amdhsa_kernel
	.section	.text._ZL20rocblas_gemvn_kernelILi64ELi4EiDF16_ffEviiT3_lPKT2_lT1_lS3_lS4_lS0_lPT4_lS4_li,"axG",@progbits,_ZL20rocblas_gemvn_kernelILi64ELi4EiDF16_ffEviiT3_lPKT2_lT1_lS3_lS4_lS0_lPT4_lS4_li,comdat
.Lfunc_end472:
	.size	_ZL20rocblas_gemvn_kernelILi64ELi4EiDF16_ffEviiT3_lPKT2_lT1_lS3_lS4_lS0_lPT4_lS4_li, .Lfunc_end472-_ZL20rocblas_gemvn_kernelILi64ELi4EiDF16_ffEviiT3_lPKT2_lT1_lS3_lS4_lS0_lPT4_lS4_li
                                        ; -- End function
	.section	.AMDGPU.csdata,"",@progbits
; Kernel info:
; codeLenInByte = 3016
; NumSgprs: 30
; NumVgprs: 45
; ScratchSize: 0
; MemoryBound: 0
; FloatMode: 240
; IeeeMode: 1
; LDSByteSize: 4096 bytes/workgroup (compile time only)
; SGPRBlocks: 3
; VGPRBlocks: 5
; NumSGPRsForWavesPerEU: 30
; NumVGPRsForWavesPerEU: 45
; Occupancy: 16
; WaveLimiterHint : 1
; COMPUTE_PGM_RSRC2:SCRATCH_EN: 0
; COMPUTE_PGM_RSRC2:USER_SGPR: 14
; COMPUTE_PGM_RSRC2:TRAP_HANDLER: 0
; COMPUTE_PGM_RSRC2:TGID_X_EN: 1
; COMPUTE_PGM_RSRC2:TGID_Y_EN: 0
; COMPUTE_PGM_RSRC2:TGID_Z_EN: 1
; COMPUTE_PGM_RSRC2:TIDIG_COMP_CNT: 1
	.section	.text._ZL20rocblas_gemvn_kernelILi64ELi4ElDF16_ffEviiT3_lPKT2_lT1_lS3_lS4_lS0_lPT4_lS4_li,"axG",@progbits,_ZL20rocblas_gemvn_kernelILi64ELi4ElDF16_ffEviiT3_lPKT2_lT1_lS3_lS4_lS0_lPT4_lS4_li,comdat
	.globl	_ZL20rocblas_gemvn_kernelILi64ELi4ElDF16_ffEviiT3_lPKT2_lT1_lS3_lS4_lS0_lPT4_lS4_li ; -- Begin function _ZL20rocblas_gemvn_kernelILi64ELi4ElDF16_ffEviiT3_lPKT2_lT1_lS3_lS4_lS0_lPT4_lS4_li
	.p2align	8
	.type	_ZL20rocblas_gemvn_kernelILi64ELi4ElDF16_ffEviiT3_lPKT2_lT1_lS3_lS4_lS0_lPT4_lS4_li,@function
_ZL20rocblas_gemvn_kernelILi64ELi4ElDF16_ffEviiT3_lPKT2_lT1_lS3_lS4_lS0_lPT4_lS4_li: ; @_ZL20rocblas_gemvn_kernelILi64ELi4ElDF16_ffEviiT3_lPKT2_lT1_lS3_lS4_lS0_lPT4_lS4_li
; %bb.0:
	s_load_b64 s[2:3], s[0:1], 0x9c
	s_waitcnt lgkmcnt(0)
	s_lshr_b32 s4, s2, 16
	s_and_b32 s2, s2, 0xffff
	s_and_b32 s3, s3, 0xffff
	s_mul_i32 s2, s4, s2
	s_delay_alu instid0(SALU_CYCLE_1) | instskip(NEXT) | instid1(SALU_CYCLE_1)
	s_mul_i32 s2, s2, s3
	s_cmpk_lg_i32 s2, 0x100
	s_cbranch_scc1 .LBB473_50
; %bb.1:
	s_clause 0x1
	s_load_b128 s[36:39], s[0:1], 0x0
	s_load_b32 s34, s[0:1], 0x58
	s_mov_b32 s35, 0
	s_waitcnt lgkmcnt(0)
	v_cmp_eq_f32_e64 s2, s38, 0
	v_cmp_eq_f32_e64 s3, s34, 1.0
	s_delay_alu instid0(VALU_DEP_1) | instskip(NEXT) | instid1(SALU_CYCLE_1)
	s_and_b32 s2, s2, s3
	s_and_b32 vcc_lo, exec_lo, s2
	s_cbranch_vccnz .LBB473_50
; %bb.2:
	s_load_b256 s[4:11], s[0:1], 0x68
	v_and_b32_e32 v12, 0x3ff, v0
	v_bfe_u32 v13, v0, 10, 10
	s_delay_alu instid0(VALU_DEP_1)
	v_lshl_add_u32 v11, v13, 6, v12
	s_waitcnt lgkmcnt(0)
	s_mul_i32 s3, s15, s11
	s_mul_hi_u32 s11, s15, s10
	s_mul_i32 s2, s15, s10
	s_add_i32 s3, s11, s3
	v_cmp_neq_f32_e64 s10, s38, 0
	s_lshl_b64 s[2:3], s[2:3], 2
	s_delay_alu instid0(SALU_CYCLE_1) | instskip(SKIP_2) | instid1(SALU_CYCLE_1)
	s_add_u32 s4, s4, s2
	s_addc_u32 s11, s5, s3
	s_lshl_b64 s[2:3], s[6:7], 2
	s_add_u32 s5, s4, s2
	v_cmp_gt_u32_e64 s2, 0x100, v11
	s_addc_u32 s33, s11, s3
	s_and_b32 vcc_lo, exec_lo, s10
	s_cbranch_vccnz .LBB473_9
; %bb.3:
	s_mov_b32 s3, 0
                                        ; implicit-def: $vgpr1
                                        ; implicit-def: $vgpr2_vgpr3
	s_and_saveexec_b32 s4, s2
	s_cbranch_execz .LBB473_10
; %bb.4:
	v_lshl_or_b32 v0, s14, 8, v11
	v_mov_b32_e32 v1, 0
	s_ashr_i32 s7, s36, 31
	s_mov_b32 s6, s36
                                        ; implicit-def: $vgpr2_vgpr3
	s_delay_alu instid0(VALU_DEP_1) | instid1(SALU_CYCLE_1)
	v_cmp_gt_i64_e32 vcc_lo, s[6:7], v[0:1]
	s_mov_b32 s6, 0
	s_and_saveexec_b32 s2, vcc_lo
	s_cbranch_execz .LBB473_8
; %bb.5:
	v_mad_u64_u32 v[2:3], null, v0, s8, 0
	v_cmp_eq_f32_e64 s6, s34, 0
	s_delay_alu instid0(VALU_DEP_1) | instskip(NEXT) | instid1(VALU_DEP_2)
	s_and_b32 vcc_lo, exec_lo, s6
	v_mad_u64_u32 v[4:5], null, v0, s9, v[3:4]
	s_delay_alu instid0(VALU_DEP_1)
	v_mov_b32_e32 v3, v4
	s_cbranch_vccnz .LBB473_7
; %bb.6:
	s_delay_alu instid0(VALU_DEP_1) | instskip(NEXT) | instid1(VALU_DEP_1)
	v_lshlrev_b64 v[0:1], 2, v[2:3]
	v_add_co_u32 v0, vcc_lo, s5, v0
	s_delay_alu instid0(VALU_DEP_2)
	v_add_co_ci_u32_e32 v1, vcc_lo, s33, v1, vcc_lo
	global_load_b32 v0, v[0:1], off
	s_waitcnt vmcnt(0)
	v_mul_f32_e32 v1, s34, v0
.LBB473_7:
	s_mov_b32 s6, exec_lo
.LBB473_8:
	s_or_b32 exec_lo, exec_lo, s2
	s_delay_alu instid0(SALU_CYCLE_1) | instskip(SKIP_1) | instid1(SALU_CYCLE_1)
	s_and_b32 s35, s6, exec_lo
	s_or_b32 exec_lo, exec_lo, s4
	s_and_b32 vcc_lo, exec_lo, s3
	s_cbranch_vccnz .LBB473_11
	s_branch .LBB473_48
.LBB473_9:
                                        ; implicit-def: $vgpr1
                                        ; implicit-def: $vgpr2_vgpr3
	s_cbranch_execnz .LBB473_11
	s_branch .LBB473_48
.LBB473_10:
	s_or_b32 exec_lo, exec_lo, s4
	s_delay_alu instid0(SALU_CYCLE_1)
	s_and_b32 vcc_lo, exec_lo, s3
	s_cbranch_vccz .LBB473_48
.LBB473_11:
	s_load_b512 s[16:31], s[0:1], 0x18
	s_ashr_i32 s0, s37, 31
	s_lshl_b32 s39, s14, 8
	s_lshr_b32 s0, s0, 28
	v_dual_mov_b32 v17, 0 :: v_dual_lshlrev_b32 v14, 2, v13
	s_add_i32 s0, s37, s0
	v_dual_mov_b32 v18, 0 :: v_dual_mov_b32 v15, 0
	v_mov_b32_e32 v16, 0
	v_add_nc_u32_e32 v0, s39, v12
	s_and_b32 s40, s0, -16
	s_waitcnt lgkmcnt(0)
	s_mul_i32 s0, s15, s23
	s_mul_hi_u32 s1, s15, s22
	s_mul_i32 s2, s15, s31
	s_mul_hi_u32 s3, s15, s30
	s_mul_i32 s6, s15, s22
	s_add_i32 s7, s1, s0
	s_add_i32 s11, s3, s2
	s_mul_i32 s10, s15, s30
	s_mov_b32 s30, exec_lo
	v_cmpx_gt_i32_e64 s40, v14
	s_cbranch_execz .LBB473_23
; %bb.12:
	v_lshlrev_b32_e32 v29, 2, v13
	v_mad_u64_u32 v[2:3], null, s28, v13, 0
	v_add_nc_u32_e32 v15, 64, v0
	s_lshl_b64 s[0:1], s[10:11], 1
	s_delay_alu instid0(VALU_DEP_3)
	v_or_b32_e32 v17, 3, v29
	s_lshl_b64 s[12:13], s[26:27], 1
	s_add_u32 s4, s24, s0
	s_addc_u32 s31, s25, s1
	v_cmp_gt_i32_e64 s0, s36, v15
	v_mad_u64_u32 v[4:5], null, s20, v17, 0
	s_lshl_b64 s[22:23], s[18:19], 1
	s_lshl_b64 s[14:15], s[28:29], 5
	;; [unrolled: 1-line block ×3, first 2 shown]
	v_ashrrev_i32_e32 v1, 31, v0
	v_cmp_gt_i32_e32 vcc_lo, s36, v0
	s_delay_alu instid0(VALU_DEP_3) | instskip(SKIP_3) | instid1(VALU_DEP_4)
	v_mad_u64_u32 v[6:7], null, s29, v13, v[3:4]
	v_add_nc_u32_e32 v16, 0x80, v0
	v_mad_u64_u32 v[7:8], null, s28, v17, 0
	v_add_nc_u32_e32 v18, 0xc0, v0
	v_mad_u64_u32 v[9:10], null, s21, v17, v[5:6]
	v_mov_b32_e32 v3, v6
	v_cmp_gt_i32_e64 s1, s36, v16
	s_delay_alu instid0(VALU_DEP_2)
	v_lshlrev_b64 v[15:16], 3, v[2:3]
	v_mov_b32_e32 v3, v8
	v_mov_b32_e32 v5, v9
	v_mad_u64_u32 v[9:10], null, s20, v13, 0
	v_cmp_gt_i32_e64 s2, s36, v18
	v_add_co_u32 v19, s3, s4, v15
	s_delay_alu instid0(VALU_DEP_4) | instskip(SKIP_4) | instid1(VALU_DEP_2)
	v_lshlrev_b64 v[4:5], 1, v[4:5]
	v_add_co_ci_u32_e64 v20, s3, s31, v16, s3
	s_add_u32 s3, s16, s22
	s_addc_u32 s22, s17, s23
	s_add_u32 s23, s3, s42
	v_mad_u64_u32 v[15:16], null, s29, v17, v[3:4]
	v_mov_b32_e32 v3, v10
	s_addc_u32 s22, s22, s43
	v_add_co_u32 v21, s3, s23, v4
	s_delay_alu instid0(VALU_DEP_1) | instskip(NEXT) | instid1(VALU_DEP_4)
	v_add_co_ci_u32_e64 v22, s3, s22, v5, s3
	v_mov_b32_e32 v8, v15
	v_or_b32_e32 v23, 2, v29
	v_mad_u64_u32 v[17:18], null, s21, v13, v[3:4]
	v_mad_u64_u32 v[31:32], null, s20, v29, s[20:21]
	s_delay_alu instid0(VALU_DEP_3)
	v_mad_u64_u32 v[15:16], null, s20, v23, 0
	v_lshlrev_b64 v[4:5], 1, v[7:8]
	v_mad_u64_u32 v[27:28], null, s28, v23, 0
	v_mov_b32_e32 v10, v17
	v_mad_u64_u32 v[17:18], null, s28, v29, s[28:29]
	v_mov_b32_e32 v3, v16
	v_lshlrev_b64 v[1:2], 1, v[0:1]
	v_mov_b32_e32 v6, v28
	s_delay_alu instid0(VALU_DEP_3) | instskip(SKIP_1) | instid1(VALU_DEP_2)
	v_mad_u64_u32 v[7:8], null, s21, v23, v[3:4]
	v_mov_b32_e32 v3, v18
	v_mad_u64_u32 v[25:26], null, s29, v23, v[6:7]
	v_add_co_u32 v23, s3, s4, v4
	s_delay_alu instid0(VALU_DEP_1) | instskip(SKIP_3) | instid1(VALU_DEP_3)
	v_add_co_ci_u32_e64 v24, s3, s31, v5, s3
	v_lshlrev_b64 v[4:5], 3, v[9:10]
	v_mov_b32_e32 v16, v7
	v_mov_b32_e32 v28, v25
	v_mad_u64_u32 v[6:7], null, s29, v29, v[3:4]
	v_add_co_u32 v25, s3, s23, v4
	s_delay_alu instid0(VALU_DEP_1) | instskip(SKIP_1) | instid1(VALU_DEP_4)
	v_add_co_ci_u32_e64 v26, s3, s22, v5, s3
	v_lshlrev_b64 v[4:5], 1, v[15:16]
	v_dual_mov_b32 v3, v32 :: v_dual_mov_b32 v18, v6
	v_dual_mov_b32 v16, 0 :: v_dual_mov_b32 v15, 0
	s_delay_alu instid0(VALU_DEP_2)
	v_mad_u64_u32 v[7:8], null, s21, v29, v[3:4]
	v_lshlrev_b64 v[8:9], 1, v[27:28]
	v_add_co_u32 v27, s3, s23, v4
	v_lshlrev_b64 v[3:4], 1, v[17:18]
	v_add_co_ci_u32_e64 v28, s3, s22, v5, s3
	v_mov_b32_e32 v32, v7
	v_add_co_u32 v29, s3, s4, v8
	s_delay_alu instid0(VALU_DEP_1) | instskip(NEXT) | instid1(VALU_DEP_3)
	v_add_co_ci_u32_e64 v30, s3, s31, v9, s3
	v_lshlrev_b64 v[5:6], 1, v[31:32]
	v_add_co_u32 v31, s3, s4, v3
	s_delay_alu instid0(VALU_DEP_1) | instskip(SKIP_1) | instid1(VALU_DEP_4)
	v_add_co_ci_u32_e64 v32, s3, s31, v4, s3
	v_dual_mov_b32 v18, 0 :: v_dual_mov_b32 v17, 0
	v_add_co_u32 v33, s3, s23, v5
	s_delay_alu instid0(VALU_DEP_1)
	v_add_co_ci_u32_e64 v34, s3, s22, v6, s3
	s_lshl_b64 s[22:23], s[20:21], 5
	s_mov_b32 s31, 0
	s_branch .LBB473_17
.LBB473_13:                             ;   in Loop: Header=BB473_17 Depth=1
	s_or_b32 exec_lo, exec_lo, s42
	s_waitcnt vmcnt(3)
	v_fma_mix_f32 v3, v47, v51, v16 op_sel_hi:[0,1,0]
	s_waitcnt vmcnt(2)
	s_delay_alu instid0(VALU_DEP_1) | instskip(SKIP_1) | instid1(VALU_DEP_1)
	v_fma_mix_f32 v3, v48, v52, v3 op_sel_hi:[0,1,0]
	s_waitcnt vmcnt(1)
	v_fma_mix_f32 v3, v49, v53, v3 op_sel_hi:[0,1,0]
	s_waitcnt vmcnt(0)
	s_delay_alu instid0(VALU_DEP_1)
	v_fma_mix_f32 v16, v50, v54, v3 op_sel_hi:[0,1,0]
.LBB473_14:                             ;   in Loop: Header=BB473_17 Depth=1
	s_or_b32 exec_lo, exec_lo, s41
	s_waitcnt vmcnt(3)
	v_fma_mix_f32 v3, v47, v43, v17 op_sel_hi:[0,1,0]
	s_waitcnt vmcnt(2)
	s_delay_alu instid0(VALU_DEP_1) | instskip(SKIP_1) | instid1(VALU_DEP_1)
	v_fma_mix_f32 v3, v48, v44, v3 op_sel_hi:[0,1,0]
	s_waitcnt vmcnt(1)
	v_fma_mix_f32 v3, v49, v45, v3 op_sel_hi:[0,1,0]
	s_waitcnt vmcnt(0)
	s_delay_alu instid0(VALU_DEP_1)
	v_fma_mix_f32 v17, v50, v46, v3 op_sel_hi:[0,1,0]
.LBB473_15:                             ;   in Loop: Header=BB473_17 Depth=1
	s_or_b32 exec_lo, exec_lo, s3
	s_waitcnt vmcnt(3)
	v_fma_mix_f32 v3, v35, v39, v18 op_sel_hi:[1,1,0]
	s_waitcnt vmcnt(2)
	s_delay_alu instid0(VALU_DEP_1) | instskip(SKIP_1) | instid1(VALU_DEP_1)
	v_fma_mix_f32 v3, v36, v40, v3 op_sel_hi:[1,1,0]
	s_waitcnt vmcnt(1)
	v_fma_mix_f32 v3, v37, v41, v3 op_sel_hi:[1,1,0]
	s_waitcnt vmcnt(0)
	s_delay_alu instid0(VALU_DEP_1)
	v_fma_mix_f32 v18, v38, v42, v3 op_sel_hi:[1,1,0]
.LBB473_16:                             ;   in Loop: Header=BB473_17 Depth=1
	s_or_b32 exec_lo, exec_lo, s4
	v_add_co_u32 v19, s3, v19, s14
	s_delay_alu instid0(VALU_DEP_1) | instskip(SKIP_1) | instid1(VALU_DEP_1)
	v_add_co_ci_u32_e64 v20, s3, s15, v20, s3
	v_add_co_u32 v21, s3, v21, s22
	v_add_co_ci_u32_e64 v22, s3, s23, v22, s3
	v_add_co_u32 v23, s3, v23, s14
	s_delay_alu instid0(VALU_DEP_1) | instskip(SKIP_1) | instid1(VALU_DEP_1)
	v_add_co_ci_u32_e64 v24, s3, s15, v24, s3
	v_add_co_u32 v25, s3, v25, s22
	v_add_co_ci_u32_e64 v26, s3, s23, v26, s3
	v_add_co_u32 v27, s3, v27, s22
	s_delay_alu instid0(VALU_DEP_1) | instskip(SKIP_4) | instid1(VALU_DEP_1)
	v_add_co_ci_u32_e64 v28, s3, s23, v28, s3
	v_add_co_u32 v29, s3, v29, s14
	v_add_nc_u32_e32 v14, 16, v14
	v_add_co_ci_u32_e64 v30, s3, s15, v30, s3
	v_add_co_u32 v31, s3, v31, s14
	v_add_co_ci_u32_e64 v32, s3, s15, v32, s3
	s_delay_alu instid0(VALU_DEP_4) | instskip(SKIP_1) | instid1(VALU_DEP_1)
	v_cmp_le_i32_e64 s3, s40, v14
	v_add_co_u32 v33, s4, v33, s22
	v_add_co_ci_u32_e64 v34, s4, s23, v34, s4
	s_delay_alu instid0(VALU_DEP_3) | instskip(NEXT) | instid1(SALU_CYCLE_1)
	s_or_b32 s31, s3, s31
	s_and_not1_b32 exec_lo, exec_lo, s31
	s_cbranch_execz .LBB473_22
.LBB473_17:                             ; =>This Inner Loop Header: Depth=1
	s_and_saveexec_b32 s4, vcc_lo
	s_cbranch_execz .LBB473_16
; %bb.18:                               ;   in Loop: Header=BB473_17 Depth=1
	v_add_co_u32 v3, s3, v19, s12
	s_delay_alu instid0(VALU_DEP_1) | instskip(SKIP_1) | instid1(VALU_DEP_1)
	v_add_co_ci_u32_e64 v4, s3, s13, v20, s3
	v_add_co_u32 v5, s3, v31, s12
	v_add_co_ci_u32_e64 v6, s3, s13, v32, s3
	v_add_co_u32 v7, s3, v29, s12
	s_delay_alu instid0(VALU_DEP_1) | instskip(SKIP_1) | instid1(VALU_DEP_1)
	v_add_co_ci_u32_e64 v8, s3, s13, v30, s3
	v_add_co_u32 v38, s3, v23, s12
	v_add_co_ci_u32_e64 v39, s3, s13, v24, s3
	global_load_u16 v35, v[3:4], off
	global_load_u16 v36, v[5:6], off
	;; [unrolled: 1-line block ×3, first 2 shown]
	v_add_co_u32 v3, s3, v25, v1
	s_delay_alu instid0(VALU_DEP_1) | instskip(SKIP_1) | instid1(VALU_DEP_1)
	v_add_co_ci_u32_e64 v4, s3, v26, v2, s3
	v_add_co_u32 v5, s3, v33, v1
	v_add_co_ci_u32_e64 v6, s3, v34, v2, s3
	v_add_co_u32 v7, s3, v27, v1
	s_delay_alu instid0(VALU_DEP_1) | instskip(SKIP_1) | instid1(VALU_DEP_1)
	v_add_co_ci_u32_e64 v8, s3, v28, v2, s3
	v_add_co_u32 v9, s3, v21, v1
	v_add_co_ci_u32_e64 v10, s3, v22, v2, s3
	global_load_u16 v38, v[38:39], off
	global_load_u16 v39, v[3:4], off
	;; [unrolled: 1-line block ×5, first 2 shown]
	s_and_saveexec_b32 s3, s0
	s_cbranch_execz .LBB473_15
; %bb.19:                               ;   in Loop: Header=BB473_17 Depth=1
	global_load_u16 v43, v[3:4], off offset:128
	global_load_u16 v44, v[5:6], off offset:128
	;; [unrolled: 1-line block ×4, first 2 shown]
	s_waitcnt vmcnt(11)
	v_cvt_f32_f16_e32 v47, v35
	s_waitcnt vmcnt(10)
	v_cvt_f32_f16_e32 v48, v36
	;; [unrolled: 2-line block ×4, first 2 shown]
	s_and_saveexec_b32 s41, s1
	s_cbranch_execz .LBB473_14
; %bb.20:                               ;   in Loop: Header=BB473_17 Depth=1
	global_load_u16 v51, v[3:4], off offset:256
	global_load_u16 v52, v[5:6], off offset:256
	;; [unrolled: 1-line block ×4, first 2 shown]
	s_and_saveexec_b32 s42, s2
	s_cbranch_execz .LBB473_13
; %bb.21:                               ;   in Loop: Header=BB473_17 Depth=1
	global_load_u16 v3, v[3:4], off offset:384
	global_load_u16 v4, v[5:6], off offset:384
	global_load_u16 v5, v[7:8], off offset:384
	global_load_u16 v6, v[9:10], off offset:384
	s_waitcnt vmcnt(3)
	v_fma_mix_f32 v3, v47, v3, v15 op_sel_hi:[0,1,0]
	s_waitcnt vmcnt(2)
	s_delay_alu instid0(VALU_DEP_1) | instskip(SKIP_1) | instid1(VALU_DEP_1)
	v_fma_mix_f32 v3, v48, v4, v3 op_sel_hi:[0,1,0]
	s_waitcnt vmcnt(1)
	v_fma_mix_f32 v3, v49, v5, v3 op_sel_hi:[0,1,0]
	s_waitcnt vmcnt(0)
	s_delay_alu instid0(VALU_DEP_1)
	v_fma_mix_f32 v15, v50, v6, v3 op_sel_hi:[0,1,0]
	s_branch .LBB473_13
.LBB473_22:
	s_or_b32 exec_lo, exec_lo, s31
.LBB473_23:
	s_delay_alu instid0(SALU_CYCLE_1) | instskip(SKIP_1) | instid1(SALU_CYCLE_1)
	s_or_b32 exec_lo, exec_lo, s30
	s_sub_i32 s0, s37, s40
	s_cmp_lt_i32 s0, 1
	s_cbranch_scc1 .LBB473_41
; %bb.24:
	v_cmp_gt_i32_e32 vcc_lo, s37, v14
	v_dual_mov_b32 v9, 0 :: v_dual_mov_b32 v10, 0
	v_or_b32_e32 v2, 1, v14
	v_dual_mov_b32 v19, 0 :: v_dual_mov_b32 v20, 0
	s_and_saveexec_b32 s1, vcc_lo
	s_cbranch_execz .LBB473_32
; %bb.25:
	v_mad_u64_u32 v[3:4], null, v14, s28, 0
	s_lshl_b64 s[2:3], s[10:11], 1
	v_mov_b32_e32 v19, 0
	s_add_u32 s0, s24, s2
	s_addc_u32 s2, s25, s3
	s_lshl_b64 s[10:11], s[26:27], 1
	v_mov_b32_e32 v9, 0
	s_delay_alu instid0(VALU_DEP_3) | instskip(SKIP_3) | instid1(VALU_DEP_1)
	v_dual_mov_b32 v1, v4 :: v_dual_mov_b32 v10, 0
	s_add_u32 s3, s0, s10
	s_addc_u32 s4, s2, s11
	s_mov_b32 s2, exec_lo
	v_mad_u64_u32 v[4:5], null, v14, s29, v[1:2]
	s_delay_alu instid0(VALU_DEP_1) | instskip(NEXT) | instid1(VALU_DEP_1)
	v_lshlrev_b64 v[3:4], 1, v[3:4]
	v_add_co_u32 v3, s0, s3, v3
	s_delay_alu instid0(VALU_DEP_1)
	v_add_co_ci_u32_e64 v4, s0, s4, v4, s0
	global_load_u16 v1, v[3:4], off
	v_cmpx_gt_i32_e64 s37, v2
	s_cbranch_execz .LBB473_31
; %bb.26:
	v_mad_u64_u32 v[3:4], null, v2, s28, 0
	v_mov_b32_e32 v10, 0
	s_mov_b32 s10, exec_lo
	v_mov_b32_e32 v9, 0
	s_delay_alu instid0(VALU_DEP_3) | instskip(NEXT) | instid1(VALU_DEP_1)
	v_mad_u64_u32 v[5:6], null, v2, s29, v[4:5]
	v_mov_b32_e32 v4, v5
	s_delay_alu instid0(VALU_DEP_1) | instskip(NEXT) | instid1(VALU_DEP_1)
	v_lshlrev_b64 v[3:4], 1, v[3:4]
	v_add_co_u32 v3, s0, s3, v3
	s_delay_alu instid0(VALU_DEP_1) | instskip(SKIP_2) | instid1(VALU_DEP_1)
	v_add_co_ci_u32_e64 v4, s0, s4, v4, s0
	global_load_u16 v3, v[3:4], off
	v_or_b32_e32 v4, 2, v14
	v_cmpx_gt_i32_e64 s37, v4
	s_cbranch_execz .LBB473_30
; %bb.27:
	v_mad_u64_u32 v[5:6], null, v4, s28, 0
	s_mov_b32 s11, exec_lo
	v_mov_b32_e32 v9, 0
	s_delay_alu instid0(VALU_DEP_2) | instskip(NEXT) | instid1(VALU_DEP_1)
	v_mad_u64_u32 v[7:8], null, v4, s29, v[6:7]
	v_mov_b32_e32 v6, v7
	s_delay_alu instid0(VALU_DEP_1) | instskip(NEXT) | instid1(VALU_DEP_1)
	v_lshlrev_b64 v[4:5], 1, v[5:6]
	v_add_co_u32 v4, s0, s3, v4
	s_delay_alu instid0(VALU_DEP_1) | instskip(SKIP_2) | instid1(VALU_DEP_1)
	v_add_co_ci_u32_e64 v5, s0, s4, v5, s0
	global_load_u16 v4, v[4:5], off
	v_or_b32_e32 v5, 3, v14
	v_cmpx_gt_i32_e64 s37, v5
	s_cbranch_execz .LBB473_29
; %bb.28:
	v_mad_u64_u32 v[6:7], null, v5, s28, 0
	s_delay_alu instid0(VALU_DEP_1) | instskip(NEXT) | instid1(VALU_DEP_1)
	v_mad_u64_u32 v[8:9], null, v5, s29, v[7:8]
	v_mov_b32_e32 v7, v8
	s_delay_alu instid0(VALU_DEP_1) | instskip(NEXT) | instid1(VALU_DEP_1)
	v_lshlrev_b64 v[5:6], 1, v[6:7]
	v_add_co_u32 v5, s0, s3, v5
	s_delay_alu instid0(VALU_DEP_1)
	v_add_co_ci_u32_e64 v6, s0, s4, v6, s0
	global_load_u16 v5, v[5:6], off
	s_waitcnt vmcnt(0)
	v_cvt_f32_f16_e32 v9, v5
.LBB473_29:
	s_or_b32 exec_lo, exec_lo, s11
	s_waitcnt vmcnt(0)
	v_cvt_f32_f16_e32 v10, v4
.LBB473_30:
	s_or_b32 exec_lo, exec_lo, s10
	s_waitcnt vmcnt(0)
	v_cvt_f32_f16_e32 v19, v3
.LBB473_31:
	s_or_b32 exec_lo, exec_lo, s2
	s_waitcnt vmcnt(0)
	v_cvt_f32_f16_e32 v20, v1
.LBB473_32:
	s_or_b32 exec_lo, exec_lo, s1
	s_delay_alu instid0(SALU_CYCLE_1)
	s_mov_b32 s1, exec_lo
	v_cmpx_gt_i32_e64 s36, v0
	s_cbranch_execz .LBB473_40
; %bb.33:
	v_mad_u64_u32 v[3:4], null, v14, s20, 0
	v_mad_u64_u32 v[5:6], null, v2, s20, 0
	v_ashrrev_i32_e32 v1, 31, v0
	s_lshl_b64 s[2:3], s[6:7], 1
	v_or_b32_e32 v28, 2, v14
	s_add_u32 s0, s16, s2
	s_delay_alu instid0(VALU_DEP_4)
	v_cndmask_b32_e32 v3, 0, v3, vcc_lo
	v_lshlrev_b64 v[21:22], 1, v[0:1]
	v_mad_u64_u32 v[7:8], null, v14, s21, v[4:5]
	s_addc_u32 s4, s17, s3
	s_lshl_b64 s[2:3], s[18:19], 1
	v_or_b32_e32 v14, 3, v14
	s_add_u32 s2, s0, s2
	v_mov_b32_e32 v1, v6
	v_mad_u64_u32 v[23:24], null, v28, s20, 0
	s_delay_alu instid0(VALU_DEP_4) | instskip(SKIP_1) | instid1(VALU_DEP_4)
	v_cndmask_b32_e32 v4, 0, v7, vcc_lo
	v_cmp_gt_i32_e32 vcc_lo, s37, v2
	v_mad_u64_u32 v[25:26], null, v2, s21, v[1:2]
	s_addc_u32 s3, s4, s3
	v_mad_u64_u32 v[6:7], null, v14, s20, 0
	v_cndmask_b32_e32 v26, 0, v5, vcc_lo
	v_lshlrev_b64 v[3:4], 1, v[3:4]
	s_delay_alu instid0(VALU_DEP_4) | instskip(NEXT) | instid1(VALU_DEP_2)
	v_cndmask_b32_e32 v27, 0, v25, vcc_lo
	v_add_co_u32 v1, s0, s2, v3
	s_delay_alu instid0(VALU_DEP_1) | instskip(NEXT) | instid1(VALU_DEP_3)
	v_add_co_ci_u32_e64 v2, s0, s3, v4, s0
	v_lshlrev_b64 v[3:4], 1, v[26:27]
	s_delay_alu instid0(VALU_DEP_3) | instskip(NEXT) | instid1(VALU_DEP_3)
	v_add_co_u32 v1, vcc_lo, v1, v21
	v_add_co_ci_u32_e32 v2, vcc_lo, v2, v22, vcc_lo
	v_cmp_gt_i32_e32 vcc_lo, s37, v28
	v_mov_b32_e32 v5, v24
	v_add_co_u32 v3, s0, s2, v3
	s_delay_alu instid0(VALU_DEP_1) | instskip(NEXT) | instid1(VALU_DEP_3)
	v_add_co_ci_u32_e64 v4, s0, s3, v4, s0
	v_mad_u64_u32 v[24:25], null, v28, s21, v[5:6]
	v_mov_b32_e32 v5, v7
	v_cndmask_b32_e32 v7, 0, v23, vcc_lo
	s_mov_b32 s0, exec_lo
	s_delay_alu instid0(VALU_DEP_3) | instskip(NEXT) | instid1(VALU_DEP_3)
	v_cndmask_b32_e32 v8, 0, v24, vcc_lo
	v_mad_u64_u32 v[23:24], null, v14, s21, v[5:6]
	v_add_co_u32 v3, vcc_lo, v3, v21
	v_add_co_ci_u32_e32 v4, vcc_lo, v4, v22, vcc_lo
	v_cmp_gt_i32_e32 vcc_lo, s37, v14
	v_lshlrev_b64 v[7:8], 1, v[7:8]
	s_clause 0x1
	global_load_u16 v24, v[1:2], off
	global_load_u16 v25, v[3:4], off
	v_dual_cndmask_b32 v5, 0, v6 :: v_dual_cndmask_b32 v6, 0, v23
	v_add_co_u32 v14, vcc_lo, s2, v7
	v_add_co_ci_u32_e32 v23, vcc_lo, s3, v8, vcc_lo
	s_delay_alu instid0(VALU_DEP_3) | instskip(NEXT) | instid1(VALU_DEP_3)
	v_lshlrev_b64 v[7:8], 1, v[5:6]
	v_add_co_u32 v5, vcc_lo, v14, v21
	s_delay_alu instid0(VALU_DEP_3) | instskip(NEXT) | instid1(VALU_DEP_3)
	v_add_co_ci_u32_e32 v6, vcc_lo, v23, v22, vcc_lo
	v_add_co_u32 v7, vcc_lo, s2, v7
	s_delay_alu instid0(VALU_DEP_4)
	v_add_co_ci_u32_e32 v8, vcc_lo, s3, v8, vcc_lo
	global_load_u16 v23, v[5:6], off
	v_add_co_u32 v7, vcc_lo, v7, v21
	v_add_co_ci_u32_e32 v8, vcc_lo, v8, v22, vcc_lo
	v_add_nc_u32_e32 v21, 64, v0
	global_load_u16 v14, v[7:8], off
	s_waitcnt vmcnt(3)
	v_fma_mix_f32 v18, v20, v24, v18 op_sel_hi:[0,1,0]
	s_waitcnt vmcnt(2)
	s_delay_alu instid0(VALU_DEP_1) | instskip(SKIP_1) | instid1(VALU_DEP_1)
	v_fma_mix_f32 v18, v19, v25, v18 op_sel_hi:[0,1,0]
	s_waitcnt vmcnt(1)
	v_fma_mix_f32 v18, v10, v23, v18 op_sel_hi:[0,1,0]
	v_cmpx_gt_i32_e64 s36, v21
	s_cbranch_execz .LBB473_39
; %bb.34:
	s_clause 0x3
	global_load_u16 v22, v[1:2], off offset:128
	global_load_u16 v23, v[3:4], off offset:128
	global_load_u16 v24, v[5:6], off offset:128
	global_load_u16 v21, v[7:8], off offset:128
	s_mov_b32 s2, exec_lo
	s_waitcnt vmcnt(3)
	v_fma_mix_f32 v17, v20, v22, v17 op_sel_hi:[0,1,0]
	v_add_nc_u32_e32 v22, 0x80, v0
	s_waitcnt vmcnt(2)
	s_delay_alu instid0(VALU_DEP_2) | instskip(SKIP_1) | instid1(VALU_DEP_1)
	v_fma_mix_f32 v17, v19, v23, v17 op_sel_hi:[0,1,0]
	s_waitcnt vmcnt(1)
	v_fma_mix_f32 v17, v10, v24, v17 op_sel_hi:[0,1,0]
	v_cmpx_gt_i32_e64 s36, v22
	s_cbranch_execz .LBB473_38
; %bb.35:
	s_clause 0x3
	global_load_u16 v23, v[1:2], off offset:256
	global_load_u16 v24, v[3:4], off offset:256
	;; [unrolled: 1-line block ×4, first 2 shown]
	s_mov_b32 s3, exec_lo
	s_waitcnt vmcnt(3)
	v_fma_mix_f32 v16, v20, v23, v16 op_sel_hi:[0,1,0]
	v_add_nc_u32_e32 v23, 0xc0, v0
	s_waitcnt vmcnt(2)
	s_delay_alu instid0(VALU_DEP_2) | instskip(SKIP_1) | instid1(VALU_DEP_1)
	v_fma_mix_f32 v16, v19, v24, v16 op_sel_hi:[0,1,0]
	s_waitcnt vmcnt(1)
	v_fma_mix_f32 v0, v10, v25, v16 op_sel_hi:[0,1,0]
	v_cmpx_gt_i32_e64 s36, v23
	s_cbranch_execz .LBB473_37
; %bb.36:
	s_clause 0x3
	global_load_u16 v1, v[1:2], off offset:384
	global_load_u16 v2, v[3:4], off offset:384
	;; [unrolled: 1-line block ×4, first 2 shown]
	s_waitcnt vmcnt(3)
	v_fma_mix_f32 v1, v20, v1, v15 op_sel_hi:[0,1,0]
	s_waitcnt vmcnt(2)
	s_delay_alu instid0(VALU_DEP_1) | instskip(SKIP_1) | instid1(VALU_DEP_1)
	v_fma_mix_f32 v1, v19, v2, v1 op_sel_hi:[0,1,0]
	s_waitcnt vmcnt(1)
	v_fma_mix_f32 v1, v10, v3, v1 op_sel_hi:[0,1,0]
	s_waitcnt vmcnt(0)
	s_delay_alu instid0(VALU_DEP_1)
	v_fma_mix_f32 v15, v9, v4, v1 op_sel_hi:[0,1,0]
.LBB473_37:
	s_or_b32 exec_lo, exec_lo, s3
	s_waitcnt vmcnt(0)
	v_fma_mix_f32 v16, v9, v22, v0 op_sel_hi:[0,1,0]
.LBB473_38:
	s_or_b32 exec_lo, exec_lo, s2
	s_waitcnt vmcnt(0)
	v_fma_mix_f32 v17, v9, v21, v17 op_sel_hi:[0,1,0]
.LBB473_39:
	s_or_b32 exec_lo, exec_lo, s0
	s_waitcnt vmcnt(0)
	v_fma_mix_f32 v18, v9, v14, v18 op_sel_hi:[0,1,0]
.LBB473_40:
	s_or_b32 exec_lo, exec_lo, s1
.LBB473_41:
	v_lshlrev_b32_e32 v0, 8, v13
	s_mov_b32 s0, exec_lo
                                        ; implicit-def: $vgpr1
                                        ; implicit-def: $vgpr2_vgpr3
	s_delay_alu instid0(VALU_DEP_1)
	v_add_lshl_u32 v0, v0, v12, 2
	ds_store_2addr_stride64_b32 v0, v18, v17 offset1:1
	ds_store_2addr_stride64_b32 v0, v16, v15 offset0:2 offset1:3
	s_waitcnt lgkmcnt(0)
	s_barrier
	buffer_gl0_inv
	v_cmpx_gt_u32_e32 0x100, v11
	s_cbranch_execz .LBB473_47
; %bb.42:
	v_lshlrev_b32_e32 v5, 2, v11
	v_or_b32_e32 v4, s39, v11
	s_mov_b32 s2, s35
	s_mov_b32 s1, exec_lo
	ds_load_2addr_stride64_b32 v[0:1], v5 offset1:4
	ds_load_2addr_stride64_b32 v[2:3], v5 offset0:8 offset1:12
	s_waitcnt lgkmcnt(1)
	v_add_f32_e32 v0, v0, v1
                                        ; implicit-def: $vgpr1
	s_waitcnt lgkmcnt(0)
	s_delay_alu instid0(VALU_DEP_1) | instskip(NEXT) | instid1(VALU_DEP_1)
	v_add_f32_e32 v0, v2, v0
	v_add_f32_e32 v0, v3, v0
                                        ; implicit-def: $vgpr2_vgpr3
	ds_store_b32 v5, v0
	v_cmpx_gt_i32_e64 s36, v4
	s_cbranch_execz .LBB473_46
; %bb.43:
	v_ashrrev_i32_e32 v1, 31, v4
	v_mul_lo_u32 v5, v4, s9
	v_mad_u64_u32 v[2:3], null, v4, s8, 0
	v_cmp_eq_f32_e64 s2, s34, 0
	s_delay_alu instid0(VALU_DEP_4) | instskip(SKIP_1) | instid1(VALU_DEP_3)
	v_mul_lo_u32 v4, v1, s8
	v_mul_f32_e32 v1, s38, v0
	s_and_b32 vcc_lo, exec_lo, s2
	s_delay_alu instid0(VALU_DEP_2)
	v_add3_u32 v3, v3, v5, v4
	s_cbranch_vccnz .LBB473_45
; %bb.44:
	s_delay_alu instid0(VALU_DEP_1) | instskip(NEXT) | instid1(VALU_DEP_1)
	v_lshlrev_b64 v[4:5], 2, v[2:3]
	v_add_co_u32 v4, vcc_lo, s5, v4
	s_delay_alu instid0(VALU_DEP_2)
	v_add_co_ci_u32_e32 v5, vcc_lo, s33, v5, vcc_lo
	global_load_b32 v0, v[4:5], off
	s_waitcnt vmcnt(0)
	v_fmac_f32_e32 v1, s34, v0
.LBB473_45:
	s_or_b32 s2, s35, exec_lo
.LBB473_46:
	s_or_b32 exec_lo, exec_lo, s1
	s_delay_alu instid0(SALU_CYCLE_1) | instskip(SKIP_1) | instid1(SALU_CYCLE_1)
	s_and_not1_b32 s1, s35, exec_lo
	s_and_b32 s2, s2, exec_lo
	s_or_b32 s35, s1, s2
.LBB473_47:
	s_or_b32 exec_lo, exec_lo, s0
.LBB473_48:
	s_and_saveexec_b32 s0, s35
	s_cbranch_execz .LBB473_50
; %bb.49:
	v_lshlrev_b64 v[2:3], 2, v[2:3]
	s_delay_alu instid0(VALU_DEP_1) | instskip(NEXT) | instid1(VALU_DEP_2)
	v_add_co_u32 v2, vcc_lo, s5, v2
	v_add_co_ci_u32_e32 v3, vcc_lo, s33, v3, vcc_lo
	global_store_b32 v[2:3], v1, off
.LBB473_50:
	s_nop 0
	s_sendmsg sendmsg(MSG_DEALLOC_VGPRS)
	s_endpgm
	.section	.rodata,"a",@progbits
	.p2align	6, 0x0
	.amdhsa_kernel _ZL20rocblas_gemvn_kernelILi64ELi4ElDF16_ffEviiT3_lPKT2_lT1_lS3_lS4_lS0_lPT4_lS4_li
		.amdhsa_group_segment_fixed_size 4096
		.amdhsa_private_segment_fixed_size 0
		.amdhsa_kernarg_size 400
		.amdhsa_user_sgpr_count 14
		.amdhsa_user_sgpr_dispatch_ptr 0
		.amdhsa_user_sgpr_queue_ptr 0
		.amdhsa_user_sgpr_kernarg_segment_ptr 1
		.amdhsa_user_sgpr_dispatch_id 0
		.amdhsa_user_sgpr_private_segment_size 0
		.amdhsa_wavefront_size32 1
		.amdhsa_uses_dynamic_stack 0
		.amdhsa_enable_private_segment 0
		.amdhsa_system_sgpr_workgroup_id_x 1
		.amdhsa_system_sgpr_workgroup_id_y 0
		.amdhsa_system_sgpr_workgroup_id_z 1
		.amdhsa_system_sgpr_workgroup_info 0
		.amdhsa_system_vgpr_workitem_id 1
		.amdhsa_next_free_vgpr 55
		.amdhsa_next_free_sgpr 44
		.amdhsa_reserve_vcc 1
		.amdhsa_float_round_mode_32 0
		.amdhsa_float_round_mode_16_64 0
		.amdhsa_float_denorm_mode_32 3
		.amdhsa_float_denorm_mode_16_64 3
		.amdhsa_dx10_clamp 1
		.amdhsa_ieee_mode 1
		.amdhsa_fp16_overflow 0
		.amdhsa_workgroup_processor_mode 1
		.amdhsa_memory_ordered 1
		.amdhsa_forward_progress 0
		.amdhsa_shared_vgpr_count 0
		.amdhsa_exception_fp_ieee_invalid_op 0
		.amdhsa_exception_fp_denorm_src 0
		.amdhsa_exception_fp_ieee_div_zero 0
		.amdhsa_exception_fp_ieee_overflow 0
		.amdhsa_exception_fp_ieee_underflow 0
		.amdhsa_exception_fp_ieee_inexact 0
		.amdhsa_exception_int_div_zero 0
	.end_amdhsa_kernel
	.section	.text._ZL20rocblas_gemvn_kernelILi64ELi4ElDF16_ffEviiT3_lPKT2_lT1_lS3_lS4_lS0_lPT4_lS4_li,"axG",@progbits,_ZL20rocblas_gemvn_kernelILi64ELi4ElDF16_ffEviiT3_lPKT2_lT1_lS3_lS4_lS0_lPT4_lS4_li,comdat
.Lfunc_end473:
	.size	_ZL20rocblas_gemvn_kernelILi64ELi4ElDF16_ffEviiT3_lPKT2_lT1_lS3_lS4_lS0_lPT4_lS4_li, .Lfunc_end473-_ZL20rocblas_gemvn_kernelILi64ELi4ElDF16_ffEviiT3_lPKT2_lT1_lS3_lS4_lS0_lPT4_lS4_li
                                        ; -- End function
	.section	.AMDGPU.csdata,"",@progbits
; Kernel info:
; codeLenInByte = 3472
; NumSgprs: 46
; NumVgprs: 55
; ScratchSize: 0
; MemoryBound: 0
; FloatMode: 240
; IeeeMode: 1
; LDSByteSize: 4096 bytes/workgroup (compile time only)
; SGPRBlocks: 5
; VGPRBlocks: 6
; NumSGPRsForWavesPerEU: 46
; NumVGPRsForWavesPerEU: 55
; Occupancy: 16
; WaveLimiterHint : 1
; COMPUTE_PGM_RSRC2:SCRATCH_EN: 0
; COMPUTE_PGM_RSRC2:USER_SGPR: 14
; COMPUTE_PGM_RSRC2:TRAP_HANDLER: 0
; COMPUTE_PGM_RSRC2:TGID_X_EN: 1
; COMPUTE_PGM_RSRC2:TGID_Y_EN: 0
; COMPUTE_PGM_RSRC2:TGID_Z_EN: 1
; COMPUTE_PGM_RSRC2:TIDIG_COMP_CNT: 1
	.section	.text._ZL20rocblas_gemvn_kernelILi32ELi16EiDF16_PKffEviiT3_lPKT2_lT1_lS5_lS6_lS2_lPT4_lS6_li,"axG",@progbits,_ZL20rocblas_gemvn_kernelILi32ELi16EiDF16_PKffEviiT3_lPKT2_lT1_lS5_lS6_lS2_lPT4_lS6_li,comdat
	.globl	_ZL20rocblas_gemvn_kernelILi32ELi16EiDF16_PKffEviiT3_lPKT2_lT1_lS5_lS6_lS2_lPT4_lS6_li ; -- Begin function _ZL20rocblas_gemvn_kernelILi32ELi16EiDF16_PKffEviiT3_lPKT2_lT1_lS5_lS6_lS2_lPT4_lS6_li
	.p2align	8
	.type	_ZL20rocblas_gemvn_kernelILi32ELi16EiDF16_PKffEviiT3_lPKT2_lT1_lS5_lS6_lS2_lPT4_lS6_li,@function
_ZL20rocblas_gemvn_kernelILi32ELi16EiDF16_PKffEviiT3_lPKT2_lT1_lS5_lS6_lS2_lPT4_lS6_li: ; @_ZL20rocblas_gemvn_kernelILi32ELi16EiDF16_PKffEviiT3_lPKT2_lT1_lS5_lS6_lS2_lPT4_lS6_li
; %bb.0:
	s_load_b64 s[2:3], s[0:1], 0x9c
	s_waitcnt lgkmcnt(0)
	s_lshr_b32 s4, s2, 16
	s_and_b32 s2, s2, 0xffff
	s_and_b32 s3, s3, 0xffff
	s_mul_i32 s2, s4, s2
	s_delay_alu instid0(SALU_CYCLE_1) | instskip(NEXT) | instid1(SALU_CYCLE_1)
	s_mul_i32 s2, s2, s3
	s_cmpk_lg_i32 s2, 0x200
	s_cbranch_scc1 .LBB474_50
; %bb.1:
	s_clause 0x1
	s_load_b256 s[16:23], s[0:1], 0x8
	s_load_b256 s[4:11], s[0:1], 0x50
	s_waitcnt lgkmcnt(0)
	s_mul_i32 s3, s15, s19
	s_mul_hi_u32 s12, s15, s18
	s_mul_i32 s2, s15, s18
	s_add_i32 s3, s12, s3
	s_mul_i32 s9, s15, s9
	s_lshl_b64 s[2:3], s[2:3], 2
	s_mul_hi_u32 s12, s15, s8
	s_add_u32 s2, s16, s2
	s_addc_u32 s3, s17, s3
	s_add_i32 s9, s12, s9
	s_mul_i32 s8, s15, s8
	s_mov_b32 s16, 0
	s_lshl_b64 s[8:9], s[8:9], 2
	s_delay_alu instid0(SALU_CYCLE_1)
	s_add_u32 s6, s6, s8
	s_addc_u32 s7, s7, s9
	s_load_b32 s13, s[2:3], 0x0
	s_load_b32 s12, s[6:7], 0x0
	s_waitcnt lgkmcnt(0)
	v_cmp_eq_f32_e64 s2, s13, 0
	v_cmp_eq_f32_e64 s3, s12, 1.0
	s_delay_alu instid0(VALU_DEP_1) | instskip(NEXT) | instid1(SALU_CYCLE_1)
	s_and_b32 s2, s2, s3
	s_and_b32 vcc_lo, exec_lo, s2
	s_cbranch_vccnz .LBB474_50
; %bb.2:
	s_clause 0x3
	s_load_b64 s[2:3], s[0:1], 0x80
	s_load_b64 s[8:9], s[0:1], 0x70
	s_load_b32 s17, s[0:1], 0x78
	s_load_b64 s[6:7], s[0:1], 0x0
	v_and_b32_e32 v1, 0x3ff, v0
	v_bfe_u32 v13, v0, 10, 10
	s_delay_alu instid0(VALU_DEP_1)
	v_lshl_add_u32 v0, v13, 5, v1
	s_waitcnt lgkmcnt(0)
	s_mul_i32 s3, s15, s3
	s_mul_hi_u32 s18, s15, s2
	s_mul_i32 s2, s15, s2
	s_add_i32 s3, s18, s3
	v_cmp_neq_f32_e64 s18, s13, 0
	s_lshl_b64 s[2:3], s[2:3], 2
	s_delay_alu instid0(SALU_CYCLE_1) | instskip(SKIP_2) | instid1(SALU_CYCLE_1)
	s_add_u32 s10, s10, s2
	s_addc_u32 s11, s11, s3
	s_lshl_b64 s[2:3], s[8:9], 2
	s_add_u32 s8, s10, s2
	v_cmp_gt_u32_e64 s2, 0x80, v0
	s_addc_u32 s9, s11, s3
	s_and_b32 vcc_lo, exec_lo, s18
	s_cbranch_vccnz .LBB474_9
; %bb.3:
	s_mov_b32 s3, 0
                                        ; implicit-def: $vgpr3
                                        ; implicit-def: $vgpr4_vgpr5
	s_and_saveexec_b32 s10, s2
	s_cbranch_execz .LBB474_10
; %bb.4:
	v_lshl_or_b32 v2, s14, 7, v0
	v_mov_b32_e32 v3, 0
	s_ashr_i32 s19, s6, 31
	s_mov_b32 s18, s6
	s_mov_b32 s11, 0
	s_mov_b32 s2, exec_lo
                                        ; implicit-def: $vgpr4_vgpr5
	v_cmpx_gt_i64_e64 s[18:19], v[2:3]
	s_cbranch_execz .LBB474_8
; %bb.5:
	v_mad_u64_u32 v[4:5], null, s17, v2, 0
	s_ashr_i32 s11, s17, 31
	s_delay_alu instid0(VALU_DEP_1) | instid1(SALU_CYCLE_1)
	v_mad_u64_u32 v[6:7], null, s11, v2, v[5:6]
	v_cmp_eq_f32_e64 s11, s12, 0
	s_delay_alu instid0(VALU_DEP_1) | instskip(NEXT) | instid1(VALU_DEP_2)
	s_and_b32 vcc_lo, exec_lo, s11
	v_mov_b32_e32 v5, v6
	s_cbranch_vccnz .LBB474_7
; %bb.6:
	s_delay_alu instid0(VALU_DEP_1) | instskip(NEXT) | instid1(VALU_DEP_1)
	v_lshlrev_b64 v[2:3], 2, v[4:5]
	v_add_co_u32 v2, vcc_lo, s8, v2
	s_delay_alu instid0(VALU_DEP_2)
	v_add_co_ci_u32_e32 v3, vcc_lo, s9, v3, vcc_lo
	global_load_b32 v2, v[2:3], off
	s_waitcnt vmcnt(0)
	v_mul_f32_e32 v3, s12, v2
.LBB474_7:
	s_mov_b32 s11, exec_lo
.LBB474_8:
	s_or_b32 exec_lo, exec_lo, s2
	s_delay_alu instid0(SALU_CYCLE_1) | instskip(SKIP_1) | instid1(SALU_CYCLE_1)
	s_and_b32 s16, s11, exec_lo
	s_or_b32 exec_lo, exec_lo, s10
	s_and_b32 vcc_lo, exec_lo, s3
	s_cbranch_vccnz .LBB474_11
	s_branch .LBB474_48
.LBB474_9:
                                        ; implicit-def: $vgpr3
                                        ; implicit-def: $vgpr4_vgpr5
	s_cbranch_execnz .LBB474_11
	s_branch .LBB474_48
.LBB474_10:
	s_or_b32 exec_lo, exec_lo, s10
	s_delay_alu instid0(SALU_CYCLE_1)
	s_and_b32 vcc_lo, exec_lo, s3
	s_cbranch_vccz .LBB474_48
.LBB474_11:
	s_clause 0x2
	s_load_b128 s[24:27], s[0:1], 0x30
	s_load_b32 s18, s[0:1], 0x28
	s_load_b64 s[2:3], s[0:1], 0x40
	s_mul_i32 s5, s15, s5
	v_dual_mov_b32 v18, 0 :: v_dual_lshlrev_b32 v19, 2, v13
	v_dual_mov_b32 v15, 0 :: v_dual_mov_b32 v14, 0
	s_waitcnt lgkmcnt(0)
	s_mul_i32 s11, s15, s25
	s_mul_hi_u32 s19, s15, s24
	s_mul_i32 s10, s15, s24
	s_add_i32 s11, s19, s11
	s_mul_hi_u32 s19, s15, s4
	s_lshl_b64 s[10:11], s[10:11], 1
	s_delay_alu instid0(SALU_CYCLE_1) | instskip(SKIP_4) | instid1(SALU_CYCLE_1)
	s_add_u32 s24, s20, s10
	s_mul_i32 s20, s15, s4
	s_load_b32 s4, s[0:1], 0x48
	s_addc_u32 s21, s21, s11
	s_lshl_b64 s[10:11], s[22:23], 1
	s_add_u32 s10, s24, s10
	s_addc_u32 s11, s21, s11
	s_add_i32 s21, s19, s5
	s_delay_alu instid0(SALU_CYCLE_1) | instskip(SKIP_4) | instid1(SALU_CYCLE_1)
	s_lshl_b64 s[0:1], s[20:21], 1
	s_mov_b32 s20, exec_lo
	s_add_u32 s5, s26, s0
	s_addc_u32 s19, s27, s1
	s_lshl_b64 s[0:1], s[2:3], 1
	s_add_u32 s15, s5, s0
	s_addc_u32 s19, s19, s1
	s_ashr_i32 s0, s7, 31
	s_lshl_b32 s5, s14, 7
	s_lshr_b32 s0, s0, 26
	v_dual_mov_b32 v17, 0 :: v_dual_add_nc_u32 v16, s5, v1
	s_add_i32 s0, s7, s0
	s_delay_alu instid0(SALU_CYCLE_1) | instskip(NEXT) | instid1(SALU_CYCLE_1)
	s_and_b32 s14, s0, 0xffffffc0
	v_cmpx_gt_i32_e64 s14, v19
	s_cbranch_execz .LBB474_23
; %bb.12:
	v_mul_lo_u32 v3, s18, v19
	v_dual_mov_b32 v17, 0 :: v_dual_add_nc_u32 v2, 32, v16
	v_add_nc_u32_e32 v6, 2, v19
	v_dual_mov_b32 v18, 0 :: v_dual_add_nc_u32 v5, 0x60, v16
	s_delay_alu instid0(VALU_DEP_3)
	v_cmp_gt_i32_e64 s0, s6, v2
	v_dual_mov_b32 v15, 0 :: v_dual_add_nc_u32 v4, 64, v16
	v_add3_u32 v20, v3, s18, v1
	v_mad_u64_u32 v[2:3], null, s18, v6, v[1:2]
	v_cmp_gt_i32_e64 s2, s6, v5
	v_mul_lo_u32 v5, v13, s18
	v_dual_mov_b32 v14, 0 :: v_dual_add_nc_u32 v7, 3, v19
	s_waitcnt lgkmcnt(0)
	v_mul_lo_u32 v8, v13, s4
	v_cmp_gt_i32_e64 s1, s6, v4
	v_mul_lo_u32 v22, s4, v6
	v_mad_u64_u32 v[3:4], null, s18, v7, v[1:2]
	v_lshl_add_u32 v21, v5, 2, v1
	v_mad_u64_u32 v[4:5], null, s4, v19, s[4:5]
	v_mul_lo_u32 v23, s4, v7
	v_cmp_gt_i32_e32 vcc_lo, s6, v16
	v_lshlrev_b32_e32 v24, 2, v8
	s_lshl_b32 s21, s18, 6
	s_lshl_b32 s23, s4, 6
	s_mov_b32 s22, 0
	s_mov_b32 s24, 0
	s_branch .LBB474_17
.LBB474_13:                             ;   in Loop: Header=BB474_17 Depth=1
	s_or_b32 exec_lo, exec_lo, s27
	s_waitcnt vmcnt(3)
	v_fma_mix_f32 v5, v37, v41, v15 op_sel_hi:[0,1,0]
	s_waitcnt vmcnt(2)
	s_delay_alu instid0(VALU_DEP_1) | instskip(SKIP_1) | instid1(VALU_DEP_1)
	v_fma_mix_f32 v5, v38, v42, v5 op_sel_hi:[0,1,0]
	s_waitcnt vmcnt(1)
	v_fma_mix_f32 v5, v39, v43, v5 op_sel_hi:[0,1,0]
	s_waitcnt vmcnt(0)
	s_delay_alu instid0(VALU_DEP_1)
	v_fma_mix_f32 v15, v40, v44, v5 op_sel_hi:[0,1,0]
.LBB474_14:                             ;   in Loop: Header=BB474_17 Depth=1
	s_or_b32 exec_lo, exec_lo, s26
	s_waitcnt vmcnt(3)
	v_fma_mix_f32 v5, v37, v33, v17 op_sel_hi:[0,1,0]
	s_waitcnt vmcnt(2)
	s_delay_alu instid0(VALU_DEP_1) | instskip(SKIP_1) | instid1(VALU_DEP_1)
	v_fma_mix_f32 v5, v38, v34, v5 op_sel_hi:[0,1,0]
	s_waitcnt vmcnt(1)
	v_fma_mix_f32 v5, v39, v35, v5 op_sel_hi:[0,1,0]
	s_waitcnt vmcnt(0)
	s_delay_alu instid0(VALU_DEP_1)
	v_fma_mix_f32 v17, v40, v36, v5 op_sel_hi:[0,1,0]
.LBB474_15:                             ;   in Loop: Header=BB474_17 Depth=1
	s_or_b32 exec_lo, exec_lo, s3
	s_waitcnt vmcnt(3)
	v_fma_mix_f32 v5, v25, v29, v18 op_sel_hi:[1,1,0]
	s_waitcnt vmcnt(2)
	s_delay_alu instid0(VALU_DEP_1) | instskip(SKIP_1) | instid1(VALU_DEP_1)
	v_fma_mix_f32 v5, v26, v30, v5 op_sel_hi:[1,1,0]
	s_waitcnt vmcnt(1)
	v_fma_mix_f32 v5, v27, v31, v5 op_sel_hi:[1,1,0]
	s_waitcnt vmcnt(0)
	s_delay_alu instid0(VALU_DEP_1)
	v_fma_mix_f32 v18, v28, v32, v5 op_sel_hi:[1,1,0]
.LBB474_16:                             ;   in Loop: Header=BB474_17 Depth=1
	s_or_b32 exec_lo, exec_lo, s25
	v_add_nc_u32_e32 v19, 64, v19
	v_add_nc_u32_e32 v20, s21, v20
	v_add_nc_u32_e32 v2, s21, v2
	v_add_nc_u32_e32 v3, s21, v3
	v_add_nc_u32_e32 v21, s21, v21
	v_cmp_le_i32_e64 s3, s14, v19
	s_add_i32 s24, s24, s23
	s_delay_alu instid0(VALU_DEP_1) | instskip(NEXT) | instid1(SALU_CYCLE_1)
	s_or_b32 s22, s3, s22
	s_and_not1_b32 exec_lo, exec_lo, s22
	s_cbranch_execz .LBB474_22
.LBB474_17:                             ; =>This Inner Loop Header: Depth=1
	s_and_saveexec_b32 s25, vcc_lo
	s_cbranch_execz .LBB474_16
; %bb.18:                               ;   in Loop: Header=BB474_17 Depth=1
	v_add_nc_u32_e32 v5, s24, v24
	v_add_nc_u32_e32 v7, s24, v4
	;; [unrolled: 1-line block ×5, first 2 shown]
	v_ashrrev_i32_e32 v6, 31, v5
	v_ashrrev_i32_e32 v8, 31, v7
	;; [unrolled: 1-line block ×5, first 2 shown]
	v_lshlrev_b64 v[5:6], 1, v[5:6]
	v_lshlrev_b64 v[7:8], 1, v[7:8]
	;; [unrolled: 1-line block ×3, first 2 shown]
	s_delay_alu instid0(VALU_DEP_3) | instskip(NEXT) | instid1(VALU_DEP_1)
	v_add_co_u32 v27, s3, s15, v5
	v_add_co_ci_u32_e64 v28, s3, s19, v6, s3
	s_delay_alu instid0(VALU_DEP_4)
	v_add_co_u32 v29, s3, s15, v7
	v_add_nc_u32_e32 v7, s5, v20
	v_add_co_ci_u32_e64 v30, s3, s19, v8, s3
	v_lshlrev_b64 v[5:6], 1, v[11:12]
	v_add_co_u32 v31, s3, s15, v9
	v_add_nc_u32_e32 v11, s5, v2
	v_add_co_ci_u32_e64 v32, s3, s19, v10, s3
	v_lshlrev_b64 v[9:10], 1, v[25:26]
	v_ashrrev_i32_e32 v8, 31, v7
	v_add_nc_u32_e32 v25, s5, v3
	v_add_co_u32 v33, s3, s15, v5
	v_ashrrev_i32_e32 v12, 31, v11
	v_add_co_ci_u32_e64 v34, s3, s19, v6, s3
	v_lshlrev_b64 v[7:8], 1, v[7:8]
	v_add_co_u32 v5, s3, s10, v9
	v_ashrrev_i32_e32 v26, 31, v25
	v_add_co_ci_u32_e64 v6, s3, s11, v10, s3
	v_lshlrev_b64 v[9:10], 1, v[11:12]
	v_add_co_u32 v7, s3, s10, v7
	s_delay_alu instid0(VALU_DEP_4) | instskip(SKIP_1) | instid1(VALU_DEP_4)
	v_lshlrev_b64 v[11:12], 1, v[25:26]
	v_add_co_ci_u32_e64 v8, s3, s11, v8, s3
	v_add_co_u32 v9, s3, s10, v9
	s_delay_alu instid0(VALU_DEP_1) | instskip(NEXT) | instid1(VALU_DEP_4)
	v_add_co_ci_u32_e64 v10, s3, s11, v10, s3
	v_add_co_u32 v11, s3, s10, v11
	s_delay_alu instid0(VALU_DEP_1)
	v_add_co_ci_u32_e64 v12, s3, s11, v12, s3
	s_clause 0x3
	global_load_u16 v25, v[27:28], off
	global_load_u16 v26, v[29:30], off
	;; [unrolled: 1-line block ×4, first 2 shown]
	s_clause 0x3
	global_load_u16 v29, v[5:6], off
	global_load_u16 v30, v[7:8], off
	;; [unrolled: 1-line block ×4, first 2 shown]
	s_and_saveexec_b32 s3, s0
	s_cbranch_execz .LBB474_15
; %bb.19:                               ;   in Loop: Header=BB474_17 Depth=1
	s_clause 0x3
	global_load_u16 v33, v[5:6], off offset:64
	global_load_u16 v34, v[7:8], off offset:64
	;; [unrolled: 1-line block ×4, first 2 shown]
	s_waitcnt vmcnt(11)
	v_cvt_f32_f16_e32 v37, v25
	s_waitcnt vmcnt(10)
	v_cvt_f32_f16_e32 v38, v26
	;; [unrolled: 2-line block ×4, first 2 shown]
	s_and_saveexec_b32 s26, s1
	s_cbranch_execz .LBB474_14
; %bb.20:                               ;   in Loop: Header=BB474_17 Depth=1
	s_clause 0x3
	global_load_u16 v41, v[5:6], off offset:128
	global_load_u16 v42, v[7:8], off offset:128
	global_load_u16 v43, v[9:10], off offset:128
	global_load_u16 v44, v[11:12], off offset:128
	s_and_saveexec_b32 s27, s2
	s_cbranch_execz .LBB474_13
; %bb.21:                               ;   in Loop: Header=BB474_17 Depth=1
	s_clause 0x3
	global_load_u16 v5, v[5:6], off offset:192
	global_load_u16 v6, v[7:8], off offset:192
	;; [unrolled: 1-line block ×4, first 2 shown]
	s_waitcnt vmcnt(3)
	v_fma_mix_f32 v5, v37, v5, v14 op_sel_hi:[0,1,0]
	s_waitcnt vmcnt(2)
	s_delay_alu instid0(VALU_DEP_1) | instskip(SKIP_1) | instid1(VALU_DEP_1)
	v_fma_mix_f32 v5, v38, v6, v5 op_sel_hi:[0,1,0]
	s_waitcnt vmcnt(1)
	v_fma_mix_f32 v5, v39, v7, v5 op_sel_hi:[0,1,0]
	s_waitcnt vmcnt(0)
	s_delay_alu instid0(VALU_DEP_1)
	v_fma_mix_f32 v14, v40, v8, v5 op_sel_hi:[0,1,0]
	s_branch .LBB474_13
.LBB474_22:
	s_or_b32 exec_lo, exec_lo, s22
.LBB474_23:
	s_delay_alu instid0(SALU_CYCLE_1) | instskip(SKIP_1) | instid1(SALU_CYCLE_1)
	s_or_b32 exec_lo, exec_lo, s20
	s_sub_i32 s0, s7, s14
	s_cmp_lt_i32 s0, 1
	s_cbranch_scc1 .LBB474_41
; %bb.24:
	v_cmp_gt_i32_e32 vcc_lo, s7, v19
	v_dual_mov_b32 v10, 0 :: v_dual_mov_b32 v11, 0
	v_or_b32_e32 v2, 1, v19
	v_mov_b32_e32 v12, 0
	v_mov_b32_e32 v20, 0
	s_and_saveexec_b32 s1, vcc_lo
	s_cbranch_execz .LBB474_32
; %bb.25:
	s_waitcnt lgkmcnt(0)
	v_mul_lo_u32 v3, v19, s4
	v_dual_mov_b32 v12, 0 :: v_dual_mov_b32 v11, 0
	v_mov_b32_e32 v10, 0
	s_mov_b32 s2, exec_lo
	s_delay_alu instid0(VALU_DEP_3) | instskip(NEXT) | instid1(VALU_DEP_1)
	v_ashrrev_i32_e32 v4, 31, v3
	v_lshlrev_b64 v[3:4], 1, v[3:4]
	s_delay_alu instid0(VALU_DEP_1) | instskip(NEXT) | instid1(VALU_DEP_1)
	v_add_co_u32 v3, s0, s15, v3
	v_add_co_ci_u32_e64 v4, s0, s19, v4, s0
	global_load_u16 v3, v[3:4], off
	v_cmpx_gt_i32_e64 s7, v2
	s_cbranch_execz .LBB474_31
; %bb.26:
	v_mul_lo_u32 v4, v2, s4
	v_dual_mov_b32 v11, 0 :: v_dual_mov_b32 v10, 0
	s_mov_b32 s3, exec_lo
	s_delay_alu instid0(VALU_DEP_2) | instskip(NEXT) | instid1(VALU_DEP_1)
	v_ashrrev_i32_e32 v5, 31, v4
	v_lshlrev_b64 v[4:5], 1, v[4:5]
	s_delay_alu instid0(VALU_DEP_1) | instskip(NEXT) | instid1(VALU_DEP_1)
	v_add_co_u32 v4, s0, s15, v4
	v_add_co_ci_u32_e64 v5, s0, s19, v5, s0
	global_load_u16 v4, v[4:5], off
	v_or_b32_e32 v5, 2, v19
	s_delay_alu instid0(VALU_DEP_1)
	v_cmpx_gt_i32_e64 s7, v5
	s_cbranch_execz .LBB474_30
; %bb.27:
	v_mul_lo_u32 v5, v5, s4
	v_mov_b32_e32 v10, 0
	s_mov_b32 s14, exec_lo
	s_delay_alu instid0(VALU_DEP_2) | instskip(NEXT) | instid1(VALU_DEP_1)
	v_ashrrev_i32_e32 v6, 31, v5
	v_lshlrev_b64 v[5:6], 1, v[5:6]
	s_delay_alu instid0(VALU_DEP_1) | instskip(NEXT) | instid1(VALU_DEP_1)
	v_add_co_u32 v5, s0, s15, v5
	v_add_co_ci_u32_e64 v6, s0, s19, v6, s0
	global_load_u16 v5, v[5:6], off
	v_or_b32_e32 v6, 3, v19
	s_delay_alu instid0(VALU_DEP_1)
	v_cmpx_gt_i32_e64 s7, v6
	s_cbranch_execz .LBB474_29
; %bb.28:
	v_mul_lo_u32 v6, v6, s4
	s_delay_alu instid0(VALU_DEP_1) | instskip(NEXT) | instid1(VALU_DEP_1)
	v_ashrrev_i32_e32 v7, 31, v6
	v_lshlrev_b64 v[6:7], 1, v[6:7]
	s_delay_alu instid0(VALU_DEP_1) | instskip(NEXT) | instid1(VALU_DEP_1)
	v_add_co_u32 v6, s0, s15, v6
	v_add_co_ci_u32_e64 v7, s0, s19, v7, s0
	global_load_u16 v6, v[6:7], off
	s_waitcnt vmcnt(0)
	v_cvt_f32_f16_e32 v10, v6
.LBB474_29:
	s_or_b32 exec_lo, exec_lo, s14
	s_waitcnt vmcnt(0)
	v_cvt_f32_f16_e32 v11, v5
.LBB474_30:
	s_or_b32 exec_lo, exec_lo, s3
	s_waitcnt vmcnt(0)
	v_cvt_f32_f16_e32 v12, v4
.LBB474_31:
	s_or_b32 exec_lo, exec_lo, s2
	s_waitcnt vmcnt(0)
	v_cvt_f32_f16_e32 v20, v3
.LBB474_32:
	s_or_b32 exec_lo, exec_lo, s1
	s_delay_alu instid0(SALU_CYCLE_1)
	s_mov_b32 s1, exec_lo
	v_cmpx_gt_i32_e64 s6, v16
	s_cbranch_execz .LBB474_40
; %bb.33:
	v_mul_lo_u32 v3, v19, s18
	v_mul_lo_u32 v5, v2, s18
	v_or_b32_e32 v4, 2, v19
	v_or_b32_e32 v6, 3, v19
	s_mov_b32 s0, exec_lo
	s_delay_alu instid0(VALU_DEP_2)
	v_mul_lo_u32 v7, v4, s18
	v_cndmask_b32_e32 v3, 0, v3, vcc_lo
	v_cmp_gt_i32_e32 vcc_lo, s7, v2
	v_mul_lo_u32 v8, v6, s18
	v_cndmask_b32_e32 v5, 0, v5, vcc_lo
	v_cmp_gt_i32_e32 vcc_lo, s7, v4
	s_delay_alu instid0(VALU_DEP_2) | instskip(SKIP_2) | instid1(VALU_DEP_3)
	v_add_nc_u32_e32 v4, v5, v16
	v_dual_cndmask_b32 v7, 0, v7 :: v_dual_add_nc_u32 v2, v3, v16
	v_cmp_gt_i32_e32 vcc_lo, s7, v6
	v_ashrrev_i32_e32 v5, 31, v4
	s_delay_alu instid0(VALU_DEP_3) | instskip(SKIP_2) | instid1(VALU_DEP_4)
	v_ashrrev_i32_e32 v3, 31, v2
	v_cndmask_b32_e32 v8, 0, v8, vcc_lo
	v_add_nc_u32_e32 v6, v7, v16
	v_lshlrev_b64 v[4:5], 1, v[4:5]
	s_delay_alu instid0(VALU_DEP_4) | instskip(NEXT) | instid1(VALU_DEP_4)
	v_lshlrev_b64 v[2:3], 1, v[2:3]
	v_add_nc_u32_e32 v8, v8, v16
	s_delay_alu instid0(VALU_DEP_4) | instskip(NEXT) | instid1(VALU_DEP_3)
	v_ashrrev_i32_e32 v7, 31, v6
	v_add_co_u32 v2, vcc_lo, s10, v2
	s_delay_alu instid0(VALU_DEP_2)
	v_lshlrev_b64 v[6:7], 1, v[6:7]
	v_add_co_ci_u32_e32 v3, vcc_lo, s11, v3, vcc_lo
	v_ashrrev_i32_e32 v9, 31, v8
	v_add_co_u32 v4, vcc_lo, s10, v4
	v_add_co_ci_u32_e32 v5, vcc_lo, s11, v5, vcc_lo
	global_load_u16 v21, v[2:3], off
	v_add_co_u32 v6, vcc_lo, s10, v6
	v_add_co_ci_u32_e32 v7, vcc_lo, s11, v7, vcc_lo
	v_lshlrev_b64 v[8:9], 1, v[8:9]
	s_clause 0x1
	global_load_u16 v22, v[4:5], off
	global_load_u16 v23, v[6:7], off
	v_add_co_u32 v8, vcc_lo, s10, v8
	v_add_co_ci_u32_e32 v9, vcc_lo, s11, v9, vcc_lo
	global_load_u16 v19, v[8:9], off
	s_waitcnt vmcnt(3)
	v_fma_mix_f32 v18, v20, v21, v18 op_sel_hi:[0,1,0]
	v_add_nc_u32_e32 v21, 32, v16
	s_waitcnt vmcnt(2)
	s_delay_alu instid0(VALU_DEP_2) | instskip(SKIP_1) | instid1(VALU_DEP_1)
	v_fma_mix_f32 v18, v12, v22, v18 op_sel_hi:[0,1,0]
	s_waitcnt vmcnt(1)
	v_fma_mix_f32 v18, v11, v23, v18 op_sel_hi:[0,1,0]
	v_cmpx_gt_i32_e64 s6, v21
	s_cbranch_execz .LBB474_39
; %bb.34:
	s_clause 0x3
	global_load_u16 v22, v[2:3], off offset:64
	global_load_u16 v23, v[4:5], off offset:64
	;; [unrolled: 1-line block ×4, first 2 shown]
	s_mov_b32 s2, exec_lo
	s_waitcnt vmcnt(3)
	v_fma_mix_f32 v17, v20, v22, v17 op_sel_hi:[0,1,0]
	v_add_nc_u32_e32 v22, 64, v16
	s_waitcnt vmcnt(2)
	s_delay_alu instid0(VALU_DEP_2) | instskip(SKIP_1) | instid1(VALU_DEP_1)
	v_fma_mix_f32 v17, v12, v23, v17 op_sel_hi:[0,1,0]
	s_waitcnt vmcnt(1)
	v_fma_mix_f32 v17, v11, v24, v17 op_sel_hi:[0,1,0]
	v_cmpx_gt_i32_e64 s6, v22
	s_cbranch_execz .LBB474_38
; %bb.35:
	s_clause 0x3
	global_load_u16 v23, v[2:3], off offset:128
	global_load_u16 v24, v[4:5], off offset:128
	;; [unrolled: 1-line block ×4, first 2 shown]
	v_add_nc_u32_e32 v16, 0x60, v16
	s_mov_b32 s3, exec_lo
	s_waitcnt vmcnt(3)
	v_fma_mix_f32 v15, v20, v23, v15 op_sel_hi:[0,1,0]
	s_waitcnt vmcnt(2)
	s_delay_alu instid0(VALU_DEP_1) | instskip(SKIP_1) | instid1(VALU_DEP_1)
	v_fma_mix_f32 v15, v12, v24, v15 op_sel_hi:[0,1,0]
	s_waitcnt vmcnt(1)
	v_fma_mix_f32 v15, v11, v25, v15 op_sel_hi:[0,1,0]
	v_cmpx_gt_i32_e64 s6, v16
	s_cbranch_execz .LBB474_37
; %bb.36:
	s_clause 0x3
	global_load_u16 v2, v[2:3], off offset:192
	global_load_u16 v3, v[4:5], off offset:192
	;; [unrolled: 1-line block ×4, first 2 shown]
	s_waitcnt vmcnt(3)
	v_fma_mix_f32 v2, v20, v2, v14 op_sel_hi:[0,1,0]
	s_waitcnt vmcnt(2)
	s_delay_alu instid0(VALU_DEP_1) | instskip(SKIP_1) | instid1(VALU_DEP_1)
	v_fma_mix_f32 v2, v12, v3, v2 op_sel_hi:[0,1,0]
	s_waitcnt vmcnt(1)
	v_fma_mix_f32 v2, v11, v4, v2 op_sel_hi:[0,1,0]
	s_waitcnt vmcnt(0)
	s_delay_alu instid0(VALU_DEP_1)
	v_fma_mix_f32 v14, v10, v5, v2 op_sel_hi:[0,1,0]
.LBB474_37:
	s_or_b32 exec_lo, exec_lo, s3
	s_waitcnt vmcnt(0)
	v_fma_mix_f32 v15, v10, v22, v15 op_sel_hi:[0,1,0]
.LBB474_38:
	s_or_b32 exec_lo, exec_lo, s2
	s_waitcnt vmcnt(0)
	v_fma_mix_f32 v17, v10, v21, v17 op_sel_hi:[0,1,0]
.LBB474_39:
	s_or_b32 exec_lo, exec_lo, s0
	s_waitcnt vmcnt(0)
	v_fma_mix_f32 v18, v10, v19, v18 op_sel_hi:[0,1,0]
.LBB474_40:
	s_or_b32 exec_lo, exec_lo, s1
.LBB474_41:
	v_lshlrev_b32_e32 v2, 7, v13
	s_mov_b32 s0, exec_lo
                                        ; implicit-def: $vgpr3
                                        ; implicit-def: $vgpr4_vgpr5
	s_delay_alu instid0(VALU_DEP_1)
	v_add_lshl_u32 v1, v2, v1, 2
	ds_store_2addr_b32 v1, v18, v17 offset1:32
	ds_store_2addr_b32 v1, v15, v14 offset0:64 offset1:96
	s_waitcnt lgkmcnt(0)
	s_barrier
	buffer_gl0_inv
	v_cmpx_gt_u32_e32 0x80, v0
	s_cbranch_execz .LBB474_47
; %bb.42:
	v_lshlrev_b32_e32 v7, 2, v0
	s_mov_b32 s2, s16
	s_mov_b32 s1, exec_lo
	ds_load_2addr_stride64_b32 v[1:2], v7 offset1:2
	ds_load_2addr_stride64_b32 v[3:4], v7 offset0:4 offset1:6
	ds_load_2addr_stride64_b32 v[5:6], v7 offset0:8 offset1:10
	s_waitcnt lgkmcnt(2)
	v_add_f32_e32 v8, v1, v2
	ds_load_2addr_stride64_b32 v[1:2], v7 offset0:12 offset1:14
	s_waitcnt lgkmcnt(2)
	v_add_f32_e32 v3, v3, v8
	s_delay_alu instid0(VALU_DEP_1) | instskip(SKIP_3) | instid1(VALU_DEP_1)
	v_add_f32_e32 v8, v4, v3
	ds_load_2addr_stride64_b32 v[3:4], v7 offset0:16 offset1:18
	s_waitcnt lgkmcnt(2)
	v_add_f32_e32 v5, v5, v8
	v_add_f32_e32 v8, v6, v5
	ds_load_2addr_stride64_b32 v[5:6], v7 offset0:20 offset1:22
	s_waitcnt lgkmcnt(2)
	v_add_f32_e32 v1, v1, v8
	s_delay_alu instid0(VALU_DEP_1) | instskip(SKIP_1) | instid1(VALU_DEP_1)
	v_add_f32_e32 v1, v2, v1
	s_waitcnt lgkmcnt(1)
	v_add_f32_e32 v3, v3, v1
	ds_load_2addr_stride64_b32 v[1:2], v7 offset0:24 offset1:26
	v_add_f32_e32 v3, v4, v3
	s_waitcnt lgkmcnt(1)
	s_delay_alu instid0(VALU_DEP_1) | instskip(SKIP_3) | instid1(VALU_DEP_1)
	v_add_f32_e32 v5, v5, v3
	ds_load_2addr_stride64_b32 v[3:4], v7 offset0:28 offset1:30
	v_add_f32_e32 v5, v6, v5
	s_waitcnt lgkmcnt(1)
	v_add_f32_e32 v1, v1, v5
	s_delay_alu instid0(VALU_DEP_1) | instskip(SKIP_1) | instid1(VALU_DEP_1)
	v_add_f32_e32 v1, v2, v1
	s_waitcnt lgkmcnt(0)
	v_add_f32_e32 v2, v3, v1
	v_or_b32_e32 v1, s5, v0
                                        ; implicit-def: $vgpr3
	s_delay_alu instid0(VALU_DEP_2)
	v_add_f32_e32 v0, v4, v2
                                        ; implicit-def: $vgpr4_vgpr5
	ds_store_b32 v7, v0
	v_cmpx_gt_i32_e64 s6, v1
	s_cbranch_execz .LBB474_46
; %bb.43:
	v_mul_lo_u32 v4, v1, s17
	v_cmp_eq_f32_e64 s2, s12, 0
	v_mul_f32_e32 v3, s13, v0
	s_delay_alu instid0(VALU_DEP_2) | instskip(NEXT) | instid1(VALU_DEP_3)
	s_and_b32 vcc_lo, exec_lo, s2
	v_ashrrev_i32_e32 v5, 31, v4
	s_cbranch_vccnz .LBB474_45
; %bb.44:
	s_delay_alu instid0(VALU_DEP_1) | instskip(NEXT) | instid1(VALU_DEP_1)
	v_lshlrev_b64 v[0:1], 2, v[4:5]
	v_add_co_u32 v0, vcc_lo, s8, v0
	s_delay_alu instid0(VALU_DEP_2)
	v_add_co_ci_u32_e32 v1, vcc_lo, s9, v1, vcc_lo
	global_load_b32 v0, v[0:1], off
	s_waitcnt vmcnt(0)
	v_fmac_f32_e32 v3, s12, v0
.LBB474_45:
	s_or_b32 s2, s16, exec_lo
.LBB474_46:
	s_or_b32 exec_lo, exec_lo, s1
	s_delay_alu instid0(SALU_CYCLE_1) | instskip(SKIP_1) | instid1(SALU_CYCLE_1)
	s_and_not1_b32 s1, s16, exec_lo
	s_and_b32 s2, s2, exec_lo
	s_or_b32 s16, s1, s2
.LBB474_47:
	s_or_b32 exec_lo, exec_lo, s0
.LBB474_48:
	s_and_saveexec_b32 s0, s16
	s_cbranch_execz .LBB474_50
; %bb.49:
	v_lshlrev_b64 v[0:1], 2, v[4:5]
	s_delay_alu instid0(VALU_DEP_1) | instskip(NEXT) | instid1(VALU_DEP_2)
	v_add_co_u32 v0, vcc_lo, s8, v0
	v_add_co_ci_u32_e32 v1, vcc_lo, s9, v1, vcc_lo
	global_store_b32 v[0:1], v3, off
.LBB474_50:
	s_nop 0
	s_sendmsg sendmsg(MSG_DEALLOC_VGPRS)
	s_endpgm
	.section	.rodata,"a",@progbits
	.p2align	6, 0x0
	.amdhsa_kernel _ZL20rocblas_gemvn_kernelILi32ELi16EiDF16_PKffEviiT3_lPKT2_lT1_lS5_lS6_lS2_lPT4_lS6_li
		.amdhsa_group_segment_fixed_size 8192
		.amdhsa_private_segment_fixed_size 0
		.amdhsa_kernarg_size 400
		.amdhsa_user_sgpr_count 14
		.amdhsa_user_sgpr_dispatch_ptr 0
		.amdhsa_user_sgpr_queue_ptr 0
		.amdhsa_user_sgpr_kernarg_segment_ptr 1
		.amdhsa_user_sgpr_dispatch_id 0
		.amdhsa_user_sgpr_private_segment_size 0
		.amdhsa_wavefront_size32 1
		.amdhsa_uses_dynamic_stack 0
		.amdhsa_enable_private_segment 0
		.amdhsa_system_sgpr_workgroup_id_x 1
		.amdhsa_system_sgpr_workgroup_id_y 0
		.amdhsa_system_sgpr_workgroup_id_z 1
		.amdhsa_system_sgpr_workgroup_info 0
		.amdhsa_system_vgpr_workitem_id 1
		.amdhsa_next_free_vgpr 45
		.amdhsa_next_free_sgpr 28
		.amdhsa_reserve_vcc 1
		.amdhsa_float_round_mode_32 0
		.amdhsa_float_round_mode_16_64 0
		.amdhsa_float_denorm_mode_32 3
		.amdhsa_float_denorm_mode_16_64 3
		.amdhsa_dx10_clamp 1
		.amdhsa_ieee_mode 1
		.amdhsa_fp16_overflow 0
		.amdhsa_workgroup_processor_mode 1
		.amdhsa_memory_ordered 1
		.amdhsa_forward_progress 0
		.amdhsa_shared_vgpr_count 0
		.amdhsa_exception_fp_ieee_invalid_op 0
		.amdhsa_exception_fp_denorm_src 0
		.amdhsa_exception_fp_ieee_div_zero 0
		.amdhsa_exception_fp_ieee_overflow 0
		.amdhsa_exception_fp_ieee_underflow 0
		.amdhsa_exception_fp_ieee_inexact 0
		.amdhsa_exception_int_div_zero 0
	.end_amdhsa_kernel
	.section	.text._ZL20rocblas_gemvn_kernelILi32ELi16EiDF16_PKffEviiT3_lPKT2_lT1_lS5_lS6_lS2_lPT4_lS6_li,"axG",@progbits,_ZL20rocblas_gemvn_kernelILi32ELi16EiDF16_PKffEviiT3_lPKT2_lT1_lS5_lS6_lS2_lPT4_lS6_li,comdat
.Lfunc_end474:
	.size	_ZL20rocblas_gemvn_kernelILi32ELi16EiDF16_PKffEviiT3_lPKT2_lT1_lS5_lS6_lS2_lPT4_lS6_li, .Lfunc_end474-_ZL20rocblas_gemvn_kernelILi32ELi16EiDF16_PKffEviiT3_lPKT2_lT1_lS5_lS6_lS2_lPT4_lS6_li
                                        ; -- End function
	.section	.AMDGPU.csdata,"",@progbits
; Kernel info:
; codeLenInByte = 3220
; NumSgprs: 30
; NumVgprs: 45
; ScratchSize: 0
; MemoryBound: 0
; FloatMode: 240
; IeeeMode: 1
; LDSByteSize: 8192 bytes/workgroup (compile time only)
; SGPRBlocks: 3
; VGPRBlocks: 5
; NumSGPRsForWavesPerEU: 30
; NumVGPRsForWavesPerEU: 45
; Occupancy: 16
; WaveLimiterHint : 1
; COMPUTE_PGM_RSRC2:SCRATCH_EN: 0
; COMPUTE_PGM_RSRC2:USER_SGPR: 14
; COMPUTE_PGM_RSRC2:TRAP_HANDLER: 0
; COMPUTE_PGM_RSRC2:TGID_X_EN: 1
; COMPUTE_PGM_RSRC2:TGID_Y_EN: 0
; COMPUTE_PGM_RSRC2:TGID_Z_EN: 1
; COMPUTE_PGM_RSRC2:TIDIG_COMP_CNT: 1
	.section	.text._ZL20rocblas_gemvn_kernelILi32ELi16ElDF16_PKffEviiT3_lPKT2_lT1_lS5_lS6_lS2_lPT4_lS6_li,"axG",@progbits,_ZL20rocblas_gemvn_kernelILi32ELi16ElDF16_PKffEviiT3_lPKT2_lT1_lS5_lS6_lS2_lPT4_lS6_li,comdat
	.globl	_ZL20rocblas_gemvn_kernelILi32ELi16ElDF16_PKffEviiT3_lPKT2_lT1_lS5_lS6_lS2_lPT4_lS6_li ; -- Begin function _ZL20rocblas_gemvn_kernelILi32ELi16ElDF16_PKffEviiT3_lPKT2_lT1_lS5_lS6_lS2_lPT4_lS6_li
	.p2align	8
	.type	_ZL20rocblas_gemvn_kernelILi32ELi16ElDF16_PKffEviiT3_lPKT2_lT1_lS5_lS6_lS2_lPT4_lS6_li,@function
_ZL20rocblas_gemvn_kernelILi32ELi16ElDF16_PKffEviiT3_lPKT2_lT1_lS5_lS6_lS2_lPT4_lS6_li: ; @_ZL20rocblas_gemvn_kernelILi32ELi16ElDF16_PKffEviiT3_lPKT2_lT1_lS5_lS6_lS2_lPT4_lS6_li
; %bb.0:
	s_load_b64 s[2:3], s[0:1], 0x9c
	s_waitcnt lgkmcnt(0)
	s_lshr_b32 s4, s2, 16
	s_and_b32 s2, s2, 0xffff
	s_and_b32 s3, s3, 0xffff
	s_mul_i32 s2, s4, s2
	s_delay_alu instid0(SALU_CYCLE_1) | instskip(NEXT) | instid1(SALU_CYCLE_1)
	s_mul_i32 s2, s2, s3
	s_cmpk_lg_i32 s2, 0x200
	s_cbranch_scc1 .LBB475_50
; %bb.1:
	s_clause 0x1
	s_load_b512 s[36:51], s[0:1], 0x8
	s_load_b512 s[16:31], s[0:1], 0x48
	s_waitcnt lgkmcnt(0)
	s_mul_i32 s3, s15, s39
	s_mul_hi_u32 s4, s15, s38
	s_mul_i32 s2, s15, s38
	s_add_i32 s3, s4, s3
	s_mul_i32 s4, s15, s23
	s_lshl_b64 s[2:3], s[2:3], 2
	s_mul_hi_u32 s5, s15, s22
	s_add_u32 s2, s36, s2
	s_addc_u32 s3, s37, s3
	s_add_i32 s5, s5, s4
	s_mul_i32 s4, s15, s22
	s_mov_b32 s23, 0
	s_lshl_b64 s[4:5], s[4:5], 2
	s_delay_alu instid0(SALU_CYCLE_1)
	s_add_u32 s4, s20, s4
	s_addc_u32 s5, s21, s5
	s_load_b32 s22, s[2:3], 0x0
	s_load_b32 s21, s[4:5], 0x0
	s_waitcnt lgkmcnt(0)
	v_cmp_eq_f32_e64 s2, s22, 0
	v_cmp_eq_f32_e64 s3, s21, 1.0
	s_delay_alu instid0(VALU_DEP_1) | instskip(NEXT) | instid1(SALU_CYCLE_1)
	s_and_b32 s2, s2, s3
	s_and_b32 vcc_lo, exec_lo, s2
	s_cbranch_vccnz .LBB475_50
; %bb.2:
	s_load_b64 s[6:7], s[0:1], 0x0
	v_and_b32_e32 v12, 0x3ff, v0
	v_bfe_u32 v13, v0, 10, 10
	s_mul_i32 s2, s15, s31
	s_mul_hi_u32 s3, s15, s30
	s_mul_i32 s0, s15, s30
	s_add_i32 s1, s3, s2
	v_lshl_add_u32 v11, v13, 5, v12
	s_lshl_b64 s[0:1], s[0:1], 2
	v_cmp_neq_f32_e64 s4, s22, 0
	s_add_u32 s2, s24, s0
	s_addc_u32 s3, s25, s1
	s_lshl_b64 s[0:1], s[26:27], 2
	s_delay_alu instid0(SALU_CYCLE_1)
	s_add_u32 s5, s2, s0
	v_cmp_gt_u32_e64 s0, 0x80, v11
	s_addc_u32 s20, s3, s1
	s_and_b32 vcc_lo, exec_lo, s4
	s_cbranch_vccnz .LBB475_9
; %bb.3:
	s_mov_b32 s1, 0
                                        ; implicit-def: $vgpr1
                                        ; implicit-def: $vgpr2_vgpr3
	s_and_saveexec_b32 s2, s0
	s_cbranch_execz .LBB475_10
; %bb.4:
	v_lshl_or_b32 v0, s14, 7, v11
	v_mov_b32_e32 v1, 0
	s_waitcnt lgkmcnt(0)
	s_ashr_i32 s9, s6, 31
	s_mov_b32 s8, s6
	s_mov_b32 s3, 0
	s_mov_b32 s0, exec_lo
                                        ; implicit-def: $vgpr2_vgpr3
	v_cmpx_gt_i64_e64 s[8:9], v[0:1]
	s_cbranch_execz .LBB475_8
; %bb.5:
	v_mad_u64_u32 v[2:3], null, v0, s28, 0
	v_cmp_eq_f32_e64 s3, s21, 0
	s_delay_alu instid0(VALU_DEP_1) | instskip(NEXT) | instid1(VALU_DEP_2)
	s_and_b32 vcc_lo, exec_lo, s3
	v_mad_u64_u32 v[4:5], null, v0, s29, v[3:4]
	s_delay_alu instid0(VALU_DEP_1)
	v_mov_b32_e32 v3, v4
	s_cbranch_vccnz .LBB475_7
; %bb.6:
	s_delay_alu instid0(VALU_DEP_1) | instskip(NEXT) | instid1(VALU_DEP_1)
	v_lshlrev_b64 v[0:1], 2, v[2:3]
	v_add_co_u32 v0, vcc_lo, s5, v0
	s_delay_alu instid0(VALU_DEP_2)
	v_add_co_ci_u32_e32 v1, vcc_lo, s20, v1, vcc_lo
	global_load_b32 v0, v[0:1], off
	s_waitcnt vmcnt(0)
	v_mul_f32_e32 v1, s21, v0
.LBB475_7:
	s_mov_b32 s3, exec_lo
.LBB475_8:
	s_or_b32 exec_lo, exec_lo, s0
	s_delay_alu instid0(SALU_CYCLE_1) | instskip(SKIP_1) | instid1(SALU_CYCLE_1)
	s_and_b32 s23, s3, exec_lo
	s_or_b32 exec_lo, exec_lo, s2
	s_and_b32 vcc_lo, exec_lo, s1
	s_cbranch_vccnz .LBB475_11
	s_branch .LBB475_48
.LBB475_9:
                                        ; implicit-def: $vgpr1
                                        ; implicit-def: $vgpr2_vgpr3
	s_cbranch_execnz .LBB475_11
	s_branch .LBB475_48
.LBB475_10:
	s_or_b32 exec_lo, exec_lo, s2
	s_delay_alu instid0(SALU_CYCLE_1)
	s_and_b32 vcc_lo, exec_lo, s1
	s_cbranch_vccz .LBB475_48
.LBB475_11:
	s_mul_i32 s0, s15, s47
	s_mul_hi_u32 s1, s15, s46
	s_lshl_b32 s24, s14, 7
	s_add_i32 s9, s1, s0
	s_waitcnt lgkmcnt(0)
	s_ashr_i32 s1, s7, 31
	v_dual_mov_b32 v17, 0 :: v_dual_lshlrev_b32 v14, 2, v13
	s_lshr_b32 s1, s1, 26
	v_dual_mov_b32 v15, 0 :: v_dual_add_nc_u32 v0, s24, v12
	v_mov_b32_e32 v18, 0
	v_mov_b32_e32 v16, 0
	s_mul_i32 s0, s15, s19
	s_mul_hi_u32 s2, s15, s18
	s_add_i32 s25, s7, s1
	s_mul_i32 s8, s15, s46
	s_and_not1_b32 s25, s25, 63
	s_add_i32 s11, s2, s0
	s_mul_i32 s10, s15, s18
	s_mov_b32 s26, exec_lo
	v_cmpx_gt_i32_e64 s25, v14
	s_cbranch_execz .LBB475_23
; %bb.12:
	v_lshlrev_b32_e32 v29, 2, v13
	v_mad_u64_u32 v[2:3], null, s16, v13, 0
	v_add_nc_u32_e32 v15, 32, v0
	s_lshl_b64 s[0:1], s[10:11], 1
	s_delay_alu instid0(VALU_DEP_3)
	v_or_b32_e32 v17, 3, v29
	s_lshl_b64 s[12:13], s[50:51], 1
	s_add_u32 s4, s48, s0
	s_addc_u32 s27, s49, s1
	v_cmp_gt_i32_e64 s0, s6, v15
	v_mad_u64_u32 v[4:5], null, s44, v17, 0
	s_lshl_b64 s[18:19], s[42:43], 1
	s_lshl_b64 s[14:15], s[16:17], 7
	s_lshl_b64 s[30:31], s[8:9], 1
	v_ashrrev_i32_e32 v1, 31, v0
	v_cmp_gt_i32_e32 vcc_lo, s6, v0
	s_delay_alu instid0(VALU_DEP_3) | instskip(SKIP_3) | instid1(VALU_DEP_4)
	v_mad_u64_u32 v[6:7], null, s17, v13, v[3:4]
	v_add_nc_u32_e32 v16, 64, v0
	v_mad_u64_u32 v[7:8], null, s16, v17, 0
	v_add_nc_u32_e32 v18, 0x60, v0
	v_mad_u64_u32 v[9:10], null, s45, v17, v[5:6]
	v_mov_b32_e32 v3, v6
	v_cmp_gt_i32_e64 s1, s6, v16
	s_delay_alu instid0(VALU_DEP_2)
	v_lshlrev_b64 v[15:16], 3, v[2:3]
	v_mov_b32_e32 v3, v8
	v_mov_b32_e32 v5, v9
	v_mad_u64_u32 v[9:10], null, s44, v13, 0
	v_cmp_gt_i32_e64 s2, s6, v18
	v_add_co_u32 v19, s3, s4, v15
	s_delay_alu instid0(VALU_DEP_4) | instskip(SKIP_4) | instid1(VALU_DEP_2)
	v_lshlrev_b64 v[4:5], 1, v[4:5]
	v_add_co_ci_u32_e64 v20, s3, s27, v16, s3
	s_add_u32 s3, s40, s18
	s_addc_u32 s18, s41, s19
	s_add_u32 s19, s3, s30
	v_mad_u64_u32 v[15:16], null, s17, v17, v[3:4]
	v_mov_b32_e32 v3, v10
	s_addc_u32 s18, s18, s31
	v_add_co_u32 v21, s3, s19, v4
	s_delay_alu instid0(VALU_DEP_1) | instskip(NEXT) | instid1(VALU_DEP_4)
	v_add_co_ci_u32_e64 v22, s3, s18, v5, s3
	v_mov_b32_e32 v8, v15
	v_or_b32_e32 v23, 2, v29
	v_mad_u64_u32 v[17:18], null, s45, v13, v[3:4]
	v_mad_u64_u32 v[31:32], null, s44, v29, s[44:45]
	s_delay_alu instid0(VALU_DEP_3)
	v_mad_u64_u32 v[15:16], null, s44, v23, 0
	v_lshlrev_b64 v[4:5], 1, v[7:8]
	v_mad_u64_u32 v[27:28], null, s16, v23, 0
	v_mov_b32_e32 v10, v17
	v_mad_u64_u32 v[17:18], null, s16, v29, s[16:17]
	v_mov_b32_e32 v3, v16
	v_lshlrev_b64 v[1:2], 1, v[0:1]
	v_mov_b32_e32 v6, v28
	s_delay_alu instid0(VALU_DEP_3) | instskip(SKIP_1) | instid1(VALU_DEP_2)
	v_mad_u64_u32 v[7:8], null, s45, v23, v[3:4]
	v_mov_b32_e32 v3, v18
	v_mad_u64_u32 v[25:26], null, s17, v23, v[6:7]
	v_add_co_u32 v23, s3, s4, v4
	s_delay_alu instid0(VALU_DEP_1) | instskip(SKIP_3) | instid1(VALU_DEP_3)
	v_add_co_ci_u32_e64 v24, s3, s27, v5, s3
	v_lshlrev_b64 v[4:5], 3, v[9:10]
	v_mov_b32_e32 v16, v7
	v_mov_b32_e32 v28, v25
	v_mad_u64_u32 v[6:7], null, s17, v29, v[3:4]
	v_add_co_u32 v25, s3, s19, v4
	s_delay_alu instid0(VALU_DEP_1) | instskip(SKIP_1) | instid1(VALU_DEP_4)
	v_add_co_ci_u32_e64 v26, s3, s18, v5, s3
	v_lshlrev_b64 v[4:5], 1, v[15:16]
	v_dual_mov_b32 v3, v32 :: v_dual_mov_b32 v18, v6
	v_dual_mov_b32 v16, 0 :: v_dual_mov_b32 v15, 0
	s_delay_alu instid0(VALU_DEP_2)
	v_mad_u64_u32 v[7:8], null, s45, v29, v[3:4]
	v_lshlrev_b64 v[8:9], 1, v[27:28]
	v_add_co_u32 v27, s3, s19, v4
	v_lshlrev_b64 v[3:4], 1, v[17:18]
	v_add_co_ci_u32_e64 v28, s3, s18, v5, s3
	v_mov_b32_e32 v32, v7
	v_add_co_u32 v29, s3, s4, v8
	s_delay_alu instid0(VALU_DEP_1) | instskip(NEXT) | instid1(VALU_DEP_3)
	v_add_co_ci_u32_e64 v30, s3, s27, v9, s3
	v_lshlrev_b64 v[5:6], 1, v[31:32]
	v_add_co_u32 v31, s3, s4, v3
	s_delay_alu instid0(VALU_DEP_1) | instskip(SKIP_1) | instid1(VALU_DEP_4)
	v_add_co_ci_u32_e64 v32, s3, s27, v4, s3
	v_dual_mov_b32 v18, 0 :: v_dual_mov_b32 v17, 0
	v_add_co_u32 v33, s3, s19, v5
	s_delay_alu instid0(VALU_DEP_1)
	v_add_co_ci_u32_e64 v34, s3, s18, v6, s3
	s_lshl_b64 s[18:19], s[44:45], 7
	s_mov_b32 s27, 0
	s_branch .LBB475_17
.LBB475_13:                             ;   in Loop: Header=BB475_17 Depth=1
	s_or_b32 exec_lo, exec_lo, s31
	s_waitcnt vmcnt(3)
	v_fma_mix_f32 v3, v47, v51, v16 op_sel_hi:[0,1,0]
	s_waitcnt vmcnt(2)
	s_delay_alu instid0(VALU_DEP_1) | instskip(SKIP_1) | instid1(VALU_DEP_1)
	v_fma_mix_f32 v3, v48, v52, v3 op_sel_hi:[0,1,0]
	s_waitcnt vmcnt(1)
	v_fma_mix_f32 v3, v49, v53, v3 op_sel_hi:[0,1,0]
	s_waitcnt vmcnt(0)
	s_delay_alu instid0(VALU_DEP_1)
	v_fma_mix_f32 v16, v50, v54, v3 op_sel_hi:[0,1,0]
.LBB475_14:                             ;   in Loop: Header=BB475_17 Depth=1
	s_or_b32 exec_lo, exec_lo, s30
	s_waitcnt vmcnt(3)
	v_fma_mix_f32 v3, v47, v43, v17 op_sel_hi:[0,1,0]
	s_waitcnt vmcnt(2)
	s_delay_alu instid0(VALU_DEP_1) | instskip(SKIP_1) | instid1(VALU_DEP_1)
	v_fma_mix_f32 v3, v48, v44, v3 op_sel_hi:[0,1,0]
	s_waitcnt vmcnt(1)
	v_fma_mix_f32 v3, v49, v45, v3 op_sel_hi:[0,1,0]
	s_waitcnt vmcnt(0)
	s_delay_alu instid0(VALU_DEP_1)
	v_fma_mix_f32 v17, v50, v46, v3 op_sel_hi:[0,1,0]
.LBB475_15:                             ;   in Loop: Header=BB475_17 Depth=1
	s_or_b32 exec_lo, exec_lo, s3
	s_waitcnt vmcnt(3)
	v_fma_mix_f32 v3, v35, v39, v18 op_sel_hi:[1,1,0]
	s_waitcnt vmcnt(2)
	s_delay_alu instid0(VALU_DEP_1) | instskip(SKIP_1) | instid1(VALU_DEP_1)
	v_fma_mix_f32 v3, v36, v40, v3 op_sel_hi:[1,1,0]
	s_waitcnt vmcnt(1)
	v_fma_mix_f32 v3, v37, v41, v3 op_sel_hi:[1,1,0]
	s_waitcnt vmcnt(0)
	s_delay_alu instid0(VALU_DEP_1)
	v_fma_mix_f32 v18, v38, v42, v3 op_sel_hi:[1,1,0]
.LBB475_16:                             ;   in Loop: Header=BB475_17 Depth=1
	s_or_b32 exec_lo, exec_lo, s4
	v_add_co_u32 v19, s3, v19, s14
	s_delay_alu instid0(VALU_DEP_1) | instskip(SKIP_1) | instid1(VALU_DEP_1)
	v_add_co_ci_u32_e64 v20, s3, s15, v20, s3
	v_add_co_u32 v21, s3, v21, s18
	v_add_co_ci_u32_e64 v22, s3, s19, v22, s3
	v_add_co_u32 v23, s3, v23, s14
	s_delay_alu instid0(VALU_DEP_1) | instskip(SKIP_1) | instid1(VALU_DEP_1)
	v_add_co_ci_u32_e64 v24, s3, s15, v24, s3
	v_add_co_u32 v25, s3, v25, s18
	v_add_co_ci_u32_e64 v26, s3, s19, v26, s3
	v_add_co_u32 v27, s3, v27, s18
	s_delay_alu instid0(VALU_DEP_1) | instskip(SKIP_4) | instid1(VALU_DEP_1)
	v_add_co_ci_u32_e64 v28, s3, s19, v28, s3
	v_add_co_u32 v29, s3, v29, s14
	v_add_nc_u32_e32 v14, 64, v14
	v_add_co_ci_u32_e64 v30, s3, s15, v30, s3
	v_add_co_u32 v31, s3, v31, s14
	v_add_co_ci_u32_e64 v32, s3, s15, v32, s3
	s_delay_alu instid0(VALU_DEP_4) | instskip(SKIP_1) | instid1(VALU_DEP_1)
	v_cmp_le_i32_e64 s3, s25, v14
	v_add_co_u32 v33, s4, v33, s18
	v_add_co_ci_u32_e64 v34, s4, s19, v34, s4
	s_delay_alu instid0(VALU_DEP_3) | instskip(NEXT) | instid1(SALU_CYCLE_1)
	s_or_b32 s27, s3, s27
	s_and_not1_b32 exec_lo, exec_lo, s27
	s_cbranch_execz .LBB475_22
.LBB475_17:                             ; =>This Inner Loop Header: Depth=1
	s_and_saveexec_b32 s4, vcc_lo
	s_cbranch_execz .LBB475_16
; %bb.18:                               ;   in Loop: Header=BB475_17 Depth=1
	v_add_co_u32 v3, s3, v19, s12
	s_delay_alu instid0(VALU_DEP_1) | instskip(SKIP_1) | instid1(VALU_DEP_1)
	v_add_co_ci_u32_e64 v4, s3, s13, v20, s3
	v_add_co_u32 v5, s3, v31, s12
	v_add_co_ci_u32_e64 v6, s3, s13, v32, s3
	v_add_co_u32 v7, s3, v29, s12
	s_delay_alu instid0(VALU_DEP_1) | instskip(SKIP_1) | instid1(VALU_DEP_1)
	v_add_co_ci_u32_e64 v8, s3, s13, v30, s3
	v_add_co_u32 v38, s3, v23, s12
	v_add_co_ci_u32_e64 v39, s3, s13, v24, s3
	global_load_u16 v35, v[3:4], off
	global_load_u16 v36, v[5:6], off
	;; [unrolled: 1-line block ×3, first 2 shown]
	v_add_co_u32 v3, s3, v25, v1
	s_delay_alu instid0(VALU_DEP_1) | instskip(SKIP_1) | instid1(VALU_DEP_1)
	v_add_co_ci_u32_e64 v4, s3, v26, v2, s3
	v_add_co_u32 v5, s3, v33, v1
	v_add_co_ci_u32_e64 v6, s3, v34, v2, s3
	v_add_co_u32 v7, s3, v27, v1
	s_delay_alu instid0(VALU_DEP_1) | instskip(SKIP_1) | instid1(VALU_DEP_1)
	v_add_co_ci_u32_e64 v8, s3, v28, v2, s3
	v_add_co_u32 v9, s3, v21, v1
	v_add_co_ci_u32_e64 v10, s3, v22, v2, s3
	global_load_u16 v38, v[38:39], off
	global_load_u16 v39, v[3:4], off
	;; [unrolled: 1-line block ×5, first 2 shown]
	s_and_saveexec_b32 s3, s0
	s_cbranch_execz .LBB475_15
; %bb.19:                               ;   in Loop: Header=BB475_17 Depth=1
	global_load_u16 v43, v[3:4], off offset:64
	global_load_u16 v44, v[5:6], off offset:64
	;; [unrolled: 1-line block ×4, first 2 shown]
	s_waitcnt vmcnt(11)
	v_cvt_f32_f16_e32 v47, v35
	s_waitcnt vmcnt(10)
	v_cvt_f32_f16_e32 v48, v36
	;; [unrolled: 2-line block ×4, first 2 shown]
	s_and_saveexec_b32 s30, s1
	s_cbranch_execz .LBB475_14
; %bb.20:                               ;   in Loop: Header=BB475_17 Depth=1
	global_load_u16 v51, v[3:4], off offset:128
	global_load_u16 v52, v[5:6], off offset:128
	;; [unrolled: 1-line block ×4, first 2 shown]
	s_and_saveexec_b32 s31, s2
	s_cbranch_execz .LBB475_13
; %bb.21:                               ;   in Loop: Header=BB475_17 Depth=1
	global_load_u16 v3, v[3:4], off offset:192
	global_load_u16 v4, v[5:6], off offset:192
	;; [unrolled: 1-line block ×4, first 2 shown]
	s_waitcnt vmcnt(3)
	v_fma_mix_f32 v3, v47, v3, v15 op_sel_hi:[0,1,0]
	s_waitcnt vmcnt(2)
	s_delay_alu instid0(VALU_DEP_1) | instskip(SKIP_1) | instid1(VALU_DEP_1)
	v_fma_mix_f32 v3, v48, v4, v3 op_sel_hi:[0,1,0]
	s_waitcnt vmcnt(1)
	v_fma_mix_f32 v3, v49, v5, v3 op_sel_hi:[0,1,0]
	s_waitcnt vmcnt(0)
	s_delay_alu instid0(VALU_DEP_1)
	v_fma_mix_f32 v15, v50, v6, v3 op_sel_hi:[0,1,0]
	s_branch .LBB475_13
.LBB475_22:
	s_or_b32 exec_lo, exec_lo, s27
.LBB475_23:
	s_delay_alu instid0(SALU_CYCLE_1) | instskip(SKIP_1) | instid1(SALU_CYCLE_1)
	s_or_b32 exec_lo, exec_lo, s26
	s_sub_i32 s0, s7, s25
	s_cmp_lt_i32 s0, 1
	s_cbranch_scc1 .LBB475_41
; %bb.24:
	v_cmp_gt_i32_e32 vcc_lo, s7, v14
	v_dual_mov_b32 v9, 0 :: v_dual_mov_b32 v10, 0
	v_or_b32_e32 v2, 1, v14
	v_dual_mov_b32 v19, 0 :: v_dual_mov_b32 v20, 0
	s_and_saveexec_b32 s1, vcc_lo
	s_cbranch_execz .LBB475_32
; %bb.25:
	v_mad_u64_u32 v[3:4], null, v14, s16, 0
	s_lshl_b64 s[2:3], s[10:11], 1
	v_mov_b32_e32 v19, 0
	s_add_u32 s0, s48, s2
	s_addc_u32 s2, s49, s3
	s_lshl_b64 s[10:11], s[50:51], 1
	v_mov_b32_e32 v9, 0
	s_delay_alu instid0(VALU_DEP_3) | instskip(SKIP_3) | instid1(VALU_DEP_1)
	v_dual_mov_b32 v1, v4 :: v_dual_mov_b32 v10, 0
	s_add_u32 s3, s0, s10
	s_addc_u32 s4, s2, s11
	s_mov_b32 s2, exec_lo
	v_mad_u64_u32 v[4:5], null, v14, s17, v[1:2]
	s_delay_alu instid0(VALU_DEP_1) | instskip(NEXT) | instid1(VALU_DEP_1)
	v_lshlrev_b64 v[3:4], 1, v[3:4]
	v_add_co_u32 v3, s0, s3, v3
	s_delay_alu instid0(VALU_DEP_1)
	v_add_co_ci_u32_e64 v4, s0, s4, v4, s0
	global_load_u16 v1, v[3:4], off
	v_cmpx_gt_i32_e64 s7, v2
	s_cbranch_execz .LBB475_31
; %bb.26:
	v_mad_u64_u32 v[3:4], null, v2, s16, 0
	v_mov_b32_e32 v10, 0
	s_mov_b32 s10, exec_lo
	v_mov_b32_e32 v9, 0
	s_delay_alu instid0(VALU_DEP_3) | instskip(NEXT) | instid1(VALU_DEP_1)
	v_mad_u64_u32 v[5:6], null, v2, s17, v[4:5]
	v_mov_b32_e32 v4, v5
	s_delay_alu instid0(VALU_DEP_1) | instskip(NEXT) | instid1(VALU_DEP_1)
	v_lshlrev_b64 v[3:4], 1, v[3:4]
	v_add_co_u32 v3, s0, s3, v3
	s_delay_alu instid0(VALU_DEP_1) | instskip(SKIP_2) | instid1(VALU_DEP_1)
	v_add_co_ci_u32_e64 v4, s0, s4, v4, s0
	global_load_u16 v3, v[3:4], off
	v_or_b32_e32 v4, 2, v14
	v_cmpx_gt_i32_e64 s7, v4
	s_cbranch_execz .LBB475_30
; %bb.27:
	v_mad_u64_u32 v[5:6], null, v4, s16, 0
	s_mov_b32 s11, exec_lo
	v_mov_b32_e32 v9, 0
	s_delay_alu instid0(VALU_DEP_2) | instskip(NEXT) | instid1(VALU_DEP_1)
	v_mad_u64_u32 v[7:8], null, v4, s17, v[6:7]
	v_mov_b32_e32 v6, v7
	s_delay_alu instid0(VALU_DEP_1) | instskip(NEXT) | instid1(VALU_DEP_1)
	v_lshlrev_b64 v[4:5], 1, v[5:6]
	v_add_co_u32 v4, s0, s3, v4
	s_delay_alu instid0(VALU_DEP_1) | instskip(SKIP_2) | instid1(VALU_DEP_1)
	v_add_co_ci_u32_e64 v5, s0, s4, v5, s0
	global_load_u16 v4, v[4:5], off
	v_or_b32_e32 v5, 3, v14
	v_cmpx_gt_i32_e64 s7, v5
	s_cbranch_execz .LBB475_29
; %bb.28:
	v_mad_u64_u32 v[6:7], null, v5, s16, 0
	s_delay_alu instid0(VALU_DEP_1) | instskip(NEXT) | instid1(VALU_DEP_1)
	v_mad_u64_u32 v[8:9], null, v5, s17, v[7:8]
	v_mov_b32_e32 v7, v8
	s_delay_alu instid0(VALU_DEP_1) | instskip(NEXT) | instid1(VALU_DEP_1)
	v_lshlrev_b64 v[5:6], 1, v[6:7]
	v_add_co_u32 v5, s0, s3, v5
	s_delay_alu instid0(VALU_DEP_1)
	v_add_co_ci_u32_e64 v6, s0, s4, v6, s0
	global_load_u16 v5, v[5:6], off
	s_waitcnt vmcnt(0)
	v_cvt_f32_f16_e32 v9, v5
.LBB475_29:
	s_or_b32 exec_lo, exec_lo, s11
	s_waitcnt vmcnt(0)
	v_cvt_f32_f16_e32 v10, v4
.LBB475_30:
	s_or_b32 exec_lo, exec_lo, s10
	s_waitcnt vmcnt(0)
	v_cvt_f32_f16_e32 v19, v3
.LBB475_31:
	s_or_b32 exec_lo, exec_lo, s2
	s_waitcnt vmcnt(0)
	v_cvt_f32_f16_e32 v20, v1
.LBB475_32:
	s_or_b32 exec_lo, exec_lo, s1
	s_delay_alu instid0(SALU_CYCLE_1)
	s_mov_b32 s1, exec_lo
	v_cmpx_gt_i32_e64 s6, v0
	s_cbranch_execz .LBB475_40
; %bb.33:
	v_mad_u64_u32 v[3:4], null, v14, s44, 0
	v_mad_u64_u32 v[5:6], null, v2, s44, 0
	v_ashrrev_i32_e32 v1, 31, v0
	s_lshl_b64 s[2:3], s[8:9], 1
	v_or_b32_e32 v28, 2, v14
	s_add_u32 s0, s40, s2
	s_delay_alu instid0(VALU_DEP_4)
	v_cndmask_b32_e32 v3, 0, v3, vcc_lo
	v_lshlrev_b64 v[21:22], 1, v[0:1]
	v_mad_u64_u32 v[7:8], null, v14, s45, v[4:5]
	s_addc_u32 s4, s41, s3
	s_lshl_b64 s[2:3], s[42:43], 1
	v_or_b32_e32 v14, 3, v14
	s_add_u32 s2, s0, s2
	v_mov_b32_e32 v1, v6
	v_mad_u64_u32 v[23:24], null, v28, s44, 0
	s_delay_alu instid0(VALU_DEP_4) | instskip(SKIP_1) | instid1(VALU_DEP_4)
	v_cndmask_b32_e32 v4, 0, v7, vcc_lo
	v_cmp_gt_i32_e32 vcc_lo, s7, v2
	v_mad_u64_u32 v[25:26], null, v2, s45, v[1:2]
	s_addc_u32 s3, s4, s3
	v_mad_u64_u32 v[6:7], null, v14, s44, 0
	v_cndmask_b32_e32 v26, 0, v5, vcc_lo
	v_lshlrev_b64 v[3:4], 1, v[3:4]
	s_delay_alu instid0(VALU_DEP_4) | instskip(NEXT) | instid1(VALU_DEP_2)
	v_cndmask_b32_e32 v27, 0, v25, vcc_lo
	v_add_co_u32 v1, s0, s2, v3
	s_delay_alu instid0(VALU_DEP_1) | instskip(NEXT) | instid1(VALU_DEP_3)
	v_add_co_ci_u32_e64 v2, s0, s3, v4, s0
	v_lshlrev_b64 v[3:4], 1, v[26:27]
	s_delay_alu instid0(VALU_DEP_3) | instskip(NEXT) | instid1(VALU_DEP_3)
	v_add_co_u32 v1, vcc_lo, v1, v21
	v_add_co_ci_u32_e32 v2, vcc_lo, v2, v22, vcc_lo
	v_cmp_gt_i32_e32 vcc_lo, s7, v28
	v_mov_b32_e32 v5, v24
	v_add_co_u32 v3, s0, s2, v3
	s_delay_alu instid0(VALU_DEP_1) | instskip(NEXT) | instid1(VALU_DEP_3)
	v_add_co_ci_u32_e64 v4, s0, s3, v4, s0
	v_mad_u64_u32 v[24:25], null, v28, s45, v[5:6]
	v_mov_b32_e32 v5, v7
	v_cndmask_b32_e32 v7, 0, v23, vcc_lo
	s_mov_b32 s0, exec_lo
	s_delay_alu instid0(VALU_DEP_3) | instskip(NEXT) | instid1(VALU_DEP_3)
	v_cndmask_b32_e32 v8, 0, v24, vcc_lo
	v_mad_u64_u32 v[23:24], null, v14, s45, v[5:6]
	v_add_co_u32 v3, vcc_lo, v3, v21
	v_add_co_ci_u32_e32 v4, vcc_lo, v4, v22, vcc_lo
	v_cmp_gt_i32_e32 vcc_lo, s7, v14
	v_lshlrev_b64 v[7:8], 1, v[7:8]
	s_clause 0x1
	global_load_u16 v24, v[1:2], off
	global_load_u16 v25, v[3:4], off
	v_dual_cndmask_b32 v5, 0, v6 :: v_dual_cndmask_b32 v6, 0, v23
	v_add_co_u32 v14, vcc_lo, s2, v7
	v_add_co_ci_u32_e32 v23, vcc_lo, s3, v8, vcc_lo
	s_delay_alu instid0(VALU_DEP_3) | instskip(NEXT) | instid1(VALU_DEP_3)
	v_lshlrev_b64 v[7:8], 1, v[5:6]
	v_add_co_u32 v5, vcc_lo, v14, v21
	s_delay_alu instid0(VALU_DEP_3) | instskip(NEXT) | instid1(VALU_DEP_3)
	v_add_co_ci_u32_e32 v6, vcc_lo, v23, v22, vcc_lo
	v_add_co_u32 v7, vcc_lo, s2, v7
	s_delay_alu instid0(VALU_DEP_4)
	v_add_co_ci_u32_e32 v8, vcc_lo, s3, v8, vcc_lo
	global_load_u16 v23, v[5:6], off
	v_add_co_u32 v7, vcc_lo, v7, v21
	v_add_co_ci_u32_e32 v8, vcc_lo, v8, v22, vcc_lo
	v_add_nc_u32_e32 v21, 32, v0
	global_load_u16 v14, v[7:8], off
	s_waitcnt vmcnt(3)
	v_fma_mix_f32 v18, v20, v24, v18 op_sel_hi:[0,1,0]
	s_waitcnt vmcnt(2)
	s_delay_alu instid0(VALU_DEP_1) | instskip(SKIP_1) | instid1(VALU_DEP_1)
	v_fma_mix_f32 v18, v19, v25, v18 op_sel_hi:[0,1,0]
	s_waitcnt vmcnt(1)
	v_fma_mix_f32 v18, v10, v23, v18 op_sel_hi:[0,1,0]
	v_cmpx_gt_i32_e64 s6, v21
	s_cbranch_execz .LBB475_39
; %bb.34:
	s_clause 0x3
	global_load_u16 v22, v[1:2], off offset:64
	global_load_u16 v23, v[3:4], off offset:64
	;; [unrolled: 1-line block ×4, first 2 shown]
	s_mov_b32 s2, exec_lo
	s_waitcnt vmcnt(3)
	v_fma_mix_f32 v17, v20, v22, v17 op_sel_hi:[0,1,0]
	v_add_nc_u32_e32 v22, 64, v0
	s_waitcnt vmcnt(2)
	s_delay_alu instid0(VALU_DEP_2) | instskip(SKIP_1) | instid1(VALU_DEP_1)
	v_fma_mix_f32 v17, v19, v23, v17 op_sel_hi:[0,1,0]
	s_waitcnt vmcnt(1)
	v_fma_mix_f32 v17, v10, v24, v17 op_sel_hi:[0,1,0]
	v_cmpx_gt_i32_e64 s6, v22
	s_cbranch_execz .LBB475_38
; %bb.35:
	s_clause 0x3
	global_load_u16 v23, v[1:2], off offset:128
	global_load_u16 v24, v[3:4], off offset:128
	;; [unrolled: 1-line block ×4, first 2 shown]
	s_mov_b32 s3, exec_lo
	s_waitcnt vmcnt(3)
	v_fma_mix_f32 v16, v20, v23, v16 op_sel_hi:[0,1,0]
	v_add_nc_u32_e32 v23, 0x60, v0
	s_waitcnt vmcnt(2)
	s_delay_alu instid0(VALU_DEP_2) | instskip(SKIP_1) | instid1(VALU_DEP_1)
	v_fma_mix_f32 v16, v19, v24, v16 op_sel_hi:[0,1,0]
	s_waitcnt vmcnt(1)
	v_fma_mix_f32 v0, v10, v25, v16 op_sel_hi:[0,1,0]
	v_cmpx_gt_i32_e64 s6, v23
	s_cbranch_execz .LBB475_37
; %bb.36:
	s_clause 0x3
	global_load_u16 v1, v[1:2], off offset:192
	global_load_u16 v2, v[3:4], off offset:192
	;; [unrolled: 1-line block ×4, first 2 shown]
	s_waitcnt vmcnt(3)
	v_fma_mix_f32 v1, v20, v1, v15 op_sel_hi:[0,1,0]
	s_waitcnt vmcnt(2)
	s_delay_alu instid0(VALU_DEP_1) | instskip(SKIP_1) | instid1(VALU_DEP_1)
	v_fma_mix_f32 v1, v19, v2, v1 op_sel_hi:[0,1,0]
	s_waitcnt vmcnt(1)
	v_fma_mix_f32 v1, v10, v3, v1 op_sel_hi:[0,1,0]
	s_waitcnt vmcnt(0)
	s_delay_alu instid0(VALU_DEP_1)
	v_fma_mix_f32 v15, v9, v4, v1 op_sel_hi:[0,1,0]
.LBB475_37:
	s_or_b32 exec_lo, exec_lo, s3
	s_waitcnt vmcnt(0)
	v_fma_mix_f32 v16, v9, v22, v0 op_sel_hi:[0,1,0]
.LBB475_38:
	s_or_b32 exec_lo, exec_lo, s2
	s_waitcnt vmcnt(0)
	v_fma_mix_f32 v17, v9, v21, v17 op_sel_hi:[0,1,0]
.LBB475_39:
	s_or_b32 exec_lo, exec_lo, s0
	s_waitcnt vmcnt(0)
	v_fma_mix_f32 v18, v9, v14, v18 op_sel_hi:[0,1,0]
.LBB475_40:
	s_or_b32 exec_lo, exec_lo, s1
.LBB475_41:
	v_lshlrev_b32_e32 v0, 7, v13
	s_mov_b32 s0, exec_lo
                                        ; implicit-def: $vgpr1
                                        ; implicit-def: $vgpr2_vgpr3
	s_delay_alu instid0(VALU_DEP_1)
	v_add_lshl_u32 v0, v0, v12, 2
	ds_store_2addr_b32 v0, v18, v17 offset1:32
	ds_store_2addr_b32 v0, v16, v15 offset0:64 offset1:96
	s_waitcnt lgkmcnt(0)
	s_barrier
	buffer_gl0_inv
	v_cmpx_gt_u32_e32 0x80, v11
	s_cbranch_execz .LBB475_47
; %bb.42:
	v_lshlrev_b32_e32 v6, 2, v11
	s_mov_b32 s2, s23
	s_mov_b32 s1, exec_lo
	ds_load_2addr_stride64_b32 v[0:1], v6 offset1:2
	ds_load_2addr_stride64_b32 v[2:3], v6 offset0:4 offset1:6
	ds_load_2addr_stride64_b32 v[4:5], v6 offset0:8 offset1:10
	s_waitcnt lgkmcnt(2)
	v_add_f32_e32 v7, v0, v1
	ds_load_2addr_stride64_b32 v[0:1], v6 offset0:12 offset1:14
	s_waitcnt lgkmcnt(2)
	v_add_f32_e32 v2, v2, v7
	s_delay_alu instid0(VALU_DEP_1) | instskip(SKIP_3) | instid1(VALU_DEP_1)
	v_add_f32_e32 v7, v3, v2
	ds_load_2addr_stride64_b32 v[2:3], v6 offset0:16 offset1:18
	s_waitcnt lgkmcnt(2)
	v_add_f32_e32 v4, v4, v7
	v_add_f32_e32 v7, v5, v4
	ds_load_2addr_stride64_b32 v[4:5], v6 offset0:20 offset1:22
	s_waitcnt lgkmcnt(2)
	v_add_f32_e32 v0, v0, v7
	s_delay_alu instid0(VALU_DEP_1) | instskip(SKIP_1) | instid1(VALU_DEP_1)
	v_add_f32_e32 v0, v1, v0
	s_waitcnt lgkmcnt(1)
	v_add_f32_e32 v2, v2, v0
	ds_load_2addr_stride64_b32 v[0:1], v6 offset0:24 offset1:26
	v_add_f32_e32 v2, v3, v2
	s_waitcnt lgkmcnt(1)
	s_delay_alu instid0(VALU_DEP_1) | instskip(SKIP_3) | instid1(VALU_DEP_1)
	v_add_f32_e32 v4, v4, v2
	ds_load_2addr_stride64_b32 v[2:3], v6 offset0:28 offset1:30
	v_add_f32_e32 v4, v5, v4
	s_waitcnt lgkmcnt(1)
	v_add_f32_e32 v0, v0, v4
	v_or_b32_e32 v4, s24, v11
	s_delay_alu instid0(VALU_DEP_2) | instskip(SKIP_1) | instid1(VALU_DEP_1)
	v_add_f32_e32 v0, v1, v0
                                        ; implicit-def: $vgpr1
	s_waitcnt lgkmcnt(0)
	v_add_f32_e32 v0, v2, v0
	s_delay_alu instid0(VALU_DEP_1)
	v_add_f32_e32 v0, v3, v0
                                        ; implicit-def: $vgpr2_vgpr3
	ds_store_b32 v6, v0
	v_cmpx_gt_i32_e64 s6, v4
	s_cbranch_execz .LBB475_46
; %bb.43:
	v_ashrrev_i32_e32 v1, 31, v4
	v_mul_lo_u32 v5, v4, s29
	v_mad_u64_u32 v[2:3], null, v4, s28, 0
	v_cmp_eq_f32_e64 s2, s21, 0
	s_delay_alu instid0(VALU_DEP_4) | instskip(SKIP_1) | instid1(VALU_DEP_3)
	v_mul_lo_u32 v4, v1, s28
	v_mul_f32_e32 v1, s22, v0
	s_and_b32 vcc_lo, exec_lo, s2
	s_delay_alu instid0(VALU_DEP_2)
	v_add3_u32 v3, v3, v5, v4
	s_cbranch_vccnz .LBB475_45
; %bb.44:
	s_delay_alu instid0(VALU_DEP_1) | instskip(NEXT) | instid1(VALU_DEP_1)
	v_lshlrev_b64 v[4:5], 2, v[2:3]
	v_add_co_u32 v4, vcc_lo, s5, v4
	s_delay_alu instid0(VALU_DEP_2)
	v_add_co_ci_u32_e32 v5, vcc_lo, s20, v5, vcc_lo
	global_load_b32 v0, v[4:5], off
	s_waitcnt vmcnt(0)
	v_fmac_f32_e32 v1, s21, v0
.LBB475_45:
	s_or_b32 s2, s23, exec_lo
.LBB475_46:
	s_or_b32 exec_lo, exec_lo, s1
	s_delay_alu instid0(SALU_CYCLE_1) | instskip(SKIP_1) | instid1(SALU_CYCLE_1)
	s_and_not1_b32 s1, s23, exec_lo
	s_and_b32 s2, s2, exec_lo
	s_or_b32 s23, s1, s2
.LBB475_47:
	s_or_b32 exec_lo, exec_lo, s0
.LBB475_48:
	s_and_saveexec_b32 s0, s23
	s_cbranch_execz .LBB475_50
; %bb.49:
	v_lshlrev_b64 v[2:3], 2, v[2:3]
	s_delay_alu instid0(VALU_DEP_1) | instskip(NEXT) | instid1(VALU_DEP_2)
	v_add_co_u32 v2, vcc_lo, s5, v2
	v_add_co_ci_u32_e32 v3, vcc_lo, s20, v3, vcc_lo
	global_store_b32 v[2:3], v1, off
.LBB475_50:
	s_nop 0
	s_sendmsg sendmsg(MSG_DEALLOC_VGPRS)
	s_endpgm
	.section	.rodata,"a",@progbits
	.p2align	6, 0x0
	.amdhsa_kernel _ZL20rocblas_gemvn_kernelILi32ELi16ElDF16_PKffEviiT3_lPKT2_lT1_lS5_lS6_lS2_lPT4_lS6_li
		.amdhsa_group_segment_fixed_size 8192
		.amdhsa_private_segment_fixed_size 0
		.amdhsa_kernarg_size 400
		.amdhsa_user_sgpr_count 14
		.amdhsa_user_sgpr_dispatch_ptr 0
		.amdhsa_user_sgpr_queue_ptr 0
		.amdhsa_user_sgpr_kernarg_segment_ptr 1
		.amdhsa_user_sgpr_dispatch_id 0
		.amdhsa_user_sgpr_private_segment_size 0
		.amdhsa_wavefront_size32 1
		.amdhsa_uses_dynamic_stack 0
		.amdhsa_enable_private_segment 0
		.amdhsa_system_sgpr_workgroup_id_x 1
		.amdhsa_system_sgpr_workgroup_id_y 0
		.amdhsa_system_sgpr_workgroup_id_z 1
		.amdhsa_system_sgpr_workgroup_info 0
		.amdhsa_system_vgpr_workitem_id 1
		.amdhsa_next_free_vgpr 55
		.amdhsa_next_free_sgpr 52
		.amdhsa_reserve_vcc 1
		.amdhsa_float_round_mode_32 0
		.amdhsa_float_round_mode_16_64 0
		.amdhsa_float_denorm_mode_32 3
		.amdhsa_float_denorm_mode_16_64 3
		.amdhsa_dx10_clamp 1
		.amdhsa_ieee_mode 1
		.amdhsa_fp16_overflow 0
		.amdhsa_workgroup_processor_mode 1
		.amdhsa_memory_ordered 1
		.amdhsa_forward_progress 0
		.amdhsa_shared_vgpr_count 0
		.amdhsa_exception_fp_ieee_invalid_op 0
		.amdhsa_exception_fp_denorm_src 0
		.amdhsa_exception_fp_ieee_div_zero 0
		.amdhsa_exception_fp_ieee_overflow 0
		.amdhsa_exception_fp_ieee_underflow 0
		.amdhsa_exception_fp_ieee_inexact 0
		.amdhsa_exception_int_div_zero 0
	.end_amdhsa_kernel
	.section	.text._ZL20rocblas_gemvn_kernelILi32ELi16ElDF16_PKffEviiT3_lPKT2_lT1_lS5_lS6_lS2_lPT4_lS6_li,"axG",@progbits,_ZL20rocblas_gemvn_kernelILi32ELi16ElDF16_PKffEviiT3_lPKT2_lT1_lS5_lS6_lS2_lPT4_lS6_li,comdat
.Lfunc_end475:
	.size	_ZL20rocblas_gemvn_kernelILi32ELi16ElDF16_PKffEviiT3_lPKT2_lT1_lS5_lS6_lS2_lPT4_lS6_li, .Lfunc_end475-_ZL20rocblas_gemvn_kernelILi32ELi16ElDF16_PKffEviiT3_lPKT2_lT1_lS5_lS6_lS2_lPT4_lS6_li
                                        ; -- End function
	.section	.AMDGPU.csdata,"",@progbits
; Kernel info:
; codeLenInByte = 3668
; NumSgprs: 54
; NumVgprs: 55
; ScratchSize: 0
; MemoryBound: 0
; FloatMode: 240
; IeeeMode: 1
; LDSByteSize: 8192 bytes/workgroup (compile time only)
; SGPRBlocks: 6
; VGPRBlocks: 6
; NumSGPRsForWavesPerEU: 54
; NumVGPRsForWavesPerEU: 55
; Occupancy: 16
; WaveLimiterHint : 0
; COMPUTE_PGM_RSRC2:SCRATCH_EN: 0
; COMPUTE_PGM_RSRC2:USER_SGPR: 14
; COMPUTE_PGM_RSRC2:TRAP_HANDLER: 0
; COMPUTE_PGM_RSRC2:TGID_X_EN: 1
; COMPUTE_PGM_RSRC2:TGID_Y_EN: 0
; COMPUTE_PGM_RSRC2:TGID_Z_EN: 1
; COMPUTE_PGM_RSRC2:TIDIG_COMP_CNT: 1
	.section	.text._ZL20rocblas_gemvn_kernelILi32ELi16EiDF16_ffEviiT3_lPKT2_lT1_lS3_lS4_lS0_lPT4_lS4_li,"axG",@progbits,_ZL20rocblas_gemvn_kernelILi32ELi16EiDF16_ffEviiT3_lPKT2_lT1_lS3_lS4_lS0_lPT4_lS4_li,comdat
	.globl	_ZL20rocblas_gemvn_kernelILi32ELi16EiDF16_ffEviiT3_lPKT2_lT1_lS3_lS4_lS0_lPT4_lS4_li ; -- Begin function _ZL20rocblas_gemvn_kernelILi32ELi16EiDF16_ffEviiT3_lPKT2_lT1_lS3_lS4_lS0_lPT4_lS4_li
	.p2align	8
	.type	_ZL20rocblas_gemvn_kernelILi32ELi16EiDF16_ffEviiT3_lPKT2_lT1_lS3_lS4_lS0_lPT4_lS4_li,@function
_ZL20rocblas_gemvn_kernelILi32ELi16EiDF16_ffEviiT3_lPKT2_lT1_lS3_lS4_lS0_lPT4_lS4_li: ; @_ZL20rocblas_gemvn_kernelILi32ELi16EiDF16_ffEviiT3_lPKT2_lT1_lS3_lS4_lS0_lPT4_lS4_li
; %bb.0:
	s_load_b64 s[2:3], s[0:1], 0x9c
	s_waitcnt lgkmcnt(0)
	s_lshr_b32 s4, s2, 16
	s_and_b32 s2, s2, 0xffff
	s_and_b32 s3, s3, 0xffff
	s_mul_i32 s2, s4, s2
	s_delay_alu instid0(SALU_CYCLE_1) | instskip(NEXT) | instid1(SALU_CYCLE_1)
	s_mul_i32 s2, s2, s3
	s_cmpk_lg_i32 s2, 0x200
	s_cbranch_scc1 .LBB476_50
; %bb.1:
	s_clause 0x1
	s_load_b128 s[4:7], s[0:1], 0x0
	s_load_b32 s13, s[0:1], 0x58
	s_mov_b32 s16, 0
	s_waitcnt lgkmcnt(0)
	v_cmp_eq_f32_e64 s2, s6, 0
	v_cmp_eq_f32_e64 s3, s13, 1.0
	s_delay_alu instid0(VALU_DEP_1) | instskip(NEXT) | instid1(SALU_CYCLE_1)
	s_and_b32 s2, s2, s3
	s_and_b32 vcc_lo, exec_lo, s2
	s_cbranch_vccnz .LBB476_50
; %bb.2:
	s_clause 0x2
	s_load_b64 s[2:3], s[0:1], 0x80
	s_load_b128 s[8:11], s[0:1], 0x68
	s_load_b32 s17, s[0:1], 0x78
	v_and_b32_e32 v1, 0x3ff, v0
	v_bfe_u32 v13, v0, 10, 10
	v_cmp_neq_f32_e64 s18, s6, 0
	s_delay_alu instid0(VALU_DEP_2)
	v_lshl_add_u32 v0, v13, 5, v1
	s_waitcnt lgkmcnt(0)
	s_mul_i32 s3, s15, s3
	s_mul_hi_u32 s7, s15, s2
	s_mul_i32 s2, s15, s2
	s_add_i32 s3, s7, s3
	s_delay_alu instid0(SALU_CYCLE_1) | instskip(NEXT) | instid1(SALU_CYCLE_1)
	s_lshl_b64 s[2:3], s[2:3], 2
	s_add_u32 s7, s8, s2
	s_addc_u32 s8, s9, s3
	s_lshl_b64 s[2:3], s[10:11], 2
	s_delay_alu instid0(SALU_CYCLE_1)
	s_add_u32 s7, s7, s2
	v_cmp_gt_u32_e64 s2, 0x80, v0
	s_addc_u32 s12, s8, s3
	s_and_b32 vcc_lo, exec_lo, s18
	s_cbranch_vccnz .LBB476_9
; %bb.3:
	s_mov_b32 s3, 0
                                        ; implicit-def: $vgpr3
                                        ; implicit-def: $vgpr4_vgpr5
	s_and_saveexec_b32 s8, s2
	s_cbranch_execz .LBB476_10
; %bb.4:
	v_lshl_or_b32 v2, s14, 7, v0
	v_mov_b32_e32 v3, 0
	s_ashr_i32 s11, s4, 31
	s_mov_b32 s10, s4
	s_mov_b32 s9, 0
	s_mov_b32 s2, exec_lo
                                        ; implicit-def: $vgpr4_vgpr5
	v_cmpx_gt_i64_e64 s[10:11], v[2:3]
	s_cbranch_execz .LBB476_8
; %bb.5:
	v_mad_u64_u32 v[4:5], null, s17, v2, 0
	s_ashr_i32 s9, s17, 31
	s_delay_alu instid0(VALU_DEP_1) | instid1(SALU_CYCLE_1)
	v_mad_u64_u32 v[6:7], null, s9, v2, v[5:6]
	v_cmp_eq_f32_e64 s9, s13, 0
	s_delay_alu instid0(VALU_DEP_1) | instskip(NEXT) | instid1(VALU_DEP_2)
	s_and_b32 vcc_lo, exec_lo, s9
	v_mov_b32_e32 v5, v6
	s_cbranch_vccnz .LBB476_7
; %bb.6:
	s_delay_alu instid0(VALU_DEP_1) | instskip(NEXT) | instid1(VALU_DEP_1)
	v_lshlrev_b64 v[2:3], 2, v[4:5]
	v_add_co_u32 v2, vcc_lo, s7, v2
	s_delay_alu instid0(VALU_DEP_2)
	v_add_co_ci_u32_e32 v3, vcc_lo, s12, v3, vcc_lo
	global_load_b32 v2, v[2:3], off
	s_waitcnt vmcnt(0)
	v_mul_f32_e32 v3, s13, v2
.LBB476_7:
	s_mov_b32 s9, exec_lo
.LBB476_8:
	s_or_b32 exec_lo, exec_lo, s2
	s_delay_alu instid0(SALU_CYCLE_1) | instskip(SKIP_1) | instid1(SALU_CYCLE_1)
	s_and_b32 s16, s9, exec_lo
	s_or_b32 exec_lo, exec_lo, s8
	s_and_b32 vcc_lo, exec_lo, s3
	s_cbranch_vccnz .LBB476_11
	s_branch .LBB476_48
.LBB476_9:
                                        ; implicit-def: $vgpr3
                                        ; implicit-def: $vgpr4_vgpr5
	s_cbranch_execnz .LBB476_11
	s_branch .LBB476_48
.LBB476_10:
	s_or_b32 exec_lo, exec_lo, s8
	s_delay_alu instid0(SALU_CYCLE_1)
	s_and_b32 vcc_lo, exec_lo, s3
	s_cbranch_vccz .LBB476_48
.LBB476_11:
	s_clause 0x4
	s_load_b128 s[8:11], s[0:1], 0x30
	s_load_b64 s[2:3], s[0:1], 0x50
	s_load_b128 s[20:23], s[0:1], 0x18
	s_load_b32 s19, s[0:1], 0x28
	s_load_b64 s[24:25], s[0:1], 0x40
	v_dual_mov_b32 v18, 0 :: v_dual_lshlrev_b32 v19, 2, v13
	v_dual_mov_b32 v15, 0 :: v_dual_mov_b32 v14, 0
	s_waitcnt lgkmcnt(0)
	s_mul_i32 s9, s15, s9
	s_mul_hi_u32 s18, s15, s8
	s_mul_i32 s8, s15, s8
	s_add_i32 s9, s18, s9
	s_mul_i32 s3, s15, s3
	s_lshl_b64 s[8:9], s[8:9], 1
	s_mul_hi_u32 s26, s15, s2
	s_add_u32 s18, s20, s8
	s_addc_u32 s20, s21, s9
	s_lshl_b64 s[8:9], s[22:23], 1
	s_mul_i32 s2, s15, s2
	s_add_u32 s15, s18, s8
	s_load_b32 s8, s[0:1], 0x48
	s_addc_u32 s18, s20, s9
	s_add_i32 s3, s26, s3
	s_mov_b32 s20, exec_lo
	s_lshl_b64 s[0:1], s[2:3], 1
	s_delay_alu instid0(SALU_CYCLE_1) | instskip(SKIP_2) | instid1(SALU_CYCLE_1)
	s_add_u32 s2, s10, s0
	s_addc_u32 s3, s11, s1
	s_lshl_b64 s[0:1], s[24:25], 1
	s_add_u32 s10, s2, s0
	s_addc_u32 s11, s3, s1
	s_ashr_i32 s0, s5, 31
	s_lshl_b32 s9, s14, 7
	s_lshr_b32 s0, s0, 26
	v_dual_mov_b32 v17, 0 :: v_dual_add_nc_u32 v16, s9, v1
	s_add_i32 s0, s5, s0
	s_delay_alu instid0(SALU_CYCLE_1) | instskip(NEXT) | instid1(SALU_CYCLE_1)
	s_and_b32 s14, s0, 0xffffffc0
	v_cmpx_gt_i32_e64 s14, v19
	s_cbranch_execz .LBB476_23
; %bb.12:
	v_mul_lo_u32 v3, s19, v19
	v_dual_mov_b32 v17, 0 :: v_dual_add_nc_u32 v2, 32, v16
	v_add_nc_u32_e32 v6, 2, v19
	v_dual_mov_b32 v18, 0 :: v_dual_add_nc_u32 v5, 0x60, v16
	s_delay_alu instid0(VALU_DEP_3)
	v_cmp_gt_i32_e64 s0, s4, v2
	v_dual_mov_b32 v15, 0 :: v_dual_add_nc_u32 v4, 64, v16
	v_add3_u32 v20, v3, s19, v1
	v_mad_u64_u32 v[2:3], null, s19, v6, v[1:2]
	v_cmp_gt_i32_e64 s2, s4, v5
	v_mul_lo_u32 v5, v13, s19
	v_dual_mov_b32 v14, 0 :: v_dual_add_nc_u32 v7, 3, v19
	s_waitcnt lgkmcnt(0)
	v_mul_lo_u32 v8, v13, s8
	v_cmp_gt_i32_e64 s1, s4, v4
	v_mul_lo_u32 v22, s8, v6
	v_mad_u64_u32 v[3:4], null, s19, v7, v[1:2]
	v_lshl_add_u32 v21, v5, 2, v1
	v_mad_u64_u32 v[4:5], null, s8, v19, s[8:9]
	v_mul_lo_u32 v23, s8, v7
	v_cmp_gt_i32_e32 vcc_lo, s4, v16
	v_lshlrev_b32_e32 v24, 2, v8
	s_lshl_b32 s21, s19, 6
	s_lshl_b32 s23, s8, 6
	s_mov_b32 s22, 0
	s_mov_b32 s24, 0
	s_branch .LBB476_17
.LBB476_13:                             ;   in Loop: Header=BB476_17 Depth=1
	s_or_b32 exec_lo, exec_lo, s27
	s_waitcnt vmcnt(3)
	v_fma_mix_f32 v5, v37, v41, v15 op_sel_hi:[0,1,0]
	s_waitcnt vmcnt(2)
	s_delay_alu instid0(VALU_DEP_1) | instskip(SKIP_1) | instid1(VALU_DEP_1)
	v_fma_mix_f32 v5, v38, v42, v5 op_sel_hi:[0,1,0]
	s_waitcnt vmcnt(1)
	v_fma_mix_f32 v5, v39, v43, v5 op_sel_hi:[0,1,0]
	s_waitcnt vmcnt(0)
	s_delay_alu instid0(VALU_DEP_1)
	v_fma_mix_f32 v15, v40, v44, v5 op_sel_hi:[0,1,0]
.LBB476_14:                             ;   in Loop: Header=BB476_17 Depth=1
	s_or_b32 exec_lo, exec_lo, s26
	s_waitcnt vmcnt(3)
	v_fma_mix_f32 v5, v37, v33, v17 op_sel_hi:[0,1,0]
	s_waitcnt vmcnt(2)
	s_delay_alu instid0(VALU_DEP_1) | instskip(SKIP_1) | instid1(VALU_DEP_1)
	v_fma_mix_f32 v5, v38, v34, v5 op_sel_hi:[0,1,0]
	s_waitcnt vmcnt(1)
	v_fma_mix_f32 v5, v39, v35, v5 op_sel_hi:[0,1,0]
	s_waitcnt vmcnt(0)
	s_delay_alu instid0(VALU_DEP_1)
	v_fma_mix_f32 v17, v40, v36, v5 op_sel_hi:[0,1,0]
.LBB476_15:                             ;   in Loop: Header=BB476_17 Depth=1
	s_or_b32 exec_lo, exec_lo, s3
	s_waitcnt vmcnt(3)
	v_fma_mix_f32 v5, v25, v29, v18 op_sel_hi:[1,1,0]
	s_waitcnt vmcnt(2)
	s_delay_alu instid0(VALU_DEP_1) | instskip(SKIP_1) | instid1(VALU_DEP_1)
	v_fma_mix_f32 v5, v26, v30, v5 op_sel_hi:[1,1,0]
	s_waitcnt vmcnt(1)
	v_fma_mix_f32 v5, v27, v31, v5 op_sel_hi:[1,1,0]
	s_waitcnt vmcnt(0)
	s_delay_alu instid0(VALU_DEP_1)
	v_fma_mix_f32 v18, v28, v32, v5 op_sel_hi:[1,1,0]
.LBB476_16:                             ;   in Loop: Header=BB476_17 Depth=1
	s_or_b32 exec_lo, exec_lo, s25
	v_add_nc_u32_e32 v19, 64, v19
	v_add_nc_u32_e32 v20, s21, v20
	;; [unrolled: 1-line block ×5, first 2 shown]
	v_cmp_le_i32_e64 s3, s14, v19
	s_add_i32 s24, s24, s23
	s_delay_alu instid0(VALU_DEP_1) | instskip(NEXT) | instid1(SALU_CYCLE_1)
	s_or_b32 s22, s3, s22
	s_and_not1_b32 exec_lo, exec_lo, s22
	s_cbranch_execz .LBB476_22
.LBB476_17:                             ; =>This Inner Loop Header: Depth=1
	s_and_saveexec_b32 s25, vcc_lo
	s_cbranch_execz .LBB476_16
; %bb.18:                               ;   in Loop: Header=BB476_17 Depth=1
	v_add_nc_u32_e32 v5, s24, v24
	v_add_nc_u32_e32 v7, s24, v4
	;; [unrolled: 1-line block ×5, first 2 shown]
	v_ashrrev_i32_e32 v6, 31, v5
	v_ashrrev_i32_e32 v8, 31, v7
	;; [unrolled: 1-line block ×5, first 2 shown]
	v_lshlrev_b64 v[5:6], 1, v[5:6]
	v_lshlrev_b64 v[7:8], 1, v[7:8]
	v_lshlrev_b64 v[9:10], 1, v[9:10]
	s_delay_alu instid0(VALU_DEP_3) | instskip(NEXT) | instid1(VALU_DEP_1)
	v_add_co_u32 v27, s3, s10, v5
	v_add_co_ci_u32_e64 v28, s3, s11, v6, s3
	s_delay_alu instid0(VALU_DEP_4)
	v_add_co_u32 v29, s3, s10, v7
	v_add_nc_u32_e32 v7, s9, v20
	v_add_co_ci_u32_e64 v30, s3, s11, v8, s3
	v_lshlrev_b64 v[5:6], 1, v[11:12]
	v_add_co_u32 v31, s3, s10, v9
	v_add_nc_u32_e32 v11, s9, v2
	v_add_co_ci_u32_e64 v32, s3, s11, v10, s3
	v_lshlrev_b64 v[9:10], 1, v[25:26]
	v_ashrrev_i32_e32 v8, 31, v7
	v_add_nc_u32_e32 v25, s9, v3
	v_add_co_u32 v33, s3, s10, v5
	v_ashrrev_i32_e32 v12, 31, v11
	v_add_co_ci_u32_e64 v34, s3, s11, v6, s3
	v_lshlrev_b64 v[7:8], 1, v[7:8]
	v_add_co_u32 v5, s3, s15, v9
	v_ashrrev_i32_e32 v26, 31, v25
	v_add_co_ci_u32_e64 v6, s3, s18, v10, s3
	v_lshlrev_b64 v[9:10], 1, v[11:12]
	v_add_co_u32 v7, s3, s15, v7
	s_delay_alu instid0(VALU_DEP_4) | instskip(SKIP_1) | instid1(VALU_DEP_4)
	v_lshlrev_b64 v[11:12], 1, v[25:26]
	v_add_co_ci_u32_e64 v8, s3, s18, v8, s3
	v_add_co_u32 v9, s3, s15, v9
	s_delay_alu instid0(VALU_DEP_1) | instskip(NEXT) | instid1(VALU_DEP_4)
	v_add_co_ci_u32_e64 v10, s3, s18, v10, s3
	v_add_co_u32 v11, s3, s15, v11
	s_delay_alu instid0(VALU_DEP_1)
	v_add_co_ci_u32_e64 v12, s3, s18, v12, s3
	s_clause 0x3
	global_load_u16 v25, v[27:28], off
	global_load_u16 v26, v[29:30], off
	;; [unrolled: 1-line block ×4, first 2 shown]
	s_clause 0x3
	global_load_u16 v29, v[5:6], off
	global_load_u16 v30, v[7:8], off
	;; [unrolled: 1-line block ×4, first 2 shown]
	s_and_saveexec_b32 s3, s0
	s_cbranch_execz .LBB476_15
; %bb.19:                               ;   in Loop: Header=BB476_17 Depth=1
	s_clause 0x3
	global_load_u16 v33, v[5:6], off offset:64
	global_load_u16 v34, v[7:8], off offset:64
	global_load_u16 v35, v[9:10], off offset:64
	global_load_u16 v36, v[11:12], off offset:64
	s_waitcnt vmcnt(11)
	v_cvt_f32_f16_e32 v37, v25
	s_waitcnt vmcnt(10)
	v_cvt_f32_f16_e32 v38, v26
	;; [unrolled: 2-line block ×4, first 2 shown]
	s_and_saveexec_b32 s26, s1
	s_cbranch_execz .LBB476_14
; %bb.20:                               ;   in Loop: Header=BB476_17 Depth=1
	s_clause 0x3
	global_load_u16 v41, v[5:6], off offset:128
	global_load_u16 v42, v[7:8], off offset:128
	;; [unrolled: 1-line block ×4, first 2 shown]
	s_and_saveexec_b32 s27, s2
	s_cbranch_execz .LBB476_13
; %bb.21:                               ;   in Loop: Header=BB476_17 Depth=1
	s_clause 0x3
	global_load_u16 v5, v[5:6], off offset:192
	global_load_u16 v6, v[7:8], off offset:192
	;; [unrolled: 1-line block ×4, first 2 shown]
	s_waitcnt vmcnt(3)
	v_fma_mix_f32 v5, v37, v5, v14 op_sel_hi:[0,1,0]
	s_waitcnt vmcnt(2)
	s_delay_alu instid0(VALU_DEP_1) | instskip(SKIP_1) | instid1(VALU_DEP_1)
	v_fma_mix_f32 v5, v38, v6, v5 op_sel_hi:[0,1,0]
	s_waitcnt vmcnt(1)
	v_fma_mix_f32 v5, v39, v7, v5 op_sel_hi:[0,1,0]
	s_waitcnt vmcnt(0)
	s_delay_alu instid0(VALU_DEP_1)
	v_fma_mix_f32 v14, v40, v8, v5 op_sel_hi:[0,1,0]
	s_branch .LBB476_13
.LBB476_22:
	s_or_b32 exec_lo, exec_lo, s22
.LBB476_23:
	s_delay_alu instid0(SALU_CYCLE_1) | instskip(SKIP_1) | instid1(SALU_CYCLE_1)
	s_or_b32 exec_lo, exec_lo, s20
	s_sub_i32 s0, s5, s14
	s_cmp_lt_i32 s0, 1
	s_cbranch_scc1 .LBB476_41
; %bb.24:
	v_cmp_gt_i32_e32 vcc_lo, s5, v19
	v_dual_mov_b32 v10, 0 :: v_dual_mov_b32 v11, 0
	v_or_b32_e32 v2, 1, v19
	v_mov_b32_e32 v12, 0
	v_mov_b32_e32 v20, 0
	s_and_saveexec_b32 s1, vcc_lo
	s_cbranch_execz .LBB476_32
; %bb.25:
	s_waitcnt lgkmcnt(0)
	v_mul_lo_u32 v3, v19, s8
	v_dual_mov_b32 v12, 0 :: v_dual_mov_b32 v11, 0
	v_mov_b32_e32 v10, 0
	s_mov_b32 s2, exec_lo
	s_delay_alu instid0(VALU_DEP_3) | instskip(NEXT) | instid1(VALU_DEP_1)
	v_ashrrev_i32_e32 v4, 31, v3
	v_lshlrev_b64 v[3:4], 1, v[3:4]
	s_delay_alu instid0(VALU_DEP_1) | instskip(NEXT) | instid1(VALU_DEP_1)
	v_add_co_u32 v3, s0, s10, v3
	v_add_co_ci_u32_e64 v4, s0, s11, v4, s0
	global_load_u16 v3, v[3:4], off
	v_cmpx_gt_i32_e64 s5, v2
	s_cbranch_execz .LBB476_31
; %bb.26:
	v_mul_lo_u32 v4, v2, s8
	v_dual_mov_b32 v11, 0 :: v_dual_mov_b32 v10, 0
	s_mov_b32 s3, exec_lo
	s_delay_alu instid0(VALU_DEP_2) | instskip(NEXT) | instid1(VALU_DEP_1)
	v_ashrrev_i32_e32 v5, 31, v4
	v_lshlrev_b64 v[4:5], 1, v[4:5]
	s_delay_alu instid0(VALU_DEP_1) | instskip(NEXT) | instid1(VALU_DEP_1)
	v_add_co_u32 v4, s0, s10, v4
	v_add_co_ci_u32_e64 v5, s0, s11, v5, s0
	global_load_u16 v4, v[4:5], off
	v_or_b32_e32 v5, 2, v19
	s_delay_alu instid0(VALU_DEP_1)
	v_cmpx_gt_i32_e64 s5, v5
	s_cbranch_execz .LBB476_30
; %bb.27:
	v_mul_lo_u32 v5, v5, s8
	v_mov_b32_e32 v10, 0
	s_mov_b32 s14, exec_lo
	s_delay_alu instid0(VALU_DEP_2) | instskip(NEXT) | instid1(VALU_DEP_1)
	v_ashrrev_i32_e32 v6, 31, v5
	v_lshlrev_b64 v[5:6], 1, v[5:6]
	s_delay_alu instid0(VALU_DEP_1) | instskip(NEXT) | instid1(VALU_DEP_1)
	v_add_co_u32 v5, s0, s10, v5
	v_add_co_ci_u32_e64 v6, s0, s11, v6, s0
	global_load_u16 v5, v[5:6], off
	v_or_b32_e32 v6, 3, v19
	s_delay_alu instid0(VALU_DEP_1)
	v_cmpx_gt_i32_e64 s5, v6
	s_cbranch_execz .LBB476_29
; %bb.28:
	v_mul_lo_u32 v6, v6, s8
	s_delay_alu instid0(VALU_DEP_1) | instskip(NEXT) | instid1(VALU_DEP_1)
	v_ashrrev_i32_e32 v7, 31, v6
	v_lshlrev_b64 v[6:7], 1, v[6:7]
	s_delay_alu instid0(VALU_DEP_1) | instskip(NEXT) | instid1(VALU_DEP_1)
	v_add_co_u32 v6, s0, s10, v6
	v_add_co_ci_u32_e64 v7, s0, s11, v7, s0
	global_load_u16 v6, v[6:7], off
	s_waitcnt vmcnt(0)
	v_cvt_f32_f16_e32 v10, v6
.LBB476_29:
	s_or_b32 exec_lo, exec_lo, s14
	s_waitcnt vmcnt(0)
	v_cvt_f32_f16_e32 v11, v5
.LBB476_30:
	s_or_b32 exec_lo, exec_lo, s3
	s_waitcnt vmcnt(0)
	v_cvt_f32_f16_e32 v12, v4
.LBB476_31:
	s_or_b32 exec_lo, exec_lo, s2
	s_waitcnt vmcnt(0)
	v_cvt_f32_f16_e32 v20, v3
.LBB476_32:
	s_or_b32 exec_lo, exec_lo, s1
	s_delay_alu instid0(SALU_CYCLE_1)
	s_mov_b32 s1, exec_lo
	v_cmpx_gt_i32_e64 s4, v16
	s_cbranch_execz .LBB476_40
; %bb.33:
	v_mul_lo_u32 v3, v19, s19
	v_mul_lo_u32 v5, v2, s19
	v_or_b32_e32 v4, 2, v19
	v_or_b32_e32 v6, 3, v19
	s_mov_b32 s0, exec_lo
	s_delay_alu instid0(VALU_DEP_2)
	v_mul_lo_u32 v7, v4, s19
	v_cndmask_b32_e32 v3, 0, v3, vcc_lo
	v_cmp_gt_i32_e32 vcc_lo, s5, v2
	v_mul_lo_u32 v8, v6, s19
	v_cndmask_b32_e32 v5, 0, v5, vcc_lo
	v_cmp_gt_i32_e32 vcc_lo, s5, v4
	s_delay_alu instid0(VALU_DEP_2) | instskip(SKIP_2) | instid1(VALU_DEP_3)
	v_add_nc_u32_e32 v4, v5, v16
	v_dual_cndmask_b32 v7, 0, v7 :: v_dual_add_nc_u32 v2, v3, v16
	v_cmp_gt_i32_e32 vcc_lo, s5, v6
	v_ashrrev_i32_e32 v5, 31, v4
	s_delay_alu instid0(VALU_DEP_3) | instskip(SKIP_2) | instid1(VALU_DEP_4)
	v_ashrrev_i32_e32 v3, 31, v2
	v_cndmask_b32_e32 v8, 0, v8, vcc_lo
	v_add_nc_u32_e32 v6, v7, v16
	v_lshlrev_b64 v[4:5], 1, v[4:5]
	s_delay_alu instid0(VALU_DEP_4) | instskip(NEXT) | instid1(VALU_DEP_4)
	v_lshlrev_b64 v[2:3], 1, v[2:3]
	v_add_nc_u32_e32 v8, v8, v16
	s_delay_alu instid0(VALU_DEP_4) | instskip(NEXT) | instid1(VALU_DEP_3)
	v_ashrrev_i32_e32 v7, 31, v6
	v_add_co_u32 v2, vcc_lo, s15, v2
	s_delay_alu instid0(VALU_DEP_2)
	v_lshlrev_b64 v[6:7], 1, v[6:7]
	v_add_co_ci_u32_e32 v3, vcc_lo, s18, v3, vcc_lo
	v_ashrrev_i32_e32 v9, 31, v8
	v_add_co_u32 v4, vcc_lo, s15, v4
	v_add_co_ci_u32_e32 v5, vcc_lo, s18, v5, vcc_lo
	global_load_u16 v21, v[2:3], off
	v_add_co_u32 v6, vcc_lo, s15, v6
	v_add_co_ci_u32_e32 v7, vcc_lo, s18, v7, vcc_lo
	v_lshlrev_b64 v[8:9], 1, v[8:9]
	s_clause 0x1
	global_load_u16 v22, v[4:5], off
	global_load_u16 v23, v[6:7], off
	v_add_co_u32 v8, vcc_lo, s15, v8
	v_add_co_ci_u32_e32 v9, vcc_lo, s18, v9, vcc_lo
	global_load_u16 v19, v[8:9], off
	s_waitcnt vmcnt(3)
	v_fma_mix_f32 v18, v20, v21, v18 op_sel_hi:[0,1,0]
	v_add_nc_u32_e32 v21, 32, v16
	s_waitcnt vmcnt(2)
	s_delay_alu instid0(VALU_DEP_2) | instskip(SKIP_1) | instid1(VALU_DEP_1)
	v_fma_mix_f32 v18, v12, v22, v18 op_sel_hi:[0,1,0]
	s_waitcnt vmcnt(1)
	v_fma_mix_f32 v18, v11, v23, v18 op_sel_hi:[0,1,0]
	v_cmpx_gt_i32_e64 s4, v21
	s_cbranch_execz .LBB476_39
; %bb.34:
	s_clause 0x3
	global_load_u16 v22, v[2:3], off offset:64
	global_load_u16 v23, v[4:5], off offset:64
	;; [unrolled: 1-line block ×4, first 2 shown]
	s_mov_b32 s2, exec_lo
	s_waitcnt vmcnt(3)
	v_fma_mix_f32 v17, v20, v22, v17 op_sel_hi:[0,1,0]
	v_add_nc_u32_e32 v22, 64, v16
	s_waitcnt vmcnt(2)
	s_delay_alu instid0(VALU_DEP_2) | instskip(SKIP_1) | instid1(VALU_DEP_1)
	v_fma_mix_f32 v17, v12, v23, v17 op_sel_hi:[0,1,0]
	s_waitcnt vmcnt(1)
	v_fma_mix_f32 v17, v11, v24, v17 op_sel_hi:[0,1,0]
	v_cmpx_gt_i32_e64 s4, v22
	s_cbranch_execz .LBB476_38
; %bb.35:
	s_clause 0x3
	global_load_u16 v23, v[2:3], off offset:128
	global_load_u16 v24, v[4:5], off offset:128
	;; [unrolled: 1-line block ×4, first 2 shown]
	v_add_nc_u32_e32 v16, 0x60, v16
	s_mov_b32 s3, exec_lo
	s_waitcnt vmcnt(3)
	v_fma_mix_f32 v15, v20, v23, v15 op_sel_hi:[0,1,0]
	s_waitcnt vmcnt(2)
	s_delay_alu instid0(VALU_DEP_1) | instskip(SKIP_1) | instid1(VALU_DEP_1)
	v_fma_mix_f32 v15, v12, v24, v15 op_sel_hi:[0,1,0]
	s_waitcnt vmcnt(1)
	v_fma_mix_f32 v15, v11, v25, v15 op_sel_hi:[0,1,0]
	v_cmpx_gt_i32_e64 s4, v16
	s_cbranch_execz .LBB476_37
; %bb.36:
	s_clause 0x3
	global_load_u16 v2, v[2:3], off offset:192
	global_load_u16 v3, v[4:5], off offset:192
	;; [unrolled: 1-line block ×4, first 2 shown]
	s_waitcnt vmcnt(3)
	v_fma_mix_f32 v2, v20, v2, v14 op_sel_hi:[0,1,0]
	s_waitcnt vmcnt(2)
	s_delay_alu instid0(VALU_DEP_1) | instskip(SKIP_1) | instid1(VALU_DEP_1)
	v_fma_mix_f32 v2, v12, v3, v2 op_sel_hi:[0,1,0]
	s_waitcnt vmcnt(1)
	v_fma_mix_f32 v2, v11, v4, v2 op_sel_hi:[0,1,0]
	s_waitcnt vmcnt(0)
	s_delay_alu instid0(VALU_DEP_1)
	v_fma_mix_f32 v14, v10, v5, v2 op_sel_hi:[0,1,0]
.LBB476_37:
	s_or_b32 exec_lo, exec_lo, s3
	s_waitcnt vmcnt(0)
	v_fma_mix_f32 v15, v10, v22, v15 op_sel_hi:[0,1,0]
.LBB476_38:
	s_or_b32 exec_lo, exec_lo, s2
	s_waitcnt vmcnt(0)
	v_fma_mix_f32 v17, v10, v21, v17 op_sel_hi:[0,1,0]
.LBB476_39:
	s_or_b32 exec_lo, exec_lo, s0
	s_waitcnt vmcnt(0)
	v_fma_mix_f32 v18, v10, v19, v18 op_sel_hi:[0,1,0]
.LBB476_40:
	s_or_b32 exec_lo, exec_lo, s1
.LBB476_41:
	v_lshlrev_b32_e32 v2, 7, v13
	s_mov_b32 s0, exec_lo
                                        ; implicit-def: $vgpr3
                                        ; implicit-def: $vgpr4_vgpr5
	s_delay_alu instid0(VALU_DEP_1)
	v_add_lshl_u32 v1, v2, v1, 2
	ds_store_2addr_b32 v1, v18, v17 offset1:32
	ds_store_2addr_b32 v1, v15, v14 offset0:64 offset1:96
	s_waitcnt lgkmcnt(0)
	s_barrier
	buffer_gl0_inv
	v_cmpx_gt_u32_e32 0x80, v0
	s_cbranch_execz .LBB476_47
; %bb.42:
	v_lshlrev_b32_e32 v7, 2, v0
	s_mov_b32 s2, s16
	s_mov_b32 s1, exec_lo
	ds_load_2addr_stride64_b32 v[1:2], v7 offset1:2
	ds_load_2addr_stride64_b32 v[3:4], v7 offset0:4 offset1:6
	ds_load_2addr_stride64_b32 v[5:6], v7 offset0:8 offset1:10
	s_waitcnt lgkmcnt(2)
	v_add_f32_e32 v8, v1, v2
	ds_load_2addr_stride64_b32 v[1:2], v7 offset0:12 offset1:14
	s_waitcnt lgkmcnt(2)
	v_add_f32_e32 v3, v3, v8
	s_delay_alu instid0(VALU_DEP_1) | instskip(SKIP_3) | instid1(VALU_DEP_1)
	v_add_f32_e32 v8, v4, v3
	ds_load_2addr_stride64_b32 v[3:4], v7 offset0:16 offset1:18
	s_waitcnt lgkmcnt(2)
	v_add_f32_e32 v5, v5, v8
	v_add_f32_e32 v8, v6, v5
	ds_load_2addr_stride64_b32 v[5:6], v7 offset0:20 offset1:22
	s_waitcnt lgkmcnt(2)
	v_add_f32_e32 v1, v1, v8
	s_delay_alu instid0(VALU_DEP_1) | instskip(SKIP_1) | instid1(VALU_DEP_1)
	v_add_f32_e32 v1, v2, v1
	s_waitcnt lgkmcnt(1)
	v_add_f32_e32 v3, v3, v1
	ds_load_2addr_stride64_b32 v[1:2], v7 offset0:24 offset1:26
	v_add_f32_e32 v3, v4, v3
	s_waitcnt lgkmcnt(1)
	s_delay_alu instid0(VALU_DEP_1) | instskip(SKIP_3) | instid1(VALU_DEP_1)
	v_add_f32_e32 v5, v5, v3
	ds_load_2addr_stride64_b32 v[3:4], v7 offset0:28 offset1:30
	v_add_f32_e32 v5, v6, v5
	s_waitcnt lgkmcnt(1)
	v_add_f32_e32 v1, v1, v5
	s_delay_alu instid0(VALU_DEP_1) | instskip(SKIP_1) | instid1(VALU_DEP_1)
	v_add_f32_e32 v1, v2, v1
	s_waitcnt lgkmcnt(0)
	v_add_f32_e32 v2, v3, v1
	v_or_b32_e32 v1, s9, v0
                                        ; implicit-def: $vgpr3
	s_delay_alu instid0(VALU_DEP_2)
	v_add_f32_e32 v0, v4, v2
                                        ; implicit-def: $vgpr4_vgpr5
	ds_store_b32 v7, v0
	v_cmpx_gt_i32_e64 s4, v1
	s_cbranch_execz .LBB476_46
; %bb.43:
	v_mul_lo_u32 v4, v1, s17
	v_cmp_eq_f32_e64 s2, s13, 0
	v_mul_f32_e32 v3, s6, v0
	s_delay_alu instid0(VALU_DEP_2) | instskip(NEXT) | instid1(VALU_DEP_3)
	s_and_b32 vcc_lo, exec_lo, s2
	v_ashrrev_i32_e32 v5, 31, v4
	s_cbranch_vccnz .LBB476_45
; %bb.44:
	s_delay_alu instid0(VALU_DEP_1) | instskip(NEXT) | instid1(VALU_DEP_1)
	v_lshlrev_b64 v[0:1], 2, v[4:5]
	v_add_co_u32 v0, vcc_lo, s7, v0
	s_delay_alu instid0(VALU_DEP_2)
	v_add_co_ci_u32_e32 v1, vcc_lo, s12, v1, vcc_lo
	global_load_b32 v0, v[0:1], off
	s_waitcnt vmcnt(0)
	v_fmac_f32_e32 v3, s13, v0
.LBB476_45:
	s_or_b32 s2, s16, exec_lo
.LBB476_46:
	s_or_b32 exec_lo, exec_lo, s1
	s_delay_alu instid0(SALU_CYCLE_1) | instskip(SKIP_1) | instid1(SALU_CYCLE_1)
	s_and_not1_b32 s1, s16, exec_lo
	s_and_b32 s2, s2, exec_lo
	s_or_b32 s16, s1, s2
.LBB476_47:
	s_or_b32 exec_lo, exec_lo, s0
.LBB476_48:
	s_and_saveexec_b32 s0, s16
	s_cbranch_execz .LBB476_50
; %bb.49:
	v_lshlrev_b64 v[0:1], 2, v[4:5]
	s_delay_alu instid0(VALU_DEP_1) | instskip(NEXT) | instid1(VALU_DEP_2)
	v_add_co_u32 v0, vcc_lo, s7, v0
	v_add_co_ci_u32_e32 v1, vcc_lo, s12, v1, vcc_lo
	global_store_b32 v[0:1], v3, off
.LBB476_50:
	s_nop 0
	s_sendmsg sendmsg(MSG_DEALLOC_VGPRS)
	s_endpgm
	.section	.rodata,"a",@progbits
	.p2align	6, 0x0
	.amdhsa_kernel _ZL20rocblas_gemvn_kernelILi32ELi16EiDF16_ffEviiT3_lPKT2_lT1_lS3_lS4_lS0_lPT4_lS4_li
		.amdhsa_group_segment_fixed_size 8192
		.amdhsa_private_segment_fixed_size 0
		.amdhsa_kernarg_size 400
		.amdhsa_user_sgpr_count 14
		.amdhsa_user_sgpr_dispatch_ptr 0
		.amdhsa_user_sgpr_queue_ptr 0
		.amdhsa_user_sgpr_kernarg_segment_ptr 1
		.amdhsa_user_sgpr_dispatch_id 0
		.amdhsa_user_sgpr_private_segment_size 0
		.amdhsa_wavefront_size32 1
		.amdhsa_uses_dynamic_stack 0
		.amdhsa_enable_private_segment 0
		.amdhsa_system_sgpr_workgroup_id_x 1
		.amdhsa_system_sgpr_workgroup_id_y 0
		.amdhsa_system_sgpr_workgroup_id_z 1
		.amdhsa_system_sgpr_workgroup_info 0
		.amdhsa_system_vgpr_workitem_id 1
		.amdhsa_next_free_vgpr 45
		.amdhsa_next_free_sgpr 28
		.amdhsa_reserve_vcc 1
		.amdhsa_float_round_mode_32 0
		.amdhsa_float_round_mode_16_64 0
		.amdhsa_float_denorm_mode_32 3
		.amdhsa_float_denorm_mode_16_64 3
		.amdhsa_dx10_clamp 1
		.amdhsa_ieee_mode 1
		.amdhsa_fp16_overflow 0
		.amdhsa_workgroup_processor_mode 1
		.amdhsa_memory_ordered 1
		.amdhsa_forward_progress 0
		.amdhsa_shared_vgpr_count 0
		.amdhsa_exception_fp_ieee_invalid_op 0
		.amdhsa_exception_fp_denorm_src 0
		.amdhsa_exception_fp_ieee_div_zero 0
		.amdhsa_exception_fp_ieee_overflow 0
		.amdhsa_exception_fp_ieee_underflow 0
		.amdhsa_exception_fp_ieee_inexact 0
		.amdhsa_exception_int_div_zero 0
	.end_amdhsa_kernel
	.section	.text._ZL20rocblas_gemvn_kernelILi32ELi16EiDF16_ffEviiT3_lPKT2_lT1_lS3_lS4_lS0_lPT4_lS4_li,"axG",@progbits,_ZL20rocblas_gemvn_kernelILi32ELi16EiDF16_ffEviiT3_lPKT2_lT1_lS3_lS4_lS0_lPT4_lS4_li,comdat
.Lfunc_end476:
	.size	_ZL20rocblas_gemvn_kernelILi32ELi16EiDF16_ffEviiT3_lPKT2_lT1_lS3_lS4_lS0_lPT4_lS4_li, .Lfunc_end476-_ZL20rocblas_gemvn_kernelILi32ELi16EiDF16_ffEviiT3_lPKT2_lT1_lS3_lS4_lS0_lPT4_lS4_li
                                        ; -- End function
	.section	.AMDGPU.csdata,"",@progbits
; Kernel info:
; codeLenInByte = 3148
; NumSgprs: 30
; NumVgprs: 45
; ScratchSize: 0
; MemoryBound: 0
; FloatMode: 240
; IeeeMode: 1
; LDSByteSize: 8192 bytes/workgroup (compile time only)
; SGPRBlocks: 3
; VGPRBlocks: 5
; NumSGPRsForWavesPerEU: 30
; NumVGPRsForWavesPerEU: 45
; Occupancy: 16
; WaveLimiterHint : 1
; COMPUTE_PGM_RSRC2:SCRATCH_EN: 0
; COMPUTE_PGM_RSRC2:USER_SGPR: 14
; COMPUTE_PGM_RSRC2:TRAP_HANDLER: 0
; COMPUTE_PGM_RSRC2:TGID_X_EN: 1
; COMPUTE_PGM_RSRC2:TGID_Y_EN: 0
; COMPUTE_PGM_RSRC2:TGID_Z_EN: 1
; COMPUTE_PGM_RSRC2:TIDIG_COMP_CNT: 1
	.section	.text._ZL20rocblas_gemvn_kernelILi32ELi16ElDF16_ffEviiT3_lPKT2_lT1_lS3_lS4_lS0_lPT4_lS4_li,"axG",@progbits,_ZL20rocblas_gemvn_kernelILi32ELi16ElDF16_ffEviiT3_lPKT2_lT1_lS3_lS4_lS0_lPT4_lS4_li,comdat
	.globl	_ZL20rocblas_gemvn_kernelILi32ELi16ElDF16_ffEviiT3_lPKT2_lT1_lS3_lS4_lS0_lPT4_lS4_li ; -- Begin function _ZL20rocblas_gemvn_kernelILi32ELi16ElDF16_ffEviiT3_lPKT2_lT1_lS3_lS4_lS0_lPT4_lS4_li
	.p2align	8
	.type	_ZL20rocblas_gemvn_kernelILi32ELi16ElDF16_ffEviiT3_lPKT2_lT1_lS3_lS4_lS0_lPT4_lS4_li,@function
_ZL20rocblas_gemvn_kernelILi32ELi16ElDF16_ffEviiT3_lPKT2_lT1_lS3_lS4_lS0_lPT4_lS4_li: ; @_ZL20rocblas_gemvn_kernelILi32ELi16ElDF16_ffEviiT3_lPKT2_lT1_lS3_lS4_lS0_lPT4_lS4_li
; %bb.0:
	s_load_b64 s[2:3], s[0:1], 0x9c
	s_waitcnt lgkmcnt(0)
	s_lshr_b32 s4, s2, 16
	s_and_b32 s2, s2, 0xffff
	s_and_b32 s3, s3, 0xffff
	s_mul_i32 s2, s4, s2
	s_delay_alu instid0(SALU_CYCLE_1) | instskip(NEXT) | instid1(SALU_CYCLE_1)
	s_mul_i32 s2, s2, s3
	s_cmpk_lg_i32 s2, 0x200
	s_cbranch_scc1 .LBB477_50
; %bb.1:
	s_clause 0x1
	s_load_b128 s[36:39], s[0:1], 0x0
	s_load_b32 s34, s[0:1], 0x58
	s_mov_b32 s35, 0
	s_waitcnt lgkmcnt(0)
	v_cmp_eq_f32_e64 s2, s38, 0
	v_cmp_eq_f32_e64 s3, s34, 1.0
	s_delay_alu instid0(VALU_DEP_1) | instskip(NEXT) | instid1(SALU_CYCLE_1)
	s_and_b32 s2, s2, s3
	s_and_b32 vcc_lo, exec_lo, s2
	s_cbranch_vccnz .LBB477_50
; %bb.2:
	s_load_b256 s[4:11], s[0:1], 0x68
	v_and_b32_e32 v12, 0x3ff, v0
	v_bfe_u32 v13, v0, 10, 10
	s_delay_alu instid0(VALU_DEP_1)
	v_lshl_add_u32 v11, v13, 5, v12
	s_waitcnt lgkmcnt(0)
	s_mul_i32 s3, s15, s11
	s_mul_hi_u32 s11, s15, s10
	s_mul_i32 s2, s15, s10
	s_add_i32 s3, s11, s3
	v_cmp_neq_f32_e64 s10, s38, 0
	s_lshl_b64 s[2:3], s[2:3], 2
	s_delay_alu instid0(SALU_CYCLE_1) | instskip(SKIP_2) | instid1(SALU_CYCLE_1)
	s_add_u32 s4, s4, s2
	s_addc_u32 s11, s5, s3
	s_lshl_b64 s[2:3], s[6:7], 2
	s_add_u32 s5, s4, s2
	v_cmp_gt_u32_e64 s2, 0x80, v11
	s_addc_u32 s33, s11, s3
	s_and_b32 vcc_lo, exec_lo, s10
	s_cbranch_vccnz .LBB477_9
; %bb.3:
	s_mov_b32 s3, 0
                                        ; implicit-def: $vgpr1
                                        ; implicit-def: $vgpr2_vgpr3
	s_and_saveexec_b32 s4, s2
	s_cbranch_execz .LBB477_10
; %bb.4:
	v_lshl_or_b32 v0, s14, 7, v11
	v_mov_b32_e32 v1, 0
	s_ashr_i32 s7, s36, 31
	s_mov_b32 s6, s36
                                        ; implicit-def: $vgpr2_vgpr3
	s_delay_alu instid0(VALU_DEP_1) | instid1(SALU_CYCLE_1)
	v_cmp_gt_i64_e32 vcc_lo, s[6:7], v[0:1]
	s_mov_b32 s6, 0
	s_and_saveexec_b32 s2, vcc_lo
	s_cbranch_execz .LBB477_8
; %bb.5:
	v_mad_u64_u32 v[2:3], null, v0, s8, 0
	v_cmp_eq_f32_e64 s6, s34, 0
	s_delay_alu instid0(VALU_DEP_1) | instskip(NEXT) | instid1(VALU_DEP_2)
	s_and_b32 vcc_lo, exec_lo, s6
	v_mad_u64_u32 v[4:5], null, v0, s9, v[3:4]
	s_delay_alu instid0(VALU_DEP_1)
	v_mov_b32_e32 v3, v4
	s_cbranch_vccnz .LBB477_7
; %bb.6:
	s_delay_alu instid0(VALU_DEP_1) | instskip(NEXT) | instid1(VALU_DEP_1)
	v_lshlrev_b64 v[0:1], 2, v[2:3]
	v_add_co_u32 v0, vcc_lo, s5, v0
	s_delay_alu instid0(VALU_DEP_2)
	v_add_co_ci_u32_e32 v1, vcc_lo, s33, v1, vcc_lo
	global_load_b32 v0, v[0:1], off
	s_waitcnt vmcnt(0)
	v_mul_f32_e32 v1, s34, v0
.LBB477_7:
	s_mov_b32 s6, exec_lo
.LBB477_8:
	s_or_b32 exec_lo, exec_lo, s2
	s_delay_alu instid0(SALU_CYCLE_1) | instskip(SKIP_1) | instid1(SALU_CYCLE_1)
	s_and_b32 s35, s6, exec_lo
	s_or_b32 exec_lo, exec_lo, s4
	s_and_b32 vcc_lo, exec_lo, s3
	s_cbranch_vccnz .LBB477_11
	s_branch .LBB477_48
.LBB477_9:
                                        ; implicit-def: $vgpr1
                                        ; implicit-def: $vgpr2_vgpr3
	s_cbranch_execnz .LBB477_11
	s_branch .LBB477_48
.LBB477_10:
	s_or_b32 exec_lo, exec_lo, s4
	s_delay_alu instid0(SALU_CYCLE_1)
	s_and_b32 vcc_lo, exec_lo, s3
	s_cbranch_vccz .LBB477_48
.LBB477_11:
	s_load_b512 s[16:31], s[0:1], 0x18
	s_ashr_i32 s0, s37, 31
	s_lshl_b32 s39, s14, 7
	s_lshr_b32 s0, s0, 26
	v_dual_mov_b32 v17, 0 :: v_dual_lshlrev_b32 v14, 2, v13
	v_dual_mov_b32 v18, 0 :: v_dual_mov_b32 v15, 0
	v_mov_b32_e32 v16, 0
	v_add_nc_u32_e32 v0, s39, v12
	s_add_i32 s40, s37, s0
	s_delay_alu instid0(SALU_CYCLE_1)
	s_and_not1_b32 s40, s40, 63
	s_waitcnt lgkmcnt(0)
	s_mul_i32 s0, s15, s23
	s_mul_hi_u32 s1, s15, s22
	s_mul_i32 s2, s15, s31
	s_mul_hi_u32 s3, s15, s30
	s_mul_i32 s6, s15, s22
	s_add_i32 s7, s1, s0
	s_add_i32 s11, s3, s2
	s_mul_i32 s10, s15, s30
	s_mov_b32 s30, exec_lo
	v_cmpx_gt_i32_e64 s40, v14
	s_cbranch_execz .LBB477_23
; %bb.12:
	v_lshlrev_b32_e32 v29, 2, v13
	v_mad_u64_u32 v[2:3], null, s28, v13, 0
	v_add_nc_u32_e32 v15, 32, v0
	s_lshl_b64 s[0:1], s[10:11], 1
	s_delay_alu instid0(VALU_DEP_3)
	v_or_b32_e32 v17, 3, v29
	s_lshl_b64 s[12:13], s[26:27], 1
	s_add_u32 s4, s24, s0
	s_addc_u32 s31, s25, s1
	v_cmp_gt_i32_e64 s0, s36, v15
	v_mad_u64_u32 v[4:5], null, s20, v17, 0
	s_lshl_b64 s[22:23], s[18:19], 1
	s_lshl_b64 s[14:15], s[28:29], 7
	;; [unrolled: 1-line block ×3, first 2 shown]
	v_ashrrev_i32_e32 v1, 31, v0
	v_cmp_gt_i32_e32 vcc_lo, s36, v0
	s_delay_alu instid0(VALU_DEP_3) | instskip(SKIP_3) | instid1(VALU_DEP_4)
	v_mad_u64_u32 v[6:7], null, s29, v13, v[3:4]
	v_add_nc_u32_e32 v16, 64, v0
	v_mad_u64_u32 v[7:8], null, s28, v17, 0
	v_add_nc_u32_e32 v18, 0x60, v0
	v_mad_u64_u32 v[9:10], null, s21, v17, v[5:6]
	v_mov_b32_e32 v3, v6
	v_cmp_gt_i32_e64 s1, s36, v16
	s_delay_alu instid0(VALU_DEP_2)
	v_lshlrev_b64 v[15:16], 3, v[2:3]
	v_mov_b32_e32 v3, v8
	v_mov_b32_e32 v5, v9
	v_mad_u64_u32 v[9:10], null, s20, v13, 0
	v_cmp_gt_i32_e64 s2, s36, v18
	v_add_co_u32 v19, s3, s4, v15
	s_delay_alu instid0(VALU_DEP_4) | instskip(SKIP_4) | instid1(VALU_DEP_2)
	v_lshlrev_b64 v[4:5], 1, v[4:5]
	v_add_co_ci_u32_e64 v20, s3, s31, v16, s3
	s_add_u32 s3, s16, s22
	s_addc_u32 s22, s17, s23
	s_add_u32 s23, s3, s42
	v_mad_u64_u32 v[15:16], null, s29, v17, v[3:4]
	v_mov_b32_e32 v3, v10
	s_addc_u32 s22, s22, s43
	v_add_co_u32 v21, s3, s23, v4
	s_delay_alu instid0(VALU_DEP_1) | instskip(NEXT) | instid1(VALU_DEP_4)
	v_add_co_ci_u32_e64 v22, s3, s22, v5, s3
	v_mov_b32_e32 v8, v15
	v_or_b32_e32 v23, 2, v29
	v_mad_u64_u32 v[17:18], null, s21, v13, v[3:4]
	v_mad_u64_u32 v[31:32], null, s20, v29, s[20:21]
	s_delay_alu instid0(VALU_DEP_3)
	v_mad_u64_u32 v[15:16], null, s20, v23, 0
	v_lshlrev_b64 v[4:5], 1, v[7:8]
	v_mad_u64_u32 v[27:28], null, s28, v23, 0
	v_mov_b32_e32 v10, v17
	v_mad_u64_u32 v[17:18], null, s28, v29, s[28:29]
	v_mov_b32_e32 v3, v16
	v_lshlrev_b64 v[1:2], 1, v[0:1]
	v_mov_b32_e32 v6, v28
	s_delay_alu instid0(VALU_DEP_3) | instskip(SKIP_1) | instid1(VALU_DEP_2)
	v_mad_u64_u32 v[7:8], null, s21, v23, v[3:4]
	v_mov_b32_e32 v3, v18
	v_mad_u64_u32 v[25:26], null, s29, v23, v[6:7]
	v_add_co_u32 v23, s3, s4, v4
	s_delay_alu instid0(VALU_DEP_1) | instskip(SKIP_3) | instid1(VALU_DEP_3)
	v_add_co_ci_u32_e64 v24, s3, s31, v5, s3
	v_lshlrev_b64 v[4:5], 3, v[9:10]
	v_mov_b32_e32 v16, v7
	v_mov_b32_e32 v28, v25
	v_mad_u64_u32 v[6:7], null, s29, v29, v[3:4]
	v_add_co_u32 v25, s3, s23, v4
	s_delay_alu instid0(VALU_DEP_1) | instskip(SKIP_1) | instid1(VALU_DEP_4)
	v_add_co_ci_u32_e64 v26, s3, s22, v5, s3
	v_lshlrev_b64 v[4:5], 1, v[15:16]
	v_dual_mov_b32 v3, v32 :: v_dual_mov_b32 v18, v6
	v_dual_mov_b32 v16, 0 :: v_dual_mov_b32 v15, 0
	s_delay_alu instid0(VALU_DEP_2)
	v_mad_u64_u32 v[7:8], null, s21, v29, v[3:4]
	v_lshlrev_b64 v[8:9], 1, v[27:28]
	v_add_co_u32 v27, s3, s23, v4
	v_lshlrev_b64 v[3:4], 1, v[17:18]
	v_add_co_ci_u32_e64 v28, s3, s22, v5, s3
	v_mov_b32_e32 v32, v7
	v_add_co_u32 v29, s3, s4, v8
	s_delay_alu instid0(VALU_DEP_1) | instskip(NEXT) | instid1(VALU_DEP_3)
	v_add_co_ci_u32_e64 v30, s3, s31, v9, s3
	v_lshlrev_b64 v[5:6], 1, v[31:32]
	v_add_co_u32 v31, s3, s4, v3
	s_delay_alu instid0(VALU_DEP_1) | instskip(SKIP_1) | instid1(VALU_DEP_4)
	v_add_co_ci_u32_e64 v32, s3, s31, v4, s3
	v_dual_mov_b32 v18, 0 :: v_dual_mov_b32 v17, 0
	v_add_co_u32 v33, s3, s23, v5
	s_delay_alu instid0(VALU_DEP_1)
	v_add_co_ci_u32_e64 v34, s3, s22, v6, s3
	s_lshl_b64 s[22:23], s[20:21], 7
	s_mov_b32 s31, 0
	s_branch .LBB477_17
.LBB477_13:                             ;   in Loop: Header=BB477_17 Depth=1
	s_or_b32 exec_lo, exec_lo, s42
	s_waitcnt vmcnt(3)
	v_fma_mix_f32 v3, v47, v51, v16 op_sel_hi:[0,1,0]
	s_waitcnt vmcnt(2)
	s_delay_alu instid0(VALU_DEP_1) | instskip(SKIP_1) | instid1(VALU_DEP_1)
	v_fma_mix_f32 v3, v48, v52, v3 op_sel_hi:[0,1,0]
	s_waitcnt vmcnt(1)
	v_fma_mix_f32 v3, v49, v53, v3 op_sel_hi:[0,1,0]
	s_waitcnt vmcnt(0)
	s_delay_alu instid0(VALU_DEP_1)
	v_fma_mix_f32 v16, v50, v54, v3 op_sel_hi:[0,1,0]
.LBB477_14:                             ;   in Loop: Header=BB477_17 Depth=1
	s_or_b32 exec_lo, exec_lo, s41
	s_waitcnt vmcnt(3)
	v_fma_mix_f32 v3, v47, v43, v17 op_sel_hi:[0,1,0]
	s_waitcnt vmcnt(2)
	s_delay_alu instid0(VALU_DEP_1) | instskip(SKIP_1) | instid1(VALU_DEP_1)
	v_fma_mix_f32 v3, v48, v44, v3 op_sel_hi:[0,1,0]
	s_waitcnt vmcnt(1)
	v_fma_mix_f32 v3, v49, v45, v3 op_sel_hi:[0,1,0]
	s_waitcnt vmcnt(0)
	s_delay_alu instid0(VALU_DEP_1)
	v_fma_mix_f32 v17, v50, v46, v3 op_sel_hi:[0,1,0]
.LBB477_15:                             ;   in Loop: Header=BB477_17 Depth=1
	s_or_b32 exec_lo, exec_lo, s3
	s_waitcnt vmcnt(3)
	v_fma_mix_f32 v3, v35, v39, v18 op_sel_hi:[1,1,0]
	s_waitcnt vmcnt(2)
	s_delay_alu instid0(VALU_DEP_1) | instskip(SKIP_1) | instid1(VALU_DEP_1)
	v_fma_mix_f32 v3, v36, v40, v3 op_sel_hi:[1,1,0]
	s_waitcnt vmcnt(1)
	v_fma_mix_f32 v3, v37, v41, v3 op_sel_hi:[1,1,0]
	s_waitcnt vmcnt(0)
	s_delay_alu instid0(VALU_DEP_1)
	v_fma_mix_f32 v18, v38, v42, v3 op_sel_hi:[1,1,0]
.LBB477_16:                             ;   in Loop: Header=BB477_17 Depth=1
	s_or_b32 exec_lo, exec_lo, s4
	v_add_co_u32 v19, s3, v19, s14
	s_delay_alu instid0(VALU_DEP_1) | instskip(SKIP_1) | instid1(VALU_DEP_1)
	v_add_co_ci_u32_e64 v20, s3, s15, v20, s3
	v_add_co_u32 v21, s3, v21, s22
	v_add_co_ci_u32_e64 v22, s3, s23, v22, s3
	v_add_co_u32 v23, s3, v23, s14
	s_delay_alu instid0(VALU_DEP_1) | instskip(SKIP_1) | instid1(VALU_DEP_1)
	v_add_co_ci_u32_e64 v24, s3, s15, v24, s3
	v_add_co_u32 v25, s3, v25, s22
	v_add_co_ci_u32_e64 v26, s3, s23, v26, s3
	v_add_co_u32 v27, s3, v27, s22
	s_delay_alu instid0(VALU_DEP_1) | instskip(SKIP_4) | instid1(VALU_DEP_1)
	v_add_co_ci_u32_e64 v28, s3, s23, v28, s3
	v_add_co_u32 v29, s3, v29, s14
	v_add_nc_u32_e32 v14, 64, v14
	v_add_co_ci_u32_e64 v30, s3, s15, v30, s3
	v_add_co_u32 v31, s3, v31, s14
	v_add_co_ci_u32_e64 v32, s3, s15, v32, s3
	s_delay_alu instid0(VALU_DEP_4) | instskip(SKIP_1) | instid1(VALU_DEP_1)
	v_cmp_le_i32_e64 s3, s40, v14
	v_add_co_u32 v33, s4, v33, s22
	v_add_co_ci_u32_e64 v34, s4, s23, v34, s4
	s_delay_alu instid0(VALU_DEP_3) | instskip(NEXT) | instid1(SALU_CYCLE_1)
	s_or_b32 s31, s3, s31
	s_and_not1_b32 exec_lo, exec_lo, s31
	s_cbranch_execz .LBB477_22
.LBB477_17:                             ; =>This Inner Loop Header: Depth=1
	s_and_saveexec_b32 s4, vcc_lo
	s_cbranch_execz .LBB477_16
; %bb.18:                               ;   in Loop: Header=BB477_17 Depth=1
	v_add_co_u32 v3, s3, v19, s12
	s_delay_alu instid0(VALU_DEP_1) | instskip(SKIP_1) | instid1(VALU_DEP_1)
	v_add_co_ci_u32_e64 v4, s3, s13, v20, s3
	v_add_co_u32 v5, s3, v31, s12
	v_add_co_ci_u32_e64 v6, s3, s13, v32, s3
	v_add_co_u32 v7, s3, v29, s12
	s_delay_alu instid0(VALU_DEP_1) | instskip(SKIP_1) | instid1(VALU_DEP_1)
	v_add_co_ci_u32_e64 v8, s3, s13, v30, s3
	v_add_co_u32 v38, s3, v23, s12
	v_add_co_ci_u32_e64 v39, s3, s13, v24, s3
	global_load_u16 v35, v[3:4], off
	global_load_u16 v36, v[5:6], off
	;; [unrolled: 1-line block ×3, first 2 shown]
	v_add_co_u32 v3, s3, v25, v1
	s_delay_alu instid0(VALU_DEP_1) | instskip(SKIP_1) | instid1(VALU_DEP_1)
	v_add_co_ci_u32_e64 v4, s3, v26, v2, s3
	v_add_co_u32 v5, s3, v33, v1
	v_add_co_ci_u32_e64 v6, s3, v34, v2, s3
	v_add_co_u32 v7, s3, v27, v1
	s_delay_alu instid0(VALU_DEP_1) | instskip(SKIP_1) | instid1(VALU_DEP_1)
	v_add_co_ci_u32_e64 v8, s3, v28, v2, s3
	v_add_co_u32 v9, s3, v21, v1
	v_add_co_ci_u32_e64 v10, s3, v22, v2, s3
	global_load_u16 v38, v[38:39], off
	global_load_u16 v39, v[3:4], off
	;; [unrolled: 1-line block ×5, first 2 shown]
	s_and_saveexec_b32 s3, s0
	s_cbranch_execz .LBB477_15
; %bb.19:                               ;   in Loop: Header=BB477_17 Depth=1
	global_load_u16 v43, v[3:4], off offset:64
	global_load_u16 v44, v[5:6], off offset:64
	;; [unrolled: 1-line block ×4, first 2 shown]
	s_waitcnt vmcnt(11)
	v_cvt_f32_f16_e32 v47, v35
	s_waitcnt vmcnt(10)
	v_cvt_f32_f16_e32 v48, v36
	;; [unrolled: 2-line block ×4, first 2 shown]
	s_and_saveexec_b32 s41, s1
	s_cbranch_execz .LBB477_14
; %bb.20:                               ;   in Loop: Header=BB477_17 Depth=1
	global_load_u16 v51, v[3:4], off offset:128
	global_load_u16 v52, v[5:6], off offset:128
	;; [unrolled: 1-line block ×4, first 2 shown]
	s_and_saveexec_b32 s42, s2
	s_cbranch_execz .LBB477_13
; %bb.21:                               ;   in Loop: Header=BB477_17 Depth=1
	global_load_u16 v3, v[3:4], off offset:192
	global_load_u16 v4, v[5:6], off offset:192
	;; [unrolled: 1-line block ×4, first 2 shown]
	s_waitcnt vmcnt(3)
	v_fma_mix_f32 v3, v47, v3, v15 op_sel_hi:[0,1,0]
	s_waitcnt vmcnt(2)
	s_delay_alu instid0(VALU_DEP_1) | instskip(SKIP_1) | instid1(VALU_DEP_1)
	v_fma_mix_f32 v3, v48, v4, v3 op_sel_hi:[0,1,0]
	s_waitcnt vmcnt(1)
	v_fma_mix_f32 v3, v49, v5, v3 op_sel_hi:[0,1,0]
	s_waitcnt vmcnt(0)
	s_delay_alu instid0(VALU_DEP_1)
	v_fma_mix_f32 v15, v50, v6, v3 op_sel_hi:[0,1,0]
	s_branch .LBB477_13
.LBB477_22:
	s_or_b32 exec_lo, exec_lo, s31
.LBB477_23:
	s_delay_alu instid0(SALU_CYCLE_1) | instskip(SKIP_1) | instid1(SALU_CYCLE_1)
	s_or_b32 exec_lo, exec_lo, s30
	s_sub_i32 s0, s37, s40
	s_cmp_lt_i32 s0, 1
	s_cbranch_scc1 .LBB477_41
; %bb.24:
	v_cmp_gt_i32_e32 vcc_lo, s37, v14
	v_dual_mov_b32 v9, 0 :: v_dual_mov_b32 v10, 0
	v_or_b32_e32 v2, 1, v14
	v_dual_mov_b32 v19, 0 :: v_dual_mov_b32 v20, 0
	s_and_saveexec_b32 s1, vcc_lo
	s_cbranch_execz .LBB477_32
; %bb.25:
	v_mad_u64_u32 v[3:4], null, v14, s28, 0
	s_lshl_b64 s[2:3], s[10:11], 1
	v_mov_b32_e32 v19, 0
	s_add_u32 s0, s24, s2
	s_addc_u32 s2, s25, s3
	s_lshl_b64 s[10:11], s[26:27], 1
	v_mov_b32_e32 v9, 0
	s_delay_alu instid0(VALU_DEP_3) | instskip(SKIP_3) | instid1(VALU_DEP_1)
	v_dual_mov_b32 v1, v4 :: v_dual_mov_b32 v10, 0
	s_add_u32 s3, s0, s10
	s_addc_u32 s4, s2, s11
	s_mov_b32 s2, exec_lo
	v_mad_u64_u32 v[4:5], null, v14, s29, v[1:2]
	s_delay_alu instid0(VALU_DEP_1) | instskip(NEXT) | instid1(VALU_DEP_1)
	v_lshlrev_b64 v[3:4], 1, v[3:4]
	v_add_co_u32 v3, s0, s3, v3
	s_delay_alu instid0(VALU_DEP_1)
	v_add_co_ci_u32_e64 v4, s0, s4, v4, s0
	global_load_u16 v1, v[3:4], off
	v_cmpx_gt_i32_e64 s37, v2
	s_cbranch_execz .LBB477_31
; %bb.26:
	v_mad_u64_u32 v[3:4], null, v2, s28, 0
	v_mov_b32_e32 v10, 0
	s_mov_b32 s10, exec_lo
	v_mov_b32_e32 v9, 0
	s_delay_alu instid0(VALU_DEP_3) | instskip(NEXT) | instid1(VALU_DEP_1)
	v_mad_u64_u32 v[5:6], null, v2, s29, v[4:5]
	v_mov_b32_e32 v4, v5
	s_delay_alu instid0(VALU_DEP_1) | instskip(NEXT) | instid1(VALU_DEP_1)
	v_lshlrev_b64 v[3:4], 1, v[3:4]
	v_add_co_u32 v3, s0, s3, v3
	s_delay_alu instid0(VALU_DEP_1) | instskip(SKIP_2) | instid1(VALU_DEP_1)
	v_add_co_ci_u32_e64 v4, s0, s4, v4, s0
	global_load_u16 v3, v[3:4], off
	v_or_b32_e32 v4, 2, v14
	v_cmpx_gt_i32_e64 s37, v4
	s_cbranch_execz .LBB477_30
; %bb.27:
	v_mad_u64_u32 v[5:6], null, v4, s28, 0
	s_mov_b32 s11, exec_lo
	v_mov_b32_e32 v9, 0
	s_delay_alu instid0(VALU_DEP_2) | instskip(NEXT) | instid1(VALU_DEP_1)
	v_mad_u64_u32 v[7:8], null, v4, s29, v[6:7]
	v_mov_b32_e32 v6, v7
	s_delay_alu instid0(VALU_DEP_1) | instskip(NEXT) | instid1(VALU_DEP_1)
	v_lshlrev_b64 v[4:5], 1, v[5:6]
	v_add_co_u32 v4, s0, s3, v4
	s_delay_alu instid0(VALU_DEP_1) | instskip(SKIP_2) | instid1(VALU_DEP_1)
	v_add_co_ci_u32_e64 v5, s0, s4, v5, s0
	global_load_u16 v4, v[4:5], off
	v_or_b32_e32 v5, 3, v14
	v_cmpx_gt_i32_e64 s37, v5
	s_cbranch_execz .LBB477_29
; %bb.28:
	v_mad_u64_u32 v[6:7], null, v5, s28, 0
	s_delay_alu instid0(VALU_DEP_1) | instskip(NEXT) | instid1(VALU_DEP_1)
	v_mad_u64_u32 v[8:9], null, v5, s29, v[7:8]
	v_mov_b32_e32 v7, v8
	s_delay_alu instid0(VALU_DEP_1) | instskip(NEXT) | instid1(VALU_DEP_1)
	v_lshlrev_b64 v[5:6], 1, v[6:7]
	v_add_co_u32 v5, s0, s3, v5
	s_delay_alu instid0(VALU_DEP_1)
	v_add_co_ci_u32_e64 v6, s0, s4, v6, s0
	global_load_u16 v5, v[5:6], off
	s_waitcnt vmcnt(0)
	v_cvt_f32_f16_e32 v9, v5
.LBB477_29:
	s_or_b32 exec_lo, exec_lo, s11
	s_waitcnt vmcnt(0)
	v_cvt_f32_f16_e32 v10, v4
.LBB477_30:
	s_or_b32 exec_lo, exec_lo, s10
	s_waitcnt vmcnt(0)
	v_cvt_f32_f16_e32 v19, v3
.LBB477_31:
	s_or_b32 exec_lo, exec_lo, s2
	s_waitcnt vmcnt(0)
	v_cvt_f32_f16_e32 v20, v1
.LBB477_32:
	s_or_b32 exec_lo, exec_lo, s1
	s_delay_alu instid0(SALU_CYCLE_1)
	s_mov_b32 s1, exec_lo
	v_cmpx_gt_i32_e64 s36, v0
	s_cbranch_execz .LBB477_40
; %bb.33:
	v_mad_u64_u32 v[3:4], null, v14, s20, 0
	v_mad_u64_u32 v[5:6], null, v2, s20, 0
	v_ashrrev_i32_e32 v1, 31, v0
	s_lshl_b64 s[2:3], s[6:7], 1
	v_or_b32_e32 v28, 2, v14
	s_add_u32 s0, s16, s2
	s_delay_alu instid0(VALU_DEP_4)
	v_cndmask_b32_e32 v3, 0, v3, vcc_lo
	v_lshlrev_b64 v[21:22], 1, v[0:1]
	v_mad_u64_u32 v[7:8], null, v14, s21, v[4:5]
	s_addc_u32 s4, s17, s3
	s_lshl_b64 s[2:3], s[18:19], 1
	v_or_b32_e32 v14, 3, v14
	s_add_u32 s2, s0, s2
	v_mov_b32_e32 v1, v6
	v_mad_u64_u32 v[23:24], null, v28, s20, 0
	s_delay_alu instid0(VALU_DEP_4) | instskip(SKIP_1) | instid1(VALU_DEP_4)
	v_cndmask_b32_e32 v4, 0, v7, vcc_lo
	v_cmp_gt_i32_e32 vcc_lo, s37, v2
	v_mad_u64_u32 v[25:26], null, v2, s21, v[1:2]
	s_addc_u32 s3, s4, s3
	v_mad_u64_u32 v[6:7], null, v14, s20, 0
	v_cndmask_b32_e32 v26, 0, v5, vcc_lo
	v_lshlrev_b64 v[3:4], 1, v[3:4]
	s_delay_alu instid0(VALU_DEP_4) | instskip(NEXT) | instid1(VALU_DEP_2)
	v_cndmask_b32_e32 v27, 0, v25, vcc_lo
	v_add_co_u32 v1, s0, s2, v3
	s_delay_alu instid0(VALU_DEP_1) | instskip(NEXT) | instid1(VALU_DEP_3)
	v_add_co_ci_u32_e64 v2, s0, s3, v4, s0
	v_lshlrev_b64 v[3:4], 1, v[26:27]
	s_delay_alu instid0(VALU_DEP_3) | instskip(NEXT) | instid1(VALU_DEP_3)
	v_add_co_u32 v1, vcc_lo, v1, v21
	v_add_co_ci_u32_e32 v2, vcc_lo, v2, v22, vcc_lo
	v_cmp_gt_i32_e32 vcc_lo, s37, v28
	v_mov_b32_e32 v5, v24
	v_add_co_u32 v3, s0, s2, v3
	s_delay_alu instid0(VALU_DEP_1) | instskip(NEXT) | instid1(VALU_DEP_3)
	v_add_co_ci_u32_e64 v4, s0, s3, v4, s0
	v_mad_u64_u32 v[24:25], null, v28, s21, v[5:6]
	v_mov_b32_e32 v5, v7
	v_cndmask_b32_e32 v7, 0, v23, vcc_lo
	s_mov_b32 s0, exec_lo
	s_delay_alu instid0(VALU_DEP_3) | instskip(NEXT) | instid1(VALU_DEP_3)
	v_cndmask_b32_e32 v8, 0, v24, vcc_lo
	v_mad_u64_u32 v[23:24], null, v14, s21, v[5:6]
	v_add_co_u32 v3, vcc_lo, v3, v21
	v_add_co_ci_u32_e32 v4, vcc_lo, v4, v22, vcc_lo
	v_cmp_gt_i32_e32 vcc_lo, s37, v14
	v_lshlrev_b64 v[7:8], 1, v[7:8]
	s_clause 0x1
	global_load_u16 v24, v[1:2], off
	global_load_u16 v25, v[3:4], off
	v_dual_cndmask_b32 v5, 0, v6 :: v_dual_cndmask_b32 v6, 0, v23
	v_add_co_u32 v14, vcc_lo, s2, v7
	v_add_co_ci_u32_e32 v23, vcc_lo, s3, v8, vcc_lo
	s_delay_alu instid0(VALU_DEP_3) | instskip(NEXT) | instid1(VALU_DEP_3)
	v_lshlrev_b64 v[7:8], 1, v[5:6]
	v_add_co_u32 v5, vcc_lo, v14, v21
	s_delay_alu instid0(VALU_DEP_3) | instskip(NEXT) | instid1(VALU_DEP_3)
	v_add_co_ci_u32_e32 v6, vcc_lo, v23, v22, vcc_lo
	v_add_co_u32 v7, vcc_lo, s2, v7
	s_delay_alu instid0(VALU_DEP_4)
	v_add_co_ci_u32_e32 v8, vcc_lo, s3, v8, vcc_lo
	global_load_u16 v23, v[5:6], off
	v_add_co_u32 v7, vcc_lo, v7, v21
	v_add_co_ci_u32_e32 v8, vcc_lo, v8, v22, vcc_lo
	v_add_nc_u32_e32 v21, 32, v0
	global_load_u16 v14, v[7:8], off
	s_waitcnt vmcnt(3)
	v_fma_mix_f32 v18, v20, v24, v18 op_sel_hi:[0,1,0]
	s_waitcnt vmcnt(2)
	s_delay_alu instid0(VALU_DEP_1) | instskip(SKIP_1) | instid1(VALU_DEP_1)
	v_fma_mix_f32 v18, v19, v25, v18 op_sel_hi:[0,1,0]
	s_waitcnt vmcnt(1)
	v_fma_mix_f32 v18, v10, v23, v18 op_sel_hi:[0,1,0]
	v_cmpx_gt_i32_e64 s36, v21
	s_cbranch_execz .LBB477_39
; %bb.34:
	s_clause 0x3
	global_load_u16 v22, v[1:2], off offset:64
	global_load_u16 v23, v[3:4], off offset:64
	global_load_u16 v24, v[5:6], off offset:64
	global_load_u16 v21, v[7:8], off offset:64
	s_mov_b32 s2, exec_lo
	s_waitcnt vmcnt(3)
	v_fma_mix_f32 v17, v20, v22, v17 op_sel_hi:[0,1,0]
	v_add_nc_u32_e32 v22, 64, v0
	s_waitcnt vmcnt(2)
	s_delay_alu instid0(VALU_DEP_2) | instskip(SKIP_1) | instid1(VALU_DEP_1)
	v_fma_mix_f32 v17, v19, v23, v17 op_sel_hi:[0,1,0]
	s_waitcnt vmcnt(1)
	v_fma_mix_f32 v17, v10, v24, v17 op_sel_hi:[0,1,0]
	v_cmpx_gt_i32_e64 s36, v22
	s_cbranch_execz .LBB477_38
; %bb.35:
	s_clause 0x3
	global_load_u16 v23, v[1:2], off offset:128
	global_load_u16 v24, v[3:4], off offset:128
	;; [unrolled: 1-line block ×4, first 2 shown]
	s_mov_b32 s3, exec_lo
	s_waitcnt vmcnt(3)
	v_fma_mix_f32 v16, v20, v23, v16 op_sel_hi:[0,1,0]
	v_add_nc_u32_e32 v23, 0x60, v0
	s_waitcnt vmcnt(2)
	s_delay_alu instid0(VALU_DEP_2) | instskip(SKIP_1) | instid1(VALU_DEP_1)
	v_fma_mix_f32 v16, v19, v24, v16 op_sel_hi:[0,1,0]
	s_waitcnt vmcnt(1)
	v_fma_mix_f32 v0, v10, v25, v16 op_sel_hi:[0,1,0]
	v_cmpx_gt_i32_e64 s36, v23
	s_cbranch_execz .LBB477_37
; %bb.36:
	s_clause 0x3
	global_load_u16 v1, v[1:2], off offset:192
	global_load_u16 v2, v[3:4], off offset:192
	global_load_u16 v3, v[5:6], off offset:192
	global_load_u16 v4, v[7:8], off offset:192
	s_waitcnt vmcnt(3)
	v_fma_mix_f32 v1, v20, v1, v15 op_sel_hi:[0,1,0]
	s_waitcnt vmcnt(2)
	s_delay_alu instid0(VALU_DEP_1) | instskip(SKIP_1) | instid1(VALU_DEP_1)
	v_fma_mix_f32 v1, v19, v2, v1 op_sel_hi:[0,1,0]
	s_waitcnt vmcnt(1)
	v_fma_mix_f32 v1, v10, v3, v1 op_sel_hi:[0,1,0]
	s_waitcnt vmcnt(0)
	s_delay_alu instid0(VALU_DEP_1)
	v_fma_mix_f32 v15, v9, v4, v1 op_sel_hi:[0,1,0]
.LBB477_37:
	s_or_b32 exec_lo, exec_lo, s3
	s_waitcnt vmcnt(0)
	v_fma_mix_f32 v16, v9, v22, v0 op_sel_hi:[0,1,0]
.LBB477_38:
	s_or_b32 exec_lo, exec_lo, s2
	s_waitcnt vmcnt(0)
	v_fma_mix_f32 v17, v9, v21, v17 op_sel_hi:[0,1,0]
.LBB477_39:
	s_or_b32 exec_lo, exec_lo, s0
	s_waitcnt vmcnt(0)
	v_fma_mix_f32 v18, v9, v14, v18 op_sel_hi:[0,1,0]
.LBB477_40:
	s_or_b32 exec_lo, exec_lo, s1
.LBB477_41:
	v_lshlrev_b32_e32 v0, 7, v13
	s_mov_b32 s0, exec_lo
                                        ; implicit-def: $vgpr1
                                        ; implicit-def: $vgpr2_vgpr3
	s_delay_alu instid0(VALU_DEP_1)
	v_add_lshl_u32 v0, v0, v12, 2
	ds_store_2addr_b32 v0, v18, v17 offset1:32
	ds_store_2addr_b32 v0, v16, v15 offset0:64 offset1:96
	s_waitcnt lgkmcnt(0)
	s_barrier
	buffer_gl0_inv
	v_cmpx_gt_u32_e32 0x80, v11
	s_cbranch_execz .LBB477_47
; %bb.42:
	v_lshlrev_b32_e32 v6, 2, v11
	s_mov_b32 s2, s35
	s_mov_b32 s1, exec_lo
	ds_load_2addr_stride64_b32 v[0:1], v6 offset1:2
	ds_load_2addr_stride64_b32 v[2:3], v6 offset0:4 offset1:6
	ds_load_2addr_stride64_b32 v[4:5], v6 offset0:8 offset1:10
	s_waitcnt lgkmcnt(2)
	v_add_f32_e32 v7, v0, v1
	ds_load_2addr_stride64_b32 v[0:1], v6 offset0:12 offset1:14
	s_waitcnt lgkmcnt(2)
	v_add_f32_e32 v2, v2, v7
	s_delay_alu instid0(VALU_DEP_1) | instskip(SKIP_3) | instid1(VALU_DEP_1)
	v_add_f32_e32 v7, v3, v2
	ds_load_2addr_stride64_b32 v[2:3], v6 offset0:16 offset1:18
	s_waitcnt lgkmcnt(2)
	v_add_f32_e32 v4, v4, v7
	v_add_f32_e32 v7, v5, v4
	ds_load_2addr_stride64_b32 v[4:5], v6 offset0:20 offset1:22
	s_waitcnt lgkmcnt(2)
	v_add_f32_e32 v0, v0, v7
	s_delay_alu instid0(VALU_DEP_1) | instskip(SKIP_1) | instid1(VALU_DEP_1)
	v_add_f32_e32 v0, v1, v0
	s_waitcnt lgkmcnt(1)
	v_add_f32_e32 v2, v2, v0
	ds_load_2addr_stride64_b32 v[0:1], v6 offset0:24 offset1:26
	v_add_f32_e32 v2, v3, v2
	s_waitcnt lgkmcnt(1)
	s_delay_alu instid0(VALU_DEP_1) | instskip(SKIP_3) | instid1(VALU_DEP_1)
	v_add_f32_e32 v4, v4, v2
	ds_load_2addr_stride64_b32 v[2:3], v6 offset0:28 offset1:30
	v_add_f32_e32 v4, v5, v4
	s_waitcnt lgkmcnt(1)
	v_add_f32_e32 v0, v0, v4
	v_or_b32_e32 v4, s39, v11
	s_delay_alu instid0(VALU_DEP_2) | instskip(SKIP_1) | instid1(VALU_DEP_1)
	v_add_f32_e32 v0, v1, v0
                                        ; implicit-def: $vgpr1
	s_waitcnt lgkmcnt(0)
	v_add_f32_e32 v0, v2, v0
	s_delay_alu instid0(VALU_DEP_1)
	v_add_f32_e32 v0, v3, v0
                                        ; implicit-def: $vgpr2_vgpr3
	ds_store_b32 v6, v0
	v_cmpx_gt_i32_e64 s36, v4
	s_cbranch_execz .LBB477_46
; %bb.43:
	v_ashrrev_i32_e32 v1, 31, v4
	v_mul_lo_u32 v5, v4, s9
	v_mad_u64_u32 v[2:3], null, v4, s8, 0
	v_cmp_eq_f32_e64 s2, s34, 0
	s_delay_alu instid0(VALU_DEP_4) | instskip(SKIP_1) | instid1(VALU_DEP_3)
	v_mul_lo_u32 v4, v1, s8
	v_mul_f32_e32 v1, s38, v0
	s_and_b32 vcc_lo, exec_lo, s2
	s_delay_alu instid0(VALU_DEP_2)
	v_add3_u32 v3, v3, v5, v4
	s_cbranch_vccnz .LBB477_45
; %bb.44:
	s_delay_alu instid0(VALU_DEP_1) | instskip(NEXT) | instid1(VALU_DEP_1)
	v_lshlrev_b64 v[4:5], 2, v[2:3]
	v_add_co_u32 v4, vcc_lo, s5, v4
	s_delay_alu instid0(VALU_DEP_2)
	v_add_co_ci_u32_e32 v5, vcc_lo, s33, v5, vcc_lo
	global_load_b32 v0, v[4:5], off
	s_waitcnt vmcnt(0)
	v_fmac_f32_e32 v1, s34, v0
.LBB477_45:
	s_or_b32 s2, s35, exec_lo
.LBB477_46:
	s_or_b32 exec_lo, exec_lo, s1
	s_delay_alu instid0(SALU_CYCLE_1) | instskip(SKIP_1) | instid1(SALU_CYCLE_1)
	s_and_not1_b32 s1, s35, exec_lo
	s_and_b32 s2, s2, exec_lo
	s_or_b32 s35, s1, s2
.LBB477_47:
	s_or_b32 exec_lo, exec_lo, s0
.LBB477_48:
	s_and_saveexec_b32 s0, s35
	s_cbranch_execz .LBB477_50
; %bb.49:
	v_lshlrev_b64 v[2:3], 2, v[2:3]
	s_delay_alu instid0(VALU_DEP_1) | instskip(NEXT) | instid1(VALU_DEP_2)
	v_add_co_u32 v2, vcc_lo, s5, v2
	v_add_co_ci_u32_e32 v3, vcc_lo, s33, v3, vcc_lo
	global_store_b32 v[2:3], v1, off
.LBB477_50:
	s_nop 0
	s_sendmsg sendmsg(MSG_DEALLOC_VGPRS)
	s_endpgm
	.section	.rodata,"a",@progbits
	.p2align	6, 0x0
	.amdhsa_kernel _ZL20rocblas_gemvn_kernelILi32ELi16ElDF16_ffEviiT3_lPKT2_lT1_lS3_lS4_lS0_lPT4_lS4_li
		.amdhsa_group_segment_fixed_size 8192
		.amdhsa_private_segment_fixed_size 0
		.amdhsa_kernarg_size 400
		.amdhsa_user_sgpr_count 14
		.amdhsa_user_sgpr_dispatch_ptr 0
		.amdhsa_user_sgpr_queue_ptr 0
		.amdhsa_user_sgpr_kernarg_segment_ptr 1
		.amdhsa_user_sgpr_dispatch_id 0
		.amdhsa_user_sgpr_private_segment_size 0
		.amdhsa_wavefront_size32 1
		.amdhsa_uses_dynamic_stack 0
		.amdhsa_enable_private_segment 0
		.amdhsa_system_sgpr_workgroup_id_x 1
		.amdhsa_system_sgpr_workgroup_id_y 0
		.amdhsa_system_sgpr_workgroup_id_z 1
		.amdhsa_system_sgpr_workgroup_info 0
		.amdhsa_system_vgpr_workitem_id 1
		.amdhsa_next_free_vgpr 55
		.amdhsa_next_free_sgpr 44
		.amdhsa_reserve_vcc 1
		.amdhsa_float_round_mode_32 0
		.amdhsa_float_round_mode_16_64 0
		.amdhsa_float_denorm_mode_32 3
		.amdhsa_float_denorm_mode_16_64 3
		.amdhsa_dx10_clamp 1
		.amdhsa_ieee_mode 1
		.amdhsa_fp16_overflow 0
		.amdhsa_workgroup_processor_mode 1
		.amdhsa_memory_ordered 1
		.amdhsa_forward_progress 0
		.amdhsa_shared_vgpr_count 0
		.amdhsa_exception_fp_ieee_invalid_op 0
		.amdhsa_exception_fp_denorm_src 0
		.amdhsa_exception_fp_ieee_div_zero 0
		.amdhsa_exception_fp_ieee_overflow 0
		.amdhsa_exception_fp_ieee_underflow 0
		.amdhsa_exception_fp_ieee_inexact 0
		.amdhsa_exception_int_div_zero 0
	.end_amdhsa_kernel
	.section	.text._ZL20rocblas_gemvn_kernelILi32ELi16ElDF16_ffEviiT3_lPKT2_lT1_lS3_lS4_lS0_lPT4_lS4_li,"axG",@progbits,_ZL20rocblas_gemvn_kernelILi32ELi16ElDF16_ffEviiT3_lPKT2_lT1_lS3_lS4_lS0_lPT4_lS4_li,comdat
.Lfunc_end477:
	.size	_ZL20rocblas_gemvn_kernelILi32ELi16ElDF16_ffEviiT3_lPKT2_lT1_lS3_lS4_lS0_lPT4_lS4_li, .Lfunc_end477-_ZL20rocblas_gemvn_kernelILi32ELi16ElDF16_ffEviiT3_lPKT2_lT1_lS3_lS4_lS0_lPT4_lS4_li
                                        ; -- End function
	.section	.AMDGPU.csdata,"",@progbits
; Kernel info:
; codeLenInByte = 3604
; NumSgprs: 46
; NumVgprs: 55
; ScratchSize: 0
; MemoryBound: 0
; FloatMode: 240
; IeeeMode: 1
; LDSByteSize: 8192 bytes/workgroup (compile time only)
; SGPRBlocks: 5
; VGPRBlocks: 6
; NumSGPRsForWavesPerEU: 46
; NumVGPRsForWavesPerEU: 55
; Occupancy: 16
; WaveLimiterHint : 1
; COMPUTE_PGM_RSRC2:SCRATCH_EN: 0
; COMPUTE_PGM_RSRC2:USER_SGPR: 14
; COMPUTE_PGM_RSRC2:TRAP_HANDLER: 0
; COMPUTE_PGM_RSRC2:TGID_X_EN: 1
; COMPUTE_PGM_RSRC2:TGID_Y_EN: 0
; COMPUTE_PGM_RSRC2:TGID_Z_EN: 1
; COMPUTE_PGM_RSRC2:TIDIG_COMP_CNT: 1
	.section	.text._ZL20rocblas_gemvn_kernelILi64ELi16EiDF16_PKffEviiT3_lPKT2_lT1_lS5_lS6_lS2_lPT4_lS6_li,"axG",@progbits,_ZL20rocblas_gemvn_kernelILi64ELi16EiDF16_PKffEviiT3_lPKT2_lT1_lS5_lS6_lS2_lPT4_lS6_li,comdat
	.globl	_ZL20rocblas_gemvn_kernelILi64ELi16EiDF16_PKffEviiT3_lPKT2_lT1_lS5_lS6_lS2_lPT4_lS6_li ; -- Begin function _ZL20rocblas_gemvn_kernelILi64ELi16EiDF16_PKffEviiT3_lPKT2_lT1_lS5_lS6_lS2_lPT4_lS6_li
	.p2align	8
	.type	_ZL20rocblas_gemvn_kernelILi64ELi16EiDF16_PKffEviiT3_lPKT2_lT1_lS5_lS6_lS2_lPT4_lS6_li,@function
_ZL20rocblas_gemvn_kernelILi64ELi16EiDF16_PKffEviiT3_lPKT2_lT1_lS5_lS6_lS2_lPT4_lS6_li: ; @_ZL20rocblas_gemvn_kernelILi64ELi16EiDF16_PKffEviiT3_lPKT2_lT1_lS5_lS6_lS2_lPT4_lS6_li
; %bb.0:
	s_load_b64 s[2:3], s[0:1], 0x9c
	s_waitcnt lgkmcnt(0)
	s_lshr_b32 s4, s2, 16
	s_and_b32 s2, s2, 0xffff
	s_and_b32 s3, s3, 0xffff
	s_mul_i32 s2, s4, s2
	s_delay_alu instid0(SALU_CYCLE_1) | instskip(NEXT) | instid1(SALU_CYCLE_1)
	s_mul_i32 s2, s2, s3
	s_cmpk_lg_i32 s2, 0x400
	s_cbranch_scc1 .LBB478_50
; %bb.1:
	s_clause 0x1
	s_load_b256 s[16:23], s[0:1], 0x8
	s_load_b256 s[4:11], s[0:1], 0x50
	s_waitcnt lgkmcnt(0)
	s_mul_i32 s3, s15, s19
	s_mul_hi_u32 s12, s15, s18
	s_mul_i32 s2, s15, s18
	s_add_i32 s3, s12, s3
	s_mul_i32 s9, s15, s9
	s_lshl_b64 s[2:3], s[2:3], 2
	s_mul_hi_u32 s12, s15, s8
	s_add_u32 s2, s16, s2
	s_addc_u32 s3, s17, s3
	s_add_i32 s9, s12, s9
	s_mul_i32 s8, s15, s8
	s_mov_b32 s16, 0
	s_lshl_b64 s[8:9], s[8:9], 2
	s_delay_alu instid0(SALU_CYCLE_1)
	s_add_u32 s6, s6, s8
	s_addc_u32 s7, s7, s9
	s_load_b32 s13, s[2:3], 0x0
	s_load_b32 s12, s[6:7], 0x0
	s_waitcnt lgkmcnt(0)
	v_cmp_eq_f32_e64 s2, s13, 0
	v_cmp_eq_f32_e64 s3, s12, 1.0
	s_delay_alu instid0(VALU_DEP_1) | instskip(NEXT) | instid1(SALU_CYCLE_1)
	s_and_b32 s2, s2, s3
	s_and_b32 vcc_lo, exec_lo, s2
	s_cbranch_vccnz .LBB478_50
; %bb.2:
	s_clause 0x3
	s_load_b64 s[2:3], s[0:1], 0x80
	s_load_b64 s[8:9], s[0:1], 0x70
	s_load_b32 s17, s[0:1], 0x78
	s_load_b64 s[6:7], s[0:1], 0x0
	v_and_b32_e32 v1, 0x3ff, v0
	v_bfe_u32 v13, v0, 10, 10
	s_delay_alu instid0(VALU_DEP_1)
	v_lshl_add_u32 v0, v13, 6, v1
	s_waitcnt lgkmcnt(0)
	s_mul_i32 s3, s15, s3
	s_mul_hi_u32 s18, s15, s2
	s_mul_i32 s2, s15, s2
	s_add_i32 s3, s18, s3
	v_cmp_neq_f32_e64 s18, s13, 0
	s_lshl_b64 s[2:3], s[2:3], 2
	s_delay_alu instid0(SALU_CYCLE_1) | instskip(SKIP_2) | instid1(SALU_CYCLE_1)
	s_add_u32 s10, s10, s2
	s_addc_u32 s11, s11, s3
	s_lshl_b64 s[2:3], s[8:9], 2
	s_add_u32 s8, s10, s2
	v_cmp_gt_u32_e64 s2, 0x100, v0
	s_addc_u32 s9, s11, s3
	s_and_b32 vcc_lo, exec_lo, s18
	s_cbranch_vccnz .LBB478_9
; %bb.3:
	s_mov_b32 s3, 0
                                        ; implicit-def: $vgpr3
                                        ; implicit-def: $vgpr4_vgpr5
	s_and_saveexec_b32 s10, s2
	s_cbranch_execz .LBB478_10
; %bb.4:
	v_lshl_or_b32 v2, s14, 8, v0
	v_mov_b32_e32 v3, 0
	s_ashr_i32 s19, s6, 31
	s_mov_b32 s18, s6
	s_mov_b32 s11, 0
	s_mov_b32 s2, exec_lo
                                        ; implicit-def: $vgpr4_vgpr5
	v_cmpx_gt_i64_e64 s[18:19], v[2:3]
	s_cbranch_execz .LBB478_8
; %bb.5:
	v_mad_u64_u32 v[4:5], null, s17, v2, 0
	s_ashr_i32 s11, s17, 31
	s_delay_alu instid0(VALU_DEP_1) | instid1(SALU_CYCLE_1)
	v_mad_u64_u32 v[6:7], null, s11, v2, v[5:6]
	v_cmp_eq_f32_e64 s11, s12, 0
	s_delay_alu instid0(VALU_DEP_1) | instskip(NEXT) | instid1(VALU_DEP_2)
	s_and_b32 vcc_lo, exec_lo, s11
	v_mov_b32_e32 v5, v6
	s_cbranch_vccnz .LBB478_7
; %bb.6:
	s_delay_alu instid0(VALU_DEP_1) | instskip(NEXT) | instid1(VALU_DEP_1)
	v_lshlrev_b64 v[2:3], 2, v[4:5]
	v_add_co_u32 v2, vcc_lo, s8, v2
	s_delay_alu instid0(VALU_DEP_2)
	v_add_co_ci_u32_e32 v3, vcc_lo, s9, v3, vcc_lo
	global_load_b32 v2, v[2:3], off
	s_waitcnt vmcnt(0)
	v_mul_f32_e32 v3, s12, v2
.LBB478_7:
	s_mov_b32 s11, exec_lo
.LBB478_8:
	s_or_b32 exec_lo, exec_lo, s2
	s_delay_alu instid0(SALU_CYCLE_1) | instskip(SKIP_1) | instid1(SALU_CYCLE_1)
	s_and_b32 s16, s11, exec_lo
	s_or_b32 exec_lo, exec_lo, s10
	s_and_b32 vcc_lo, exec_lo, s3
	s_cbranch_vccnz .LBB478_11
	s_branch .LBB478_48
.LBB478_9:
                                        ; implicit-def: $vgpr3
                                        ; implicit-def: $vgpr4_vgpr5
	s_cbranch_execnz .LBB478_11
	s_branch .LBB478_48
.LBB478_10:
	s_or_b32 exec_lo, exec_lo, s10
	s_delay_alu instid0(SALU_CYCLE_1)
	s_and_b32 vcc_lo, exec_lo, s3
	s_cbranch_vccz .LBB478_48
.LBB478_11:
	s_clause 0x2
	s_load_b128 s[24:27], s[0:1], 0x30
	s_load_b32 s18, s[0:1], 0x28
	s_load_b64 s[2:3], s[0:1], 0x40
	s_mul_i32 s5, s15, s5
	v_dual_mov_b32 v18, 0 :: v_dual_lshlrev_b32 v19, 2, v13
	v_dual_mov_b32 v15, 0 :: v_dual_mov_b32 v14, 0
	s_waitcnt lgkmcnt(0)
	s_mul_i32 s11, s15, s25
	s_mul_hi_u32 s19, s15, s24
	s_mul_i32 s10, s15, s24
	s_add_i32 s11, s19, s11
	s_mul_hi_u32 s19, s15, s4
	s_lshl_b64 s[10:11], s[10:11], 1
	s_delay_alu instid0(SALU_CYCLE_1) | instskip(SKIP_4) | instid1(SALU_CYCLE_1)
	s_add_u32 s24, s20, s10
	s_mul_i32 s20, s15, s4
	s_load_b32 s4, s[0:1], 0x48
	s_addc_u32 s21, s21, s11
	s_lshl_b64 s[10:11], s[22:23], 1
	s_add_u32 s10, s24, s10
	s_addc_u32 s11, s21, s11
	s_add_i32 s21, s19, s5
	s_delay_alu instid0(SALU_CYCLE_1) | instskip(SKIP_4) | instid1(SALU_CYCLE_1)
	s_lshl_b64 s[0:1], s[20:21], 1
	s_mov_b32 s20, exec_lo
	s_add_u32 s5, s26, s0
	s_addc_u32 s19, s27, s1
	s_lshl_b64 s[0:1], s[2:3], 1
	s_add_u32 s15, s5, s0
	s_addc_u32 s19, s19, s1
	s_ashr_i32 s0, s7, 31
	s_lshl_b32 s5, s14, 8
	s_lshr_b32 s0, s0, 26
	v_dual_mov_b32 v17, 0 :: v_dual_add_nc_u32 v16, s5, v1
	s_add_i32 s0, s7, s0
	s_delay_alu instid0(SALU_CYCLE_1) | instskip(NEXT) | instid1(SALU_CYCLE_1)
	s_and_b32 s14, s0, 0xffffffc0
	v_cmpx_gt_i32_e64 s14, v19
	s_cbranch_execz .LBB478_23
; %bb.12:
	v_mul_lo_u32 v3, s18, v19
	v_dual_mov_b32 v17, 0 :: v_dual_add_nc_u32 v2, 64, v16
	v_add_nc_u32_e32 v6, 2, v19
	v_dual_mov_b32 v18, 0 :: v_dual_add_nc_u32 v5, 0xc0, v16
	s_delay_alu instid0(VALU_DEP_3)
	v_cmp_gt_i32_e64 s0, s6, v2
	v_dual_mov_b32 v15, 0 :: v_dual_add_nc_u32 v4, 0x80, v16
	v_add3_u32 v20, v3, s18, v1
	v_mad_u64_u32 v[2:3], null, s18, v6, v[1:2]
	v_cmp_gt_i32_e64 s2, s6, v5
	v_mul_lo_u32 v5, v13, s18
	v_dual_mov_b32 v14, 0 :: v_dual_add_nc_u32 v7, 3, v19
	s_waitcnt lgkmcnt(0)
	v_mul_lo_u32 v8, v13, s4
	v_cmp_gt_i32_e64 s1, s6, v4
	v_mul_lo_u32 v22, s4, v6
	v_mad_u64_u32 v[3:4], null, s18, v7, v[1:2]
	v_lshl_add_u32 v21, v5, 2, v1
	v_mad_u64_u32 v[4:5], null, s4, v19, s[4:5]
	v_mul_lo_u32 v23, s4, v7
	v_cmp_gt_i32_e32 vcc_lo, s6, v16
	v_lshlrev_b32_e32 v24, 2, v8
	s_lshl_b32 s21, s18, 6
	s_lshl_b32 s23, s4, 6
	s_mov_b32 s22, 0
	s_mov_b32 s24, 0
	s_branch .LBB478_17
.LBB478_13:                             ;   in Loop: Header=BB478_17 Depth=1
	s_or_b32 exec_lo, exec_lo, s27
	s_waitcnt vmcnt(3)
	v_fma_mix_f32 v5, v37, v41, v15 op_sel_hi:[0,1,0]
	s_waitcnt vmcnt(2)
	s_delay_alu instid0(VALU_DEP_1) | instskip(SKIP_1) | instid1(VALU_DEP_1)
	v_fma_mix_f32 v5, v38, v42, v5 op_sel_hi:[0,1,0]
	s_waitcnt vmcnt(1)
	v_fma_mix_f32 v5, v39, v43, v5 op_sel_hi:[0,1,0]
	s_waitcnt vmcnt(0)
	s_delay_alu instid0(VALU_DEP_1)
	v_fma_mix_f32 v15, v40, v44, v5 op_sel_hi:[0,1,0]
.LBB478_14:                             ;   in Loop: Header=BB478_17 Depth=1
	s_or_b32 exec_lo, exec_lo, s26
	s_waitcnt vmcnt(3)
	v_fma_mix_f32 v5, v37, v33, v17 op_sel_hi:[0,1,0]
	s_waitcnt vmcnt(2)
	s_delay_alu instid0(VALU_DEP_1) | instskip(SKIP_1) | instid1(VALU_DEP_1)
	v_fma_mix_f32 v5, v38, v34, v5 op_sel_hi:[0,1,0]
	s_waitcnt vmcnt(1)
	v_fma_mix_f32 v5, v39, v35, v5 op_sel_hi:[0,1,0]
	s_waitcnt vmcnt(0)
	s_delay_alu instid0(VALU_DEP_1)
	v_fma_mix_f32 v17, v40, v36, v5 op_sel_hi:[0,1,0]
.LBB478_15:                             ;   in Loop: Header=BB478_17 Depth=1
	s_or_b32 exec_lo, exec_lo, s3
	s_waitcnt vmcnt(3)
	v_fma_mix_f32 v5, v25, v29, v18 op_sel_hi:[1,1,0]
	s_waitcnt vmcnt(2)
	s_delay_alu instid0(VALU_DEP_1) | instskip(SKIP_1) | instid1(VALU_DEP_1)
	v_fma_mix_f32 v5, v26, v30, v5 op_sel_hi:[1,1,0]
	s_waitcnt vmcnt(1)
	v_fma_mix_f32 v5, v27, v31, v5 op_sel_hi:[1,1,0]
	s_waitcnt vmcnt(0)
	s_delay_alu instid0(VALU_DEP_1)
	v_fma_mix_f32 v18, v28, v32, v5 op_sel_hi:[1,1,0]
.LBB478_16:                             ;   in Loop: Header=BB478_17 Depth=1
	s_or_b32 exec_lo, exec_lo, s25
	v_add_nc_u32_e32 v19, 64, v19
	v_add_nc_u32_e32 v20, s21, v20
	;; [unrolled: 1-line block ×5, first 2 shown]
	v_cmp_le_i32_e64 s3, s14, v19
	s_add_i32 s24, s24, s23
	s_delay_alu instid0(VALU_DEP_1) | instskip(NEXT) | instid1(SALU_CYCLE_1)
	s_or_b32 s22, s3, s22
	s_and_not1_b32 exec_lo, exec_lo, s22
	s_cbranch_execz .LBB478_22
.LBB478_17:                             ; =>This Inner Loop Header: Depth=1
	s_and_saveexec_b32 s25, vcc_lo
	s_cbranch_execz .LBB478_16
; %bb.18:                               ;   in Loop: Header=BB478_17 Depth=1
	v_add_nc_u32_e32 v5, s24, v24
	v_add_nc_u32_e32 v7, s24, v4
	;; [unrolled: 1-line block ×5, first 2 shown]
	v_ashrrev_i32_e32 v6, 31, v5
	v_ashrrev_i32_e32 v8, 31, v7
	;; [unrolled: 1-line block ×5, first 2 shown]
	v_lshlrev_b64 v[5:6], 1, v[5:6]
	v_lshlrev_b64 v[7:8], 1, v[7:8]
	v_lshlrev_b64 v[9:10], 1, v[9:10]
	s_delay_alu instid0(VALU_DEP_3) | instskip(NEXT) | instid1(VALU_DEP_1)
	v_add_co_u32 v27, s3, s15, v5
	v_add_co_ci_u32_e64 v28, s3, s19, v6, s3
	s_delay_alu instid0(VALU_DEP_4)
	v_add_co_u32 v29, s3, s15, v7
	v_add_nc_u32_e32 v7, s5, v20
	v_add_co_ci_u32_e64 v30, s3, s19, v8, s3
	v_lshlrev_b64 v[5:6], 1, v[11:12]
	v_add_co_u32 v31, s3, s15, v9
	v_add_nc_u32_e32 v11, s5, v2
	v_add_co_ci_u32_e64 v32, s3, s19, v10, s3
	v_lshlrev_b64 v[9:10], 1, v[25:26]
	v_ashrrev_i32_e32 v8, 31, v7
	v_add_nc_u32_e32 v25, s5, v3
	v_add_co_u32 v33, s3, s15, v5
	v_ashrrev_i32_e32 v12, 31, v11
	v_add_co_ci_u32_e64 v34, s3, s19, v6, s3
	v_lshlrev_b64 v[7:8], 1, v[7:8]
	v_add_co_u32 v5, s3, s10, v9
	v_ashrrev_i32_e32 v26, 31, v25
	v_add_co_ci_u32_e64 v6, s3, s11, v10, s3
	v_lshlrev_b64 v[9:10], 1, v[11:12]
	v_add_co_u32 v7, s3, s10, v7
	s_delay_alu instid0(VALU_DEP_4) | instskip(SKIP_1) | instid1(VALU_DEP_4)
	v_lshlrev_b64 v[11:12], 1, v[25:26]
	v_add_co_ci_u32_e64 v8, s3, s11, v8, s3
	v_add_co_u32 v9, s3, s10, v9
	s_delay_alu instid0(VALU_DEP_1) | instskip(NEXT) | instid1(VALU_DEP_4)
	v_add_co_ci_u32_e64 v10, s3, s11, v10, s3
	v_add_co_u32 v11, s3, s10, v11
	s_delay_alu instid0(VALU_DEP_1)
	v_add_co_ci_u32_e64 v12, s3, s11, v12, s3
	s_clause 0x3
	global_load_u16 v25, v[27:28], off
	global_load_u16 v26, v[29:30], off
	;; [unrolled: 1-line block ×4, first 2 shown]
	s_clause 0x3
	global_load_u16 v29, v[5:6], off
	global_load_u16 v30, v[7:8], off
	;; [unrolled: 1-line block ×4, first 2 shown]
	s_and_saveexec_b32 s3, s0
	s_cbranch_execz .LBB478_15
; %bb.19:                               ;   in Loop: Header=BB478_17 Depth=1
	s_clause 0x3
	global_load_u16 v33, v[5:6], off offset:128
	global_load_u16 v34, v[7:8], off offset:128
	;; [unrolled: 1-line block ×4, first 2 shown]
	s_waitcnt vmcnt(11)
	v_cvt_f32_f16_e32 v37, v25
	s_waitcnt vmcnt(10)
	v_cvt_f32_f16_e32 v38, v26
	;; [unrolled: 2-line block ×4, first 2 shown]
	s_and_saveexec_b32 s26, s1
	s_cbranch_execz .LBB478_14
; %bb.20:                               ;   in Loop: Header=BB478_17 Depth=1
	s_clause 0x3
	global_load_u16 v41, v[5:6], off offset:256
	global_load_u16 v42, v[7:8], off offset:256
	;; [unrolled: 1-line block ×4, first 2 shown]
	s_and_saveexec_b32 s27, s2
	s_cbranch_execz .LBB478_13
; %bb.21:                               ;   in Loop: Header=BB478_17 Depth=1
	s_clause 0x3
	global_load_u16 v5, v[5:6], off offset:384
	global_load_u16 v6, v[7:8], off offset:384
	;; [unrolled: 1-line block ×4, first 2 shown]
	s_waitcnt vmcnt(3)
	v_fma_mix_f32 v5, v37, v5, v14 op_sel_hi:[0,1,0]
	s_waitcnt vmcnt(2)
	s_delay_alu instid0(VALU_DEP_1) | instskip(SKIP_1) | instid1(VALU_DEP_1)
	v_fma_mix_f32 v5, v38, v6, v5 op_sel_hi:[0,1,0]
	s_waitcnt vmcnt(1)
	v_fma_mix_f32 v5, v39, v7, v5 op_sel_hi:[0,1,0]
	s_waitcnt vmcnt(0)
	s_delay_alu instid0(VALU_DEP_1)
	v_fma_mix_f32 v14, v40, v8, v5 op_sel_hi:[0,1,0]
	s_branch .LBB478_13
.LBB478_22:
	s_or_b32 exec_lo, exec_lo, s22
.LBB478_23:
	s_delay_alu instid0(SALU_CYCLE_1) | instskip(SKIP_1) | instid1(SALU_CYCLE_1)
	s_or_b32 exec_lo, exec_lo, s20
	s_sub_i32 s0, s7, s14
	s_cmp_lt_i32 s0, 1
	s_cbranch_scc1 .LBB478_41
; %bb.24:
	v_cmp_gt_i32_e32 vcc_lo, s7, v19
	v_dual_mov_b32 v10, 0 :: v_dual_mov_b32 v11, 0
	v_or_b32_e32 v2, 1, v19
	v_mov_b32_e32 v12, 0
	v_mov_b32_e32 v20, 0
	s_and_saveexec_b32 s1, vcc_lo
	s_cbranch_execz .LBB478_32
; %bb.25:
	s_waitcnt lgkmcnt(0)
	v_mul_lo_u32 v3, v19, s4
	v_dual_mov_b32 v12, 0 :: v_dual_mov_b32 v11, 0
	v_mov_b32_e32 v10, 0
	s_mov_b32 s2, exec_lo
	s_delay_alu instid0(VALU_DEP_3) | instskip(NEXT) | instid1(VALU_DEP_1)
	v_ashrrev_i32_e32 v4, 31, v3
	v_lshlrev_b64 v[3:4], 1, v[3:4]
	s_delay_alu instid0(VALU_DEP_1) | instskip(NEXT) | instid1(VALU_DEP_1)
	v_add_co_u32 v3, s0, s15, v3
	v_add_co_ci_u32_e64 v4, s0, s19, v4, s0
	global_load_u16 v3, v[3:4], off
	v_cmpx_gt_i32_e64 s7, v2
	s_cbranch_execz .LBB478_31
; %bb.26:
	v_mul_lo_u32 v4, v2, s4
	v_dual_mov_b32 v11, 0 :: v_dual_mov_b32 v10, 0
	s_mov_b32 s3, exec_lo
	s_delay_alu instid0(VALU_DEP_2) | instskip(NEXT) | instid1(VALU_DEP_1)
	v_ashrrev_i32_e32 v5, 31, v4
	v_lshlrev_b64 v[4:5], 1, v[4:5]
	s_delay_alu instid0(VALU_DEP_1) | instskip(NEXT) | instid1(VALU_DEP_1)
	v_add_co_u32 v4, s0, s15, v4
	v_add_co_ci_u32_e64 v5, s0, s19, v5, s0
	global_load_u16 v4, v[4:5], off
	v_or_b32_e32 v5, 2, v19
	s_delay_alu instid0(VALU_DEP_1)
	v_cmpx_gt_i32_e64 s7, v5
	s_cbranch_execz .LBB478_30
; %bb.27:
	v_mul_lo_u32 v5, v5, s4
	v_mov_b32_e32 v10, 0
	s_mov_b32 s14, exec_lo
	s_delay_alu instid0(VALU_DEP_2) | instskip(NEXT) | instid1(VALU_DEP_1)
	v_ashrrev_i32_e32 v6, 31, v5
	v_lshlrev_b64 v[5:6], 1, v[5:6]
	s_delay_alu instid0(VALU_DEP_1) | instskip(NEXT) | instid1(VALU_DEP_1)
	v_add_co_u32 v5, s0, s15, v5
	v_add_co_ci_u32_e64 v6, s0, s19, v6, s0
	global_load_u16 v5, v[5:6], off
	v_or_b32_e32 v6, 3, v19
	s_delay_alu instid0(VALU_DEP_1)
	v_cmpx_gt_i32_e64 s7, v6
	s_cbranch_execz .LBB478_29
; %bb.28:
	v_mul_lo_u32 v6, v6, s4
	s_delay_alu instid0(VALU_DEP_1) | instskip(NEXT) | instid1(VALU_DEP_1)
	v_ashrrev_i32_e32 v7, 31, v6
	v_lshlrev_b64 v[6:7], 1, v[6:7]
	s_delay_alu instid0(VALU_DEP_1) | instskip(NEXT) | instid1(VALU_DEP_1)
	v_add_co_u32 v6, s0, s15, v6
	v_add_co_ci_u32_e64 v7, s0, s19, v7, s0
	global_load_u16 v6, v[6:7], off
	s_waitcnt vmcnt(0)
	v_cvt_f32_f16_e32 v10, v6
.LBB478_29:
	s_or_b32 exec_lo, exec_lo, s14
	s_waitcnt vmcnt(0)
	v_cvt_f32_f16_e32 v11, v5
.LBB478_30:
	s_or_b32 exec_lo, exec_lo, s3
	s_waitcnt vmcnt(0)
	v_cvt_f32_f16_e32 v12, v4
.LBB478_31:
	s_or_b32 exec_lo, exec_lo, s2
	s_waitcnt vmcnt(0)
	v_cvt_f32_f16_e32 v20, v3
.LBB478_32:
	s_or_b32 exec_lo, exec_lo, s1
	s_delay_alu instid0(SALU_CYCLE_1)
	s_mov_b32 s1, exec_lo
	v_cmpx_gt_i32_e64 s6, v16
	s_cbranch_execz .LBB478_40
; %bb.33:
	v_mul_lo_u32 v3, v19, s18
	v_mul_lo_u32 v5, v2, s18
	v_or_b32_e32 v4, 2, v19
	v_or_b32_e32 v6, 3, v19
	s_mov_b32 s0, exec_lo
	s_delay_alu instid0(VALU_DEP_2)
	v_mul_lo_u32 v7, v4, s18
	v_cndmask_b32_e32 v3, 0, v3, vcc_lo
	v_cmp_gt_i32_e32 vcc_lo, s7, v2
	v_mul_lo_u32 v8, v6, s18
	v_cndmask_b32_e32 v5, 0, v5, vcc_lo
	v_cmp_gt_i32_e32 vcc_lo, s7, v4
	s_delay_alu instid0(VALU_DEP_2) | instskip(SKIP_2) | instid1(VALU_DEP_3)
	v_add_nc_u32_e32 v4, v5, v16
	v_dual_cndmask_b32 v7, 0, v7 :: v_dual_add_nc_u32 v2, v3, v16
	v_cmp_gt_i32_e32 vcc_lo, s7, v6
	v_ashrrev_i32_e32 v5, 31, v4
	s_delay_alu instid0(VALU_DEP_3) | instskip(SKIP_2) | instid1(VALU_DEP_4)
	v_ashrrev_i32_e32 v3, 31, v2
	v_cndmask_b32_e32 v8, 0, v8, vcc_lo
	v_add_nc_u32_e32 v6, v7, v16
	v_lshlrev_b64 v[4:5], 1, v[4:5]
	s_delay_alu instid0(VALU_DEP_4) | instskip(NEXT) | instid1(VALU_DEP_4)
	v_lshlrev_b64 v[2:3], 1, v[2:3]
	v_add_nc_u32_e32 v8, v8, v16
	s_delay_alu instid0(VALU_DEP_4) | instskip(NEXT) | instid1(VALU_DEP_3)
	v_ashrrev_i32_e32 v7, 31, v6
	v_add_co_u32 v2, vcc_lo, s10, v2
	s_delay_alu instid0(VALU_DEP_2)
	v_lshlrev_b64 v[6:7], 1, v[6:7]
	v_add_co_ci_u32_e32 v3, vcc_lo, s11, v3, vcc_lo
	v_ashrrev_i32_e32 v9, 31, v8
	v_add_co_u32 v4, vcc_lo, s10, v4
	v_add_co_ci_u32_e32 v5, vcc_lo, s11, v5, vcc_lo
	global_load_u16 v21, v[2:3], off
	v_add_co_u32 v6, vcc_lo, s10, v6
	v_add_co_ci_u32_e32 v7, vcc_lo, s11, v7, vcc_lo
	v_lshlrev_b64 v[8:9], 1, v[8:9]
	s_clause 0x1
	global_load_u16 v22, v[4:5], off
	global_load_u16 v23, v[6:7], off
	v_add_co_u32 v8, vcc_lo, s10, v8
	v_add_co_ci_u32_e32 v9, vcc_lo, s11, v9, vcc_lo
	global_load_u16 v19, v[8:9], off
	s_waitcnt vmcnt(3)
	v_fma_mix_f32 v18, v20, v21, v18 op_sel_hi:[0,1,0]
	v_add_nc_u32_e32 v21, 64, v16
	s_waitcnt vmcnt(2)
	s_delay_alu instid0(VALU_DEP_2) | instskip(SKIP_1) | instid1(VALU_DEP_1)
	v_fma_mix_f32 v18, v12, v22, v18 op_sel_hi:[0,1,0]
	s_waitcnt vmcnt(1)
	v_fma_mix_f32 v18, v11, v23, v18 op_sel_hi:[0,1,0]
	v_cmpx_gt_i32_e64 s6, v21
	s_cbranch_execz .LBB478_39
; %bb.34:
	s_clause 0x3
	global_load_u16 v22, v[2:3], off offset:128
	global_load_u16 v23, v[4:5], off offset:128
	global_load_u16 v24, v[6:7], off offset:128
	global_load_u16 v21, v[8:9], off offset:128
	s_mov_b32 s2, exec_lo
	s_waitcnt vmcnt(3)
	v_fma_mix_f32 v17, v20, v22, v17 op_sel_hi:[0,1,0]
	v_add_nc_u32_e32 v22, 0x80, v16
	s_waitcnt vmcnt(2)
	s_delay_alu instid0(VALU_DEP_2) | instskip(SKIP_1) | instid1(VALU_DEP_1)
	v_fma_mix_f32 v17, v12, v23, v17 op_sel_hi:[0,1,0]
	s_waitcnt vmcnt(1)
	v_fma_mix_f32 v17, v11, v24, v17 op_sel_hi:[0,1,0]
	v_cmpx_gt_i32_e64 s6, v22
	s_cbranch_execz .LBB478_38
; %bb.35:
	s_clause 0x3
	global_load_u16 v23, v[2:3], off offset:256
	global_load_u16 v24, v[4:5], off offset:256
	;; [unrolled: 1-line block ×4, first 2 shown]
	v_add_nc_u32_e32 v16, 0xc0, v16
	s_mov_b32 s3, exec_lo
	s_waitcnt vmcnt(3)
	v_fma_mix_f32 v15, v20, v23, v15 op_sel_hi:[0,1,0]
	s_waitcnt vmcnt(2)
	s_delay_alu instid0(VALU_DEP_1) | instskip(SKIP_1) | instid1(VALU_DEP_1)
	v_fma_mix_f32 v15, v12, v24, v15 op_sel_hi:[0,1,0]
	s_waitcnt vmcnt(1)
	v_fma_mix_f32 v15, v11, v25, v15 op_sel_hi:[0,1,0]
	v_cmpx_gt_i32_e64 s6, v16
	s_cbranch_execz .LBB478_37
; %bb.36:
	s_clause 0x3
	global_load_u16 v2, v[2:3], off offset:384
	global_load_u16 v3, v[4:5], off offset:384
	global_load_u16 v4, v[6:7], off offset:384
	global_load_u16 v5, v[8:9], off offset:384
	s_waitcnt vmcnt(3)
	v_fma_mix_f32 v2, v20, v2, v14 op_sel_hi:[0,1,0]
	s_waitcnt vmcnt(2)
	s_delay_alu instid0(VALU_DEP_1) | instskip(SKIP_1) | instid1(VALU_DEP_1)
	v_fma_mix_f32 v2, v12, v3, v2 op_sel_hi:[0,1,0]
	s_waitcnt vmcnt(1)
	v_fma_mix_f32 v2, v11, v4, v2 op_sel_hi:[0,1,0]
	s_waitcnt vmcnt(0)
	s_delay_alu instid0(VALU_DEP_1)
	v_fma_mix_f32 v14, v10, v5, v2 op_sel_hi:[0,1,0]
.LBB478_37:
	s_or_b32 exec_lo, exec_lo, s3
	s_waitcnt vmcnt(0)
	v_fma_mix_f32 v15, v10, v22, v15 op_sel_hi:[0,1,0]
.LBB478_38:
	s_or_b32 exec_lo, exec_lo, s2
	s_waitcnt vmcnt(0)
	v_fma_mix_f32 v17, v10, v21, v17 op_sel_hi:[0,1,0]
.LBB478_39:
	s_or_b32 exec_lo, exec_lo, s0
	s_waitcnt vmcnt(0)
	v_fma_mix_f32 v18, v10, v19, v18 op_sel_hi:[0,1,0]
.LBB478_40:
	s_or_b32 exec_lo, exec_lo, s1
.LBB478_41:
	v_lshlrev_b32_e32 v2, 8, v13
	s_mov_b32 s0, exec_lo
                                        ; implicit-def: $vgpr3
                                        ; implicit-def: $vgpr4_vgpr5
	s_delay_alu instid0(VALU_DEP_1)
	v_add_lshl_u32 v1, v2, v1, 2
	ds_store_2addr_stride64_b32 v1, v18, v17 offset1:1
	ds_store_2addr_stride64_b32 v1, v15, v14 offset0:2 offset1:3
	s_waitcnt lgkmcnt(0)
	s_barrier
	buffer_gl0_inv
	v_cmpx_gt_u32_e32 0x100, v0
	s_cbranch_execz .LBB478_47
; %bb.42:
	v_lshlrev_b32_e32 v7, 2, v0
	s_mov_b32 s2, s16
	s_mov_b32 s1, exec_lo
	ds_load_2addr_stride64_b32 v[1:2], v7 offset1:4
	ds_load_2addr_stride64_b32 v[3:4], v7 offset0:8 offset1:12
	ds_load_2addr_stride64_b32 v[5:6], v7 offset0:16 offset1:20
	s_waitcnt lgkmcnt(2)
	v_add_f32_e32 v8, v1, v2
	ds_load_2addr_stride64_b32 v[1:2], v7 offset0:24 offset1:28
	s_waitcnt lgkmcnt(2)
	v_add_f32_e32 v3, v3, v8
	s_delay_alu instid0(VALU_DEP_1) | instskip(SKIP_3) | instid1(VALU_DEP_1)
	v_add_f32_e32 v8, v4, v3
	ds_load_2addr_stride64_b32 v[3:4], v7 offset0:32 offset1:36
	s_waitcnt lgkmcnt(2)
	v_add_f32_e32 v5, v5, v8
	v_add_f32_e32 v8, v6, v5
	ds_load_2addr_stride64_b32 v[5:6], v7 offset0:40 offset1:44
	s_waitcnt lgkmcnt(2)
	v_add_f32_e32 v1, v1, v8
	s_delay_alu instid0(VALU_DEP_1) | instskip(SKIP_1) | instid1(VALU_DEP_1)
	v_add_f32_e32 v1, v2, v1
	s_waitcnt lgkmcnt(1)
	v_add_f32_e32 v3, v3, v1
	ds_load_2addr_stride64_b32 v[1:2], v7 offset0:48 offset1:52
	v_add_f32_e32 v3, v4, v3
	s_waitcnt lgkmcnt(1)
	s_delay_alu instid0(VALU_DEP_1) | instskip(SKIP_3) | instid1(VALU_DEP_1)
	v_add_f32_e32 v5, v5, v3
	ds_load_2addr_stride64_b32 v[3:4], v7 offset0:56 offset1:60
	v_add_f32_e32 v5, v6, v5
	s_waitcnt lgkmcnt(1)
	v_add_f32_e32 v1, v1, v5
	s_delay_alu instid0(VALU_DEP_1) | instskip(SKIP_1) | instid1(VALU_DEP_1)
	v_add_f32_e32 v1, v2, v1
	s_waitcnt lgkmcnt(0)
	v_add_f32_e32 v2, v3, v1
	v_or_b32_e32 v1, s5, v0
                                        ; implicit-def: $vgpr3
	s_delay_alu instid0(VALU_DEP_2)
	v_add_f32_e32 v0, v4, v2
                                        ; implicit-def: $vgpr4_vgpr5
	ds_store_b32 v7, v0
	v_cmpx_gt_i32_e64 s6, v1
	s_cbranch_execz .LBB478_46
; %bb.43:
	v_mul_lo_u32 v4, v1, s17
	v_cmp_eq_f32_e64 s2, s12, 0
	v_mul_f32_e32 v3, s13, v0
	s_delay_alu instid0(VALU_DEP_2) | instskip(NEXT) | instid1(VALU_DEP_3)
	s_and_b32 vcc_lo, exec_lo, s2
	v_ashrrev_i32_e32 v5, 31, v4
	s_cbranch_vccnz .LBB478_45
; %bb.44:
	s_delay_alu instid0(VALU_DEP_1) | instskip(NEXT) | instid1(VALU_DEP_1)
	v_lshlrev_b64 v[0:1], 2, v[4:5]
	v_add_co_u32 v0, vcc_lo, s8, v0
	s_delay_alu instid0(VALU_DEP_2)
	v_add_co_ci_u32_e32 v1, vcc_lo, s9, v1, vcc_lo
	global_load_b32 v0, v[0:1], off
	s_waitcnt vmcnt(0)
	v_fmac_f32_e32 v3, s12, v0
.LBB478_45:
	s_or_b32 s2, s16, exec_lo
.LBB478_46:
	s_or_b32 exec_lo, exec_lo, s1
	s_delay_alu instid0(SALU_CYCLE_1) | instskip(SKIP_1) | instid1(SALU_CYCLE_1)
	s_and_not1_b32 s1, s16, exec_lo
	s_and_b32 s2, s2, exec_lo
	s_or_b32 s16, s1, s2
.LBB478_47:
	s_or_b32 exec_lo, exec_lo, s0
.LBB478_48:
	s_and_saveexec_b32 s0, s16
	s_cbranch_execz .LBB478_50
; %bb.49:
	v_lshlrev_b64 v[0:1], 2, v[4:5]
	s_delay_alu instid0(VALU_DEP_1) | instskip(NEXT) | instid1(VALU_DEP_2)
	v_add_co_u32 v0, vcc_lo, s8, v0
	v_add_co_ci_u32_e32 v1, vcc_lo, s9, v1, vcc_lo
	global_store_b32 v[0:1], v3, off
.LBB478_50:
	s_nop 0
	s_sendmsg sendmsg(MSG_DEALLOC_VGPRS)
	s_endpgm
	.section	.rodata,"a",@progbits
	.p2align	6, 0x0
	.amdhsa_kernel _ZL20rocblas_gemvn_kernelILi64ELi16EiDF16_PKffEviiT3_lPKT2_lT1_lS5_lS6_lS2_lPT4_lS6_li
		.amdhsa_group_segment_fixed_size 16384
		.amdhsa_private_segment_fixed_size 0
		.amdhsa_kernarg_size 400
		.amdhsa_user_sgpr_count 14
		.amdhsa_user_sgpr_dispatch_ptr 0
		.amdhsa_user_sgpr_queue_ptr 0
		.amdhsa_user_sgpr_kernarg_segment_ptr 1
		.amdhsa_user_sgpr_dispatch_id 0
		.amdhsa_user_sgpr_private_segment_size 0
		.amdhsa_wavefront_size32 1
		.amdhsa_uses_dynamic_stack 0
		.amdhsa_enable_private_segment 0
		.amdhsa_system_sgpr_workgroup_id_x 1
		.amdhsa_system_sgpr_workgroup_id_y 0
		.amdhsa_system_sgpr_workgroup_id_z 1
		.amdhsa_system_sgpr_workgroup_info 0
		.amdhsa_system_vgpr_workitem_id 1
		.amdhsa_next_free_vgpr 45
		.amdhsa_next_free_sgpr 28
		.amdhsa_reserve_vcc 1
		.amdhsa_float_round_mode_32 0
		.amdhsa_float_round_mode_16_64 0
		.amdhsa_float_denorm_mode_32 3
		.amdhsa_float_denorm_mode_16_64 3
		.amdhsa_dx10_clamp 1
		.amdhsa_ieee_mode 1
		.amdhsa_fp16_overflow 0
		.amdhsa_workgroup_processor_mode 1
		.amdhsa_memory_ordered 1
		.amdhsa_forward_progress 0
		.amdhsa_shared_vgpr_count 0
		.amdhsa_exception_fp_ieee_invalid_op 0
		.amdhsa_exception_fp_denorm_src 0
		.amdhsa_exception_fp_ieee_div_zero 0
		.amdhsa_exception_fp_ieee_overflow 0
		.amdhsa_exception_fp_ieee_underflow 0
		.amdhsa_exception_fp_ieee_inexact 0
		.amdhsa_exception_int_div_zero 0
	.end_amdhsa_kernel
	.section	.text._ZL20rocblas_gemvn_kernelILi64ELi16EiDF16_PKffEviiT3_lPKT2_lT1_lS5_lS6_lS2_lPT4_lS6_li,"axG",@progbits,_ZL20rocblas_gemvn_kernelILi64ELi16EiDF16_PKffEviiT3_lPKT2_lT1_lS5_lS6_lS2_lPT4_lS6_li,comdat
.Lfunc_end478:
	.size	_ZL20rocblas_gemvn_kernelILi64ELi16EiDF16_PKffEviiT3_lPKT2_lT1_lS5_lS6_lS2_lPT4_lS6_li, .Lfunc_end478-_ZL20rocblas_gemvn_kernelILi64ELi16EiDF16_PKffEviiT3_lPKT2_lT1_lS5_lS6_lS2_lPT4_lS6_li
                                        ; -- End function
	.section	.AMDGPU.csdata,"",@progbits
; Kernel info:
; codeLenInByte = 3228
; NumSgprs: 30
; NumVgprs: 45
; ScratchSize: 0
; MemoryBound: 0
; FloatMode: 240
; IeeeMode: 1
; LDSByteSize: 16384 bytes/workgroup (compile time only)
; SGPRBlocks: 3
; VGPRBlocks: 5
; NumSGPRsForWavesPerEU: 30
; NumVGPRsForWavesPerEU: 45
; Occupancy: 16
; WaveLimiterHint : 1
; COMPUTE_PGM_RSRC2:SCRATCH_EN: 0
; COMPUTE_PGM_RSRC2:USER_SGPR: 14
; COMPUTE_PGM_RSRC2:TRAP_HANDLER: 0
; COMPUTE_PGM_RSRC2:TGID_X_EN: 1
; COMPUTE_PGM_RSRC2:TGID_Y_EN: 0
; COMPUTE_PGM_RSRC2:TGID_Z_EN: 1
; COMPUTE_PGM_RSRC2:TIDIG_COMP_CNT: 1
	.section	.text._ZL20rocblas_gemvn_kernelILi64ELi16ElDF16_PKffEviiT3_lPKT2_lT1_lS5_lS6_lS2_lPT4_lS6_li,"axG",@progbits,_ZL20rocblas_gemvn_kernelILi64ELi16ElDF16_PKffEviiT3_lPKT2_lT1_lS5_lS6_lS2_lPT4_lS6_li,comdat
	.globl	_ZL20rocblas_gemvn_kernelILi64ELi16ElDF16_PKffEviiT3_lPKT2_lT1_lS5_lS6_lS2_lPT4_lS6_li ; -- Begin function _ZL20rocblas_gemvn_kernelILi64ELi16ElDF16_PKffEviiT3_lPKT2_lT1_lS5_lS6_lS2_lPT4_lS6_li
	.p2align	8
	.type	_ZL20rocblas_gemvn_kernelILi64ELi16ElDF16_PKffEviiT3_lPKT2_lT1_lS5_lS6_lS2_lPT4_lS6_li,@function
_ZL20rocblas_gemvn_kernelILi64ELi16ElDF16_PKffEviiT3_lPKT2_lT1_lS5_lS6_lS2_lPT4_lS6_li: ; @_ZL20rocblas_gemvn_kernelILi64ELi16ElDF16_PKffEviiT3_lPKT2_lT1_lS5_lS6_lS2_lPT4_lS6_li
; %bb.0:
	s_load_b64 s[2:3], s[0:1], 0x9c
	s_waitcnt lgkmcnt(0)
	s_lshr_b32 s4, s2, 16
	s_and_b32 s2, s2, 0xffff
	s_and_b32 s3, s3, 0xffff
	s_mul_i32 s2, s4, s2
	s_delay_alu instid0(SALU_CYCLE_1) | instskip(NEXT) | instid1(SALU_CYCLE_1)
	s_mul_i32 s2, s2, s3
	s_cmpk_lg_i32 s2, 0x400
	s_cbranch_scc1 .LBB479_50
; %bb.1:
	s_clause 0x1
	s_load_b512 s[36:51], s[0:1], 0x8
	s_load_b512 s[16:31], s[0:1], 0x48
	s_waitcnt lgkmcnt(0)
	s_mul_i32 s3, s15, s39
	s_mul_hi_u32 s4, s15, s38
	s_mul_i32 s2, s15, s38
	s_add_i32 s3, s4, s3
	s_mul_i32 s4, s15, s23
	s_lshl_b64 s[2:3], s[2:3], 2
	s_mul_hi_u32 s5, s15, s22
	s_add_u32 s2, s36, s2
	s_addc_u32 s3, s37, s3
	s_add_i32 s5, s5, s4
	s_mul_i32 s4, s15, s22
	s_mov_b32 s23, 0
	s_lshl_b64 s[4:5], s[4:5], 2
	s_delay_alu instid0(SALU_CYCLE_1)
	s_add_u32 s4, s20, s4
	s_addc_u32 s5, s21, s5
	s_load_b32 s22, s[2:3], 0x0
	s_load_b32 s21, s[4:5], 0x0
	s_waitcnt lgkmcnt(0)
	v_cmp_eq_f32_e64 s2, s22, 0
	v_cmp_eq_f32_e64 s3, s21, 1.0
	s_delay_alu instid0(VALU_DEP_1) | instskip(NEXT) | instid1(SALU_CYCLE_1)
	s_and_b32 s2, s2, s3
	s_and_b32 vcc_lo, exec_lo, s2
	s_cbranch_vccnz .LBB479_50
; %bb.2:
	s_load_b64 s[6:7], s[0:1], 0x0
	v_and_b32_e32 v12, 0x3ff, v0
	v_bfe_u32 v13, v0, 10, 10
	s_mul_i32 s2, s15, s31
	s_mul_hi_u32 s3, s15, s30
	s_mul_i32 s0, s15, s30
	s_add_i32 s1, s3, s2
	v_lshl_add_u32 v11, v13, 6, v12
	s_lshl_b64 s[0:1], s[0:1], 2
	v_cmp_neq_f32_e64 s4, s22, 0
	s_add_u32 s2, s24, s0
	s_addc_u32 s3, s25, s1
	s_lshl_b64 s[0:1], s[26:27], 2
	s_delay_alu instid0(SALU_CYCLE_1)
	s_add_u32 s5, s2, s0
	v_cmp_gt_u32_e64 s0, 0x100, v11
	s_addc_u32 s20, s3, s1
	s_and_b32 vcc_lo, exec_lo, s4
	s_cbranch_vccnz .LBB479_9
; %bb.3:
	s_mov_b32 s1, 0
                                        ; implicit-def: $vgpr1
                                        ; implicit-def: $vgpr2_vgpr3
	s_and_saveexec_b32 s2, s0
	s_cbranch_execz .LBB479_10
; %bb.4:
	v_lshl_or_b32 v0, s14, 8, v11
	v_mov_b32_e32 v1, 0
	s_waitcnt lgkmcnt(0)
	s_ashr_i32 s9, s6, 31
	s_mov_b32 s8, s6
	s_mov_b32 s3, 0
	s_mov_b32 s0, exec_lo
                                        ; implicit-def: $vgpr2_vgpr3
	v_cmpx_gt_i64_e64 s[8:9], v[0:1]
	s_cbranch_execz .LBB479_8
; %bb.5:
	v_mad_u64_u32 v[2:3], null, v0, s28, 0
	v_cmp_eq_f32_e64 s3, s21, 0
	s_delay_alu instid0(VALU_DEP_1) | instskip(NEXT) | instid1(VALU_DEP_2)
	s_and_b32 vcc_lo, exec_lo, s3
	v_mad_u64_u32 v[4:5], null, v0, s29, v[3:4]
	s_delay_alu instid0(VALU_DEP_1)
	v_mov_b32_e32 v3, v4
	s_cbranch_vccnz .LBB479_7
; %bb.6:
	s_delay_alu instid0(VALU_DEP_1) | instskip(NEXT) | instid1(VALU_DEP_1)
	v_lshlrev_b64 v[0:1], 2, v[2:3]
	v_add_co_u32 v0, vcc_lo, s5, v0
	s_delay_alu instid0(VALU_DEP_2)
	v_add_co_ci_u32_e32 v1, vcc_lo, s20, v1, vcc_lo
	global_load_b32 v0, v[0:1], off
	s_waitcnt vmcnt(0)
	v_mul_f32_e32 v1, s21, v0
.LBB479_7:
	s_mov_b32 s3, exec_lo
.LBB479_8:
	s_or_b32 exec_lo, exec_lo, s0
	s_delay_alu instid0(SALU_CYCLE_1) | instskip(SKIP_1) | instid1(SALU_CYCLE_1)
	s_and_b32 s23, s3, exec_lo
	s_or_b32 exec_lo, exec_lo, s2
	s_and_b32 vcc_lo, exec_lo, s1
	s_cbranch_vccnz .LBB479_11
	s_branch .LBB479_48
.LBB479_9:
                                        ; implicit-def: $vgpr1
                                        ; implicit-def: $vgpr2_vgpr3
	s_cbranch_execnz .LBB479_11
	s_branch .LBB479_48
.LBB479_10:
	s_or_b32 exec_lo, exec_lo, s2
	s_delay_alu instid0(SALU_CYCLE_1)
	s_and_b32 vcc_lo, exec_lo, s1
	s_cbranch_vccz .LBB479_48
.LBB479_11:
	s_mul_i32 s0, s15, s47
	s_mul_hi_u32 s1, s15, s46
	s_lshl_b32 s24, s14, 8
	s_add_i32 s9, s1, s0
	s_waitcnt lgkmcnt(0)
	s_ashr_i32 s1, s7, 31
	v_dual_mov_b32 v17, 0 :: v_dual_lshlrev_b32 v14, 2, v13
	s_lshr_b32 s1, s1, 26
	v_dual_mov_b32 v15, 0 :: v_dual_add_nc_u32 v0, s24, v12
	v_mov_b32_e32 v18, 0
	v_mov_b32_e32 v16, 0
	s_mul_i32 s0, s15, s19
	s_mul_hi_u32 s2, s15, s18
	s_add_i32 s25, s7, s1
	s_mul_i32 s8, s15, s46
	s_and_not1_b32 s25, s25, 63
	s_add_i32 s11, s2, s0
	s_mul_i32 s10, s15, s18
	s_mov_b32 s26, exec_lo
	v_cmpx_gt_i32_e64 s25, v14
	s_cbranch_execz .LBB479_23
; %bb.12:
	v_lshlrev_b32_e32 v29, 2, v13
	v_mad_u64_u32 v[2:3], null, s16, v13, 0
	v_add_nc_u32_e32 v15, 64, v0
	s_lshl_b64 s[0:1], s[10:11], 1
	s_delay_alu instid0(VALU_DEP_3)
	v_or_b32_e32 v17, 3, v29
	s_lshl_b64 s[12:13], s[50:51], 1
	s_add_u32 s4, s48, s0
	s_addc_u32 s27, s49, s1
	v_cmp_gt_i32_e64 s0, s6, v15
	v_mad_u64_u32 v[4:5], null, s44, v17, 0
	s_lshl_b64 s[18:19], s[42:43], 1
	s_lshl_b64 s[14:15], s[16:17], 7
	;; [unrolled: 1-line block ×3, first 2 shown]
	v_ashrrev_i32_e32 v1, 31, v0
	v_cmp_gt_i32_e32 vcc_lo, s6, v0
	s_delay_alu instid0(VALU_DEP_3) | instskip(SKIP_3) | instid1(VALU_DEP_4)
	v_mad_u64_u32 v[6:7], null, s17, v13, v[3:4]
	v_add_nc_u32_e32 v16, 0x80, v0
	v_mad_u64_u32 v[7:8], null, s16, v17, 0
	v_add_nc_u32_e32 v18, 0xc0, v0
	v_mad_u64_u32 v[9:10], null, s45, v17, v[5:6]
	v_mov_b32_e32 v3, v6
	v_cmp_gt_i32_e64 s1, s6, v16
	s_delay_alu instid0(VALU_DEP_2)
	v_lshlrev_b64 v[15:16], 3, v[2:3]
	v_mov_b32_e32 v3, v8
	v_mov_b32_e32 v5, v9
	v_mad_u64_u32 v[9:10], null, s44, v13, 0
	v_cmp_gt_i32_e64 s2, s6, v18
	v_add_co_u32 v19, s3, s4, v15
	s_delay_alu instid0(VALU_DEP_4) | instskip(SKIP_4) | instid1(VALU_DEP_2)
	v_lshlrev_b64 v[4:5], 1, v[4:5]
	v_add_co_ci_u32_e64 v20, s3, s27, v16, s3
	s_add_u32 s3, s40, s18
	s_addc_u32 s18, s41, s19
	s_add_u32 s19, s3, s30
	v_mad_u64_u32 v[15:16], null, s17, v17, v[3:4]
	v_mov_b32_e32 v3, v10
	s_addc_u32 s18, s18, s31
	v_add_co_u32 v21, s3, s19, v4
	s_delay_alu instid0(VALU_DEP_1) | instskip(NEXT) | instid1(VALU_DEP_4)
	v_add_co_ci_u32_e64 v22, s3, s18, v5, s3
	v_mov_b32_e32 v8, v15
	v_or_b32_e32 v23, 2, v29
	v_mad_u64_u32 v[17:18], null, s45, v13, v[3:4]
	v_mad_u64_u32 v[31:32], null, s44, v29, s[44:45]
	s_delay_alu instid0(VALU_DEP_3)
	v_mad_u64_u32 v[15:16], null, s44, v23, 0
	v_lshlrev_b64 v[4:5], 1, v[7:8]
	v_mad_u64_u32 v[27:28], null, s16, v23, 0
	v_mov_b32_e32 v10, v17
	v_mad_u64_u32 v[17:18], null, s16, v29, s[16:17]
	v_mov_b32_e32 v3, v16
	v_lshlrev_b64 v[1:2], 1, v[0:1]
	v_mov_b32_e32 v6, v28
	s_delay_alu instid0(VALU_DEP_3) | instskip(SKIP_1) | instid1(VALU_DEP_2)
	v_mad_u64_u32 v[7:8], null, s45, v23, v[3:4]
	v_mov_b32_e32 v3, v18
	v_mad_u64_u32 v[25:26], null, s17, v23, v[6:7]
	v_add_co_u32 v23, s3, s4, v4
	s_delay_alu instid0(VALU_DEP_1) | instskip(SKIP_3) | instid1(VALU_DEP_3)
	v_add_co_ci_u32_e64 v24, s3, s27, v5, s3
	v_lshlrev_b64 v[4:5], 3, v[9:10]
	v_mov_b32_e32 v16, v7
	v_mov_b32_e32 v28, v25
	v_mad_u64_u32 v[6:7], null, s17, v29, v[3:4]
	v_add_co_u32 v25, s3, s19, v4
	s_delay_alu instid0(VALU_DEP_1) | instskip(SKIP_1) | instid1(VALU_DEP_4)
	v_add_co_ci_u32_e64 v26, s3, s18, v5, s3
	v_lshlrev_b64 v[4:5], 1, v[15:16]
	v_dual_mov_b32 v3, v32 :: v_dual_mov_b32 v18, v6
	v_dual_mov_b32 v16, 0 :: v_dual_mov_b32 v15, 0
	s_delay_alu instid0(VALU_DEP_2)
	v_mad_u64_u32 v[7:8], null, s45, v29, v[3:4]
	v_lshlrev_b64 v[8:9], 1, v[27:28]
	v_add_co_u32 v27, s3, s19, v4
	v_lshlrev_b64 v[3:4], 1, v[17:18]
	v_add_co_ci_u32_e64 v28, s3, s18, v5, s3
	v_mov_b32_e32 v32, v7
	v_add_co_u32 v29, s3, s4, v8
	s_delay_alu instid0(VALU_DEP_1) | instskip(NEXT) | instid1(VALU_DEP_3)
	v_add_co_ci_u32_e64 v30, s3, s27, v9, s3
	v_lshlrev_b64 v[5:6], 1, v[31:32]
	v_add_co_u32 v31, s3, s4, v3
	s_delay_alu instid0(VALU_DEP_1) | instskip(SKIP_1) | instid1(VALU_DEP_4)
	v_add_co_ci_u32_e64 v32, s3, s27, v4, s3
	v_dual_mov_b32 v18, 0 :: v_dual_mov_b32 v17, 0
	v_add_co_u32 v33, s3, s19, v5
	s_delay_alu instid0(VALU_DEP_1)
	v_add_co_ci_u32_e64 v34, s3, s18, v6, s3
	s_lshl_b64 s[18:19], s[44:45], 7
	s_mov_b32 s27, 0
	s_branch .LBB479_17
.LBB479_13:                             ;   in Loop: Header=BB479_17 Depth=1
	s_or_b32 exec_lo, exec_lo, s31
	s_waitcnt vmcnt(3)
	v_fma_mix_f32 v3, v47, v51, v16 op_sel_hi:[0,1,0]
	s_waitcnt vmcnt(2)
	s_delay_alu instid0(VALU_DEP_1) | instskip(SKIP_1) | instid1(VALU_DEP_1)
	v_fma_mix_f32 v3, v48, v52, v3 op_sel_hi:[0,1,0]
	s_waitcnt vmcnt(1)
	v_fma_mix_f32 v3, v49, v53, v3 op_sel_hi:[0,1,0]
	s_waitcnt vmcnt(0)
	s_delay_alu instid0(VALU_DEP_1)
	v_fma_mix_f32 v16, v50, v54, v3 op_sel_hi:[0,1,0]
.LBB479_14:                             ;   in Loop: Header=BB479_17 Depth=1
	s_or_b32 exec_lo, exec_lo, s30
	s_waitcnt vmcnt(3)
	v_fma_mix_f32 v3, v47, v43, v17 op_sel_hi:[0,1,0]
	s_waitcnt vmcnt(2)
	s_delay_alu instid0(VALU_DEP_1) | instskip(SKIP_1) | instid1(VALU_DEP_1)
	v_fma_mix_f32 v3, v48, v44, v3 op_sel_hi:[0,1,0]
	s_waitcnt vmcnt(1)
	v_fma_mix_f32 v3, v49, v45, v3 op_sel_hi:[0,1,0]
	s_waitcnt vmcnt(0)
	s_delay_alu instid0(VALU_DEP_1)
	v_fma_mix_f32 v17, v50, v46, v3 op_sel_hi:[0,1,0]
.LBB479_15:                             ;   in Loop: Header=BB479_17 Depth=1
	s_or_b32 exec_lo, exec_lo, s3
	s_waitcnt vmcnt(3)
	v_fma_mix_f32 v3, v35, v39, v18 op_sel_hi:[1,1,0]
	s_waitcnt vmcnt(2)
	s_delay_alu instid0(VALU_DEP_1) | instskip(SKIP_1) | instid1(VALU_DEP_1)
	v_fma_mix_f32 v3, v36, v40, v3 op_sel_hi:[1,1,0]
	s_waitcnt vmcnt(1)
	v_fma_mix_f32 v3, v37, v41, v3 op_sel_hi:[1,1,0]
	s_waitcnt vmcnt(0)
	s_delay_alu instid0(VALU_DEP_1)
	v_fma_mix_f32 v18, v38, v42, v3 op_sel_hi:[1,1,0]
.LBB479_16:                             ;   in Loop: Header=BB479_17 Depth=1
	s_or_b32 exec_lo, exec_lo, s4
	v_add_co_u32 v19, s3, v19, s14
	s_delay_alu instid0(VALU_DEP_1) | instskip(SKIP_1) | instid1(VALU_DEP_1)
	v_add_co_ci_u32_e64 v20, s3, s15, v20, s3
	v_add_co_u32 v21, s3, v21, s18
	v_add_co_ci_u32_e64 v22, s3, s19, v22, s3
	v_add_co_u32 v23, s3, v23, s14
	s_delay_alu instid0(VALU_DEP_1) | instskip(SKIP_1) | instid1(VALU_DEP_1)
	v_add_co_ci_u32_e64 v24, s3, s15, v24, s3
	v_add_co_u32 v25, s3, v25, s18
	v_add_co_ci_u32_e64 v26, s3, s19, v26, s3
	v_add_co_u32 v27, s3, v27, s18
	s_delay_alu instid0(VALU_DEP_1) | instskip(SKIP_4) | instid1(VALU_DEP_1)
	v_add_co_ci_u32_e64 v28, s3, s19, v28, s3
	v_add_co_u32 v29, s3, v29, s14
	v_add_nc_u32_e32 v14, 64, v14
	v_add_co_ci_u32_e64 v30, s3, s15, v30, s3
	v_add_co_u32 v31, s3, v31, s14
	v_add_co_ci_u32_e64 v32, s3, s15, v32, s3
	s_delay_alu instid0(VALU_DEP_4) | instskip(SKIP_1) | instid1(VALU_DEP_1)
	v_cmp_le_i32_e64 s3, s25, v14
	v_add_co_u32 v33, s4, v33, s18
	v_add_co_ci_u32_e64 v34, s4, s19, v34, s4
	s_delay_alu instid0(VALU_DEP_3) | instskip(NEXT) | instid1(SALU_CYCLE_1)
	s_or_b32 s27, s3, s27
	s_and_not1_b32 exec_lo, exec_lo, s27
	s_cbranch_execz .LBB479_22
.LBB479_17:                             ; =>This Inner Loop Header: Depth=1
	s_and_saveexec_b32 s4, vcc_lo
	s_cbranch_execz .LBB479_16
; %bb.18:                               ;   in Loop: Header=BB479_17 Depth=1
	v_add_co_u32 v3, s3, v19, s12
	s_delay_alu instid0(VALU_DEP_1) | instskip(SKIP_1) | instid1(VALU_DEP_1)
	v_add_co_ci_u32_e64 v4, s3, s13, v20, s3
	v_add_co_u32 v5, s3, v31, s12
	v_add_co_ci_u32_e64 v6, s3, s13, v32, s3
	v_add_co_u32 v7, s3, v29, s12
	s_delay_alu instid0(VALU_DEP_1) | instskip(SKIP_1) | instid1(VALU_DEP_1)
	v_add_co_ci_u32_e64 v8, s3, s13, v30, s3
	v_add_co_u32 v38, s3, v23, s12
	v_add_co_ci_u32_e64 v39, s3, s13, v24, s3
	global_load_u16 v35, v[3:4], off
	global_load_u16 v36, v[5:6], off
	;; [unrolled: 1-line block ×3, first 2 shown]
	v_add_co_u32 v3, s3, v25, v1
	s_delay_alu instid0(VALU_DEP_1) | instskip(SKIP_1) | instid1(VALU_DEP_1)
	v_add_co_ci_u32_e64 v4, s3, v26, v2, s3
	v_add_co_u32 v5, s3, v33, v1
	v_add_co_ci_u32_e64 v6, s3, v34, v2, s3
	v_add_co_u32 v7, s3, v27, v1
	s_delay_alu instid0(VALU_DEP_1) | instskip(SKIP_1) | instid1(VALU_DEP_1)
	v_add_co_ci_u32_e64 v8, s3, v28, v2, s3
	v_add_co_u32 v9, s3, v21, v1
	v_add_co_ci_u32_e64 v10, s3, v22, v2, s3
	global_load_u16 v38, v[38:39], off
	global_load_u16 v39, v[3:4], off
	;; [unrolled: 1-line block ×5, first 2 shown]
	s_and_saveexec_b32 s3, s0
	s_cbranch_execz .LBB479_15
; %bb.19:                               ;   in Loop: Header=BB479_17 Depth=1
	global_load_u16 v43, v[3:4], off offset:128
	global_load_u16 v44, v[5:6], off offset:128
	;; [unrolled: 1-line block ×4, first 2 shown]
	s_waitcnt vmcnt(11)
	v_cvt_f32_f16_e32 v47, v35
	s_waitcnt vmcnt(10)
	v_cvt_f32_f16_e32 v48, v36
	;; [unrolled: 2-line block ×4, first 2 shown]
	s_and_saveexec_b32 s30, s1
	s_cbranch_execz .LBB479_14
; %bb.20:                               ;   in Loop: Header=BB479_17 Depth=1
	global_load_u16 v51, v[3:4], off offset:256
	global_load_u16 v52, v[5:6], off offset:256
	;; [unrolled: 1-line block ×4, first 2 shown]
	s_and_saveexec_b32 s31, s2
	s_cbranch_execz .LBB479_13
; %bb.21:                               ;   in Loop: Header=BB479_17 Depth=1
	global_load_u16 v3, v[3:4], off offset:384
	global_load_u16 v4, v[5:6], off offset:384
	;; [unrolled: 1-line block ×4, first 2 shown]
	s_waitcnt vmcnt(3)
	v_fma_mix_f32 v3, v47, v3, v15 op_sel_hi:[0,1,0]
	s_waitcnt vmcnt(2)
	s_delay_alu instid0(VALU_DEP_1) | instskip(SKIP_1) | instid1(VALU_DEP_1)
	v_fma_mix_f32 v3, v48, v4, v3 op_sel_hi:[0,1,0]
	s_waitcnt vmcnt(1)
	v_fma_mix_f32 v3, v49, v5, v3 op_sel_hi:[0,1,0]
	s_waitcnt vmcnt(0)
	s_delay_alu instid0(VALU_DEP_1)
	v_fma_mix_f32 v15, v50, v6, v3 op_sel_hi:[0,1,0]
	s_branch .LBB479_13
.LBB479_22:
	s_or_b32 exec_lo, exec_lo, s27
.LBB479_23:
	s_delay_alu instid0(SALU_CYCLE_1) | instskip(SKIP_1) | instid1(SALU_CYCLE_1)
	s_or_b32 exec_lo, exec_lo, s26
	s_sub_i32 s0, s7, s25
	s_cmp_lt_i32 s0, 1
	s_cbranch_scc1 .LBB479_41
; %bb.24:
	v_cmp_gt_i32_e32 vcc_lo, s7, v14
	v_dual_mov_b32 v9, 0 :: v_dual_mov_b32 v10, 0
	v_or_b32_e32 v2, 1, v14
	v_dual_mov_b32 v19, 0 :: v_dual_mov_b32 v20, 0
	s_and_saveexec_b32 s1, vcc_lo
	s_cbranch_execz .LBB479_32
; %bb.25:
	v_mad_u64_u32 v[3:4], null, v14, s16, 0
	s_lshl_b64 s[2:3], s[10:11], 1
	v_mov_b32_e32 v19, 0
	s_add_u32 s0, s48, s2
	s_addc_u32 s2, s49, s3
	s_lshl_b64 s[10:11], s[50:51], 1
	v_mov_b32_e32 v9, 0
	s_delay_alu instid0(VALU_DEP_3) | instskip(SKIP_3) | instid1(VALU_DEP_1)
	v_dual_mov_b32 v1, v4 :: v_dual_mov_b32 v10, 0
	s_add_u32 s3, s0, s10
	s_addc_u32 s4, s2, s11
	s_mov_b32 s2, exec_lo
	v_mad_u64_u32 v[4:5], null, v14, s17, v[1:2]
	s_delay_alu instid0(VALU_DEP_1) | instskip(NEXT) | instid1(VALU_DEP_1)
	v_lshlrev_b64 v[3:4], 1, v[3:4]
	v_add_co_u32 v3, s0, s3, v3
	s_delay_alu instid0(VALU_DEP_1)
	v_add_co_ci_u32_e64 v4, s0, s4, v4, s0
	global_load_u16 v1, v[3:4], off
	v_cmpx_gt_i32_e64 s7, v2
	s_cbranch_execz .LBB479_31
; %bb.26:
	v_mad_u64_u32 v[3:4], null, v2, s16, 0
	v_mov_b32_e32 v10, 0
	s_mov_b32 s10, exec_lo
	v_mov_b32_e32 v9, 0
	s_delay_alu instid0(VALU_DEP_3) | instskip(NEXT) | instid1(VALU_DEP_1)
	v_mad_u64_u32 v[5:6], null, v2, s17, v[4:5]
	v_mov_b32_e32 v4, v5
	s_delay_alu instid0(VALU_DEP_1) | instskip(NEXT) | instid1(VALU_DEP_1)
	v_lshlrev_b64 v[3:4], 1, v[3:4]
	v_add_co_u32 v3, s0, s3, v3
	s_delay_alu instid0(VALU_DEP_1) | instskip(SKIP_2) | instid1(VALU_DEP_1)
	v_add_co_ci_u32_e64 v4, s0, s4, v4, s0
	global_load_u16 v3, v[3:4], off
	v_or_b32_e32 v4, 2, v14
	v_cmpx_gt_i32_e64 s7, v4
	s_cbranch_execz .LBB479_30
; %bb.27:
	v_mad_u64_u32 v[5:6], null, v4, s16, 0
	s_mov_b32 s11, exec_lo
	v_mov_b32_e32 v9, 0
	s_delay_alu instid0(VALU_DEP_2) | instskip(NEXT) | instid1(VALU_DEP_1)
	v_mad_u64_u32 v[7:8], null, v4, s17, v[6:7]
	v_mov_b32_e32 v6, v7
	s_delay_alu instid0(VALU_DEP_1) | instskip(NEXT) | instid1(VALU_DEP_1)
	v_lshlrev_b64 v[4:5], 1, v[5:6]
	v_add_co_u32 v4, s0, s3, v4
	s_delay_alu instid0(VALU_DEP_1) | instskip(SKIP_2) | instid1(VALU_DEP_1)
	v_add_co_ci_u32_e64 v5, s0, s4, v5, s0
	global_load_u16 v4, v[4:5], off
	v_or_b32_e32 v5, 3, v14
	v_cmpx_gt_i32_e64 s7, v5
	s_cbranch_execz .LBB479_29
; %bb.28:
	v_mad_u64_u32 v[6:7], null, v5, s16, 0
	s_delay_alu instid0(VALU_DEP_1) | instskip(NEXT) | instid1(VALU_DEP_1)
	v_mad_u64_u32 v[8:9], null, v5, s17, v[7:8]
	v_mov_b32_e32 v7, v8
	s_delay_alu instid0(VALU_DEP_1) | instskip(NEXT) | instid1(VALU_DEP_1)
	v_lshlrev_b64 v[5:6], 1, v[6:7]
	v_add_co_u32 v5, s0, s3, v5
	s_delay_alu instid0(VALU_DEP_1)
	v_add_co_ci_u32_e64 v6, s0, s4, v6, s0
	global_load_u16 v5, v[5:6], off
	s_waitcnt vmcnt(0)
	v_cvt_f32_f16_e32 v9, v5
.LBB479_29:
	s_or_b32 exec_lo, exec_lo, s11
	s_waitcnt vmcnt(0)
	v_cvt_f32_f16_e32 v10, v4
.LBB479_30:
	s_or_b32 exec_lo, exec_lo, s10
	s_waitcnt vmcnt(0)
	v_cvt_f32_f16_e32 v19, v3
.LBB479_31:
	s_or_b32 exec_lo, exec_lo, s2
	s_waitcnt vmcnt(0)
	v_cvt_f32_f16_e32 v20, v1
.LBB479_32:
	s_or_b32 exec_lo, exec_lo, s1
	s_delay_alu instid0(SALU_CYCLE_1)
	s_mov_b32 s1, exec_lo
	v_cmpx_gt_i32_e64 s6, v0
	s_cbranch_execz .LBB479_40
; %bb.33:
	v_mad_u64_u32 v[3:4], null, v14, s44, 0
	v_mad_u64_u32 v[5:6], null, v2, s44, 0
	v_ashrrev_i32_e32 v1, 31, v0
	s_lshl_b64 s[2:3], s[8:9], 1
	v_or_b32_e32 v28, 2, v14
	s_add_u32 s0, s40, s2
	s_delay_alu instid0(VALU_DEP_4)
	v_cndmask_b32_e32 v3, 0, v3, vcc_lo
	v_lshlrev_b64 v[21:22], 1, v[0:1]
	v_mad_u64_u32 v[7:8], null, v14, s45, v[4:5]
	s_addc_u32 s4, s41, s3
	s_lshl_b64 s[2:3], s[42:43], 1
	v_or_b32_e32 v14, 3, v14
	s_add_u32 s2, s0, s2
	v_mov_b32_e32 v1, v6
	v_mad_u64_u32 v[23:24], null, v28, s44, 0
	s_delay_alu instid0(VALU_DEP_4) | instskip(SKIP_1) | instid1(VALU_DEP_4)
	v_cndmask_b32_e32 v4, 0, v7, vcc_lo
	v_cmp_gt_i32_e32 vcc_lo, s7, v2
	v_mad_u64_u32 v[25:26], null, v2, s45, v[1:2]
	s_addc_u32 s3, s4, s3
	v_mad_u64_u32 v[6:7], null, v14, s44, 0
	v_cndmask_b32_e32 v26, 0, v5, vcc_lo
	v_lshlrev_b64 v[3:4], 1, v[3:4]
	s_delay_alu instid0(VALU_DEP_4) | instskip(NEXT) | instid1(VALU_DEP_2)
	v_cndmask_b32_e32 v27, 0, v25, vcc_lo
	v_add_co_u32 v1, s0, s2, v3
	s_delay_alu instid0(VALU_DEP_1) | instskip(NEXT) | instid1(VALU_DEP_3)
	v_add_co_ci_u32_e64 v2, s0, s3, v4, s0
	v_lshlrev_b64 v[3:4], 1, v[26:27]
	s_delay_alu instid0(VALU_DEP_3) | instskip(NEXT) | instid1(VALU_DEP_3)
	v_add_co_u32 v1, vcc_lo, v1, v21
	v_add_co_ci_u32_e32 v2, vcc_lo, v2, v22, vcc_lo
	v_cmp_gt_i32_e32 vcc_lo, s7, v28
	v_mov_b32_e32 v5, v24
	v_add_co_u32 v3, s0, s2, v3
	s_delay_alu instid0(VALU_DEP_1) | instskip(NEXT) | instid1(VALU_DEP_3)
	v_add_co_ci_u32_e64 v4, s0, s3, v4, s0
	v_mad_u64_u32 v[24:25], null, v28, s45, v[5:6]
	v_mov_b32_e32 v5, v7
	v_cndmask_b32_e32 v7, 0, v23, vcc_lo
	s_mov_b32 s0, exec_lo
	s_delay_alu instid0(VALU_DEP_3) | instskip(NEXT) | instid1(VALU_DEP_3)
	v_cndmask_b32_e32 v8, 0, v24, vcc_lo
	v_mad_u64_u32 v[23:24], null, v14, s45, v[5:6]
	v_add_co_u32 v3, vcc_lo, v3, v21
	v_add_co_ci_u32_e32 v4, vcc_lo, v4, v22, vcc_lo
	v_cmp_gt_i32_e32 vcc_lo, s7, v14
	v_lshlrev_b64 v[7:8], 1, v[7:8]
	s_clause 0x1
	global_load_u16 v24, v[1:2], off
	global_load_u16 v25, v[3:4], off
	v_dual_cndmask_b32 v5, 0, v6 :: v_dual_cndmask_b32 v6, 0, v23
	v_add_co_u32 v14, vcc_lo, s2, v7
	v_add_co_ci_u32_e32 v23, vcc_lo, s3, v8, vcc_lo
	s_delay_alu instid0(VALU_DEP_3) | instskip(NEXT) | instid1(VALU_DEP_3)
	v_lshlrev_b64 v[7:8], 1, v[5:6]
	v_add_co_u32 v5, vcc_lo, v14, v21
	s_delay_alu instid0(VALU_DEP_3) | instskip(NEXT) | instid1(VALU_DEP_3)
	v_add_co_ci_u32_e32 v6, vcc_lo, v23, v22, vcc_lo
	v_add_co_u32 v7, vcc_lo, s2, v7
	s_delay_alu instid0(VALU_DEP_4)
	v_add_co_ci_u32_e32 v8, vcc_lo, s3, v8, vcc_lo
	global_load_u16 v23, v[5:6], off
	v_add_co_u32 v7, vcc_lo, v7, v21
	v_add_co_ci_u32_e32 v8, vcc_lo, v8, v22, vcc_lo
	v_add_nc_u32_e32 v21, 64, v0
	global_load_u16 v14, v[7:8], off
	s_waitcnt vmcnt(3)
	v_fma_mix_f32 v18, v20, v24, v18 op_sel_hi:[0,1,0]
	s_waitcnt vmcnt(2)
	s_delay_alu instid0(VALU_DEP_1) | instskip(SKIP_1) | instid1(VALU_DEP_1)
	v_fma_mix_f32 v18, v19, v25, v18 op_sel_hi:[0,1,0]
	s_waitcnt vmcnt(1)
	v_fma_mix_f32 v18, v10, v23, v18 op_sel_hi:[0,1,0]
	v_cmpx_gt_i32_e64 s6, v21
	s_cbranch_execz .LBB479_39
; %bb.34:
	s_clause 0x3
	global_load_u16 v22, v[1:2], off offset:128
	global_load_u16 v23, v[3:4], off offset:128
	;; [unrolled: 1-line block ×4, first 2 shown]
	s_mov_b32 s2, exec_lo
	s_waitcnt vmcnt(3)
	v_fma_mix_f32 v17, v20, v22, v17 op_sel_hi:[0,1,0]
	v_add_nc_u32_e32 v22, 0x80, v0
	s_waitcnt vmcnt(2)
	s_delay_alu instid0(VALU_DEP_2) | instskip(SKIP_1) | instid1(VALU_DEP_1)
	v_fma_mix_f32 v17, v19, v23, v17 op_sel_hi:[0,1,0]
	s_waitcnt vmcnt(1)
	v_fma_mix_f32 v17, v10, v24, v17 op_sel_hi:[0,1,0]
	v_cmpx_gt_i32_e64 s6, v22
	s_cbranch_execz .LBB479_38
; %bb.35:
	s_clause 0x3
	global_load_u16 v23, v[1:2], off offset:256
	global_load_u16 v24, v[3:4], off offset:256
	;; [unrolled: 1-line block ×4, first 2 shown]
	s_mov_b32 s3, exec_lo
	s_waitcnt vmcnt(3)
	v_fma_mix_f32 v16, v20, v23, v16 op_sel_hi:[0,1,0]
	v_add_nc_u32_e32 v23, 0xc0, v0
	s_waitcnt vmcnt(2)
	s_delay_alu instid0(VALU_DEP_2) | instskip(SKIP_1) | instid1(VALU_DEP_1)
	v_fma_mix_f32 v16, v19, v24, v16 op_sel_hi:[0,1,0]
	s_waitcnt vmcnt(1)
	v_fma_mix_f32 v0, v10, v25, v16 op_sel_hi:[0,1,0]
	v_cmpx_gt_i32_e64 s6, v23
	s_cbranch_execz .LBB479_37
; %bb.36:
	s_clause 0x3
	global_load_u16 v1, v[1:2], off offset:384
	global_load_u16 v2, v[3:4], off offset:384
	;; [unrolled: 1-line block ×4, first 2 shown]
	s_waitcnt vmcnt(3)
	v_fma_mix_f32 v1, v20, v1, v15 op_sel_hi:[0,1,0]
	s_waitcnt vmcnt(2)
	s_delay_alu instid0(VALU_DEP_1) | instskip(SKIP_1) | instid1(VALU_DEP_1)
	v_fma_mix_f32 v1, v19, v2, v1 op_sel_hi:[0,1,0]
	s_waitcnt vmcnt(1)
	v_fma_mix_f32 v1, v10, v3, v1 op_sel_hi:[0,1,0]
	s_waitcnt vmcnt(0)
	s_delay_alu instid0(VALU_DEP_1)
	v_fma_mix_f32 v15, v9, v4, v1 op_sel_hi:[0,1,0]
.LBB479_37:
	s_or_b32 exec_lo, exec_lo, s3
	s_waitcnt vmcnt(0)
	v_fma_mix_f32 v16, v9, v22, v0 op_sel_hi:[0,1,0]
.LBB479_38:
	s_or_b32 exec_lo, exec_lo, s2
	s_waitcnt vmcnt(0)
	v_fma_mix_f32 v17, v9, v21, v17 op_sel_hi:[0,1,0]
.LBB479_39:
	s_or_b32 exec_lo, exec_lo, s0
	s_waitcnt vmcnt(0)
	v_fma_mix_f32 v18, v9, v14, v18 op_sel_hi:[0,1,0]
.LBB479_40:
	s_or_b32 exec_lo, exec_lo, s1
.LBB479_41:
	v_lshlrev_b32_e32 v0, 8, v13
	s_mov_b32 s0, exec_lo
                                        ; implicit-def: $vgpr1
                                        ; implicit-def: $vgpr2_vgpr3
	s_delay_alu instid0(VALU_DEP_1)
	v_add_lshl_u32 v0, v0, v12, 2
	ds_store_2addr_stride64_b32 v0, v18, v17 offset1:1
	ds_store_2addr_stride64_b32 v0, v16, v15 offset0:2 offset1:3
	s_waitcnt lgkmcnt(0)
	s_barrier
	buffer_gl0_inv
	v_cmpx_gt_u32_e32 0x100, v11
	s_cbranch_execz .LBB479_47
; %bb.42:
	v_lshlrev_b32_e32 v6, 2, v11
	s_mov_b32 s2, s23
	s_mov_b32 s1, exec_lo
	ds_load_2addr_stride64_b32 v[0:1], v6 offset1:4
	ds_load_2addr_stride64_b32 v[2:3], v6 offset0:8 offset1:12
	ds_load_2addr_stride64_b32 v[4:5], v6 offset0:16 offset1:20
	s_waitcnt lgkmcnt(2)
	v_add_f32_e32 v7, v0, v1
	ds_load_2addr_stride64_b32 v[0:1], v6 offset0:24 offset1:28
	s_waitcnt lgkmcnt(2)
	v_add_f32_e32 v2, v2, v7
	s_delay_alu instid0(VALU_DEP_1) | instskip(SKIP_3) | instid1(VALU_DEP_1)
	v_add_f32_e32 v7, v3, v2
	ds_load_2addr_stride64_b32 v[2:3], v6 offset0:32 offset1:36
	s_waitcnt lgkmcnt(2)
	v_add_f32_e32 v4, v4, v7
	v_add_f32_e32 v7, v5, v4
	ds_load_2addr_stride64_b32 v[4:5], v6 offset0:40 offset1:44
	s_waitcnt lgkmcnt(2)
	v_add_f32_e32 v0, v0, v7
	s_delay_alu instid0(VALU_DEP_1) | instskip(SKIP_1) | instid1(VALU_DEP_1)
	v_add_f32_e32 v0, v1, v0
	s_waitcnt lgkmcnt(1)
	v_add_f32_e32 v2, v2, v0
	ds_load_2addr_stride64_b32 v[0:1], v6 offset0:48 offset1:52
	v_add_f32_e32 v2, v3, v2
	s_waitcnt lgkmcnt(1)
	s_delay_alu instid0(VALU_DEP_1) | instskip(SKIP_3) | instid1(VALU_DEP_1)
	v_add_f32_e32 v4, v4, v2
	ds_load_2addr_stride64_b32 v[2:3], v6 offset0:56 offset1:60
	v_add_f32_e32 v4, v5, v4
	s_waitcnt lgkmcnt(1)
	v_add_f32_e32 v0, v0, v4
	v_or_b32_e32 v4, s24, v11
	s_delay_alu instid0(VALU_DEP_2) | instskip(SKIP_1) | instid1(VALU_DEP_1)
	v_add_f32_e32 v0, v1, v0
                                        ; implicit-def: $vgpr1
	s_waitcnt lgkmcnt(0)
	v_add_f32_e32 v0, v2, v0
	s_delay_alu instid0(VALU_DEP_1)
	v_add_f32_e32 v0, v3, v0
                                        ; implicit-def: $vgpr2_vgpr3
	ds_store_b32 v6, v0
	v_cmpx_gt_i32_e64 s6, v4
	s_cbranch_execz .LBB479_46
; %bb.43:
	v_ashrrev_i32_e32 v1, 31, v4
	v_mul_lo_u32 v5, v4, s29
	v_mad_u64_u32 v[2:3], null, v4, s28, 0
	v_cmp_eq_f32_e64 s2, s21, 0
	s_delay_alu instid0(VALU_DEP_4) | instskip(SKIP_1) | instid1(VALU_DEP_3)
	v_mul_lo_u32 v4, v1, s28
	v_mul_f32_e32 v1, s22, v0
	s_and_b32 vcc_lo, exec_lo, s2
	s_delay_alu instid0(VALU_DEP_2)
	v_add3_u32 v3, v3, v5, v4
	s_cbranch_vccnz .LBB479_45
; %bb.44:
	s_delay_alu instid0(VALU_DEP_1) | instskip(NEXT) | instid1(VALU_DEP_1)
	v_lshlrev_b64 v[4:5], 2, v[2:3]
	v_add_co_u32 v4, vcc_lo, s5, v4
	s_delay_alu instid0(VALU_DEP_2)
	v_add_co_ci_u32_e32 v5, vcc_lo, s20, v5, vcc_lo
	global_load_b32 v0, v[4:5], off
	s_waitcnt vmcnt(0)
	v_fmac_f32_e32 v1, s21, v0
.LBB479_45:
	s_or_b32 s2, s23, exec_lo
.LBB479_46:
	s_or_b32 exec_lo, exec_lo, s1
	s_delay_alu instid0(SALU_CYCLE_1) | instskip(SKIP_1) | instid1(SALU_CYCLE_1)
	s_and_not1_b32 s1, s23, exec_lo
	s_and_b32 s2, s2, exec_lo
	s_or_b32 s23, s1, s2
.LBB479_47:
	s_or_b32 exec_lo, exec_lo, s0
.LBB479_48:
	s_and_saveexec_b32 s0, s23
	s_cbranch_execz .LBB479_50
; %bb.49:
	v_lshlrev_b64 v[2:3], 2, v[2:3]
	s_delay_alu instid0(VALU_DEP_1) | instskip(NEXT) | instid1(VALU_DEP_2)
	v_add_co_u32 v2, vcc_lo, s5, v2
	v_add_co_ci_u32_e32 v3, vcc_lo, s20, v3, vcc_lo
	global_store_b32 v[2:3], v1, off
.LBB479_50:
	s_nop 0
	s_sendmsg sendmsg(MSG_DEALLOC_VGPRS)
	s_endpgm
	.section	.rodata,"a",@progbits
	.p2align	6, 0x0
	.amdhsa_kernel _ZL20rocblas_gemvn_kernelILi64ELi16ElDF16_PKffEviiT3_lPKT2_lT1_lS5_lS6_lS2_lPT4_lS6_li
		.amdhsa_group_segment_fixed_size 16384
		.amdhsa_private_segment_fixed_size 0
		.amdhsa_kernarg_size 400
		.amdhsa_user_sgpr_count 14
		.amdhsa_user_sgpr_dispatch_ptr 0
		.amdhsa_user_sgpr_queue_ptr 0
		.amdhsa_user_sgpr_kernarg_segment_ptr 1
		.amdhsa_user_sgpr_dispatch_id 0
		.amdhsa_user_sgpr_private_segment_size 0
		.amdhsa_wavefront_size32 1
		.amdhsa_uses_dynamic_stack 0
		.amdhsa_enable_private_segment 0
		.amdhsa_system_sgpr_workgroup_id_x 1
		.amdhsa_system_sgpr_workgroup_id_y 0
		.amdhsa_system_sgpr_workgroup_id_z 1
		.amdhsa_system_sgpr_workgroup_info 0
		.amdhsa_system_vgpr_workitem_id 1
		.amdhsa_next_free_vgpr 55
		.amdhsa_next_free_sgpr 52
		.amdhsa_reserve_vcc 1
		.amdhsa_float_round_mode_32 0
		.amdhsa_float_round_mode_16_64 0
		.amdhsa_float_denorm_mode_32 3
		.amdhsa_float_denorm_mode_16_64 3
		.amdhsa_dx10_clamp 1
		.amdhsa_ieee_mode 1
		.amdhsa_fp16_overflow 0
		.amdhsa_workgroup_processor_mode 1
		.amdhsa_memory_ordered 1
		.amdhsa_forward_progress 0
		.amdhsa_shared_vgpr_count 0
		.amdhsa_exception_fp_ieee_invalid_op 0
		.amdhsa_exception_fp_denorm_src 0
		.amdhsa_exception_fp_ieee_div_zero 0
		.amdhsa_exception_fp_ieee_overflow 0
		.amdhsa_exception_fp_ieee_underflow 0
		.amdhsa_exception_fp_ieee_inexact 0
		.amdhsa_exception_int_div_zero 0
	.end_amdhsa_kernel
	.section	.text._ZL20rocblas_gemvn_kernelILi64ELi16ElDF16_PKffEviiT3_lPKT2_lT1_lS5_lS6_lS2_lPT4_lS6_li,"axG",@progbits,_ZL20rocblas_gemvn_kernelILi64ELi16ElDF16_PKffEviiT3_lPKT2_lT1_lS5_lS6_lS2_lPT4_lS6_li,comdat
.Lfunc_end479:
	.size	_ZL20rocblas_gemvn_kernelILi64ELi16ElDF16_PKffEviiT3_lPKT2_lT1_lS5_lS6_lS2_lPT4_lS6_li, .Lfunc_end479-_ZL20rocblas_gemvn_kernelILi64ELi16ElDF16_PKffEviiT3_lPKT2_lT1_lS5_lS6_lS2_lPT4_lS6_li
                                        ; -- End function
	.section	.AMDGPU.csdata,"",@progbits
; Kernel info:
; codeLenInByte = 3676
; NumSgprs: 54
; NumVgprs: 55
; ScratchSize: 0
; MemoryBound: 0
; FloatMode: 240
; IeeeMode: 1
; LDSByteSize: 16384 bytes/workgroup (compile time only)
; SGPRBlocks: 6
; VGPRBlocks: 6
; NumSGPRsForWavesPerEU: 54
; NumVGPRsForWavesPerEU: 55
; Occupancy: 16
; WaveLimiterHint : 0
; COMPUTE_PGM_RSRC2:SCRATCH_EN: 0
; COMPUTE_PGM_RSRC2:USER_SGPR: 14
; COMPUTE_PGM_RSRC2:TRAP_HANDLER: 0
; COMPUTE_PGM_RSRC2:TGID_X_EN: 1
; COMPUTE_PGM_RSRC2:TGID_Y_EN: 0
; COMPUTE_PGM_RSRC2:TGID_Z_EN: 1
; COMPUTE_PGM_RSRC2:TIDIG_COMP_CNT: 1
	.section	.text._ZL20rocblas_gemvn_kernelILi64ELi16EiDF16_ffEviiT3_lPKT2_lT1_lS3_lS4_lS0_lPT4_lS4_li,"axG",@progbits,_ZL20rocblas_gemvn_kernelILi64ELi16EiDF16_ffEviiT3_lPKT2_lT1_lS3_lS4_lS0_lPT4_lS4_li,comdat
	.globl	_ZL20rocblas_gemvn_kernelILi64ELi16EiDF16_ffEviiT3_lPKT2_lT1_lS3_lS4_lS0_lPT4_lS4_li ; -- Begin function _ZL20rocblas_gemvn_kernelILi64ELi16EiDF16_ffEviiT3_lPKT2_lT1_lS3_lS4_lS0_lPT4_lS4_li
	.p2align	8
	.type	_ZL20rocblas_gemvn_kernelILi64ELi16EiDF16_ffEviiT3_lPKT2_lT1_lS3_lS4_lS0_lPT4_lS4_li,@function
_ZL20rocblas_gemvn_kernelILi64ELi16EiDF16_ffEviiT3_lPKT2_lT1_lS3_lS4_lS0_lPT4_lS4_li: ; @_ZL20rocblas_gemvn_kernelILi64ELi16EiDF16_ffEviiT3_lPKT2_lT1_lS3_lS4_lS0_lPT4_lS4_li
; %bb.0:
	s_load_b64 s[2:3], s[0:1], 0x9c
	s_waitcnt lgkmcnt(0)
	s_lshr_b32 s4, s2, 16
	s_and_b32 s2, s2, 0xffff
	s_and_b32 s3, s3, 0xffff
	s_mul_i32 s2, s4, s2
	s_delay_alu instid0(SALU_CYCLE_1) | instskip(NEXT) | instid1(SALU_CYCLE_1)
	s_mul_i32 s2, s2, s3
	s_cmpk_lg_i32 s2, 0x400
	s_cbranch_scc1 .LBB480_50
; %bb.1:
	s_clause 0x1
	s_load_b128 s[4:7], s[0:1], 0x0
	s_load_b32 s13, s[0:1], 0x58
	s_mov_b32 s16, 0
	s_waitcnt lgkmcnt(0)
	v_cmp_eq_f32_e64 s2, s6, 0
	v_cmp_eq_f32_e64 s3, s13, 1.0
	s_delay_alu instid0(VALU_DEP_1) | instskip(NEXT) | instid1(SALU_CYCLE_1)
	s_and_b32 s2, s2, s3
	s_and_b32 vcc_lo, exec_lo, s2
	s_cbranch_vccnz .LBB480_50
; %bb.2:
	s_clause 0x2
	s_load_b64 s[2:3], s[0:1], 0x80
	s_load_b128 s[8:11], s[0:1], 0x68
	s_load_b32 s17, s[0:1], 0x78
	v_and_b32_e32 v1, 0x3ff, v0
	v_bfe_u32 v13, v0, 10, 10
	v_cmp_neq_f32_e64 s18, s6, 0
	s_delay_alu instid0(VALU_DEP_2)
	v_lshl_add_u32 v0, v13, 6, v1
	s_waitcnt lgkmcnt(0)
	s_mul_i32 s3, s15, s3
	s_mul_hi_u32 s7, s15, s2
	s_mul_i32 s2, s15, s2
	s_add_i32 s3, s7, s3
	s_delay_alu instid0(SALU_CYCLE_1) | instskip(NEXT) | instid1(SALU_CYCLE_1)
	s_lshl_b64 s[2:3], s[2:3], 2
	s_add_u32 s7, s8, s2
	s_addc_u32 s8, s9, s3
	s_lshl_b64 s[2:3], s[10:11], 2
	s_delay_alu instid0(SALU_CYCLE_1)
	s_add_u32 s7, s7, s2
	v_cmp_gt_u32_e64 s2, 0x100, v0
	s_addc_u32 s12, s8, s3
	s_and_b32 vcc_lo, exec_lo, s18
	s_cbranch_vccnz .LBB480_9
; %bb.3:
	s_mov_b32 s3, 0
                                        ; implicit-def: $vgpr3
                                        ; implicit-def: $vgpr4_vgpr5
	s_and_saveexec_b32 s8, s2
	s_cbranch_execz .LBB480_10
; %bb.4:
	v_lshl_or_b32 v2, s14, 8, v0
	v_mov_b32_e32 v3, 0
	s_ashr_i32 s11, s4, 31
	s_mov_b32 s10, s4
	s_mov_b32 s9, 0
	s_mov_b32 s2, exec_lo
                                        ; implicit-def: $vgpr4_vgpr5
	v_cmpx_gt_i64_e64 s[10:11], v[2:3]
	s_cbranch_execz .LBB480_8
; %bb.5:
	v_mad_u64_u32 v[4:5], null, s17, v2, 0
	s_ashr_i32 s9, s17, 31
	s_delay_alu instid0(VALU_DEP_1) | instid1(SALU_CYCLE_1)
	v_mad_u64_u32 v[6:7], null, s9, v2, v[5:6]
	v_cmp_eq_f32_e64 s9, s13, 0
	s_delay_alu instid0(VALU_DEP_1) | instskip(NEXT) | instid1(VALU_DEP_2)
	s_and_b32 vcc_lo, exec_lo, s9
	v_mov_b32_e32 v5, v6
	s_cbranch_vccnz .LBB480_7
; %bb.6:
	s_delay_alu instid0(VALU_DEP_1) | instskip(NEXT) | instid1(VALU_DEP_1)
	v_lshlrev_b64 v[2:3], 2, v[4:5]
	v_add_co_u32 v2, vcc_lo, s7, v2
	s_delay_alu instid0(VALU_DEP_2)
	v_add_co_ci_u32_e32 v3, vcc_lo, s12, v3, vcc_lo
	global_load_b32 v2, v[2:3], off
	s_waitcnt vmcnt(0)
	v_mul_f32_e32 v3, s13, v2
.LBB480_7:
	s_mov_b32 s9, exec_lo
.LBB480_8:
	s_or_b32 exec_lo, exec_lo, s2
	s_delay_alu instid0(SALU_CYCLE_1) | instskip(SKIP_1) | instid1(SALU_CYCLE_1)
	s_and_b32 s16, s9, exec_lo
	s_or_b32 exec_lo, exec_lo, s8
	s_and_b32 vcc_lo, exec_lo, s3
	s_cbranch_vccnz .LBB480_11
	s_branch .LBB480_48
.LBB480_9:
                                        ; implicit-def: $vgpr3
                                        ; implicit-def: $vgpr4_vgpr5
	s_cbranch_execnz .LBB480_11
	s_branch .LBB480_48
.LBB480_10:
	s_or_b32 exec_lo, exec_lo, s8
	s_delay_alu instid0(SALU_CYCLE_1)
	s_and_b32 vcc_lo, exec_lo, s3
	s_cbranch_vccz .LBB480_48
.LBB480_11:
	s_clause 0x4
	s_load_b128 s[8:11], s[0:1], 0x30
	s_load_b64 s[2:3], s[0:1], 0x50
	s_load_b128 s[20:23], s[0:1], 0x18
	s_load_b32 s19, s[0:1], 0x28
	s_load_b64 s[24:25], s[0:1], 0x40
	v_dual_mov_b32 v18, 0 :: v_dual_lshlrev_b32 v19, 2, v13
	v_dual_mov_b32 v15, 0 :: v_dual_mov_b32 v14, 0
	s_waitcnt lgkmcnt(0)
	s_mul_i32 s9, s15, s9
	s_mul_hi_u32 s18, s15, s8
	s_mul_i32 s8, s15, s8
	s_add_i32 s9, s18, s9
	s_mul_i32 s3, s15, s3
	s_lshl_b64 s[8:9], s[8:9], 1
	s_mul_hi_u32 s26, s15, s2
	s_add_u32 s18, s20, s8
	s_addc_u32 s20, s21, s9
	s_lshl_b64 s[8:9], s[22:23], 1
	s_mul_i32 s2, s15, s2
	s_add_u32 s15, s18, s8
	s_load_b32 s8, s[0:1], 0x48
	s_addc_u32 s18, s20, s9
	s_add_i32 s3, s26, s3
	s_mov_b32 s20, exec_lo
	s_lshl_b64 s[0:1], s[2:3], 1
	s_delay_alu instid0(SALU_CYCLE_1) | instskip(SKIP_2) | instid1(SALU_CYCLE_1)
	s_add_u32 s2, s10, s0
	s_addc_u32 s3, s11, s1
	s_lshl_b64 s[0:1], s[24:25], 1
	s_add_u32 s10, s2, s0
	s_addc_u32 s11, s3, s1
	s_ashr_i32 s0, s5, 31
	s_lshl_b32 s9, s14, 8
	s_lshr_b32 s0, s0, 26
	v_dual_mov_b32 v17, 0 :: v_dual_add_nc_u32 v16, s9, v1
	s_add_i32 s0, s5, s0
	s_delay_alu instid0(SALU_CYCLE_1) | instskip(NEXT) | instid1(SALU_CYCLE_1)
	s_and_b32 s14, s0, 0xffffffc0
	v_cmpx_gt_i32_e64 s14, v19
	s_cbranch_execz .LBB480_23
; %bb.12:
	v_mul_lo_u32 v3, s19, v19
	v_dual_mov_b32 v17, 0 :: v_dual_add_nc_u32 v2, 64, v16
	v_add_nc_u32_e32 v6, 2, v19
	v_dual_mov_b32 v18, 0 :: v_dual_add_nc_u32 v5, 0xc0, v16
	s_delay_alu instid0(VALU_DEP_3)
	v_cmp_gt_i32_e64 s0, s4, v2
	v_dual_mov_b32 v15, 0 :: v_dual_add_nc_u32 v4, 0x80, v16
	v_add3_u32 v20, v3, s19, v1
	v_mad_u64_u32 v[2:3], null, s19, v6, v[1:2]
	v_cmp_gt_i32_e64 s2, s4, v5
	v_mul_lo_u32 v5, v13, s19
	v_dual_mov_b32 v14, 0 :: v_dual_add_nc_u32 v7, 3, v19
	s_waitcnt lgkmcnt(0)
	v_mul_lo_u32 v8, v13, s8
	v_cmp_gt_i32_e64 s1, s4, v4
	v_mul_lo_u32 v22, s8, v6
	v_mad_u64_u32 v[3:4], null, s19, v7, v[1:2]
	v_lshl_add_u32 v21, v5, 2, v1
	v_mad_u64_u32 v[4:5], null, s8, v19, s[8:9]
	v_mul_lo_u32 v23, s8, v7
	v_cmp_gt_i32_e32 vcc_lo, s4, v16
	v_lshlrev_b32_e32 v24, 2, v8
	s_lshl_b32 s21, s19, 6
	s_lshl_b32 s23, s8, 6
	s_mov_b32 s22, 0
	s_mov_b32 s24, 0
	s_branch .LBB480_17
.LBB480_13:                             ;   in Loop: Header=BB480_17 Depth=1
	s_or_b32 exec_lo, exec_lo, s27
	s_waitcnt vmcnt(3)
	v_fma_mix_f32 v5, v37, v41, v15 op_sel_hi:[0,1,0]
	s_waitcnt vmcnt(2)
	s_delay_alu instid0(VALU_DEP_1) | instskip(SKIP_1) | instid1(VALU_DEP_1)
	v_fma_mix_f32 v5, v38, v42, v5 op_sel_hi:[0,1,0]
	s_waitcnt vmcnt(1)
	v_fma_mix_f32 v5, v39, v43, v5 op_sel_hi:[0,1,0]
	s_waitcnt vmcnt(0)
	s_delay_alu instid0(VALU_DEP_1)
	v_fma_mix_f32 v15, v40, v44, v5 op_sel_hi:[0,1,0]
.LBB480_14:                             ;   in Loop: Header=BB480_17 Depth=1
	s_or_b32 exec_lo, exec_lo, s26
	s_waitcnt vmcnt(3)
	v_fma_mix_f32 v5, v37, v33, v17 op_sel_hi:[0,1,0]
	s_waitcnt vmcnt(2)
	s_delay_alu instid0(VALU_DEP_1) | instskip(SKIP_1) | instid1(VALU_DEP_1)
	v_fma_mix_f32 v5, v38, v34, v5 op_sel_hi:[0,1,0]
	s_waitcnt vmcnt(1)
	v_fma_mix_f32 v5, v39, v35, v5 op_sel_hi:[0,1,0]
	s_waitcnt vmcnt(0)
	s_delay_alu instid0(VALU_DEP_1)
	v_fma_mix_f32 v17, v40, v36, v5 op_sel_hi:[0,1,0]
.LBB480_15:                             ;   in Loop: Header=BB480_17 Depth=1
	s_or_b32 exec_lo, exec_lo, s3
	s_waitcnt vmcnt(3)
	v_fma_mix_f32 v5, v25, v29, v18 op_sel_hi:[1,1,0]
	s_waitcnt vmcnt(2)
	s_delay_alu instid0(VALU_DEP_1) | instskip(SKIP_1) | instid1(VALU_DEP_1)
	v_fma_mix_f32 v5, v26, v30, v5 op_sel_hi:[1,1,0]
	s_waitcnt vmcnt(1)
	v_fma_mix_f32 v5, v27, v31, v5 op_sel_hi:[1,1,0]
	s_waitcnt vmcnt(0)
	s_delay_alu instid0(VALU_DEP_1)
	v_fma_mix_f32 v18, v28, v32, v5 op_sel_hi:[1,1,0]
.LBB480_16:                             ;   in Loop: Header=BB480_17 Depth=1
	s_or_b32 exec_lo, exec_lo, s25
	v_add_nc_u32_e32 v19, 64, v19
	v_add_nc_u32_e32 v20, s21, v20
	;; [unrolled: 1-line block ×5, first 2 shown]
	v_cmp_le_i32_e64 s3, s14, v19
	s_add_i32 s24, s24, s23
	s_delay_alu instid0(VALU_DEP_1) | instskip(NEXT) | instid1(SALU_CYCLE_1)
	s_or_b32 s22, s3, s22
	s_and_not1_b32 exec_lo, exec_lo, s22
	s_cbranch_execz .LBB480_22
.LBB480_17:                             ; =>This Inner Loop Header: Depth=1
	s_and_saveexec_b32 s25, vcc_lo
	s_cbranch_execz .LBB480_16
; %bb.18:                               ;   in Loop: Header=BB480_17 Depth=1
	v_add_nc_u32_e32 v5, s24, v24
	v_add_nc_u32_e32 v7, s24, v4
	v_add_nc_u32_e32 v9, s24, v22
	v_add_nc_u32_e32 v11, s24, v23
	v_add_nc_u32_e32 v25, s9, v21
	v_ashrrev_i32_e32 v6, 31, v5
	v_ashrrev_i32_e32 v8, 31, v7
	;; [unrolled: 1-line block ×5, first 2 shown]
	v_lshlrev_b64 v[5:6], 1, v[5:6]
	v_lshlrev_b64 v[7:8], 1, v[7:8]
	;; [unrolled: 1-line block ×3, first 2 shown]
	s_delay_alu instid0(VALU_DEP_3) | instskip(NEXT) | instid1(VALU_DEP_1)
	v_add_co_u32 v27, s3, s10, v5
	v_add_co_ci_u32_e64 v28, s3, s11, v6, s3
	s_delay_alu instid0(VALU_DEP_4)
	v_add_co_u32 v29, s3, s10, v7
	v_add_nc_u32_e32 v7, s9, v20
	v_add_co_ci_u32_e64 v30, s3, s11, v8, s3
	v_lshlrev_b64 v[5:6], 1, v[11:12]
	v_add_co_u32 v31, s3, s10, v9
	v_add_nc_u32_e32 v11, s9, v2
	v_add_co_ci_u32_e64 v32, s3, s11, v10, s3
	v_lshlrev_b64 v[9:10], 1, v[25:26]
	v_ashrrev_i32_e32 v8, 31, v7
	v_add_nc_u32_e32 v25, s9, v3
	v_add_co_u32 v33, s3, s10, v5
	v_ashrrev_i32_e32 v12, 31, v11
	v_add_co_ci_u32_e64 v34, s3, s11, v6, s3
	v_lshlrev_b64 v[7:8], 1, v[7:8]
	v_add_co_u32 v5, s3, s15, v9
	v_ashrrev_i32_e32 v26, 31, v25
	v_add_co_ci_u32_e64 v6, s3, s18, v10, s3
	v_lshlrev_b64 v[9:10], 1, v[11:12]
	v_add_co_u32 v7, s3, s15, v7
	s_delay_alu instid0(VALU_DEP_4) | instskip(SKIP_1) | instid1(VALU_DEP_4)
	v_lshlrev_b64 v[11:12], 1, v[25:26]
	v_add_co_ci_u32_e64 v8, s3, s18, v8, s3
	v_add_co_u32 v9, s3, s15, v9
	s_delay_alu instid0(VALU_DEP_1) | instskip(NEXT) | instid1(VALU_DEP_4)
	v_add_co_ci_u32_e64 v10, s3, s18, v10, s3
	v_add_co_u32 v11, s3, s15, v11
	s_delay_alu instid0(VALU_DEP_1)
	v_add_co_ci_u32_e64 v12, s3, s18, v12, s3
	s_clause 0x3
	global_load_u16 v25, v[27:28], off
	global_load_u16 v26, v[29:30], off
	;; [unrolled: 1-line block ×4, first 2 shown]
	s_clause 0x3
	global_load_u16 v29, v[5:6], off
	global_load_u16 v30, v[7:8], off
	;; [unrolled: 1-line block ×4, first 2 shown]
	s_and_saveexec_b32 s3, s0
	s_cbranch_execz .LBB480_15
; %bb.19:                               ;   in Loop: Header=BB480_17 Depth=1
	s_clause 0x3
	global_load_u16 v33, v[5:6], off offset:128
	global_load_u16 v34, v[7:8], off offset:128
	;; [unrolled: 1-line block ×4, first 2 shown]
	s_waitcnt vmcnt(11)
	v_cvt_f32_f16_e32 v37, v25
	s_waitcnt vmcnt(10)
	v_cvt_f32_f16_e32 v38, v26
	s_waitcnt vmcnt(9)
	v_cvt_f32_f16_e32 v39, v27
	s_waitcnt vmcnt(8)
	v_cvt_f32_f16_e32 v40, v28
	s_and_saveexec_b32 s26, s1
	s_cbranch_execz .LBB480_14
; %bb.20:                               ;   in Loop: Header=BB480_17 Depth=1
	s_clause 0x3
	global_load_u16 v41, v[5:6], off offset:256
	global_load_u16 v42, v[7:8], off offset:256
	;; [unrolled: 1-line block ×4, first 2 shown]
	s_and_saveexec_b32 s27, s2
	s_cbranch_execz .LBB480_13
; %bb.21:                               ;   in Loop: Header=BB480_17 Depth=1
	s_clause 0x3
	global_load_u16 v5, v[5:6], off offset:384
	global_load_u16 v6, v[7:8], off offset:384
	;; [unrolled: 1-line block ×4, first 2 shown]
	s_waitcnt vmcnt(3)
	v_fma_mix_f32 v5, v37, v5, v14 op_sel_hi:[0,1,0]
	s_waitcnt vmcnt(2)
	s_delay_alu instid0(VALU_DEP_1) | instskip(SKIP_1) | instid1(VALU_DEP_1)
	v_fma_mix_f32 v5, v38, v6, v5 op_sel_hi:[0,1,0]
	s_waitcnt vmcnt(1)
	v_fma_mix_f32 v5, v39, v7, v5 op_sel_hi:[0,1,0]
	s_waitcnt vmcnt(0)
	s_delay_alu instid0(VALU_DEP_1)
	v_fma_mix_f32 v14, v40, v8, v5 op_sel_hi:[0,1,0]
	s_branch .LBB480_13
.LBB480_22:
	s_or_b32 exec_lo, exec_lo, s22
.LBB480_23:
	s_delay_alu instid0(SALU_CYCLE_1) | instskip(SKIP_1) | instid1(SALU_CYCLE_1)
	s_or_b32 exec_lo, exec_lo, s20
	s_sub_i32 s0, s5, s14
	s_cmp_lt_i32 s0, 1
	s_cbranch_scc1 .LBB480_41
; %bb.24:
	v_cmp_gt_i32_e32 vcc_lo, s5, v19
	v_dual_mov_b32 v10, 0 :: v_dual_mov_b32 v11, 0
	v_or_b32_e32 v2, 1, v19
	v_mov_b32_e32 v12, 0
	v_mov_b32_e32 v20, 0
	s_and_saveexec_b32 s1, vcc_lo
	s_cbranch_execz .LBB480_32
; %bb.25:
	s_waitcnt lgkmcnt(0)
	v_mul_lo_u32 v3, v19, s8
	v_dual_mov_b32 v12, 0 :: v_dual_mov_b32 v11, 0
	v_mov_b32_e32 v10, 0
	s_mov_b32 s2, exec_lo
	s_delay_alu instid0(VALU_DEP_3) | instskip(NEXT) | instid1(VALU_DEP_1)
	v_ashrrev_i32_e32 v4, 31, v3
	v_lshlrev_b64 v[3:4], 1, v[3:4]
	s_delay_alu instid0(VALU_DEP_1) | instskip(NEXT) | instid1(VALU_DEP_1)
	v_add_co_u32 v3, s0, s10, v3
	v_add_co_ci_u32_e64 v4, s0, s11, v4, s0
	global_load_u16 v3, v[3:4], off
	v_cmpx_gt_i32_e64 s5, v2
	s_cbranch_execz .LBB480_31
; %bb.26:
	v_mul_lo_u32 v4, v2, s8
	v_dual_mov_b32 v11, 0 :: v_dual_mov_b32 v10, 0
	s_mov_b32 s3, exec_lo
	s_delay_alu instid0(VALU_DEP_2) | instskip(NEXT) | instid1(VALU_DEP_1)
	v_ashrrev_i32_e32 v5, 31, v4
	v_lshlrev_b64 v[4:5], 1, v[4:5]
	s_delay_alu instid0(VALU_DEP_1) | instskip(NEXT) | instid1(VALU_DEP_1)
	v_add_co_u32 v4, s0, s10, v4
	v_add_co_ci_u32_e64 v5, s0, s11, v5, s0
	global_load_u16 v4, v[4:5], off
	v_or_b32_e32 v5, 2, v19
	s_delay_alu instid0(VALU_DEP_1)
	v_cmpx_gt_i32_e64 s5, v5
	s_cbranch_execz .LBB480_30
; %bb.27:
	v_mul_lo_u32 v5, v5, s8
	v_mov_b32_e32 v10, 0
	s_mov_b32 s14, exec_lo
	s_delay_alu instid0(VALU_DEP_2) | instskip(NEXT) | instid1(VALU_DEP_1)
	v_ashrrev_i32_e32 v6, 31, v5
	v_lshlrev_b64 v[5:6], 1, v[5:6]
	s_delay_alu instid0(VALU_DEP_1) | instskip(NEXT) | instid1(VALU_DEP_1)
	v_add_co_u32 v5, s0, s10, v5
	v_add_co_ci_u32_e64 v6, s0, s11, v6, s0
	global_load_u16 v5, v[5:6], off
	v_or_b32_e32 v6, 3, v19
	s_delay_alu instid0(VALU_DEP_1)
	v_cmpx_gt_i32_e64 s5, v6
	s_cbranch_execz .LBB480_29
; %bb.28:
	v_mul_lo_u32 v6, v6, s8
	s_delay_alu instid0(VALU_DEP_1) | instskip(NEXT) | instid1(VALU_DEP_1)
	v_ashrrev_i32_e32 v7, 31, v6
	v_lshlrev_b64 v[6:7], 1, v[6:7]
	s_delay_alu instid0(VALU_DEP_1) | instskip(NEXT) | instid1(VALU_DEP_1)
	v_add_co_u32 v6, s0, s10, v6
	v_add_co_ci_u32_e64 v7, s0, s11, v7, s0
	global_load_u16 v6, v[6:7], off
	s_waitcnt vmcnt(0)
	v_cvt_f32_f16_e32 v10, v6
.LBB480_29:
	s_or_b32 exec_lo, exec_lo, s14
	s_waitcnt vmcnt(0)
	v_cvt_f32_f16_e32 v11, v5
.LBB480_30:
	s_or_b32 exec_lo, exec_lo, s3
	s_waitcnt vmcnt(0)
	v_cvt_f32_f16_e32 v12, v4
.LBB480_31:
	s_or_b32 exec_lo, exec_lo, s2
	s_waitcnt vmcnt(0)
	v_cvt_f32_f16_e32 v20, v3
.LBB480_32:
	s_or_b32 exec_lo, exec_lo, s1
	s_delay_alu instid0(SALU_CYCLE_1)
	s_mov_b32 s1, exec_lo
	v_cmpx_gt_i32_e64 s4, v16
	s_cbranch_execz .LBB480_40
; %bb.33:
	v_mul_lo_u32 v3, v19, s19
	v_mul_lo_u32 v5, v2, s19
	v_or_b32_e32 v4, 2, v19
	v_or_b32_e32 v6, 3, v19
	s_mov_b32 s0, exec_lo
	s_delay_alu instid0(VALU_DEP_2)
	v_mul_lo_u32 v7, v4, s19
	v_cndmask_b32_e32 v3, 0, v3, vcc_lo
	v_cmp_gt_i32_e32 vcc_lo, s5, v2
	v_mul_lo_u32 v8, v6, s19
	v_cndmask_b32_e32 v5, 0, v5, vcc_lo
	v_cmp_gt_i32_e32 vcc_lo, s5, v4
	s_delay_alu instid0(VALU_DEP_2) | instskip(SKIP_2) | instid1(VALU_DEP_3)
	v_add_nc_u32_e32 v4, v5, v16
	v_dual_cndmask_b32 v7, 0, v7 :: v_dual_add_nc_u32 v2, v3, v16
	v_cmp_gt_i32_e32 vcc_lo, s5, v6
	v_ashrrev_i32_e32 v5, 31, v4
	s_delay_alu instid0(VALU_DEP_3) | instskip(SKIP_2) | instid1(VALU_DEP_4)
	v_ashrrev_i32_e32 v3, 31, v2
	v_cndmask_b32_e32 v8, 0, v8, vcc_lo
	v_add_nc_u32_e32 v6, v7, v16
	v_lshlrev_b64 v[4:5], 1, v[4:5]
	s_delay_alu instid0(VALU_DEP_4) | instskip(NEXT) | instid1(VALU_DEP_4)
	v_lshlrev_b64 v[2:3], 1, v[2:3]
	v_add_nc_u32_e32 v8, v8, v16
	s_delay_alu instid0(VALU_DEP_4) | instskip(NEXT) | instid1(VALU_DEP_3)
	v_ashrrev_i32_e32 v7, 31, v6
	v_add_co_u32 v2, vcc_lo, s15, v2
	s_delay_alu instid0(VALU_DEP_2)
	v_lshlrev_b64 v[6:7], 1, v[6:7]
	v_add_co_ci_u32_e32 v3, vcc_lo, s18, v3, vcc_lo
	v_ashrrev_i32_e32 v9, 31, v8
	v_add_co_u32 v4, vcc_lo, s15, v4
	v_add_co_ci_u32_e32 v5, vcc_lo, s18, v5, vcc_lo
	global_load_u16 v21, v[2:3], off
	v_add_co_u32 v6, vcc_lo, s15, v6
	v_add_co_ci_u32_e32 v7, vcc_lo, s18, v7, vcc_lo
	v_lshlrev_b64 v[8:9], 1, v[8:9]
	s_clause 0x1
	global_load_u16 v22, v[4:5], off
	global_load_u16 v23, v[6:7], off
	v_add_co_u32 v8, vcc_lo, s15, v8
	v_add_co_ci_u32_e32 v9, vcc_lo, s18, v9, vcc_lo
	global_load_u16 v19, v[8:9], off
	s_waitcnt vmcnt(3)
	v_fma_mix_f32 v18, v20, v21, v18 op_sel_hi:[0,1,0]
	v_add_nc_u32_e32 v21, 64, v16
	s_waitcnt vmcnt(2)
	s_delay_alu instid0(VALU_DEP_2) | instskip(SKIP_1) | instid1(VALU_DEP_1)
	v_fma_mix_f32 v18, v12, v22, v18 op_sel_hi:[0,1,0]
	s_waitcnt vmcnt(1)
	v_fma_mix_f32 v18, v11, v23, v18 op_sel_hi:[0,1,0]
	v_cmpx_gt_i32_e64 s4, v21
	s_cbranch_execz .LBB480_39
; %bb.34:
	s_clause 0x3
	global_load_u16 v22, v[2:3], off offset:128
	global_load_u16 v23, v[4:5], off offset:128
	;; [unrolled: 1-line block ×4, first 2 shown]
	s_mov_b32 s2, exec_lo
	s_waitcnt vmcnt(3)
	v_fma_mix_f32 v17, v20, v22, v17 op_sel_hi:[0,1,0]
	v_add_nc_u32_e32 v22, 0x80, v16
	s_waitcnt vmcnt(2)
	s_delay_alu instid0(VALU_DEP_2) | instskip(SKIP_1) | instid1(VALU_DEP_1)
	v_fma_mix_f32 v17, v12, v23, v17 op_sel_hi:[0,1,0]
	s_waitcnt vmcnt(1)
	v_fma_mix_f32 v17, v11, v24, v17 op_sel_hi:[0,1,0]
	v_cmpx_gt_i32_e64 s4, v22
	s_cbranch_execz .LBB480_38
; %bb.35:
	s_clause 0x3
	global_load_u16 v23, v[2:3], off offset:256
	global_load_u16 v24, v[4:5], off offset:256
	;; [unrolled: 1-line block ×4, first 2 shown]
	v_add_nc_u32_e32 v16, 0xc0, v16
	s_mov_b32 s3, exec_lo
	s_waitcnt vmcnt(3)
	v_fma_mix_f32 v15, v20, v23, v15 op_sel_hi:[0,1,0]
	s_waitcnt vmcnt(2)
	s_delay_alu instid0(VALU_DEP_1) | instskip(SKIP_1) | instid1(VALU_DEP_1)
	v_fma_mix_f32 v15, v12, v24, v15 op_sel_hi:[0,1,0]
	s_waitcnt vmcnt(1)
	v_fma_mix_f32 v15, v11, v25, v15 op_sel_hi:[0,1,0]
	v_cmpx_gt_i32_e64 s4, v16
	s_cbranch_execz .LBB480_37
; %bb.36:
	s_clause 0x3
	global_load_u16 v2, v[2:3], off offset:384
	global_load_u16 v3, v[4:5], off offset:384
	;; [unrolled: 1-line block ×4, first 2 shown]
	s_waitcnt vmcnt(3)
	v_fma_mix_f32 v2, v20, v2, v14 op_sel_hi:[0,1,0]
	s_waitcnt vmcnt(2)
	s_delay_alu instid0(VALU_DEP_1) | instskip(SKIP_1) | instid1(VALU_DEP_1)
	v_fma_mix_f32 v2, v12, v3, v2 op_sel_hi:[0,1,0]
	s_waitcnt vmcnt(1)
	v_fma_mix_f32 v2, v11, v4, v2 op_sel_hi:[0,1,0]
	s_waitcnt vmcnt(0)
	s_delay_alu instid0(VALU_DEP_1)
	v_fma_mix_f32 v14, v10, v5, v2 op_sel_hi:[0,1,0]
.LBB480_37:
	s_or_b32 exec_lo, exec_lo, s3
	s_waitcnt vmcnt(0)
	v_fma_mix_f32 v15, v10, v22, v15 op_sel_hi:[0,1,0]
.LBB480_38:
	s_or_b32 exec_lo, exec_lo, s2
	s_waitcnt vmcnt(0)
	v_fma_mix_f32 v17, v10, v21, v17 op_sel_hi:[0,1,0]
.LBB480_39:
	s_or_b32 exec_lo, exec_lo, s0
	s_waitcnt vmcnt(0)
	v_fma_mix_f32 v18, v10, v19, v18 op_sel_hi:[0,1,0]
.LBB480_40:
	s_or_b32 exec_lo, exec_lo, s1
.LBB480_41:
	v_lshlrev_b32_e32 v2, 8, v13
	s_mov_b32 s0, exec_lo
                                        ; implicit-def: $vgpr3
                                        ; implicit-def: $vgpr4_vgpr5
	s_delay_alu instid0(VALU_DEP_1)
	v_add_lshl_u32 v1, v2, v1, 2
	ds_store_2addr_stride64_b32 v1, v18, v17 offset1:1
	ds_store_2addr_stride64_b32 v1, v15, v14 offset0:2 offset1:3
	s_waitcnt lgkmcnt(0)
	s_barrier
	buffer_gl0_inv
	v_cmpx_gt_u32_e32 0x100, v0
	s_cbranch_execz .LBB480_47
; %bb.42:
	v_lshlrev_b32_e32 v7, 2, v0
	s_mov_b32 s2, s16
	s_mov_b32 s1, exec_lo
	ds_load_2addr_stride64_b32 v[1:2], v7 offset1:4
	ds_load_2addr_stride64_b32 v[3:4], v7 offset0:8 offset1:12
	ds_load_2addr_stride64_b32 v[5:6], v7 offset0:16 offset1:20
	s_waitcnt lgkmcnt(2)
	v_add_f32_e32 v8, v1, v2
	ds_load_2addr_stride64_b32 v[1:2], v7 offset0:24 offset1:28
	s_waitcnt lgkmcnt(2)
	v_add_f32_e32 v3, v3, v8
	s_delay_alu instid0(VALU_DEP_1) | instskip(SKIP_3) | instid1(VALU_DEP_1)
	v_add_f32_e32 v8, v4, v3
	ds_load_2addr_stride64_b32 v[3:4], v7 offset0:32 offset1:36
	s_waitcnt lgkmcnt(2)
	v_add_f32_e32 v5, v5, v8
	v_add_f32_e32 v8, v6, v5
	ds_load_2addr_stride64_b32 v[5:6], v7 offset0:40 offset1:44
	s_waitcnt lgkmcnt(2)
	v_add_f32_e32 v1, v1, v8
	s_delay_alu instid0(VALU_DEP_1) | instskip(SKIP_1) | instid1(VALU_DEP_1)
	v_add_f32_e32 v1, v2, v1
	s_waitcnt lgkmcnt(1)
	v_add_f32_e32 v3, v3, v1
	ds_load_2addr_stride64_b32 v[1:2], v7 offset0:48 offset1:52
	v_add_f32_e32 v3, v4, v3
	s_waitcnt lgkmcnt(1)
	s_delay_alu instid0(VALU_DEP_1) | instskip(SKIP_3) | instid1(VALU_DEP_1)
	v_add_f32_e32 v5, v5, v3
	ds_load_2addr_stride64_b32 v[3:4], v7 offset0:56 offset1:60
	v_add_f32_e32 v5, v6, v5
	s_waitcnt lgkmcnt(1)
	v_add_f32_e32 v1, v1, v5
	s_delay_alu instid0(VALU_DEP_1) | instskip(SKIP_1) | instid1(VALU_DEP_1)
	v_add_f32_e32 v1, v2, v1
	s_waitcnt lgkmcnt(0)
	v_add_f32_e32 v2, v3, v1
	v_or_b32_e32 v1, s9, v0
                                        ; implicit-def: $vgpr3
	s_delay_alu instid0(VALU_DEP_2)
	v_add_f32_e32 v0, v4, v2
                                        ; implicit-def: $vgpr4_vgpr5
	ds_store_b32 v7, v0
	v_cmpx_gt_i32_e64 s4, v1
	s_cbranch_execz .LBB480_46
; %bb.43:
	v_mul_lo_u32 v4, v1, s17
	v_cmp_eq_f32_e64 s2, s13, 0
	v_mul_f32_e32 v3, s6, v0
	s_delay_alu instid0(VALU_DEP_2) | instskip(NEXT) | instid1(VALU_DEP_3)
	s_and_b32 vcc_lo, exec_lo, s2
	v_ashrrev_i32_e32 v5, 31, v4
	s_cbranch_vccnz .LBB480_45
; %bb.44:
	s_delay_alu instid0(VALU_DEP_1) | instskip(NEXT) | instid1(VALU_DEP_1)
	v_lshlrev_b64 v[0:1], 2, v[4:5]
	v_add_co_u32 v0, vcc_lo, s7, v0
	s_delay_alu instid0(VALU_DEP_2)
	v_add_co_ci_u32_e32 v1, vcc_lo, s12, v1, vcc_lo
	global_load_b32 v0, v[0:1], off
	s_waitcnt vmcnt(0)
	v_fmac_f32_e32 v3, s13, v0
.LBB480_45:
	s_or_b32 s2, s16, exec_lo
.LBB480_46:
	s_or_b32 exec_lo, exec_lo, s1
	s_delay_alu instid0(SALU_CYCLE_1) | instskip(SKIP_1) | instid1(SALU_CYCLE_1)
	s_and_not1_b32 s1, s16, exec_lo
	s_and_b32 s2, s2, exec_lo
	s_or_b32 s16, s1, s2
.LBB480_47:
	s_or_b32 exec_lo, exec_lo, s0
.LBB480_48:
	s_and_saveexec_b32 s0, s16
	s_cbranch_execz .LBB480_50
; %bb.49:
	v_lshlrev_b64 v[0:1], 2, v[4:5]
	s_delay_alu instid0(VALU_DEP_1) | instskip(NEXT) | instid1(VALU_DEP_2)
	v_add_co_u32 v0, vcc_lo, s7, v0
	v_add_co_ci_u32_e32 v1, vcc_lo, s12, v1, vcc_lo
	global_store_b32 v[0:1], v3, off
.LBB480_50:
	s_nop 0
	s_sendmsg sendmsg(MSG_DEALLOC_VGPRS)
	s_endpgm
	.section	.rodata,"a",@progbits
	.p2align	6, 0x0
	.amdhsa_kernel _ZL20rocblas_gemvn_kernelILi64ELi16EiDF16_ffEviiT3_lPKT2_lT1_lS3_lS4_lS0_lPT4_lS4_li
		.amdhsa_group_segment_fixed_size 16384
		.amdhsa_private_segment_fixed_size 0
		.amdhsa_kernarg_size 400
		.amdhsa_user_sgpr_count 14
		.amdhsa_user_sgpr_dispatch_ptr 0
		.amdhsa_user_sgpr_queue_ptr 0
		.amdhsa_user_sgpr_kernarg_segment_ptr 1
		.amdhsa_user_sgpr_dispatch_id 0
		.amdhsa_user_sgpr_private_segment_size 0
		.amdhsa_wavefront_size32 1
		.amdhsa_uses_dynamic_stack 0
		.amdhsa_enable_private_segment 0
		.amdhsa_system_sgpr_workgroup_id_x 1
		.amdhsa_system_sgpr_workgroup_id_y 0
		.amdhsa_system_sgpr_workgroup_id_z 1
		.amdhsa_system_sgpr_workgroup_info 0
		.amdhsa_system_vgpr_workitem_id 1
		.amdhsa_next_free_vgpr 45
		.amdhsa_next_free_sgpr 28
		.amdhsa_reserve_vcc 1
		.amdhsa_float_round_mode_32 0
		.amdhsa_float_round_mode_16_64 0
		.amdhsa_float_denorm_mode_32 3
		.amdhsa_float_denorm_mode_16_64 3
		.amdhsa_dx10_clamp 1
		.amdhsa_ieee_mode 1
		.amdhsa_fp16_overflow 0
		.amdhsa_workgroup_processor_mode 1
		.amdhsa_memory_ordered 1
		.amdhsa_forward_progress 0
		.amdhsa_shared_vgpr_count 0
		.amdhsa_exception_fp_ieee_invalid_op 0
		.amdhsa_exception_fp_denorm_src 0
		.amdhsa_exception_fp_ieee_div_zero 0
		.amdhsa_exception_fp_ieee_overflow 0
		.amdhsa_exception_fp_ieee_underflow 0
		.amdhsa_exception_fp_ieee_inexact 0
		.amdhsa_exception_int_div_zero 0
	.end_amdhsa_kernel
	.section	.text._ZL20rocblas_gemvn_kernelILi64ELi16EiDF16_ffEviiT3_lPKT2_lT1_lS3_lS4_lS0_lPT4_lS4_li,"axG",@progbits,_ZL20rocblas_gemvn_kernelILi64ELi16EiDF16_ffEviiT3_lPKT2_lT1_lS3_lS4_lS0_lPT4_lS4_li,comdat
.Lfunc_end480:
	.size	_ZL20rocblas_gemvn_kernelILi64ELi16EiDF16_ffEviiT3_lPKT2_lT1_lS3_lS4_lS0_lPT4_lS4_li, .Lfunc_end480-_ZL20rocblas_gemvn_kernelILi64ELi16EiDF16_ffEviiT3_lPKT2_lT1_lS3_lS4_lS0_lPT4_lS4_li
                                        ; -- End function
	.section	.AMDGPU.csdata,"",@progbits
; Kernel info:
; codeLenInByte = 3156
; NumSgprs: 30
; NumVgprs: 45
; ScratchSize: 0
; MemoryBound: 0
; FloatMode: 240
; IeeeMode: 1
; LDSByteSize: 16384 bytes/workgroup (compile time only)
; SGPRBlocks: 3
; VGPRBlocks: 5
; NumSGPRsForWavesPerEU: 30
; NumVGPRsForWavesPerEU: 45
; Occupancy: 16
; WaveLimiterHint : 1
; COMPUTE_PGM_RSRC2:SCRATCH_EN: 0
; COMPUTE_PGM_RSRC2:USER_SGPR: 14
; COMPUTE_PGM_RSRC2:TRAP_HANDLER: 0
; COMPUTE_PGM_RSRC2:TGID_X_EN: 1
; COMPUTE_PGM_RSRC2:TGID_Y_EN: 0
; COMPUTE_PGM_RSRC2:TGID_Z_EN: 1
; COMPUTE_PGM_RSRC2:TIDIG_COMP_CNT: 1
	.section	.text._ZL20rocblas_gemvn_kernelILi64ELi16ElDF16_ffEviiT3_lPKT2_lT1_lS3_lS4_lS0_lPT4_lS4_li,"axG",@progbits,_ZL20rocblas_gemvn_kernelILi64ELi16ElDF16_ffEviiT3_lPKT2_lT1_lS3_lS4_lS0_lPT4_lS4_li,comdat
	.globl	_ZL20rocblas_gemvn_kernelILi64ELi16ElDF16_ffEviiT3_lPKT2_lT1_lS3_lS4_lS0_lPT4_lS4_li ; -- Begin function _ZL20rocblas_gemvn_kernelILi64ELi16ElDF16_ffEviiT3_lPKT2_lT1_lS3_lS4_lS0_lPT4_lS4_li
	.p2align	8
	.type	_ZL20rocblas_gemvn_kernelILi64ELi16ElDF16_ffEviiT3_lPKT2_lT1_lS3_lS4_lS0_lPT4_lS4_li,@function
_ZL20rocblas_gemvn_kernelILi64ELi16ElDF16_ffEviiT3_lPKT2_lT1_lS3_lS4_lS0_lPT4_lS4_li: ; @_ZL20rocblas_gemvn_kernelILi64ELi16ElDF16_ffEviiT3_lPKT2_lT1_lS3_lS4_lS0_lPT4_lS4_li
; %bb.0:
	s_load_b64 s[2:3], s[0:1], 0x9c
	s_waitcnt lgkmcnt(0)
	s_lshr_b32 s4, s2, 16
	s_and_b32 s2, s2, 0xffff
	s_and_b32 s3, s3, 0xffff
	s_mul_i32 s2, s4, s2
	s_delay_alu instid0(SALU_CYCLE_1) | instskip(NEXT) | instid1(SALU_CYCLE_1)
	s_mul_i32 s2, s2, s3
	s_cmpk_lg_i32 s2, 0x400
	s_cbranch_scc1 .LBB481_50
; %bb.1:
	s_clause 0x1
	s_load_b128 s[36:39], s[0:1], 0x0
	s_load_b32 s34, s[0:1], 0x58
	s_mov_b32 s35, 0
	s_waitcnt lgkmcnt(0)
	v_cmp_eq_f32_e64 s2, s38, 0
	v_cmp_eq_f32_e64 s3, s34, 1.0
	s_delay_alu instid0(VALU_DEP_1) | instskip(NEXT) | instid1(SALU_CYCLE_1)
	s_and_b32 s2, s2, s3
	s_and_b32 vcc_lo, exec_lo, s2
	s_cbranch_vccnz .LBB481_50
; %bb.2:
	s_load_b256 s[4:11], s[0:1], 0x68
	v_and_b32_e32 v12, 0x3ff, v0
	v_bfe_u32 v13, v0, 10, 10
	s_delay_alu instid0(VALU_DEP_1)
	v_lshl_add_u32 v11, v13, 6, v12
	s_waitcnt lgkmcnt(0)
	s_mul_i32 s3, s15, s11
	s_mul_hi_u32 s11, s15, s10
	s_mul_i32 s2, s15, s10
	s_add_i32 s3, s11, s3
	v_cmp_neq_f32_e64 s10, s38, 0
	s_lshl_b64 s[2:3], s[2:3], 2
	s_delay_alu instid0(SALU_CYCLE_1) | instskip(SKIP_2) | instid1(SALU_CYCLE_1)
	s_add_u32 s4, s4, s2
	s_addc_u32 s11, s5, s3
	s_lshl_b64 s[2:3], s[6:7], 2
	s_add_u32 s5, s4, s2
	v_cmp_gt_u32_e64 s2, 0x100, v11
	s_addc_u32 s33, s11, s3
	s_and_b32 vcc_lo, exec_lo, s10
	s_cbranch_vccnz .LBB481_9
; %bb.3:
	s_mov_b32 s3, 0
                                        ; implicit-def: $vgpr1
                                        ; implicit-def: $vgpr2_vgpr3
	s_and_saveexec_b32 s4, s2
	s_cbranch_execz .LBB481_10
; %bb.4:
	v_lshl_or_b32 v0, s14, 8, v11
	v_mov_b32_e32 v1, 0
	s_ashr_i32 s7, s36, 31
	s_mov_b32 s6, s36
                                        ; implicit-def: $vgpr2_vgpr3
	s_delay_alu instid0(VALU_DEP_1) | instid1(SALU_CYCLE_1)
	v_cmp_gt_i64_e32 vcc_lo, s[6:7], v[0:1]
	s_mov_b32 s6, 0
	s_and_saveexec_b32 s2, vcc_lo
	s_cbranch_execz .LBB481_8
; %bb.5:
	v_mad_u64_u32 v[2:3], null, v0, s8, 0
	v_cmp_eq_f32_e64 s6, s34, 0
	s_delay_alu instid0(VALU_DEP_1) | instskip(NEXT) | instid1(VALU_DEP_2)
	s_and_b32 vcc_lo, exec_lo, s6
	v_mad_u64_u32 v[4:5], null, v0, s9, v[3:4]
	s_delay_alu instid0(VALU_DEP_1)
	v_mov_b32_e32 v3, v4
	s_cbranch_vccnz .LBB481_7
; %bb.6:
	s_delay_alu instid0(VALU_DEP_1) | instskip(NEXT) | instid1(VALU_DEP_1)
	v_lshlrev_b64 v[0:1], 2, v[2:3]
	v_add_co_u32 v0, vcc_lo, s5, v0
	s_delay_alu instid0(VALU_DEP_2)
	v_add_co_ci_u32_e32 v1, vcc_lo, s33, v1, vcc_lo
	global_load_b32 v0, v[0:1], off
	s_waitcnt vmcnt(0)
	v_mul_f32_e32 v1, s34, v0
.LBB481_7:
	s_mov_b32 s6, exec_lo
.LBB481_8:
	s_or_b32 exec_lo, exec_lo, s2
	s_delay_alu instid0(SALU_CYCLE_1) | instskip(SKIP_1) | instid1(SALU_CYCLE_1)
	s_and_b32 s35, s6, exec_lo
	s_or_b32 exec_lo, exec_lo, s4
	s_and_b32 vcc_lo, exec_lo, s3
	s_cbranch_vccnz .LBB481_11
	s_branch .LBB481_48
.LBB481_9:
                                        ; implicit-def: $vgpr1
                                        ; implicit-def: $vgpr2_vgpr3
	s_cbranch_execnz .LBB481_11
	s_branch .LBB481_48
.LBB481_10:
	s_or_b32 exec_lo, exec_lo, s4
	s_delay_alu instid0(SALU_CYCLE_1)
	s_and_b32 vcc_lo, exec_lo, s3
	s_cbranch_vccz .LBB481_48
.LBB481_11:
	s_load_b512 s[16:31], s[0:1], 0x18
	s_ashr_i32 s0, s37, 31
	s_lshl_b32 s39, s14, 8
	s_lshr_b32 s0, s0, 26
	v_dual_mov_b32 v17, 0 :: v_dual_lshlrev_b32 v14, 2, v13
	v_dual_mov_b32 v18, 0 :: v_dual_mov_b32 v15, 0
	v_mov_b32_e32 v16, 0
	v_add_nc_u32_e32 v0, s39, v12
	s_add_i32 s40, s37, s0
	s_delay_alu instid0(SALU_CYCLE_1)
	s_and_not1_b32 s40, s40, 63
	s_waitcnt lgkmcnt(0)
	s_mul_i32 s0, s15, s23
	s_mul_hi_u32 s1, s15, s22
	s_mul_i32 s2, s15, s31
	s_mul_hi_u32 s3, s15, s30
	s_mul_i32 s6, s15, s22
	s_add_i32 s7, s1, s0
	s_add_i32 s11, s3, s2
	s_mul_i32 s10, s15, s30
	s_mov_b32 s30, exec_lo
	v_cmpx_gt_i32_e64 s40, v14
	s_cbranch_execz .LBB481_23
; %bb.12:
	v_lshlrev_b32_e32 v29, 2, v13
	v_mad_u64_u32 v[2:3], null, s28, v13, 0
	v_add_nc_u32_e32 v15, 64, v0
	s_lshl_b64 s[0:1], s[10:11], 1
	s_delay_alu instid0(VALU_DEP_3)
	v_or_b32_e32 v17, 3, v29
	s_lshl_b64 s[12:13], s[26:27], 1
	s_add_u32 s4, s24, s0
	s_addc_u32 s31, s25, s1
	v_cmp_gt_i32_e64 s0, s36, v15
	v_mad_u64_u32 v[4:5], null, s20, v17, 0
	s_lshl_b64 s[22:23], s[18:19], 1
	s_lshl_b64 s[14:15], s[28:29], 7
	;; [unrolled: 1-line block ×3, first 2 shown]
	v_ashrrev_i32_e32 v1, 31, v0
	v_cmp_gt_i32_e32 vcc_lo, s36, v0
	s_delay_alu instid0(VALU_DEP_3) | instskip(SKIP_3) | instid1(VALU_DEP_4)
	v_mad_u64_u32 v[6:7], null, s29, v13, v[3:4]
	v_add_nc_u32_e32 v16, 0x80, v0
	v_mad_u64_u32 v[7:8], null, s28, v17, 0
	v_add_nc_u32_e32 v18, 0xc0, v0
	v_mad_u64_u32 v[9:10], null, s21, v17, v[5:6]
	v_mov_b32_e32 v3, v6
	v_cmp_gt_i32_e64 s1, s36, v16
	s_delay_alu instid0(VALU_DEP_2)
	v_lshlrev_b64 v[15:16], 3, v[2:3]
	v_mov_b32_e32 v3, v8
	v_mov_b32_e32 v5, v9
	v_mad_u64_u32 v[9:10], null, s20, v13, 0
	v_cmp_gt_i32_e64 s2, s36, v18
	v_add_co_u32 v19, s3, s4, v15
	s_delay_alu instid0(VALU_DEP_4) | instskip(SKIP_4) | instid1(VALU_DEP_2)
	v_lshlrev_b64 v[4:5], 1, v[4:5]
	v_add_co_ci_u32_e64 v20, s3, s31, v16, s3
	s_add_u32 s3, s16, s22
	s_addc_u32 s22, s17, s23
	s_add_u32 s23, s3, s42
	v_mad_u64_u32 v[15:16], null, s29, v17, v[3:4]
	v_mov_b32_e32 v3, v10
	s_addc_u32 s22, s22, s43
	v_add_co_u32 v21, s3, s23, v4
	s_delay_alu instid0(VALU_DEP_1) | instskip(NEXT) | instid1(VALU_DEP_4)
	v_add_co_ci_u32_e64 v22, s3, s22, v5, s3
	v_mov_b32_e32 v8, v15
	v_or_b32_e32 v23, 2, v29
	v_mad_u64_u32 v[17:18], null, s21, v13, v[3:4]
	v_mad_u64_u32 v[31:32], null, s20, v29, s[20:21]
	s_delay_alu instid0(VALU_DEP_3)
	v_mad_u64_u32 v[15:16], null, s20, v23, 0
	v_lshlrev_b64 v[4:5], 1, v[7:8]
	v_mad_u64_u32 v[27:28], null, s28, v23, 0
	v_mov_b32_e32 v10, v17
	v_mad_u64_u32 v[17:18], null, s28, v29, s[28:29]
	v_mov_b32_e32 v3, v16
	v_lshlrev_b64 v[1:2], 1, v[0:1]
	v_mov_b32_e32 v6, v28
	s_delay_alu instid0(VALU_DEP_3) | instskip(SKIP_1) | instid1(VALU_DEP_2)
	v_mad_u64_u32 v[7:8], null, s21, v23, v[3:4]
	v_mov_b32_e32 v3, v18
	v_mad_u64_u32 v[25:26], null, s29, v23, v[6:7]
	v_add_co_u32 v23, s3, s4, v4
	s_delay_alu instid0(VALU_DEP_1) | instskip(SKIP_3) | instid1(VALU_DEP_3)
	v_add_co_ci_u32_e64 v24, s3, s31, v5, s3
	v_lshlrev_b64 v[4:5], 3, v[9:10]
	v_mov_b32_e32 v16, v7
	v_mov_b32_e32 v28, v25
	v_mad_u64_u32 v[6:7], null, s29, v29, v[3:4]
	v_add_co_u32 v25, s3, s23, v4
	s_delay_alu instid0(VALU_DEP_1) | instskip(SKIP_1) | instid1(VALU_DEP_4)
	v_add_co_ci_u32_e64 v26, s3, s22, v5, s3
	v_lshlrev_b64 v[4:5], 1, v[15:16]
	v_dual_mov_b32 v3, v32 :: v_dual_mov_b32 v18, v6
	v_dual_mov_b32 v16, 0 :: v_dual_mov_b32 v15, 0
	s_delay_alu instid0(VALU_DEP_2)
	v_mad_u64_u32 v[7:8], null, s21, v29, v[3:4]
	v_lshlrev_b64 v[8:9], 1, v[27:28]
	v_add_co_u32 v27, s3, s23, v4
	v_lshlrev_b64 v[3:4], 1, v[17:18]
	v_add_co_ci_u32_e64 v28, s3, s22, v5, s3
	v_mov_b32_e32 v32, v7
	v_add_co_u32 v29, s3, s4, v8
	s_delay_alu instid0(VALU_DEP_1) | instskip(NEXT) | instid1(VALU_DEP_3)
	v_add_co_ci_u32_e64 v30, s3, s31, v9, s3
	v_lshlrev_b64 v[5:6], 1, v[31:32]
	v_add_co_u32 v31, s3, s4, v3
	s_delay_alu instid0(VALU_DEP_1) | instskip(SKIP_1) | instid1(VALU_DEP_4)
	v_add_co_ci_u32_e64 v32, s3, s31, v4, s3
	v_dual_mov_b32 v18, 0 :: v_dual_mov_b32 v17, 0
	v_add_co_u32 v33, s3, s23, v5
	s_delay_alu instid0(VALU_DEP_1)
	v_add_co_ci_u32_e64 v34, s3, s22, v6, s3
	s_lshl_b64 s[22:23], s[20:21], 7
	s_mov_b32 s31, 0
	s_branch .LBB481_17
.LBB481_13:                             ;   in Loop: Header=BB481_17 Depth=1
	s_or_b32 exec_lo, exec_lo, s42
	s_waitcnt vmcnt(3)
	v_fma_mix_f32 v3, v47, v51, v16 op_sel_hi:[0,1,0]
	s_waitcnt vmcnt(2)
	s_delay_alu instid0(VALU_DEP_1) | instskip(SKIP_1) | instid1(VALU_DEP_1)
	v_fma_mix_f32 v3, v48, v52, v3 op_sel_hi:[0,1,0]
	s_waitcnt vmcnt(1)
	v_fma_mix_f32 v3, v49, v53, v3 op_sel_hi:[0,1,0]
	s_waitcnt vmcnt(0)
	s_delay_alu instid0(VALU_DEP_1)
	v_fma_mix_f32 v16, v50, v54, v3 op_sel_hi:[0,1,0]
.LBB481_14:                             ;   in Loop: Header=BB481_17 Depth=1
	s_or_b32 exec_lo, exec_lo, s41
	s_waitcnt vmcnt(3)
	v_fma_mix_f32 v3, v47, v43, v17 op_sel_hi:[0,1,0]
	s_waitcnt vmcnt(2)
	s_delay_alu instid0(VALU_DEP_1) | instskip(SKIP_1) | instid1(VALU_DEP_1)
	v_fma_mix_f32 v3, v48, v44, v3 op_sel_hi:[0,1,0]
	s_waitcnt vmcnt(1)
	v_fma_mix_f32 v3, v49, v45, v3 op_sel_hi:[0,1,0]
	s_waitcnt vmcnt(0)
	s_delay_alu instid0(VALU_DEP_1)
	v_fma_mix_f32 v17, v50, v46, v3 op_sel_hi:[0,1,0]
.LBB481_15:                             ;   in Loop: Header=BB481_17 Depth=1
	s_or_b32 exec_lo, exec_lo, s3
	s_waitcnt vmcnt(3)
	v_fma_mix_f32 v3, v35, v39, v18 op_sel_hi:[1,1,0]
	s_waitcnt vmcnt(2)
	s_delay_alu instid0(VALU_DEP_1) | instskip(SKIP_1) | instid1(VALU_DEP_1)
	v_fma_mix_f32 v3, v36, v40, v3 op_sel_hi:[1,1,0]
	s_waitcnt vmcnt(1)
	v_fma_mix_f32 v3, v37, v41, v3 op_sel_hi:[1,1,0]
	s_waitcnt vmcnt(0)
	s_delay_alu instid0(VALU_DEP_1)
	v_fma_mix_f32 v18, v38, v42, v3 op_sel_hi:[1,1,0]
.LBB481_16:                             ;   in Loop: Header=BB481_17 Depth=1
	s_or_b32 exec_lo, exec_lo, s4
	v_add_co_u32 v19, s3, v19, s14
	s_delay_alu instid0(VALU_DEP_1) | instskip(SKIP_1) | instid1(VALU_DEP_1)
	v_add_co_ci_u32_e64 v20, s3, s15, v20, s3
	v_add_co_u32 v21, s3, v21, s22
	v_add_co_ci_u32_e64 v22, s3, s23, v22, s3
	v_add_co_u32 v23, s3, v23, s14
	s_delay_alu instid0(VALU_DEP_1) | instskip(SKIP_1) | instid1(VALU_DEP_1)
	v_add_co_ci_u32_e64 v24, s3, s15, v24, s3
	v_add_co_u32 v25, s3, v25, s22
	v_add_co_ci_u32_e64 v26, s3, s23, v26, s3
	v_add_co_u32 v27, s3, v27, s22
	s_delay_alu instid0(VALU_DEP_1) | instskip(SKIP_4) | instid1(VALU_DEP_1)
	v_add_co_ci_u32_e64 v28, s3, s23, v28, s3
	v_add_co_u32 v29, s3, v29, s14
	v_add_nc_u32_e32 v14, 64, v14
	v_add_co_ci_u32_e64 v30, s3, s15, v30, s3
	v_add_co_u32 v31, s3, v31, s14
	v_add_co_ci_u32_e64 v32, s3, s15, v32, s3
	s_delay_alu instid0(VALU_DEP_4) | instskip(SKIP_1) | instid1(VALU_DEP_1)
	v_cmp_le_i32_e64 s3, s40, v14
	v_add_co_u32 v33, s4, v33, s22
	v_add_co_ci_u32_e64 v34, s4, s23, v34, s4
	s_delay_alu instid0(VALU_DEP_3) | instskip(NEXT) | instid1(SALU_CYCLE_1)
	s_or_b32 s31, s3, s31
	s_and_not1_b32 exec_lo, exec_lo, s31
	s_cbranch_execz .LBB481_22
.LBB481_17:                             ; =>This Inner Loop Header: Depth=1
	s_and_saveexec_b32 s4, vcc_lo
	s_cbranch_execz .LBB481_16
; %bb.18:                               ;   in Loop: Header=BB481_17 Depth=1
	v_add_co_u32 v3, s3, v19, s12
	s_delay_alu instid0(VALU_DEP_1) | instskip(SKIP_1) | instid1(VALU_DEP_1)
	v_add_co_ci_u32_e64 v4, s3, s13, v20, s3
	v_add_co_u32 v5, s3, v31, s12
	v_add_co_ci_u32_e64 v6, s3, s13, v32, s3
	v_add_co_u32 v7, s3, v29, s12
	s_delay_alu instid0(VALU_DEP_1) | instskip(SKIP_1) | instid1(VALU_DEP_1)
	v_add_co_ci_u32_e64 v8, s3, s13, v30, s3
	v_add_co_u32 v38, s3, v23, s12
	v_add_co_ci_u32_e64 v39, s3, s13, v24, s3
	global_load_u16 v35, v[3:4], off
	global_load_u16 v36, v[5:6], off
	;; [unrolled: 1-line block ×3, first 2 shown]
	v_add_co_u32 v3, s3, v25, v1
	s_delay_alu instid0(VALU_DEP_1) | instskip(SKIP_1) | instid1(VALU_DEP_1)
	v_add_co_ci_u32_e64 v4, s3, v26, v2, s3
	v_add_co_u32 v5, s3, v33, v1
	v_add_co_ci_u32_e64 v6, s3, v34, v2, s3
	v_add_co_u32 v7, s3, v27, v1
	s_delay_alu instid0(VALU_DEP_1) | instskip(SKIP_1) | instid1(VALU_DEP_1)
	v_add_co_ci_u32_e64 v8, s3, v28, v2, s3
	v_add_co_u32 v9, s3, v21, v1
	v_add_co_ci_u32_e64 v10, s3, v22, v2, s3
	global_load_u16 v38, v[38:39], off
	global_load_u16 v39, v[3:4], off
	;; [unrolled: 1-line block ×5, first 2 shown]
	s_and_saveexec_b32 s3, s0
	s_cbranch_execz .LBB481_15
; %bb.19:                               ;   in Loop: Header=BB481_17 Depth=1
	global_load_u16 v43, v[3:4], off offset:128
	global_load_u16 v44, v[5:6], off offset:128
	;; [unrolled: 1-line block ×4, first 2 shown]
	s_waitcnt vmcnt(11)
	v_cvt_f32_f16_e32 v47, v35
	s_waitcnt vmcnt(10)
	v_cvt_f32_f16_e32 v48, v36
	;; [unrolled: 2-line block ×4, first 2 shown]
	s_and_saveexec_b32 s41, s1
	s_cbranch_execz .LBB481_14
; %bb.20:                               ;   in Loop: Header=BB481_17 Depth=1
	global_load_u16 v51, v[3:4], off offset:256
	global_load_u16 v52, v[5:6], off offset:256
	;; [unrolled: 1-line block ×4, first 2 shown]
	s_and_saveexec_b32 s42, s2
	s_cbranch_execz .LBB481_13
; %bb.21:                               ;   in Loop: Header=BB481_17 Depth=1
	global_load_u16 v3, v[3:4], off offset:384
	global_load_u16 v4, v[5:6], off offset:384
	;; [unrolled: 1-line block ×4, first 2 shown]
	s_waitcnt vmcnt(3)
	v_fma_mix_f32 v3, v47, v3, v15 op_sel_hi:[0,1,0]
	s_waitcnt vmcnt(2)
	s_delay_alu instid0(VALU_DEP_1) | instskip(SKIP_1) | instid1(VALU_DEP_1)
	v_fma_mix_f32 v3, v48, v4, v3 op_sel_hi:[0,1,0]
	s_waitcnt vmcnt(1)
	v_fma_mix_f32 v3, v49, v5, v3 op_sel_hi:[0,1,0]
	s_waitcnt vmcnt(0)
	s_delay_alu instid0(VALU_DEP_1)
	v_fma_mix_f32 v15, v50, v6, v3 op_sel_hi:[0,1,0]
	s_branch .LBB481_13
.LBB481_22:
	s_or_b32 exec_lo, exec_lo, s31
.LBB481_23:
	s_delay_alu instid0(SALU_CYCLE_1) | instskip(SKIP_1) | instid1(SALU_CYCLE_1)
	s_or_b32 exec_lo, exec_lo, s30
	s_sub_i32 s0, s37, s40
	s_cmp_lt_i32 s0, 1
	s_cbranch_scc1 .LBB481_41
; %bb.24:
	v_cmp_gt_i32_e32 vcc_lo, s37, v14
	v_dual_mov_b32 v9, 0 :: v_dual_mov_b32 v10, 0
	v_or_b32_e32 v2, 1, v14
	v_dual_mov_b32 v19, 0 :: v_dual_mov_b32 v20, 0
	s_and_saveexec_b32 s1, vcc_lo
	s_cbranch_execz .LBB481_32
; %bb.25:
	v_mad_u64_u32 v[3:4], null, v14, s28, 0
	s_lshl_b64 s[2:3], s[10:11], 1
	v_mov_b32_e32 v19, 0
	s_add_u32 s0, s24, s2
	s_addc_u32 s2, s25, s3
	s_lshl_b64 s[10:11], s[26:27], 1
	v_mov_b32_e32 v9, 0
	s_delay_alu instid0(VALU_DEP_3) | instskip(SKIP_3) | instid1(VALU_DEP_1)
	v_dual_mov_b32 v1, v4 :: v_dual_mov_b32 v10, 0
	s_add_u32 s3, s0, s10
	s_addc_u32 s4, s2, s11
	s_mov_b32 s2, exec_lo
	v_mad_u64_u32 v[4:5], null, v14, s29, v[1:2]
	s_delay_alu instid0(VALU_DEP_1) | instskip(NEXT) | instid1(VALU_DEP_1)
	v_lshlrev_b64 v[3:4], 1, v[3:4]
	v_add_co_u32 v3, s0, s3, v3
	s_delay_alu instid0(VALU_DEP_1)
	v_add_co_ci_u32_e64 v4, s0, s4, v4, s0
	global_load_u16 v1, v[3:4], off
	v_cmpx_gt_i32_e64 s37, v2
	s_cbranch_execz .LBB481_31
; %bb.26:
	v_mad_u64_u32 v[3:4], null, v2, s28, 0
	v_mov_b32_e32 v10, 0
	s_mov_b32 s10, exec_lo
	v_mov_b32_e32 v9, 0
	s_delay_alu instid0(VALU_DEP_3) | instskip(NEXT) | instid1(VALU_DEP_1)
	v_mad_u64_u32 v[5:6], null, v2, s29, v[4:5]
	v_mov_b32_e32 v4, v5
	s_delay_alu instid0(VALU_DEP_1) | instskip(NEXT) | instid1(VALU_DEP_1)
	v_lshlrev_b64 v[3:4], 1, v[3:4]
	v_add_co_u32 v3, s0, s3, v3
	s_delay_alu instid0(VALU_DEP_1) | instskip(SKIP_2) | instid1(VALU_DEP_1)
	v_add_co_ci_u32_e64 v4, s0, s4, v4, s0
	global_load_u16 v3, v[3:4], off
	v_or_b32_e32 v4, 2, v14
	v_cmpx_gt_i32_e64 s37, v4
	s_cbranch_execz .LBB481_30
; %bb.27:
	v_mad_u64_u32 v[5:6], null, v4, s28, 0
	s_mov_b32 s11, exec_lo
	v_mov_b32_e32 v9, 0
	s_delay_alu instid0(VALU_DEP_2) | instskip(NEXT) | instid1(VALU_DEP_1)
	v_mad_u64_u32 v[7:8], null, v4, s29, v[6:7]
	v_mov_b32_e32 v6, v7
	s_delay_alu instid0(VALU_DEP_1) | instskip(NEXT) | instid1(VALU_DEP_1)
	v_lshlrev_b64 v[4:5], 1, v[5:6]
	v_add_co_u32 v4, s0, s3, v4
	s_delay_alu instid0(VALU_DEP_1) | instskip(SKIP_2) | instid1(VALU_DEP_1)
	v_add_co_ci_u32_e64 v5, s0, s4, v5, s0
	global_load_u16 v4, v[4:5], off
	v_or_b32_e32 v5, 3, v14
	v_cmpx_gt_i32_e64 s37, v5
	s_cbranch_execz .LBB481_29
; %bb.28:
	v_mad_u64_u32 v[6:7], null, v5, s28, 0
	s_delay_alu instid0(VALU_DEP_1) | instskip(NEXT) | instid1(VALU_DEP_1)
	v_mad_u64_u32 v[8:9], null, v5, s29, v[7:8]
	v_mov_b32_e32 v7, v8
	s_delay_alu instid0(VALU_DEP_1) | instskip(NEXT) | instid1(VALU_DEP_1)
	v_lshlrev_b64 v[5:6], 1, v[6:7]
	v_add_co_u32 v5, s0, s3, v5
	s_delay_alu instid0(VALU_DEP_1)
	v_add_co_ci_u32_e64 v6, s0, s4, v6, s0
	global_load_u16 v5, v[5:6], off
	s_waitcnt vmcnt(0)
	v_cvt_f32_f16_e32 v9, v5
.LBB481_29:
	s_or_b32 exec_lo, exec_lo, s11
	s_waitcnt vmcnt(0)
	v_cvt_f32_f16_e32 v10, v4
.LBB481_30:
	s_or_b32 exec_lo, exec_lo, s10
	s_waitcnt vmcnt(0)
	v_cvt_f32_f16_e32 v19, v3
.LBB481_31:
	s_or_b32 exec_lo, exec_lo, s2
	s_waitcnt vmcnt(0)
	v_cvt_f32_f16_e32 v20, v1
.LBB481_32:
	s_or_b32 exec_lo, exec_lo, s1
	s_delay_alu instid0(SALU_CYCLE_1)
	s_mov_b32 s1, exec_lo
	v_cmpx_gt_i32_e64 s36, v0
	s_cbranch_execz .LBB481_40
; %bb.33:
	v_mad_u64_u32 v[3:4], null, v14, s20, 0
	v_mad_u64_u32 v[5:6], null, v2, s20, 0
	v_ashrrev_i32_e32 v1, 31, v0
	s_lshl_b64 s[2:3], s[6:7], 1
	v_or_b32_e32 v28, 2, v14
	s_add_u32 s0, s16, s2
	s_delay_alu instid0(VALU_DEP_4)
	v_cndmask_b32_e32 v3, 0, v3, vcc_lo
	v_lshlrev_b64 v[21:22], 1, v[0:1]
	v_mad_u64_u32 v[7:8], null, v14, s21, v[4:5]
	s_addc_u32 s4, s17, s3
	s_lshl_b64 s[2:3], s[18:19], 1
	v_or_b32_e32 v14, 3, v14
	s_add_u32 s2, s0, s2
	v_mov_b32_e32 v1, v6
	v_mad_u64_u32 v[23:24], null, v28, s20, 0
	s_delay_alu instid0(VALU_DEP_4) | instskip(SKIP_1) | instid1(VALU_DEP_4)
	v_cndmask_b32_e32 v4, 0, v7, vcc_lo
	v_cmp_gt_i32_e32 vcc_lo, s37, v2
	v_mad_u64_u32 v[25:26], null, v2, s21, v[1:2]
	s_addc_u32 s3, s4, s3
	v_mad_u64_u32 v[6:7], null, v14, s20, 0
	v_cndmask_b32_e32 v26, 0, v5, vcc_lo
	v_lshlrev_b64 v[3:4], 1, v[3:4]
	s_delay_alu instid0(VALU_DEP_4) | instskip(NEXT) | instid1(VALU_DEP_2)
	v_cndmask_b32_e32 v27, 0, v25, vcc_lo
	v_add_co_u32 v1, s0, s2, v3
	s_delay_alu instid0(VALU_DEP_1) | instskip(NEXT) | instid1(VALU_DEP_3)
	v_add_co_ci_u32_e64 v2, s0, s3, v4, s0
	v_lshlrev_b64 v[3:4], 1, v[26:27]
	s_delay_alu instid0(VALU_DEP_3) | instskip(NEXT) | instid1(VALU_DEP_3)
	v_add_co_u32 v1, vcc_lo, v1, v21
	v_add_co_ci_u32_e32 v2, vcc_lo, v2, v22, vcc_lo
	v_cmp_gt_i32_e32 vcc_lo, s37, v28
	v_mov_b32_e32 v5, v24
	v_add_co_u32 v3, s0, s2, v3
	s_delay_alu instid0(VALU_DEP_1) | instskip(NEXT) | instid1(VALU_DEP_3)
	v_add_co_ci_u32_e64 v4, s0, s3, v4, s0
	v_mad_u64_u32 v[24:25], null, v28, s21, v[5:6]
	v_mov_b32_e32 v5, v7
	v_cndmask_b32_e32 v7, 0, v23, vcc_lo
	s_mov_b32 s0, exec_lo
	s_delay_alu instid0(VALU_DEP_3) | instskip(NEXT) | instid1(VALU_DEP_3)
	v_cndmask_b32_e32 v8, 0, v24, vcc_lo
	v_mad_u64_u32 v[23:24], null, v14, s21, v[5:6]
	v_add_co_u32 v3, vcc_lo, v3, v21
	v_add_co_ci_u32_e32 v4, vcc_lo, v4, v22, vcc_lo
	v_cmp_gt_i32_e32 vcc_lo, s37, v14
	v_lshlrev_b64 v[7:8], 1, v[7:8]
	s_clause 0x1
	global_load_u16 v24, v[1:2], off
	global_load_u16 v25, v[3:4], off
	v_dual_cndmask_b32 v5, 0, v6 :: v_dual_cndmask_b32 v6, 0, v23
	v_add_co_u32 v14, vcc_lo, s2, v7
	v_add_co_ci_u32_e32 v23, vcc_lo, s3, v8, vcc_lo
	s_delay_alu instid0(VALU_DEP_3) | instskip(NEXT) | instid1(VALU_DEP_3)
	v_lshlrev_b64 v[7:8], 1, v[5:6]
	v_add_co_u32 v5, vcc_lo, v14, v21
	s_delay_alu instid0(VALU_DEP_3) | instskip(NEXT) | instid1(VALU_DEP_3)
	v_add_co_ci_u32_e32 v6, vcc_lo, v23, v22, vcc_lo
	v_add_co_u32 v7, vcc_lo, s2, v7
	s_delay_alu instid0(VALU_DEP_4)
	v_add_co_ci_u32_e32 v8, vcc_lo, s3, v8, vcc_lo
	global_load_u16 v23, v[5:6], off
	v_add_co_u32 v7, vcc_lo, v7, v21
	v_add_co_ci_u32_e32 v8, vcc_lo, v8, v22, vcc_lo
	v_add_nc_u32_e32 v21, 64, v0
	global_load_u16 v14, v[7:8], off
	s_waitcnt vmcnt(3)
	v_fma_mix_f32 v18, v20, v24, v18 op_sel_hi:[0,1,0]
	s_waitcnt vmcnt(2)
	s_delay_alu instid0(VALU_DEP_1) | instskip(SKIP_1) | instid1(VALU_DEP_1)
	v_fma_mix_f32 v18, v19, v25, v18 op_sel_hi:[0,1,0]
	s_waitcnt vmcnt(1)
	v_fma_mix_f32 v18, v10, v23, v18 op_sel_hi:[0,1,0]
	v_cmpx_gt_i32_e64 s36, v21
	s_cbranch_execz .LBB481_39
; %bb.34:
	s_clause 0x3
	global_load_u16 v22, v[1:2], off offset:128
	global_load_u16 v23, v[3:4], off offset:128
	global_load_u16 v24, v[5:6], off offset:128
	global_load_u16 v21, v[7:8], off offset:128
	s_mov_b32 s2, exec_lo
	s_waitcnt vmcnt(3)
	v_fma_mix_f32 v17, v20, v22, v17 op_sel_hi:[0,1,0]
	v_add_nc_u32_e32 v22, 0x80, v0
	s_waitcnt vmcnt(2)
	s_delay_alu instid0(VALU_DEP_2) | instskip(SKIP_1) | instid1(VALU_DEP_1)
	v_fma_mix_f32 v17, v19, v23, v17 op_sel_hi:[0,1,0]
	s_waitcnt vmcnt(1)
	v_fma_mix_f32 v17, v10, v24, v17 op_sel_hi:[0,1,0]
	v_cmpx_gt_i32_e64 s36, v22
	s_cbranch_execz .LBB481_38
; %bb.35:
	s_clause 0x3
	global_load_u16 v23, v[1:2], off offset:256
	global_load_u16 v24, v[3:4], off offset:256
	;; [unrolled: 1-line block ×4, first 2 shown]
	s_mov_b32 s3, exec_lo
	s_waitcnt vmcnt(3)
	v_fma_mix_f32 v16, v20, v23, v16 op_sel_hi:[0,1,0]
	v_add_nc_u32_e32 v23, 0xc0, v0
	s_waitcnt vmcnt(2)
	s_delay_alu instid0(VALU_DEP_2) | instskip(SKIP_1) | instid1(VALU_DEP_1)
	v_fma_mix_f32 v16, v19, v24, v16 op_sel_hi:[0,1,0]
	s_waitcnt vmcnt(1)
	v_fma_mix_f32 v0, v10, v25, v16 op_sel_hi:[0,1,0]
	v_cmpx_gt_i32_e64 s36, v23
	s_cbranch_execz .LBB481_37
; %bb.36:
	s_clause 0x3
	global_load_u16 v1, v[1:2], off offset:384
	global_load_u16 v2, v[3:4], off offset:384
	;; [unrolled: 1-line block ×4, first 2 shown]
	s_waitcnt vmcnt(3)
	v_fma_mix_f32 v1, v20, v1, v15 op_sel_hi:[0,1,0]
	s_waitcnt vmcnt(2)
	s_delay_alu instid0(VALU_DEP_1) | instskip(SKIP_1) | instid1(VALU_DEP_1)
	v_fma_mix_f32 v1, v19, v2, v1 op_sel_hi:[0,1,0]
	s_waitcnt vmcnt(1)
	v_fma_mix_f32 v1, v10, v3, v1 op_sel_hi:[0,1,0]
	s_waitcnt vmcnt(0)
	s_delay_alu instid0(VALU_DEP_1)
	v_fma_mix_f32 v15, v9, v4, v1 op_sel_hi:[0,1,0]
.LBB481_37:
	s_or_b32 exec_lo, exec_lo, s3
	s_waitcnt vmcnt(0)
	v_fma_mix_f32 v16, v9, v22, v0 op_sel_hi:[0,1,0]
.LBB481_38:
	s_or_b32 exec_lo, exec_lo, s2
	s_waitcnt vmcnt(0)
	v_fma_mix_f32 v17, v9, v21, v17 op_sel_hi:[0,1,0]
.LBB481_39:
	s_or_b32 exec_lo, exec_lo, s0
	s_waitcnt vmcnt(0)
	v_fma_mix_f32 v18, v9, v14, v18 op_sel_hi:[0,1,0]
.LBB481_40:
	s_or_b32 exec_lo, exec_lo, s1
.LBB481_41:
	v_lshlrev_b32_e32 v0, 8, v13
	s_mov_b32 s0, exec_lo
                                        ; implicit-def: $vgpr1
                                        ; implicit-def: $vgpr2_vgpr3
	s_delay_alu instid0(VALU_DEP_1)
	v_add_lshl_u32 v0, v0, v12, 2
	ds_store_2addr_stride64_b32 v0, v18, v17 offset1:1
	ds_store_2addr_stride64_b32 v0, v16, v15 offset0:2 offset1:3
	s_waitcnt lgkmcnt(0)
	s_barrier
	buffer_gl0_inv
	v_cmpx_gt_u32_e32 0x100, v11
	s_cbranch_execz .LBB481_47
; %bb.42:
	v_lshlrev_b32_e32 v6, 2, v11
	s_mov_b32 s2, s35
	s_mov_b32 s1, exec_lo
	ds_load_2addr_stride64_b32 v[0:1], v6 offset1:4
	ds_load_2addr_stride64_b32 v[2:3], v6 offset0:8 offset1:12
	ds_load_2addr_stride64_b32 v[4:5], v6 offset0:16 offset1:20
	s_waitcnt lgkmcnt(2)
	v_add_f32_e32 v7, v0, v1
	ds_load_2addr_stride64_b32 v[0:1], v6 offset0:24 offset1:28
	s_waitcnt lgkmcnt(2)
	v_add_f32_e32 v2, v2, v7
	s_delay_alu instid0(VALU_DEP_1) | instskip(SKIP_3) | instid1(VALU_DEP_1)
	v_add_f32_e32 v7, v3, v2
	ds_load_2addr_stride64_b32 v[2:3], v6 offset0:32 offset1:36
	s_waitcnt lgkmcnt(2)
	v_add_f32_e32 v4, v4, v7
	v_add_f32_e32 v7, v5, v4
	ds_load_2addr_stride64_b32 v[4:5], v6 offset0:40 offset1:44
	s_waitcnt lgkmcnt(2)
	v_add_f32_e32 v0, v0, v7
	s_delay_alu instid0(VALU_DEP_1) | instskip(SKIP_1) | instid1(VALU_DEP_1)
	v_add_f32_e32 v0, v1, v0
	s_waitcnt lgkmcnt(1)
	v_add_f32_e32 v2, v2, v0
	ds_load_2addr_stride64_b32 v[0:1], v6 offset0:48 offset1:52
	v_add_f32_e32 v2, v3, v2
	s_waitcnt lgkmcnt(1)
	s_delay_alu instid0(VALU_DEP_1) | instskip(SKIP_3) | instid1(VALU_DEP_1)
	v_add_f32_e32 v4, v4, v2
	ds_load_2addr_stride64_b32 v[2:3], v6 offset0:56 offset1:60
	v_add_f32_e32 v4, v5, v4
	s_waitcnt lgkmcnt(1)
	v_add_f32_e32 v0, v0, v4
	v_or_b32_e32 v4, s39, v11
	s_delay_alu instid0(VALU_DEP_2) | instskip(SKIP_1) | instid1(VALU_DEP_1)
	v_add_f32_e32 v0, v1, v0
                                        ; implicit-def: $vgpr1
	s_waitcnt lgkmcnt(0)
	v_add_f32_e32 v0, v2, v0
	s_delay_alu instid0(VALU_DEP_1)
	v_add_f32_e32 v0, v3, v0
                                        ; implicit-def: $vgpr2_vgpr3
	ds_store_b32 v6, v0
	v_cmpx_gt_i32_e64 s36, v4
	s_cbranch_execz .LBB481_46
; %bb.43:
	v_ashrrev_i32_e32 v1, 31, v4
	v_mul_lo_u32 v5, v4, s9
	v_mad_u64_u32 v[2:3], null, v4, s8, 0
	v_cmp_eq_f32_e64 s2, s34, 0
	s_delay_alu instid0(VALU_DEP_4) | instskip(SKIP_1) | instid1(VALU_DEP_3)
	v_mul_lo_u32 v4, v1, s8
	v_mul_f32_e32 v1, s38, v0
	s_and_b32 vcc_lo, exec_lo, s2
	s_delay_alu instid0(VALU_DEP_2)
	v_add3_u32 v3, v3, v5, v4
	s_cbranch_vccnz .LBB481_45
; %bb.44:
	s_delay_alu instid0(VALU_DEP_1) | instskip(NEXT) | instid1(VALU_DEP_1)
	v_lshlrev_b64 v[4:5], 2, v[2:3]
	v_add_co_u32 v4, vcc_lo, s5, v4
	s_delay_alu instid0(VALU_DEP_2)
	v_add_co_ci_u32_e32 v5, vcc_lo, s33, v5, vcc_lo
	global_load_b32 v0, v[4:5], off
	s_waitcnt vmcnt(0)
	v_fmac_f32_e32 v1, s34, v0
.LBB481_45:
	s_or_b32 s2, s35, exec_lo
.LBB481_46:
	s_or_b32 exec_lo, exec_lo, s1
	s_delay_alu instid0(SALU_CYCLE_1) | instskip(SKIP_1) | instid1(SALU_CYCLE_1)
	s_and_not1_b32 s1, s35, exec_lo
	s_and_b32 s2, s2, exec_lo
	s_or_b32 s35, s1, s2
.LBB481_47:
	s_or_b32 exec_lo, exec_lo, s0
.LBB481_48:
	s_and_saveexec_b32 s0, s35
	s_cbranch_execz .LBB481_50
; %bb.49:
	v_lshlrev_b64 v[2:3], 2, v[2:3]
	s_delay_alu instid0(VALU_DEP_1) | instskip(NEXT) | instid1(VALU_DEP_2)
	v_add_co_u32 v2, vcc_lo, s5, v2
	v_add_co_ci_u32_e32 v3, vcc_lo, s33, v3, vcc_lo
	global_store_b32 v[2:3], v1, off
.LBB481_50:
	s_nop 0
	s_sendmsg sendmsg(MSG_DEALLOC_VGPRS)
	s_endpgm
	.section	.rodata,"a",@progbits
	.p2align	6, 0x0
	.amdhsa_kernel _ZL20rocblas_gemvn_kernelILi64ELi16ElDF16_ffEviiT3_lPKT2_lT1_lS3_lS4_lS0_lPT4_lS4_li
		.amdhsa_group_segment_fixed_size 16384
		.amdhsa_private_segment_fixed_size 0
		.amdhsa_kernarg_size 400
		.amdhsa_user_sgpr_count 14
		.amdhsa_user_sgpr_dispatch_ptr 0
		.amdhsa_user_sgpr_queue_ptr 0
		.amdhsa_user_sgpr_kernarg_segment_ptr 1
		.amdhsa_user_sgpr_dispatch_id 0
		.amdhsa_user_sgpr_private_segment_size 0
		.amdhsa_wavefront_size32 1
		.amdhsa_uses_dynamic_stack 0
		.amdhsa_enable_private_segment 0
		.amdhsa_system_sgpr_workgroup_id_x 1
		.amdhsa_system_sgpr_workgroup_id_y 0
		.amdhsa_system_sgpr_workgroup_id_z 1
		.amdhsa_system_sgpr_workgroup_info 0
		.amdhsa_system_vgpr_workitem_id 1
		.amdhsa_next_free_vgpr 55
		.amdhsa_next_free_sgpr 44
		.amdhsa_reserve_vcc 1
		.amdhsa_float_round_mode_32 0
		.amdhsa_float_round_mode_16_64 0
		.amdhsa_float_denorm_mode_32 3
		.amdhsa_float_denorm_mode_16_64 3
		.amdhsa_dx10_clamp 1
		.amdhsa_ieee_mode 1
		.amdhsa_fp16_overflow 0
		.amdhsa_workgroup_processor_mode 1
		.amdhsa_memory_ordered 1
		.amdhsa_forward_progress 0
		.amdhsa_shared_vgpr_count 0
		.amdhsa_exception_fp_ieee_invalid_op 0
		.amdhsa_exception_fp_denorm_src 0
		.amdhsa_exception_fp_ieee_div_zero 0
		.amdhsa_exception_fp_ieee_overflow 0
		.amdhsa_exception_fp_ieee_underflow 0
		.amdhsa_exception_fp_ieee_inexact 0
		.amdhsa_exception_int_div_zero 0
	.end_amdhsa_kernel
	.section	.text._ZL20rocblas_gemvn_kernelILi64ELi16ElDF16_ffEviiT3_lPKT2_lT1_lS3_lS4_lS0_lPT4_lS4_li,"axG",@progbits,_ZL20rocblas_gemvn_kernelILi64ELi16ElDF16_ffEviiT3_lPKT2_lT1_lS3_lS4_lS0_lPT4_lS4_li,comdat
.Lfunc_end481:
	.size	_ZL20rocblas_gemvn_kernelILi64ELi16ElDF16_ffEviiT3_lPKT2_lT1_lS3_lS4_lS0_lPT4_lS4_li, .Lfunc_end481-_ZL20rocblas_gemvn_kernelILi64ELi16ElDF16_ffEviiT3_lPKT2_lT1_lS3_lS4_lS0_lPT4_lS4_li
                                        ; -- End function
	.section	.AMDGPU.csdata,"",@progbits
; Kernel info:
; codeLenInByte = 3612
; NumSgprs: 46
; NumVgprs: 55
; ScratchSize: 0
; MemoryBound: 0
; FloatMode: 240
; IeeeMode: 1
; LDSByteSize: 16384 bytes/workgroup (compile time only)
; SGPRBlocks: 5
; VGPRBlocks: 6
; NumSGPRsForWavesPerEU: 46
; NumVGPRsForWavesPerEU: 55
; Occupancy: 16
; WaveLimiterHint : 1
; COMPUTE_PGM_RSRC2:SCRATCH_EN: 0
; COMPUTE_PGM_RSRC2:USER_SGPR: 14
; COMPUTE_PGM_RSRC2:TRAP_HANDLER: 0
; COMPUTE_PGM_RSRC2:TGID_X_EN: 1
; COMPUTE_PGM_RSRC2:TGID_Y_EN: 0
; COMPUTE_PGM_RSRC2:TGID_Z_EN: 1
; COMPUTE_PGM_RSRC2:TIDIG_COMP_CNT: 1
	.section	.text._ZL22rocblas_gemvtsm_kernelILb0ELi256EDF16_PKffEviiT2_lPKT1_lilS5_lilS2_lPT3_lil,"axG",@progbits,_ZL22rocblas_gemvtsm_kernelILb0ELi256EDF16_PKffEviiT2_lPKT1_lilS5_lilS2_lPT3_lil,comdat
	.globl	_ZL22rocblas_gemvtsm_kernelILb0ELi256EDF16_PKffEviiT2_lPKT1_lilS5_lilS2_lPT3_lil ; -- Begin function _ZL22rocblas_gemvtsm_kernelILb0ELi256EDF16_PKffEviiT2_lPKT1_lilS5_lilS2_lPT3_lil
	.p2align	8
	.type	_ZL22rocblas_gemvtsm_kernelILb0ELi256EDF16_PKffEviiT2_lPKT1_lilS5_lilS2_lPT3_lil,@function
_ZL22rocblas_gemvtsm_kernelILb0ELi256EDF16_PKffEviiT2_lPKT1_lilS5_lilS2_lPT3_lil: ; @_ZL22rocblas_gemvtsm_kernelILb0ELi256EDF16_PKffEviiT2_lPKT1_lilS5_lilS2_lPT3_lil
; %bb.0:
	s_clause 0x1
	s_load_b256 s[4:11], s[0:1], 0x8
	s_load_b256 s[16:23], s[0:1], 0x50
	s_waitcnt lgkmcnt(0)
	s_mul_i32 s3, s15, s7
	s_mul_hi_u32 s7, s15, s6
	s_mul_i32 s2, s15, s6
	s_add_i32 s3, s7, s3
	s_mul_i32 s6, s15, s21
	s_lshl_b64 s[2:3], s[2:3], 2
	s_mul_hi_u32 s7, s15, s20
	s_add_u32 s2, s4, s2
	s_addc_u32 s3, s5, s3
	s_add_i32 s5, s7, s6
	s_mul_i32 s4, s15, s20
	s_delay_alu instid0(SALU_CYCLE_1) | instskip(NEXT) | instid1(SALU_CYCLE_1)
	s_lshl_b64 s[4:5], s[4:5], 2
	s_add_u32 s4, s18, s4
	s_addc_u32 s5, s19, s5
	s_load_b32 s26, s[2:3], 0x0
	s_load_b32 s14, s[4:5], 0x0
	s_waitcnt lgkmcnt(0)
	v_cmp_eq_f32_e64 s2, s26, 0
	v_cmp_eq_f32_e64 s3, s14, 1.0
	s_delay_alu instid0(VALU_DEP_1) | instskip(NEXT) | instid1(SALU_CYCLE_1)
	s_and_b32 s2, s2, s3
	s_and_b32 vcc_lo, exec_lo, s2
	s_cbranch_vccnz .LBB482_34
; %bb.1:
	s_clause 0x3
	s_load_b64 s[2:3], s[0:1], 0x80
	s_load_b32 s12, s[0:1], 0x78
	s_load_b64 s[20:21], s[0:1], 0x70
	s_load_b64 s[18:19], s[0:1], 0x0
	v_cmp_neq_f32_e64 s4, s26, 0
	s_delay_alu instid0(VALU_DEP_1)
	s_and_b32 vcc_lo, exec_lo, s4
	s_waitcnt lgkmcnt(0)
	s_mul_i32 s3, s15, s3
	s_mul_hi_u32 s4, s15, s2
	s_mul_i32 s24, s15, s2
	s_add_i32 s25, s4, s3
	s_cbranch_vccnz .LBB482_9
; %bb.2:
	s_cmp_gt_i32 s19, 0
	v_cmp_neq_f32_e64 s2, s14, 0
	s_cselect_b32 s4, -1, 0
	s_delay_alu instid0(SALU_CYCLE_1) | instskip(NEXT) | instid1(VALU_DEP_2)
	v_cndmask_b32_e64 v1, 0, 1, s4
	s_and_b32 vcc_lo, exec_lo, s2
	s_delay_alu instid0(VALU_DEP_1)
	v_cmp_ne_u32_e64 s2, 1, v1
	s_cbranch_vccnz .LBB482_10
; %bb.3:
	s_delay_alu instid0(VALU_DEP_1)
	s_and_b32 vcc_lo, exec_lo, s2
	s_cbranch_vccnz .LBB482_8
; %bb.4:
	v_mad_i64_i32 v[1:2], null, s12, v0, 0
	s_lshl_b64 s[6:7], s[20:21], 2
	s_ashr_i32 s13, s12, 31
	s_lshl_b64 s[2:3], s[24:25], 2
	s_add_u32 s5, s22, s6
	s_addc_u32 s6, s23, s7
	s_add_u32 s2, s5, s2
	s_delay_alu instid0(VALU_DEP_1) | instskip(SKIP_3) | instid1(VALU_DEP_2)
	v_lshlrev_b64 v[1:2], 2, v[1:2]
	s_addc_u32 s3, s6, s3
	v_mov_b32_e32 v3, 0
	s_mov_b32 s5, 0
	v_add_co_u32 v1, vcc_lo, s2, v1
	s_delay_alu instid0(VALU_DEP_3)
	v_add_co_ci_u32_e32 v2, vcc_lo, s3, v2, vcc_lo
	s_lshl_b64 s[2:3], s[12:13], 10
	s_branch .LBB482_6
.LBB482_5:                              ;   in Loop: Header=BB482_6 Depth=1
	s_or_b32 exec_lo, exec_lo, s6
	v_add_co_u32 v1, vcc_lo, v1, s2
	v_add_co_ci_u32_e32 v2, vcc_lo, s3, v2, vcc_lo
	s_addk_i32 s5, 0x100
	s_delay_alu instid0(SALU_CYCLE_1)
	s_cmp_ge_i32 s5, s19
	s_cbranch_scc1 .LBB482_8
.LBB482_6:                              ; =>This Inner Loop Header: Depth=1
	v_add_nc_u32_e32 v4, s5, v0
	s_mov_b32 s6, exec_lo
	s_delay_alu instid0(VALU_DEP_1)
	v_cmpx_gt_i32_e64 s19, v4
	s_cbranch_execz .LBB482_5
; %bb.7:                                ;   in Loop: Header=BB482_6 Depth=1
	global_store_b32 v[1:2], v3, off
	s_branch .LBB482_5
.LBB482_8:
	s_cbranch_execz .LBB482_11
	s_branch .LBB482_16
.LBB482_9:
	s_branch .LBB482_17
.LBB482_10:
.LBB482_11:
	s_and_not1_b32 vcc_lo, exec_lo, s4
	s_cbranch_vccnz .LBB482_16
; %bb.12:
	v_mad_i64_i32 v[1:2], null, s12, v0, 0
	s_lshl_b64 s[4:5], s[20:21], 2
	s_ashr_i32 s13, s12, 31
	s_lshl_b64 s[2:3], s[24:25], 2
	s_add_u32 s4, s22, s4
	s_addc_u32 s5, s23, s5
	s_add_u32 s2, s4, s2
	s_delay_alu instid0(VALU_DEP_1) | instskip(SKIP_2) | instid1(VALU_DEP_1)
	v_lshlrev_b64 v[1:2], 2, v[1:2]
	s_addc_u32 s3, s5, s3
	s_mov_b32 s4, 0
	v_add_co_u32 v1, vcc_lo, s2, v1
	s_delay_alu instid0(VALU_DEP_2)
	v_add_co_ci_u32_e32 v2, vcc_lo, s3, v2, vcc_lo
	s_lshl_b64 s[2:3], s[12:13], 10
	s_branch .LBB482_14
	.p2align	6
.LBB482_13:                             ;   in Loop: Header=BB482_14 Depth=1
	s_or_b32 exec_lo, exec_lo, s5
	v_add_co_u32 v1, vcc_lo, v1, s2
	v_add_co_ci_u32_e32 v2, vcc_lo, s3, v2, vcc_lo
	s_addk_i32 s4, 0x100
	s_delay_alu instid0(SALU_CYCLE_1)
	s_cmp_ge_i32 s4, s19
	s_cbranch_scc1 .LBB482_16
.LBB482_14:                             ; =>This Inner Loop Header: Depth=1
	v_add_nc_u32_e32 v3, s4, v0
	s_mov_b32 s5, exec_lo
	s_delay_alu instid0(VALU_DEP_1)
	v_cmpx_gt_i32_e64 s19, v3
	s_cbranch_execz .LBB482_13
; %bb.15:                               ;   in Loop: Header=BB482_14 Depth=1
	global_load_b32 v3, v[1:2], off
	s_waitcnt vmcnt(0)
	v_mul_f32_e32 v3, s14, v3
	global_store_b32 v[1:2], v3, off
	s_branch .LBB482_13
.LBB482_16:
	s_cbranch_execnz .LBB482_34
.LBB482_17:
	s_clause 0x1
	s_load_b128 s[4:7], s[0:1], 0x30
	s_load_b64 s[2:3], s[0:1], 0x40
	s_mov_b32 s13, exec_lo
	v_cmpx_gt_i32_e64 s18, v0
	s_cbranch_execz .LBB482_19
; %bb.18:
	s_load_b32 s27, s[0:1], 0x48
	s_mul_i32 s17, s15, s17
	s_mul_hi_u32 s28, s15, s16
	s_mul_i32 s16, s15, s16
	s_add_i32 s17, s28, s17
	s_delay_alu instid0(SALU_CYCLE_1) | instskip(SKIP_4) | instid1(SALU_CYCLE_1)
	s_lshl_b64 s[16:17], s[16:17], 1
	s_waitcnt lgkmcnt(0)
	s_add_u32 s6, s6, s16
	s_addc_u32 s7, s7, s17
	s_lshl_b64 s[2:3], s[2:3], 1
	s_add_u32 s2, s6, s2
	s_addc_u32 s3, s7, s3
	v_mad_i64_i32 v[1:2], null, s27, v0, 0
	s_delay_alu instid0(VALU_DEP_1) | instskip(NEXT) | instid1(VALU_DEP_1)
	v_lshlrev_b64 v[1:2], 1, v[1:2]
	v_add_co_u32 v1, vcc_lo, s2, v1
	s_delay_alu instid0(VALU_DEP_2) | instskip(SKIP_4) | instid1(VALU_DEP_1)
	v_add_co_ci_u32_e32 v2, vcc_lo, s3, v2, vcc_lo
	global_load_u16 v1, v[1:2], off
	v_lshlrev_b32_e32 v2, 2, v0
	s_waitcnt vmcnt(0)
	v_cvt_f32_f16_e32 v1, v1
	v_mul_f32_e32 v1, s26, v1
	ds_store_b32 v2, v1
.LBB482_19:
	s_or_b32 exec_lo, exec_lo, s13
	s_cmp_lt_i32 s19, 1
	s_waitcnt lgkmcnt(0)
	s_waitcnt_vscnt null, 0x0
	s_barrier
	buffer_gl0_inv
	s_cbranch_scc1 .LBB482_34
; %bb.20:
	s_load_b32 s0, s[0:1], 0x28
	s_lshl_b64 s[2:3], s[24:25], 2
	s_mul_i32 s17, s5, s15
	s_add_u32 s1, s22, s2
	s_mul_hi_u32 s25, s4, s15
	s_mul_i32 s24, s4, s15
	s_addc_u32 s6, s23, s3
	s_lshl_b64 s[4:5], s[20:21], 2
	v_cmp_neq_f32_e64 s2, s14, 0
	s_add_u32 s3, s1, s4
	s_addc_u32 s4, s6, s5
	s_ashr_i32 s5, s12, 31
	s_waitcnt lgkmcnt(0)
	s_ashr_i32 s1, s0, 31
	s_cmp_gt_i32 s18, 0
	v_mad_i64_i32 v[1:2], null, s0, v0, 0
	s_cselect_b32 s6, -1, 0
	s_and_b32 s7, s18, 7
	s_cmp_gt_u32 s18, 7
	s_cselect_b32 s13, -1, 0
	s_and_b32 s15, s18, 0x7ffffff8
	s_cmp_lg_u32 s7, 0
	s_delay_alu instid0(VALU_DEP_1)
	v_lshlrev_b64 v[1:2], 1, v[1:2]
	s_cselect_b32 s16, -1, 0
	s_add_i32 s25, s25, s17
	s_lshl_b64 s[10:11], s[10:11], 1
	s_lshl_b64 s[20:21], s[24:25], 1
	s_add_u32 s8, s8, s10
	s_addc_u32 s9, s9, s11
	s_add_u32 s8, s8, s20
	s_addc_u32 s9, s9, s21
	v_add_co_u32 v7, vcc_lo, s8, v1
	v_add_co_ci_u32_e32 v8, vcc_lo, s9, v2, vcc_lo
	s_mov_b32 s8, 0
	s_delay_alu instid0(VALU_DEP_2) | instskip(NEXT) | instid1(VALU_DEP_2)
	v_add_co_u32 v1, vcc_lo, v7, 14
	v_add_co_ci_u32_e32 v2, vcc_lo, 0, v8, vcc_lo
	s_lshl_b64 s[0:1], s[0:1], 9
	s_branch .LBB482_23
.LBB482_21:                             ;   in Loop: Header=BB482_23 Depth=1
	s_delay_alu instid0(VALU_DEP_2)
	v_add_co_u32 v3, vcc_lo, s3, v3
	v_add_co_ci_u32_e32 v4, vcc_lo, s4, v4, vcc_lo
	global_store_b32 v[3:4], v9, off
.LBB482_22:                             ;   in Loop: Header=BB482_23 Depth=1
	s_or_b32 exec_lo, exec_lo, s9
	v_add_co_u32 v1, vcc_lo, v1, s0
	v_add_co_ci_u32_e32 v2, vcc_lo, s1, v2, vcc_lo
	v_add_co_u32 v7, vcc_lo, v7, s0
	v_add_co_ci_u32_e32 v8, vcc_lo, s1, v8, vcc_lo
	s_addk_i32 s8, 0x100
	s_delay_alu instid0(SALU_CYCLE_1)
	s_cmp_ge_i32 s8, s19
	s_cbranch_scc1 .LBB482_34
.LBB482_23:                             ; =>This Loop Header: Depth=1
                                        ;     Child Loop BB482_29 Depth 2
                                        ;     Child Loop BB482_33 Depth 2
	v_add_nc_u32_e32 v3, s8, v0
	s_mov_b32 s9, exec_lo
	s_delay_alu instid0(VALU_DEP_1)
	v_cmpx_gt_i32_e64 s19, v3
	s_cbranch_execz .LBB482_22
; %bb.24:                               ;   in Loop: Header=BB482_23 Depth=1
	v_mad_u64_u32 v[4:5], null, v3, s12, 0
	s_and_not1_b32 vcc_lo, exec_lo, s2
	s_delay_alu instid0(VALU_DEP_1) | instskip(NEXT) | instid1(VALU_DEP_1)
	v_mad_u64_u32 v[9:10], null, v3, s5, v[5:6]
	v_mov_b32_e32 v5, v9
	s_delay_alu instid0(VALU_DEP_1)
	v_lshlrev_b64 v[3:4], 2, v[4:5]
	s_cbranch_vccnz .LBB482_26
; %bb.25:                               ;   in Loop: Header=BB482_23 Depth=1
	s_delay_alu instid0(VALU_DEP_1) | instskip(NEXT) | instid1(VALU_DEP_2)
	v_add_co_u32 v5, vcc_lo, s3, v3
	v_add_co_ci_u32_e32 v6, vcc_lo, s4, v4, vcc_lo
	global_load_b32 v5, v[5:6], off
	s_waitcnt vmcnt(0)
	v_mul_f32_e32 v9, s14, v5
	s_and_not1_b32 vcc_lo, exec_lo, s6
	s_cbranch_vccz .LBB482_27
	s_branch .LBB482_21
.LBB482_26:                             ;   in Loop: Header=BB482_23 Depth=1
	v_mov_b32_e32 v9, 0
	s_and_not1_b32 vcc_lo, exec_lo, s6
	s_cbranch_vccnz .LBB482_21
.LBB482_27:                             ;   in Loop: Header=BB482_23 Depth=1
	s_and_not1_b32 vcc_lo, exec_lo, s13
	s_cbranch_vccnz .LBB482_31
; %bb.28:                               ;   in Loop: Header=BB482_23 Depth=1
	v_dual_mov_b32 v6, v2 :: v_dual_mov_b32 v5, v1
	s_mov_b32 s10, 0
	s_mov_b32 s11, 0
	.p2align	6
.LBB482_29:                             ;   Parent Loop BB482_23 Depth=1
                                        ; =>  This Inner Loop Header: Depth=2
	global_load_b128 v[10:13], v[5:6], off offset:-14
	v_mov_b32_e32 v18, s10
	v_add_co_u32 v5, vcc_lo, v5, 16
	v_add_co_ci_u32_e32 v6, vcc_lo, 0, v6, vcc_lo
	ds_load_b128 v[14:17], v18
	ds_load_b128 v[18:21], v18 offset:16
	s_add_i32 s11, s11, 8
	s_add_i32 s10, s10, 32
	s_cmp_eq_u32 s15, s11
	s_waitcnt vmcnt(0) lgkmcnt(1)
	v_fma_mix_f32 v9, v14, v10, v9 op_sel_hi:[0,1,0]
	s_delay_alu instid0(VALU_DEP_1) | instskip(NEXT) | instid1(VALU_DEP_1)
	v_fma_mix_f32 v9, v15, v10, v9 op_sel:[0,1,0] op_sel_hi:[0,1,0]
	v_fma_mix_f32 v9, v16, v11, v9 op_sel_hi:[0,1,0]
	s_delay_alu instid0(VALU_DEP_1) | instskip(SKIP_1) | instid1(VALU_DEP_1)
	v_fma_mix_f32 v9, v17, v11, v9 op_sel:[0,1,0] op_sel_hi:[0,1,0]
	s_waitcnt lgkmcnt(0)
	v_fma_mix_f32 v9, v18, v12, v9 op_sel_hi:[0,1,0]
	s_delay_alu instid0(VALU_DEP_1) | instskip(NEXT) | instid1(VALU_DEP_1)
	v_fma_mix_f32 v9, v19, v12, v9 op_sel:[0,1,0] op_sel_hi:[0,1,0]
	v_fma_mix_f32 v9, v20, v13, v9 op_sel_hi:[0,1,0]
	s_delay_alu instid0(VALU_DEP_1)
	v_fma_mix_f32 v9, v21, v13, v9 op_sel:[0,1,0] op_sel_hi:[0,1,0]
	s_cbranch_scc0 .LBB482_29
; %bb.30:                               ;   in Loop: Header=BB482_23 Depth=1
	s_mov_b32 s10, s15
	s_and_not1_b32 vcc_lo, exec_lo, s16
	s_cbranch_vccz .LBB482_32
	s_branch .LBB482_21
.LBB482_31:                             ;   in Loop: Header=BB482_23 Depth=1
	s_mov_b32 s10, 0
	s_and_not1_b32 vcc_lo, exec_lo, s16
	s_cbranch_vccnz .LBB482_21
.LBB482_32:                             ;   in Loop: Header=BB482_23 Depth=1
	s_lshl_b32 s11, s10, 1
	s_lshl_b32 s10, s10, 2
	v_add_co_u32 v5, vcc_lo, v7, s11
	v_add_co_ci_u32_e32 v6, vcc_lo, 0, v8, vcc_lo
	s_mov_b32 s11, s7
.LBB482_33:                             ;   Parent Loop BB482_23 Depth=1
                                        ; =>  This Inner Loop Header: Depth=2
	global_load_u16 v10, v[5:6], off
	v_mov_b32_e32 v11, s10
	v_add_co_u32 v5, vcc_lo, v5, 2
	v_add_co_ci_u32_e32 v6, vcc_lo, 0, v6, vcc_lo
	ds_load_b32 v11, v11
	s_add_i32 s11, s11, -1
	s_add_i32 s10, s10, 4
	s_cmp_lg_u32 s11, 0
	s_waitcnt vmcnt(0) lgkmcnt(0)
	v_fma_mix_f32 v9, v11, v10, v9 op_sel_hi:[0,1,0]
	s_cbranch_scc1 .LBB482_33
	s_branch .LBB482_21
.LBB482_34:
	s_nop 0
	s_sendmsg sendmsg(MSG_DEALLOC_VGPRS)
	s_endpgm
	.section	.rodata,"a",@progbits
	.p2align	6, 0x0
	.amdhsa_kernel _ZL22rocblas_gemvtsm_kernelILb0ELi256EDF16_PKffEviiT2_lPKT1_lilS5_lilS2_lPT3_lil
		.amdhsa_group_segment_fixed_size 256
		.amdhsa_private_segment_fixed_size 0
		.amdhsa_kernarg_size 136
		.amdhsa_user_sgpr_count 15
		.amdhsa_user_sgpr_dispatch_ptr 0
		.amdhsa_user_sgpr_queue_ptr 0
		.amdhsa_user_sgpr_kernarg_segment_ptr 1
		.amdhsa_user_sgpr_dispatch_id 0
		.amdhsa_user_sgpr_private_segment_size 0
		.amdhsa_wavefront_size32 1
		.amdhsa_uses_dynamic_stack 0
		.amdhsa_enable_private_segment 0
		.amdhsa_system_sgpr_workgroup_id_x 1
		.amdhsa_system_sgpr_workgroup_id_y 0
		.amdhsa_system_sgpr_workgroup_id_z 0
		.amdhsa_system_sgpr_workgroup_info 0
		.amdhsa_system_vgpr_workitem_id 0
		.amdhsa_next_free_vgpr 22
		.amdhsa_next_free_sgpr 29
		.amdhsa_reserve_vcc 1
		.amdhsa_float_round_mode_32 0
		.amdhsa_float_round_mode_16_64 0
		.amdhsa_float_denorm_mode_32 3
		.amdhsa_float_denorm_mode_16_64 3
		.amdhsa_dx10_clamp 1
		.amdhsa_ieee_mode 1
		.amdhsa_fp16_overflow 0
		.amdhsa_workgroup_processor_mode 1
		.amdhsa_memory_ordered 1
		.amdhsa_forward_progress 0
		.amdhsa_shared_vgpr_count 0
		.amdhsa_exception_fp_ieee_invalid_op 0
		.amdhsa_exception_fp_denorm_src 0
		.amdhsa_exception_fp_ieee_div_zero 0
		.amdhsa_exception_fp_ieee_overflow 0
		.amdhsa_exception_fp_ieee_underflow 0
		.amdhsa_exception_fp_ieee_inexact 0
		.amdhsa_exception_int_div_zero 0
	.end_amdhsa_kernel
	.section	.text._ZL22rocblas_gemvtsm_kernelILb0ELi256EDF16_PKffEviiT2_lPKT1_lilS5_lilS2_lPT3_lil,"axG",@progbits,_ZL22rocblas_gemvtsm_kernelILb0ELi256EDF16_PKffEviiT2_lPKT1_lilS5_lilS2_lPT3_lil,comdat
.Lfunc_end482:
	.size	_ZL22rocblas_gemvtsm_kernelILb0ELi256EDF16_PKffEviiT2_lPKT1_lilS5_lilS2_lPT3_lil, .Lfunc_end482-_ZL22rocblas_gemvtsm_kernelILb0ELi256EDF16_PKffEviiT2_lPKT1_lilS5_lilS2_lPT3_lil
                                        ; -- End function
	.section	.AMDGPU.csdata,"",@progbits
; Kernel info:
; codeLenInByte = 1472
; NumSgprs: 31
; NumVgprs: 22
; ScratchSize: 0
; MemoryBound: 0
; FloatMode: 240
; IeeeMode: 1
; LDSByteSize: 256 bytes/workgroup (compile time only)
; SGPRBlocks: 3
; VGPRBlocks: 2
; NumSGPRsForWavesPerEU: 31
; NumVGPRsForWavesPerEU: 22
; Occupancy: 16
; WaveLimiterHint : 1
; COMPUTE_PGM_RSRC2:SCRATCH_EN: 0
; COMPUTE_PGM_RSRC2:USER_SGPR: 15
; COMPUTE_PGM_RSRC2:TRAP_HANDLER: 0
; COMPUTE_PGM_RSRC2:TGID_X_EN: 1
; COMPUTE_PGM_RSRC2:TGID_Y_EN: 0
; COMPUTE_PGM_RSRC2:TGID_Z_EN: 0
; COMPUTE_PGM_RSRC2:TIDIG_COMP_CNT: 0
	.section	.text._ZL22rocblas_gemvtsm_kernelILb0ELi256EDF16_ffEviiT2_lPKT1_lilS3_lilS0_lPT3_lil,"axG",@progbits,_ZL22rocblas_gemvtsm_kernelILb0ELi256EDF16_ffEviiT2_lPKT1_lilS3_lilS0_lPT3_lil,comdat
	.globl	_ZL22rocblas_gemvtsm_kernelILb0ELi256EDF16_ffEviiT2_lPKT1_lilS3_lilS0_lPT3_lil ; -- Begin function _ZL22rocblas_gemvtsm_kernelILb0ELi256EDF16_ffEviiT2_lPKT1_lilS3_lilS0_lPT3_lil
	.p2align	8
	.type	_ZL22rocblas_gemvtsm_kernelILb0ELi256EDF16_ffEviiT2_lPKT1_lilS3_lilS0_lPT3_lil,@function
_ZL22rocblas_gemvtsm_kernelILb0ELi256EDF16_ffEviiT2_lPKT1_lilS3_lilS0_lPT3_lil: ; @_ZL22rocblas_gemvtsm_kernelILb0ELi256EDF16_ffEviiT2_lPKT1_lilS3_lilS0_lPT3_lil
; %bb.0:
	s_load_b128 s[4:7], s[0:1], 0x0
	s_waitcnt lgkmcnt(0)
	s_load_b32 s7, s[0:1], 0x58
	v_cmp_eq_f32_e64 s2, s6, 0
	s_waitcnt lgkmcnt(0)
	v_cmp_eq_f32_e64 s3, s7, 1.0
	s_delay_alu instid0(VALU_DEP_1) | instskip(NEXT) | instid1(SALU_CYCLE_1)
	s_and_b32 s2, s2, s3
	s_and_b32 vcc_lo, exec_lo, s2
	s_cbranch_vccnz .LBB483_34
; %bb.1:
	s_clause 0x2
	s_load_b64 s[2:3], s[0:1], 0x80
	s_load_b128 s[8:11], s[0:1], 0x68
	s_load_b32 s12, s[0:1], 0x78
	v_cmp_neq_f32_e64 s13, s6, 0
	s_delay_alu instid0(VALU_DEP_1)
	s_and_b32 vcc_lo, exec_lo, s13
	s_waitcnt lgkmcnt(0)
	s_mul_i32 s3, s15, s3
	s_mul_hi_u32 s13, s15, s2
	s_mul_i32 s20, s15, s2
	s_add_i32 s21, s13, s3
	s_cbranch_vccnz .LBB483_9
; %bb.2:
	s_cmp_gt_i32 s5, 0
	v_cmp_neq_f32_e64 s2, s7, 0
	s_cselect_b32 s14, -1, 0
	s_delay_alu instid0(SALU_CYCLE_1) | instskip(NEXT) | instid1(VALU_DEP_2)
	v_cndmask_b32_e64 v1, 0, 1, s14
	s_and_b32 vcc_lo, exec_lo, s2
	s_delay_alu instid0(VALU_DEP_1)
	v_cmp_ne_u32_e64 s2, 1, v1
	s_cbranch_vccnz .LBB483_10
; %bb.3:
	s_delay_alu instid0(VALU_DEP_1)
	s_and_b32 vcc_lo, exec_lo, s2
	s_cbranch_vccnz .LBB483_8
; %bb.4:
	v_mad_i64_i32 v[1:2], null, s12, v0, 0
	s_lshl_b64 s[16:17], s[10:11], 2
	s_ashr_i32 s13, s12, 31
	s_lshl_b64 s[2:3], s[20:21], 2
	s_add_u32 s16, s8, s16
	s_addc_u32 s17, s9, s17
	s_add_u32 s2, s16, s2
	s_delay_alu instid0(VALU_DEP_1) | instskip(SKIP_2) | instid1(VALU_DEP_2)
	v_lshlrev_b64 v[1:2], 2, v[1:2]
	s_addc_u32 s3, s17, s3
	v_mov_b32_e32 v3, 0
	v_add_co_u32 v1, vcc_lo, s2, v1
	s_delay_alu instid0(VALU_DEP_3)
	v_add_co_ci_u32_e32 v2, vcc_lo, s3, v2, vcc_lo
	s_lshl_b64 s[2:3], s[12:13], 10
	s_mov_b32 s13, 0
	s_branch .LBB483_6
.LBB483_5:                              ;   in Loop: Header=BB483_6 Depth=1
	s_or_b32 exec_lo, exec_lo, s16
	v_add_co_u32 v1, vcc_lo, v1, s2
	v_add_co_ci_u32_e32 v2, vcc_lo, s3, v2, vcc_lo
	s_addk_i32 s13, 0x100
	s_delay_alu instid0(SALU_CYCLE_1)
	s_cmp_ge_i32 s13, s5
	s_cbranch_scc1 .LBB483_8
.LBB483_6:                              ; =>This Inner Loop Header: Depth=1
	v_add_nc_u32_e32 v4, s13, v0
	s_mov_b32 s16, exec_lo
	s_delay_alu instid0(VALU_DEP_1)
	v_cmpx_gt_i32_e64 s5, v4
	s_cbranch_execz .LBB483_5
; %bb.7:                                ;   in Loop: Header=BB483_6 Depth=1
	global_store_b32 v[1:2], v3, off
	s_branch .LBB483_5
.LBB483_8:
	s_cbranch_execz .LBB483_11
	s_branch .LBB483_16
.LBB483_9:
	s_branch .LBB483_17
.LBB483_10:
.LBB483_11:
	s_and_not1_b32 vcc_lo, exec_lo, s14
	s_cbranch_vccnz .LBB483_16
; %bb.12:
	v_mad_i64_i32 v[1:2], null, s12, v0, 0
	s_lshl_b64 s[16:17], s[10:11], 2
	s_ashr_i32 s13, s12, 31
	s_lshl_b64 s[2:3], s[20:21], 2
	s_add_u32 s14, s8, s16
	s_addc_u32 s16, s9, s17
	s_add_u32 s2, s14, s2
	s_delay_alu instid0(VALU_DEP_1) | instskip(SKIP_1) | instid1(VALU_DEP_1)
	v_lshlrev_b64 v[1:2], 2, v[1:2]
	s_addc_u32 s3, s16, s3
	v_add_co_u32 v1, vcc_lo, s2, v1
	s_delay_alu instid0(VALU_DEP_2)
	v_add_co_ci_u32_e32 v2, vcc_lo, s3, v2, vcc_lo
	s_lshl_b64 s[2:3], s[12:13], 10
	s_mov_b32 s13, 0
	s_branch .LBB483_14
	.p2align	6
.LBB483_13:                             ;   in Loop: Header=BB483_14 Depth=1
	s_or_b32 exec_lo, exec_lo, s14
	v_add_co_u32 v1, vcc_lo, v1, s2
	v_add_co_ci_u32_e32 v2, vcc_lo, s3, v2, vcc_lo
	s_addk_i32 s13, 0x100
	s_delay_alu instid0(SALU_CYCLE_1)
	s_cmp_ge_i32 s13, s5
	s_cbranch_scc1 .LBB483_16
.LBB483_14:                             ; =>This Inner Loop Header: Depth=1
	v_add_nc_u32_e32 v3, s13, v0
	s_mov_b32 s14, exec_lo
	s_delay_alu instid0(VALU_DEP_1)
	v_cmpx_gt_i32_e64 s5, v3
	s_cbranch_execz .LBB483_13
; %bb.15:                               ;   in Loop: Header=BB483_14 Depth=1
	global_load_b32 v3, v[1:2], off
	s_waitcnt vmcnt(0)
	v_mul_f32_e32 v3, s7, v3
	global_store_b32 v[1:2], v3, off
	s_branch .LBB483_13
.LBB483_16:
	s_cbranch_execnz .LBB483_34
.LBB483_17:
	s_clause 0x1
	s_load_b128 s[16:19], s[0:1], 0x30
	s_load_b64 s[2:3], s[0:1], 0x40
	s_mov_b32 s13, exec_lo
	v_cmpx_gt_i32_e64 s4, v0
	s_cbranch_execz .LBB483_19
; %bb.18:
	s_clause 0x1
	s_load_b64 s[22:23], s[0:1], 0x50
	s_load_b32 s14, s[0:1], 0x48
	s_waitcnt lgkmcnt(0)
	s_mul_i32 s23, s15, s23
	v_mad_i64_i32 v[1:2], null, s14, v0, 0
	s_mul_hi_u32 s24, s15, s22
	s_mul_i32 s22, s15, s22
	s_add_i32 s23, s24, s23
	s_delay_alu instid0(SALU_CYCLE_1) | instskip(NEXT) | instid1(SALU_CYCLE_1)
	s_lshl_b64 s[22:23], s[22:23], 1
	s_add_u32 s14, s18, s22
	s_delay_alu instid0(VALU_DEP_1) | instskip(SKIP_2) | instid1(SALU_CYCLE_1)
	v_lshlrev_b64 v[1:2], 1, v[1:2]
	s_addc_u32 s18, s19, s23
	s_lshl_b64 s[2:3], s[2:3], 1
	s_add_u32 s2, s14, s2
	s_addc_u32 s3, s18, s3
	s_delay_alu instid0(VALU_DEP_1)
	v_add_co_u32 v1, vcc_lo, s2, v1
	v_add_co_ci_u32_e32 v2, vcc_lo, s3, v2, vcc_lo
	global_load_u16 v1, v[1:2], off
	v_lshlrev_b32_e32 v2, 2, v0
	s_waitcnt vmcnt(0)
	v_cvt_f32_f16_e32 v1, v1
	s_delay_alu instid0(VALU_DEP_1)
	v_mul_f32_e32 v1, s6, v1
	ds_store_b32 v2, v1
.LBB483_19:
	s_or_b32 exec_lo, exec_lo, s13
	s_cmp_lt_i32 s5, 1
	s_waitcnt lgkmcnt(0)
	s_waitcnt_vscnt null, 0x0
	s_barrier
	buffer_gl0_inv
	s_cbranch_scc1 .LBB483_34
; %bb.20:
	s_clause 0x1
	s_load_b32 s18, s[0:1], 0x28
	s_load_b128 s[0:3], s[0:1], 0x18
	s_lshl_b64 s[20:21], s[20:21], 2
	s_mul_i32 s17, s17, s15
	s_add_u32 s13, s8, s20
	s_addc_u32 s14, s9, s21
	s_lshl_b64 s[8:9], s[10:11], 2
	s_mul_hi_u32 s22, s16, s15
	s_add_u32 s8, s13, s8
	s_addc_u32 s9, s14, s9
	s_ashr_i32 s10, s12, 31
	s_mul_i32 s16, s16, s15
	v_cmp_neq_f32_e64 s6, s7, 0
	s_waitcnt lgkmcnt(0)
	s_ashr_i32 s19, s18, 31
	s_cmp_gt_i32 s4, 0
	v_mad_i64_i32 v[1:2], null, s18, v0, 0
	s_cselect_b32 s11, -1, 0
	s_and_b32 s13, s4, 7
	s_cmp_gt_u32 s4, 7
	s_cselect_b32 s14, -1, 0
	s_and_b32 s4, s4, 0x7ffffff8
	s_cmp_lg_u32 s13, 0
	s_delay_alu instid0(VALU_DEP_1)
	v_lshlrev_b64 v[1:2], 1, v[1:2]
	s_cselect_b32 s15, -1, 0
	s_add_i32 s17, s22, s17
	s_lshl_b64 s[2:3], s[2:3], 1
	s_lshl_b64 s[16:17], s[16:17], 1
	s_add_u32 s0, s0, s2
	s_addc_u32 s1, s1, s3
	s_add_u32 s0, s0, s16
	s_addc_u32 s1, s1, s17
	v_add_co_u32 v7, vcc_lo, s0, v1
	v_add_co_ci_u32_e32 v8, vcc_lo, s1, v2, vcc_lo
	s_mov_b32 s2, 0
	s_delay_alu instid0(VALU_DEP_2) | instskip(NEXT) | instid1(VALU_DEP_2)
	v_add_co_u32 v1, vcc_lo, v7, 14
	v_add_co_ci_u32_e32 v2, vcc_lo, 0, v8, vcc_lo
	s_lshl_b64 s[0:1], s[18:19], 9
	s_branch .LBB483_23
.LBB483_21:                             ;   in Loop: Header=BB483_23 Depth=1
	s_delay_alu instid0(VALU_DEP_2)
	v_add_co_u32 v3, vcc_lo, s8, v3
	v_add_co_ci_u32_e32 v4, vcc_lo, s9, v4, vcc_lo
	global_store_b32 v[3:4], v9, off
.LBB483_22:                             ;   in Loop: Header=BB483_23 Depth=1
	s_or_b32 exec_lo, exec_lo, s3
	v_add_co_u32 v1, vcc_lo, v1, s0
	v_add_co_ci_u32_e32 v2, vcc_lo, s1, v2, vcc_lo
	v_add_co_u32 v7, vcc_lo, v7, s0
	v_add_co_ci_u32_e32 v8, vcc_lo, s1, v8, vcc_lo
	s_addk_i32 s2, 0x100
	s_delay_alu instid0(SALU_CYCLE_1)
	s_cmp_ge_i32 s2, s5
	s_cbranch_scc1 .LBB483_34
.LBB483_23:                             ; =>This Loop Header: Depth=1
                                        ;     Child Loop BB483_29 Depth 2
                                        ;     Child Loop BB483_33 Depth 2
	v_add_nc_u32_e32 v3, s2, v0
	s_mov_b32 s3, exec_lo
	s_delay_alu instid0(VALU_DEP_1)
	v_cmpx_gt_i32_e64 s5, v3
	s_cbranch_execz .LBB483_22
; %bb.24:                               ;   in Loop: Header=BB483_23 Depth=1
	v_mad_u64_u32 v[4:5], null, v3, s12, 0
	s_and_not1_b32 vcc_lo, exec_lo, s6
	s_delay_alu instid0(VALU_DEP_1) | instskip(NEXT) | instid1(VALU_DEP_1)
	v_mad_u64_u32 v[9:10], null, v3, s10, v[5:6]
	v_mov_b32_e32 v5, v9
	s_delay_alu instid0(VALU_DEP_1)
	v_lshlrev_b64 v[3:4], 2, v[4:5]
	s_cbranch_vccnz .LBB483_26
; %bb.25:                               ;   in Loop: Header=BB483_23 Depth=1
	s_delay_alu instid0(VALU_DEP_1) | instskip(NEXT) | instid1(VALU_DEP_2)
	v_add_co_u32 v5, vcc_lo, s8, v3
	v_add_co_ci_u32_e32 v6, vcc_lo, s9, v4, vcc_lo
	global_load_b32 v5, v[5:6], off
	s_waitcnt vmcnt(0)
	v_mul_f32_e32 v9, s7, v5
	s_and_not1_b32 vcc_lo, exec_lo, s11
	s_cbranch_vccz .LBB483_27
	s_branch .LBB483_21
.LBB483_26:                             ;   in Loop: Header=BB483_23 Depth=1
	v_mov_b32_e32 v9, 0
	s_and_not1_b32 vcc_lo, exec_lo, s11
	s_cbranch_vccnz .LBB483_21
.LBB483_27:                             ;   in Loop: Header=BB483_23 Depth=1
	s_and_not1_b32 vcc_lo, exec_lo, s14
	s_cbranch_vccnz .LBB483_31
; %bb.28:                               ;   in Loop: Header=BB483_23 Depth=1
	v_dual_mov_b32 v6, v2 :: v_dual_mov_b32 v5, v1
	s_mov_b32 s16, 0
	s_mov_b32 s17, 0
	.p2align	6
.LBB483_29:                             ;   Parent Loop BB483_23 Depth=1
                                        ; =>  This Inner Loop Header: Depth=2
	global_load_b128 v[10:13], v[5:6], off offset:-14
	v_mov_b32_e32 v18, s16
	v_add_co_u32 v5, vcc_lo, v5, 16
	v_add_co_ci_u32_e32 v6, vcc_lo, 0, v6, vcc_lo
	ds_load_b128 v[14:17], v18
	ds_load_b128 v[18:21], v18 offset:16
	s_add_i32 s17, s17, 8
	s_add_i32 s16, s16, 32
	s_cmp_eq_u32 s4, s17
	s_waitcnt vmcnt(0) lgkmcnt(1)
	v_fma_mix_f32 v9, v14, v10, v9 op_sel_hi:[0,1,0]
	s_delay_alu instid0(VALU_DEP_1) | instskip(NEXT) | instid1(VALU_DEP_1)
	v_fma_mix_f32 v9, v15, v10, v9 op_sel:[0,1,0] op_sel_hi:[0,1,0]
	v_fma_mix_f32 v9, v16, v11, v9 op_sel_hi:[0,1,0]
	s_delay_alu instid0(VALU_DEP_1) | instskip(SKIP_1) | instid1(VALU_DEP_1)
	v_fma_mix_f32 v9, v17, v11, v9 op_sel:[0,1,0] op_sel_hi:[0,1,0]
	s_waitcnt lgkmcnt(0)
	v_fma_mix_f32 v9, v18, v12, v9 op_sel_hi:[0,1,0]
	s_delay_alu instid0(VALU_DEP_1) | instskip(NEXT) | instid1(VALU_DEP_1)
	v_fma_mix_f32 v9, v19, v12, v9 op_sel:[0,1,0] op_sel_hi:[0,1,0]
	v_fma_mix_f32 v9, v20, v13, v9 op_sel_hi:[0,1,0]
	s_delay_alu instid0(VALU_DEP_1)
	v_fma_mix_f32 v9, v21, v13, v9 op_sel:[0,1,0] op_sel_hi:[0,1,0]
	s_cbranch_scc0 .LBB483_29
; %bb.30:                               ;   in Loop: Header=BB483_23 Depth=1
	s_mov_b32 s16, s4
	s_and_not1_b32 vcc_lo, exec_lo, s15
	s_cbranch_vccz .LBB483_32
	s_branch .LBB483_21
.LBB483_31:                             ;   in Loop: Header=BB483_23 Depth=1
	s_mov_b32 s16, 0
	s_and_not1_b32 vcc_lo, exec_lo, s15
	s_cbranch_vccnz .LBB483_21
.LBB483_32:                             ;   in Loop: Header=BB483_23 Depth=1
	s_lshl_b32 s17, s16, 1
	s_lshl_b32 s16, s16, 2
	v_add_co_u32 v5, vcc_lo, v7, s17
	v_add_co_ci_u32_e32 v6, vcc_lo, 0, v8, vcc_lo
	s_mov_b32 s17, s13
.LBB483_33:                             ;   Parent Loop BB483_23 Depth=1
                                        ; =>  This Inner Loop Header: Depth=2
	global_load_u16 v10, v[5:6], off
	v_mov_b32_e32 v11, s16
	v_add_co_u32 v5, vcc_lo, v5, 2
	v_add_co_ci_u32_e32 v6, vcc_lo, 0, v6, vcc_lo
	ds_load_b32 v11, v11
	s_add_i32 s17, s17, -1
	s_add_i32 s16, s16, 4
	s_cmp_lg_u32 s17, 0
	s_waitcnt vmcnt(0) lgkmcnt(0)
	v_fma_mix_f32 v9, v11, v10, v9 op_sel_hi:[0,1,0]
	s_cbranch_scc1 .LBB483_33
	s_branch .LBB483_21
.LBB483_34:
	s_nop 0
	s_sendmsg sendmsg(MSG_DEALLOC_VGPRS)
	s_endpgm
	.section	.rodata,"a",@progbits
	.p2align	6, 0x0
	.amdhsa_kernel _ZL22rocblas_gemvtsm_kernelILb0ELi256EDF16_ffEviiT2_lPKT1_lilS3_lilS0_lPT3_lil
		.amdhsa_group_segment_fixed_size 256
		.amdhsa_private_segment_fixed_size 0
		.amdhsa_kernarg_size 136
		.amdhsa_user_sgpr_count 15
		.amdhsa_user_sgpr_dispatch_ptr 0
		.amdhsa_user_sgpr_queue_ptr 0
		.amdhsa_user_sgpr_kernarg_segment_ptr 1
		.amdhsa_user_sgpr_dispatch_id 0
		.amdhsa_user_sgpr_private_segment_size 0
		.amdhsa_wavefront_size32 1
		.amdhsa_uses_dynamic_stack 0
		.amdhsa_enable_private_segment 0
		.amdhsa_system_sgpr_workgroup_id_x 1
		.amdhsa_system_sgpr_workgroup_id_y 0
		.amdhsa_system_sgpr_workgroup_id_z 0
		.amdhsa_system_sgpr_workgroup_info 0
		.amdhsa_system_vgpr_workitem_id 0
		.amdhsa_next_free_vgpr 22
		.amdhsa_next_free_sgpr 25
		.amdhsa_reserve_vcc 1
		.amdhsa_float_round_mode_32 0
		.amdhsa_float_round_mode_16_64 0
		.amdhsa_float_denorm_mode_32 3
		.amdhsa_float_denorm_mode_16_64 3
		.amdhsa_dx10_clamp 1
		.amdhsa_ieee_mode 1
		.amdhsa_fp16_overflow 0
		.amdhsa_workgroup_processor_mode 1
		.amdhsa_memory_ordered 1
		.amdhsa_forward_progress 0
		.amdhsa_shared_vgpr_count 0
		.amdhsa_exception_fp_ieee_invalid_op 0
		.amdhsa_exception_fp_denorm_src 0
		.amdhsa_exception_fp_ieee_div_zero 0
		.amdhsa_exception_fp_ieee_overflow 0
		.amdhsa_exception_fp_ieee_underflow 0
		.amdhsa_exception_fp_ieee_inexact 0
		.amdhsa_exception_int_div_zero 0
	.end_amdhsa_kernel
	.section	.text._ZL22rocblas_gemvtsm_kernelILb0ELi256EDF16_ffEviiT2_lPKT1_lilS3_lilS0_lPT3_lil,"axG",@progbits,_ZL22rocblas_gemvtsm_kernelILb0ELi256EDF16_ffEviiT2_lPKT1_lilS3_lilS0_lPT3_lil,comdat
.Lfunc_end483:
	.size	_ZL22rocblas_gemvtsm_kernelILb0ELi256EDF16_ffEviiT2_lPKT1_lilS3_lilS0_lPT3_lil, .Lfunc_end483-_ZL22rocblas_gemvtsm_kernelILb0ELi256EDF16_ffEviiT2_lPKT1_lilS3_lilS0_lPT3_lil
                                        ; -- End function
	.section	.AMDGPU.csdata,"",@progbits
; Kernel info:
; codeLenInByte = 1412
; NumSgprs: 27
; NumVgprs: 22
; ScratchSize: 0
; MemoryBound: 0
; FloatMode: 240
; IeeeMode: 1
; LDSByteSize: 256 bytes/workgroup (compile time only)
; SGPRBlocks: 3
; VGPRBlocks: 2
; NumSGPRsForWavesPerEU: 27
; NumVGPRsForWavesPerEU: 22
; Occupancy: 16
; WaveLimiterHint : 1
; COMPUTE_PGM_RSRC2:SCRATCH_EN: 0
; COMPUTE_PGM_RSRC2:USER_SGPR: 15
; COMPUTE_PGM_RSRC2:TRAP_HANDLER: 0
; COMPUTE_PGM_RSRC2:TGID_X_EN: 1
; COMPUTE_PGM_RSRC2:TGID_Y_EN: 0
; COMPUTE_PGM_RSRC2:TGID_Z_EN: 0
; COMPUTE_PGM_RSRC2:TIDIG_COMP_CNT: 0
	.section	.text._ZL23rocblas_gemvt_sn_reduceILi256ELi8EfPKffEviT2_lPT3_lilPT1_i,"axG",@progbits,_ZL23rocblas_gemvt_sn_reduceILi256ELi8EfPKffEviT2_lPT3_lilPT1_i,comdat
	.globl	_ZL23rocblas_gemvt_sn_reduceILi256ELi8EfPKffEviT2_lPT3_lilPT1_i ; -- Begin function _ZL23rocblas_gemvt_sn_reduceILi256ELi8EfPKffEviT2_lPT3_lilPT1_i
	.p2align	8
	.type	_ZL23rocblas_gemvt_sn_reduceILi256ELi8EfPKffEviT2_lPT3_lilPT1_i,@function
_ZL23rocblas_gemvt_sn_reduceILi256ELi8EfPKffEviT2_lPT3_lilPT1_i: ; @_ZL23rocblas_gemvt_sn_reduceILi256ELi8EfPKffEviT2_lPT3_lilPT1_i
; %bb.0:
	s_clause 0x2
	s_load_b256 s[4:11], s[0:1], 0x8
	s_load_b32 s13, s[0:1], 0x0
	s_load_b32 s16, s[0:1], 0x4c
	v_dual_mov_b32 v3, 0 :: v_dual_lshlrev_b32 v4, 3, v0
	s_mov_b32 s18, 0
	s_waitcnt lgkmcnt(0)
	s_mul_i32 s2, s15, s7
	s_mul_hi_u32 s3, s15, s6
	s_mul_i32 s7, s16, s15
	s_add_i32 s3, s3, s2
	s_mul_i32 s2, s15, s6
	s_ashr_i32 s6, s13, 31
	s_lshl_b64 s[2:3], s[2:3], 2
	s_delay_alu instid0(SALU_CYCLE_1)
	s_add_u32 s2, s4, s2
	s_addc_u32 s3, s5, s3
	s_load_b64 s[4:5], s[0:1], 0x38
	s_load_b32 s12, s[2:3], 0x0
	s_add_u32 s2, s0, 0x48
	s_addc_u32 s3, s1, 0
	s_add_i32 s17, s7, s14
	s_lshr_b32 s7, s6, 29
	s_mul_i32 s6, s17, s6
	s_add_i32 s7, s13, s7
	s_delay_alu instid0(SALU_CYCLE_1) | instskip(SKIP_1) | instid1(SALU_CYCLE_1)
	s_and_b32 s16, s7, -8
	s_mul_hi_u32 s7, s17, s13
	s_add_i32 s7, s7, s6
	s_mul_i32 s6, s17, s13
	s_mov_b32 s17, exec_lo
	v_cmpx_gt_i32_e64 s16, v4
	s_cbranch_execz .LBB484_4
; %bb.1:
	s_load_b32 s2, s[2:3], 0xc
	v_lshlrev_b32_e32 v1, 5, v0
	s_lshl_b64 s[20:21], s[6:7], 2
	v_mov_b32_e32 v3, 0
	s_waitcnt lgkmcnt(0)
	s_and_b32 s2, s2, 0xffff
	s_delay_alu instid0(SALU_CYCLE_1) | instskip(SKIP_3) | instid1(VALU_DEP_1)
	s_lshl_b32 s3, s2, 3
	s_add_u32 s19, s4, s20
	s_addc_u32 s20, s5, s21
	v_add_co_u32 v1, s19, s19, v1
	v_add_co_ci_u32_e64 v2, null, s20, 0, s19
	s_lshl_b32 s19, s2, 5
	s_delay_alu instid0(VALU_DEP_2) | instskip(NEXT) | instid1(VALU_DEP_2)
	v_add_co_u32 v1, vcc_lo, v1, 28
	v_add_co_ci_u32_e32 v2, vcc_lo, 0, v2, vcc_lo
	.p2align	6
.LBB484_2:                              ; =>This Inner Loop Header: Depth=1
	s_clause 0x1
	global_load_b128 v[5:8], v[1:2], off offset:-28
	global_load_b128 v[9:12], v[1:2], off offset:-12
	v_add_co_u32 v1, vcc_lo, v1, s19
	v_add_co_ci_u32_e32 v2, vcc_lo, 0, v2, vcc_lo
	v_add_nc_u32_e32 v4, s3, v4
	s_delay_alu instid0(VALU_DEP_1) | instskip(NEXT) | instid1(VALU_DEP_1)
	v_cmp_le_i32_e64 s2, s16, v4
	s_or_b32 s18, s2, s18
	s_waitcnt vmcnt(1)
	v_add_f32_e32 v3, v3, v5
	s_delay_alu instid0(VALU_DEP_1) | instskip(NEXT) | instid1(VALU_DEP_1)
	v_add_f32_e32 v3, v3, v6
	v_add_f32_e32 v3, v3, v7
	s_delay_alu instid0(VALU_DEP_1) | instskip(SKIP_1) | instid1(VALU_DEP_1)
	v_add_f32_e32 v3, v3, v8
	s_waitcnt vmcnt(0)
	v_add_f32_e32 v3, v3, v9
	s_delay_alu instid0(VALU_DEP_1) | instskip(NEXT) | instid1(VALU_DEP_1)
	v_add_f32_e32 v3, v3, v10
	v_add_f32_e32 v3, v3, v11
	s_delay_alu instid0(VALU_DEP_1)
	v_add_f32_e32 v3, v3, v12
	s_and_not1_b32 exec_lo, exec_lo, s18
	s_cbranch_execnz .LBB484_2
; %bb.3:
	s_or_b32 exec_lo, exec_lo, s18
.LBB484_4:
	s_delay_alu instid0(SALU_CYCLE_1) | instskip(SKIP_1) | instid1(SALU_CYCLE_1)
	s_or_b32 exec_lo, exec_lo, s17
	s_sub_i32 s2, s13, s16
	v_cmp_gt_u32_e32 vcc_lo, s2, v0
	s_and_saveexec_b32 s2, vcc_lo
	s_cbranch_execz .LBB484_6
; %bb.5:
	v_xad_u32 v1, v0, -1, s13
	v_mov_b32_e32 v2, 0
	s_lshl_b64 s[6:7], s[6:7], 2
	s_waitcnt lgkmcnt(0)
	s_add_u32 s3, s4, s6
	s_addc_u32 s4, s5, s7
	v_lshlrev_b64 v[1:2], 2, v[1:2]
	s_delay_alu instid0(VALU_DEP_1) | instskip(NEXT) | instid1(VALU_DEP_2)
	v_add_co_u32 v1, vcc_lo, s3, v1
	v_add_co_ci_u32_e32 v2, vcc_lo, s4, v2, vcc_lo
	global_load_b32 v1, v[1:2], off
	s_waitcnt vmcnt(0)
	v_add_f32_e32 v3, v3, v1
.LBB484_6:
	s_or_b32 exec_lo, exec_lo, s2
	v_and_b32_e32 v1, 31, v0
	v_cmp_gt_u32_e32 vcc_lo, 32, v0
	s_delay_alu instid0(VALU_DEP_2)
	v_lshlrev_b32_e32 v2, 2, v1
	s_and_saveexec_b32 s2, vcc_lo
	s_cbranch_execz .LBB484_8
; %bb.7:
	v_mov_b32_e32 v4, 0
	ds_store_b32 v2, v4
.LBB484_8:
	s_or_b32 exec_lo, exec_lo, s2
	v_mbcnt_lo_u32_b32 v5, -1, 0
	s_mov_b32 s3, exec_lo
	s_waitcnt lgkmcnt(0)
	s_barrier
	buffer_gl0_inv
	v_cmp_gt_u32_e64 s2, 16, v5
	s_delay_alu instid0(VALU_DEP_1) | instskip(SKIP_1) | instid1(VALU_DEP_2)
	v_cndmask_b32_e64 v4, 0, 1, s2
	v_cmp_gt_u32_e64 s2, 24, v5
	v_lshlrev_b32_e32 v4, 4, v4
	s_delay_alu instid0(VALU_DEP_2) | instskip(SKIP_1) | instid1(VALU_DEP_3)
	v_cndmask_b32_e64 v6, 0, 1, s2
	v_cmp_gt_u32_e64 s2, 28, v5
	v_add_lshl_u32 v4, v4, v5, 2
	s_delay_alu instid0(VALU_DEP_3)
	v_lshlrev_b32_e32 v6, 3, v6
	ds_bpermute_b32 v4, v4, v3
	v_add_lshl_u32 v6, v6, v5, 2
	s_waitcnt lgkmcnt(0)
	v_add_f32_e32 v4, v3, v4
	v_cndmask_b32_e64 v3, 0, 1, s2
	v_cmp_gt_u32_e64 s2, 30, v5
	s_delay_alu instid0(VALU_DEP_2)
	v_lshlrev_b32_e32 v3, 2, v3
	ds_bpermute_b32 v6, v6, v4
	v_add_lshl_u32 v3, v3, v5, 2
	s_waitcnt lgkmcnt(0)
	v_add_f32_e32 v6, v4, v6
	v_cndmask_b32_e64 v4, 0, 1, s2
	v_cmp_ne_u32_e64 s2, 31, v5
	s_delay_alu instid0(VALU_DEP_2) | instskip(NEXT) | instid1(VALU_DEP_1)
	v_lshlrev_b32_e32 v4, 1, v4
	v_add_lshl_u32 v4, v4, v5, 2
	s_delay_alu instid0(VALU_DEP_3) | instskip(NEXT) | instid1(VALU_DEP_1)
	v_add_co_ci_u32_e64 v5, s2, 0, v5, s2
	v_lshlrev_b32_e32 v5, 2, v5
	ds_bpermute_b32 v7, v3, v6
	s_waitcnt lgkmcnt(0)
	v_add_f32_e32 v6, v6, v7
	ds_bpermute_b32 v7, v4, v6
	s_waitcnt lgkmcnt(0)
	v_add_f32_e32 v6, v6, v7
	ds_bpermute_b32 v7, v5, v6
	v_cmpx_eq_u32_e32 0, v1
	s_cbranch_execz .LBB484_10
; %bb.9:
	v_lshrrev_b32_e32 v1, 3, v0
	s_waitcnt lgkmcnt(0)
	s_delay_alu instid0(VALU_DEP_1)
	v_dual_add_f32 v6, v6, v7 :: v_dual_and_b32 v1, 28, v1
	ds_store_b32 v1, v6
.LBB484_10:
	s_or_b32 exec_lo, exec_lo, s3
	v_mov_b32_e32 v1, 0
	s_mov_b32 s3, exec_lo
	s_waitcnt lgkmcnt(0)
	s_barrier
	buffer_gl0_inv
	v_cmpx_gt_u32_e32 8, v0
	s_cbranch_execz .LBB484_12
; %bb.11:
	ds_load_b32 v1, v2
.LBB484_12:
	s_or_b32 exec_lo, exec_lo, s3
	s_and_saveexec_b32 s2, vcc_lo
	s_cbranch_execz .LBB484_14
; %bb.13:
	s_waitcnt lgkmcnt(0)
	ds_bpermute_b32 v2, v3, v1
	s_waitcnt lgkmcnt(0)
	v_add_f32_e32 v1, v1, v2
	ds_bpermute_b32 v2, v4, v1
	s_waitcnt lgkmcnt(0)
	v_add_f32_e32 v1, v1, v2
	;; [unrolled: 3-line block ×3, first 2 shown]
.LBB484_14:
	s_or_b32 exec_lo, exec_lo, s2
	s_delay_alu instid0(SALU_CYCLE_1)
	s_mov_b32 s2, exec_lo
	v_cmpx_eq_u32_e32 0, v0
	s_cbranch_execz .LBB484_18
; %bb.15:
	s_clause 0x1
	s_load_b64 s[2:3], s[0:1], 0x30
	s_load_b32 s4, s[0:1], 0x28
	v_cmp_eq_f32_e64 s5, s12, 0
	s_waitcnt lgkmcnt(0)
	s_mul_i32 s1, s15, s3
	s_mul_hi_u32 s3, s15, s2
	s_mul_i32 s0, s15, s2
	s_add_i32 s1, s3, s1
	s_ashr_i32 s2, s4, 31
	s_lshl_b64 s[0:1], s[0:1], 2
	s_mul_hi_u32 s6, s4, s14
	s_add_u32 s3, s8, s0
	s_addc_u32 s7, s9, s1
	s_lshl_b64 s[0:1], s[10:11], 2
	s_mul_i32 s8, s2, s14
	s_add_u32 s2, s3, s0
	s_addc_u32 s3, s7, s1
	s_add_i32 s1, s6, s8
	s_and_b32 vcc_lo, exec_lo, s5
	s_mul_i32 s0, s4, s14
	s_cbranch_vccnz .LBB484_17
; %bb.16:
	s_lshl_b64 s[4:5], s[0:1], 2
	s_delay_alu instid0(SALU_CYCLE_1)
	s_add_u32 s4, s2, s4
	s_addc_u32 s5, s3, s5
	s_load_b32 s4, s[4:5], 0x0
	s_waitcnt lgkmcnt(0)
	v_fmac_f32_e64 v1, s12, s4
.LBB484_17:
	s_lshl_b64 s[0:1], s[0:1], 2
	v_mov_b32_e32 v0, 0
	s_add_u32 s0, s2, s0
	s_addc_u32 s1, s3, s1
	global_store_b32 v0, v1, s[0:1]
.LBB484_18:
	s_nop 0
	s_sendmsg sendmsg(MSG_DEALLOC_VGPRS)
	s_endpgm
	.section	.rodata,"a",@progbits
	.p2align	6, 0x0
	.amdhsa_kernel _ZL23rocblas_gemvt_sn_reduceILi256ELi8EfPKffEviT2_lPT3_lilPT1_i
		.amdhsa_group_segment_fixed_size 128
		.amdhsa_private_segment_fixed_size 0
		.amdhsa_kernarg_size 328
		.amdhsa_user_sgpr_count 13
		.amdhsa_user_sgpr_dispatch_ptr 0
		.amdhsa_user_sgpr_queue_ptr 0
		.amdhsa_user_sgpr_kernarg_segment_ptr 1
		.amdhsa_user_sgpr_dispatch_id 0
		.amdhsa_user_sgpr_private_segment_size 0
		.amdhsa_wavefront_size32 1
		.amdhsa_uses_dynamic_stack 0
		.amdhsa_enable_private_segment 0
		.amdhsa_system_sgpr_workgroup_id_x 1
		.amdhsa_system_sgpr_workgroup_id_y 1
		.amdhsa_system_sgpr_workgroup_id_z 1
		.amdhsa_system_sgpr_workgroup_info 0
		.amdhsa_system_vgpr_workitem_id 0
		.amdhsa_next_free_vgpr 13
		.amdhsa_next_free_sgpr 22
		.amdhsa_reserve_vcc 1
		.amdhsa_float_round_mode_32 0
		.amdhsa_float_round_mode_16_64 0
		.amdhsa_float_denorm_mode_32 3
		.amdhsa_float_denorm_mode_16_64 3
		.amdhsa_dx10_clamp 1
		.amdhsa_ieee_mode 1
		.amdhsa_fp16_overflow 0
		.amdhsa_workgroup_processor_mode 1
		.amdhsa_memory_ordered 1
		.amdhsa_forward_progress 0
		.amdhsa_shared_vgpr_count 0
		.amdhsa_exception_fp_ieee_invalid_op 0
		.amdhsa_exception_fp_denorm_src 0
		.amdhsa_exception_fp_ieee_div_zero 0
		.amdhsa_exception_fp_ieee_overflow 0
		.amdhsa_exception_fp_ieee_underflow 0
		.amdhsa_exception_fp_ieee_inexact 0
		.amdhsa_exception_int_div_zero 0
	.end_amdhsa_kernel
	.section	.text._ZL23rocblas_gemvt_sn_reduceILi256ELi8EfPKffEviT2_lPT3_lilPT1_i,"axG",@progbits,_ZL23rocblas_gemvt_sn_reduceILi256ELi8EfPKffEviT2_lPT3_lilPT1_i,comdat
.Lfunc_end484:
	.size	_ZL23rocblas_gemvt_sn_reduceILi256ELi8EfPKffEviT2_lPT3_lilPT1_i, .Lfunc_end484-_ZL23rocblas_gemvt_sn_reduceILi256ELi8EfPKffEviT2_lPT3_lilPT1_i
                                        ; -- End function
	.section	.AMDGPU.csdata,"",@progbits
; Kernel info:
; codeLenInByte = 1096
; NumSgprs: 24
; NumVgprs: 13
; ScratchSize: 0
; MemoryBound: 0
; FloatMode: 240
; IeeeMode: 1
; LDSByteSize: 128 bytes/workgroup (compile time only)
; SGPRBlocks: 2
; VGPRBlocks: 1
; NumSGPRsForWavesPerEU: 24
; NumVGPRsForWavesPerEU: 13
; Occupancy: 16
; WaveLimiterHint : 0
; COMPUTE_PGM_RSRC2:SCRATCH_EN: 0
; COMPUTE_PGM_RSRC2:USER_SGPR: 13
; COMPUTE_PGM_RSRC2:TRAP_HANDLER: 0
; COMPUTE_PGM_RSRC2:TGID_X_EN: 1
; COMPUTE_PGM_RSRC2:TGID_Y_EN: 1
; COMPUTE_PGM_RSRC2:TGID_Z_EN: 1
; COMPUTE_PGM_RSRC2:TIDIG_COMP_CNT: 0
	.section	.text._ZL23rocblas_gemvt_sn_reduceILi256ELi8EfffEviT2_lPT3_lilPT1_i,"axG",@progbits,_ZL23rocblas_gemvt_sn_reduceILi256ELi8EfffEviT2_lPT3_lilPT1_i,comdat
	.globl	_ZL23rocblas_gemvt_sn_reduceILi256ELi8EfffEviT2_lPT3_lilPT1_i ; -- Begin function _ZL23rocblas_gemvt_sn_reduceILi256ELi8EfffEviT2_lPT3_lilPT1_i
	.p2align	8
	.type	_ZL23rocblas_gemvt_sn_reduceILi256ELi8EfffEviT2_lPT3_lilPT1_i,@function
_ZL23rocblas_gemvt_sn_reduceILi256ELi8EfffEviT2_lPT3_lilPT1_i: ; @_ZL23rocblas_gemvt_sn_reduceILi256ELi8EfffEviT2_lPT3_lilPT1_i
; %bb.0:
	s_clause 0x2
	s_load_b64 s[4:5], s[0:1], 0x0
	s_load_b32 s2, s[0:1], 0x44
	s_load_b64 s[6:7], s[0:1], 0x30
	v_dual_mov_b32 v3, 0 :: v_dual_lshlrev_b32 v4, 3, v0
	s_waitcnt lgkmcnt(0)
	s_ashr_i32 s8, s4, 31
	s_mul_i32 s9, s2, s15
	s_add_u32 s2, s0, 64
	s_addc_u32 s3, s1, 0
	s_lshr_b32 s10, s8, 29
	s_add_i32 s11, s9, s14
	s_add_i32 s9, s4, s10
	s_mul_i32 s8, s11, s8
	s_and_b32 s10, s9, -8
	s_mul_hi_u32 s9, s11, s4
	s_delay_alu instid0(SALU_CYCLE_1)
	s_add_i32 s9, s9, s8
	s_mul_i32 s8, s11, s4
	s_mov_b32 s11, exec_lo
	v_cmpx_gt_i32_e64 s10, v4
	s_cbranch_execz .LBB485_4
; %bb.1:
	s_load_b32 s2, s[2:3], 0xc
	v_lshlrev_b32_e32 v1, 5, v0
	s_lshl_b64 s[12:13], s[8:9], 2
	v_mov_b32_e32 v3, 0
	s_waitcnt lgkmcnt(0)
	s_and_b32 s2, s2, 0xffff
	s_delay_alu instid0(SALU_CYCLE_1) | instskip(SKIP_3) | instid1(VALU_DEP_1)
	s_lshl_b32 s3, s2, 3
	s_add_u32 s12, s6, s12
	s_addc_u32 s13, s7, s13
	v_add_co_u32 v1, s12, s12, v1
	v_add_co_ci_u32_e64 v2, null, s13, 0, s12
	s_mov_b32 s12, 0
	s_delay_alu instid0(VALU_DEP_2) | instskip(NEXT) | instid1(VALU_DEP_2)
	v_add_co_u32 v1, vcc_lo, v1, 28
	v_add_co_ci_u32_e32 v2, vcc_lo, 0, v2, vcc_lo
	s_lshl_b32 s13, s2, 5
	.p2align	6
.LBB485_2:                              ; =>This Inner Loop Header: Depth=1
	s_clause 0x1
	global_load_b128 v[5:8], v[1:2], off offset:-28
	global_load_b128 v[9:12], v[1:2], off offset:-12
	v_add_co_u32 v1, vcc_lo, v1, s13
	v_add_co_ci_u32_e32 v2, vcc_lo, 0, v2, vcc_lo
	v_add_nc_u32_e32 v4, s3, v4
	s_delay_alu instid0(VALU_DEP_1) | instskip(NEXT) | instid1(VALU_DEP_1)
	v_cmp_le_i32_e64 s2, s10, v4
	s_or_b32 s12, s2, s12
	s_waitcnt vmcnt(1)
	v_add_f32_e32 v3, v3, v5
	s_delay_alu instid0(VALU_DEP_1) | instskip(NEXT) | instid1(VALU_DEP_1)
	v_add_f32_e32 v3, v3, v6
	v_add_f32_e32 v3, v3, v7
	s_delay_alu instid0(VALU_DEP_1) | instskip(SKIP_1) | instid1(VALU_DEP_1)
	v_add_f32_e32 v3, v3, v8
	s_waitcnt vmcnt(0)
	v_add_f32_e32 v3, v3, v9
	s_delay_alu instid0(VALU_DEP_1) | instskip(NEXT) | instid1(VALU_DEP_1)
	v_add_f32_e32 v3, v3, v10
	v_add_f32_e32 v3, v3, v11
	s_delay_alu instid0(VALU_DEP_1)
	v_add_f32_e32 v3, v3, v12
	s_and_not1_b32 exec_lo, exec_lo, s12
	s_cbranch_execnz .LBB485_2
; %bb.3:
	s_or_b32 exec_lo, exec_lo, s12
.LBB485_4:
	s_delay_alu instid0(SALU_CYCLE_1) | instskip(SKIP_1) | instid1(SALU_CYCLE_1)
	s_or_b32 exec_lo, exec_lo, s11
	s_sub_i32 s2, s4, s10
	v_cmp_gt_u32_e32 vcc_lo, s2, v0
	s_and_saveexec_b32 s2, vcc_lo
	s_cbranch_execz .LBB485_6
; %bb.5:
	v_xad_u32 v1, v0, -1, s4
	v_mov_b32_e32 v2, 0
	s_lshl_b64 s[8:9], s[8:9], 2
	s_delay_alu instid0(SALU_CYCLE_1) | instskip(SKIP_1) | instid1(VALU_DEP_1)
	s_add_u32 s3, s6, s8
	s_addc_u32 s4, s7, s9
	v_lshlrev_b64 v[1:2], 2, v[1:2]
	s_delay_alu instid0(VALU_DEP_1) | instskip(NEXT) | instid1(VALU_DEP_2)
	v_add_co_u32 v1, vcc_lo, s3, v1
	v_add_co_ci_u32_e32 v2, vcc_lo, s4, v2, vcc_lo
	global_load_b32 v1, v[1:2], off
	s_waitcnt vmcnt(0)
	v_add_f32_e32 v3, v3, v1
.LBB485_6:
	s_or_b32 exec_lo, exec_lo, s2
	v_and_b32_e32 v1, 31, v0
	v_cmp_gt_u32_e32 vcc_lo, 32, v0
	s_delay_alu instid0(VALU_DEP_2)
	v_lshlrev_b32_e32 v2, 2, v1
	s_and_saveexec_b32 s2, vcc_lo
	s_cbranch_execz .LBB485_8
; %bb.7:
	v_mov_b32_e32 v4, 0
	ds_store_b32 v2, v4
.LBB485_8:
	s_or_b32 exec_lo, exec_lo, s2
	v_mbcnt_lo_u32_b32 v5, -1, 0
	s_mov_b32 s3, exec_lo
	s_waitcnt lgkmcnt(0)
	s_barrier
	buffer_gl0_inv
	v_cmp_gt_u32_e64 s2, 16, v5
	s_delay_alu instid0(VALU_DEP_1) | instskip(SKIP_1) | instid1(VALU_DEP_2)
	v_cndmask_b32_e64 v4, 0, 1, s2
	v_cmp_gt_u32_e64 s2, 24, v5
	v_lshlrev_b32_e32 v4, 4, v4
	s_delay_alu instid0(VALU_DEP_2) | instskip(SKIP_1) | instid1(VALU_DEP_3)
	v_cndmask_b32_e64 v6, 0, 1, s2
	v_cmp_gt_u32_e64 s2, 28, v5
	v_add_lshl_u32 v4, v4, v5, 2
	s_delay_alu instid0(VALU_DEP_3)
	v_lshlrev_b32_e32 v6, 3, v6
	ds_bpermute_b32 v4, v4, v3
	v_add_lshl_u32 v6, v6, v5, 2
	s_waitcnt lgkmcnt(0)
	v_add_f32_e32 v4, v3, v4
	v_cndmask_b32_e64 v3, 0, 1, s2
	v_cmp_gt_u32_e64 s2, 30, v5
	s_delay_alu instid0(VALU_DEP_2)
	v_lshlrev_b32_e32 v3, 2, v3
	ds_bpermute_b32 v6, v6, v4
	v_add_lshl_u32 v3, v3, v5, 2
	s_waitcnt lgkmcnt(0)
	v_add_f32_e32 v6, v4, v6
	v_cndmask_b32_e64 v4, 0, 1, s2
	v_cmp_ne_u32_e64 s2, 31, v5
	s_delay_alu instid0(VALU_DEP_2) | instskip(NEXT) | instid1(VALU_DEP_1)
	v_lshlrev_b32_e32 v4, 1, v4
	v_add_lshl_u32 v4, v4, v5, 2
	s_delay_alu instid0(VALU_DEP_3) | instskip(NEXT) | instid1(VALU_DEP_1)
	v_add_co_ci_u32_e64 v5, s2, 0, v5, s2
	v_lshlrev_b32_e32 v5, 2, v5
	ds_bpermute_b32 v7, v3, v6
	s_waitcnt lgkmcnt(0)
	v_add_f32_e32 v6, v6, v7
	ds_bpermute_b32 v7, v4, v6
	s_waitcnt lgkmcnt(0)
	v_add_f32_e32 v6, v6, v7
	ds_bpermute_b32 v7, v5, v6
	v_cmpx_eq_u32_e32 0, v1
	s_cbranch_execz .LBB485_10
; %bb.9:
	v_lshrrev_b32_e32 v1, 3, v0
	s_waitcnt lgkmcnt(0)
	s_delay_alu instid0(VALU_DEP_1)
	v_dual_add_f32 v6, v6, v7 :: v_dual_and_b32 v1, 28, v1
	ds_store_b32 v1, v6
.LBB485_10:
	s_or_b32 exec_lo, exec_lo, s3
	v_mov_b32_e32 v1, 0
	s_mov_b32 s3, exec_lo
	s_waitcnt lgkmcnt(0)
	s_barrier
	buffer_gl0_inv
	v_cmpx_gt_u32_e32 8, v0
	s_cbranch_execz .LBB485_12
; %bb.11:
	ds_load_b32 v1, v2
.LBB485_12:
	s_or_b32 exec_lo, exec_lo, s3
	s_and_saveexec_b32 s2, vcc_lo
	s_cbranch_execz .LBB485_14
; %bb.13:
	s_waitcnt lgkmcnt(0)
	ds_bpermute_b32 v2, v3, v1
	s_waitcnt lgkmcnt(0)
	v_add_f32_e32 v1, v1, v2
	ds_bpermute_b32 v2, v4, v1
	s_waitcnt lgkmcnt(0)
	v_add_f32_e32 v1, v1, v2
	ds_bpermute_b32 v2, v5, v1
	s_waitcnt lgkmcnt(0)
	v_add_f32_e32 v1, v1, v2
.LBB485_14:
	s_or_b32 exec_lo, exec_lo, s2
	s_delay_alu instid0(SALU_CYCLE_1)
	s_mov_b32 s2, exec_lo
	v_cmpx_eq_u32_e32 0, v0
	s_cbranch_execz .LBB485_18
; %bb.15:
	s_clause 0x2
	s_load_b64 s[6:7], s[0:1], 0x28
	s_load_b32 s4, s[0:1], 0x20
	s_load_b128 s[0:3], s[0:1], 0x10
	v_cmp_eq_f32_e64 s8, s5, 0
	s_waitcnt lgkmcnt(0)
	s_mul_i32 s7, s15, s7
	s_mul_hi_u32 s9, s15, s6
	s_mul_i32 s6, s15, s6
	s_add_i32 s7, s9, s7
	s_ashr_i32 s9, s4, 31
	s_lshl_b64 s[6:7], s[6:7], 2
	s_mul_hi_u32 s10, s4, s14
	s_add_u32 s6, s0, s6
	s_addc_u32 s7, s1, s7
	s_lshl_b64 s[0:1], s[2:3], 2
	s_mul_i32 s9, s9, s14
	s_add_u32 s2, s6, s0
	s_addc_u32 s3, s7, s1
	s_add_i32 s1, s10, s9
	s_and_b32 vcc_lo, exec_lo, s8
	s_mul_i32 s0, s4, s14
	s_cbranch_vccnz .LBB485_17
; %bb.16:
	s_lshl_b64 s[6:7], s[0:1], 2
	s_delay_alu instid0(SALU_CYCLE_1)
	s_add_u32 s6, s2, s6
	s_addc_u32 s7, s3, s7
	s_load_b32 s4, s[6:7], 0x0
	s_waitcnt lgkmcnt(0)
	v_fmac_f32_e64 v1, s4, s5
.LBB485_17:
	s_lshl_b64 s[0:1], s[0:1], 2
	v_mov_b32_e32 v0, 0
	s_add_u32 s0, s2, s0
	s_addc_u32 s1, s3, s1
	global_store_b32 v0, v1, s[0:1]
.LBB485_18:
	s_nop 0
	s_sendmsg sendmsg(MSG_DEALLOC_VGPRS)
	s_endpgm
	.section	.rodata,"a",@progbits
	.p2align	6, 0x0
	.amdhsa_kernel _ZL23rocblas_gemvt_sn_reduceILi256ELi8EfffEviT2_lPT3_lilPT1_i
		.amdhsa_group_segment_fixed_size 128
		.amdhsa_private_segment_fixed_size 0
		.amdhsa_kernarg_size 320
		.amdhsa_user_sgpr_count 13
		.amdhsa_user_sgpr_dispatch_ptr 0
		.amdhsa_user_sgpr_queue_ptr 0
		.amdhsa_user_sgpr_kernarg_segment_ptr 1
		.amdhsa_user_sgpr_dispatch_id 0
		.amdhsa_user_sgpr_private_segment_size 0
		.amdhsa_wavefront_size32 1
		.amdhsa_uses_dynamic_stack 0
		.amdhsa_enable_private_segment 0
		.amdhsa_system_sgpr_workgroup_id_x 1
		.amdhsa_system_sgpr_workgroup_id_y 1
		.amdhsa_system_sgpr_workgroup_id_z 1
		.amdhsa_system_sgpr_workgroup_info 0
		.amdhsa_system_vgpr_workitem_id 0
		.amdhsa_next_free_vgpr 13
		.amdhsa_next_free_sgpr 16
		.amdhsa_reserve_vcc 1
		.amdhsa_float_round_mode_32 0
		.amdhsa_float_round_mode_16_64 0
		.amdhsa_float_denorm_mode_32 3
		.amdhsa_float_denorm_mode_16_64 3
		.amdhsa_dx10_clamp 1
		.amdhsa_ieee_mode 1
		.amdhsa_fp16_overflow 0
		.amdhsa_workgroup_processor_mode 1
		.amdhsa_memory_ordered 1
		.amdhsa_forward_progress 0
		.amdhsa_shared_vgpr_count 0
		.amdhsa_exception_fp_ieee_invalid_op 0
		.amdhsa_exception_fp_denorm_src 0
		.amdhsa_exception_fp_ieee_div_zero 0
		.amdhsa_exception_fp_ieee_overflow 0
		.amdhsa_exception_fp_ieee_underflow 0
		.amdhsa_exception_fp_ieee_inexact 0
		.amdhsa_exception_int_div_zero 0
	.end_amdhsa_kernel
	.section	.text._ZL23rocblas_gemvt_sn_reduceILi256ELi8EfffEviT2_lPT3_lilPT1_i,"axG",@progbits,_ZL23rocblas_gemvt_sn_reduceILi256ELi8EfffEviT2_lPT3_lilPT1_i,comdat
.Lfunc_end485:
	.size	_ZL23rocblas_gemvt_sn_reduceILi256ELi8EfffEviT2_lPT3_lilPT1_i, .Lfunc_end485-_ZL23rocblas_gemvt_sn_reduceILi256ELi8EfffEviT2_lPT3_lilPT1_i
                                        ; -- End function
	.section	.AMDGPU.csdata,"",@progbits
; Kernel info:
; codeLenInByte = 1052
; NumSgprs: 18
; NumVgprs: 13
; ScratchSize: 0
; MemoryBound: 0
; FloatMode: 240
; IeeeMode: 1
; LDSByteSize: 128 bytes/workgroup (compile time only)
; SGPRBlocks: 2
; VGPRBlocks: 1
; NumSGPRsForWavesPerEU: 18
; NumVGPRsForWavesPerEU: 13
; Occupancy: 16
; WaveLimiterHint : 0
; COMPUTE_PGM_RSRC2:SCRATCH_EN: 0
; COMPUTE_PGM_RSRC2:USER_SGPR: 13
; COMPUTE_PGM_RSRC2:TRAP_HANDLER: 0
; COMPUTE_PGM_RSRC2:TGID_X_EN: 1
; COMPUTE_PGM_RSRC2:TGID_Y_EN: 1
; COMPUTE_PGM_RSRC2:TGID_Z_EN: 1
; COMPUTE_PGM_RSRC2:TIDIG_COMP_CNT: 0
	.section	.text._ZL32rocblas_gemvt_warp_reduce_kernelILb0ELi256EiDF16_PKffEviiT3_lPKT2_lT1_lS5_lS6_lS2_lPT4_lS6_li,"axG",@progbits,_ZL32rocblas_gemvt_warp_reduce_kernelILb0ELi256EiDF16_PKffEviiT3_lPKT2_lT1_lS5_lS6_lS2_lPT4_lS6_li,comdat
	.globl	_ZL32rocblas_gemvt_warp_reduce_kernelILb0ELi256EiDF16_PKffEviiT3_lPKT2_lT1_lS5_lS6_lS2_lPT4_lS6_li ; -- Begin function _ZL32rocblas_gemvt_warp_reduce_kernelILb0ELi256EiDF16_PKffEviiT3_lPKT2_lT1_lS5_lS6_lS2_lPT4_lS6_li
	.p2align	8
	.type	_ZL32rocblas_gemvt_warp_reduce_kernelILb0ELi256EiDF16_PKffEviiT3_lPKT2_lT1_lS5_lS6_lS2_lPT4_lS6_li,@function
_ZL32rocblas_gemvt_warp_reduce_kernelILb0ELi256EiDF16_PKffEviiT3_lPKT2_lT1_lS5_lS6_lS2_lPT4_lS6_li: ; @_ZL32rocblas_gemvt_warp_reduce_kernelILb0ELi256EiDF16_PKffEviiT3_lPKT2_lT1_lS5_lS6_lS2_lPT4_lS6_li
; %bb.0:
	s_clause 0x1
	s_load_b256 s[4:11], s[0:1], 0x8
	s_load_b256 s[16:23], s[0:1], 0x50
	s_mov_b32 s13, 0
	s_waitcnt lgkmcnt(0)
	s_mul_i32 s3, s15, s7
	s_mul_hi_u32 s7, s15, s6
	s_mul_i32 s2, s15, s6
	s_add_i32 s3, s7, s3
	s_mul_i32 s6, s15, s21
	s_lshl_b64 s[2:3], s[2:3], 2
	s_mul_hi_u32 s7, s15, s20
	s_add_u32 s2, s4, s2
	s_addc_u32 s3, s5, s3
	s_add_i32 s5, s7, s6
	s_mul_i32 s4, s15, s20
	s_delay_alu instid0(SALU_CYCLE_1) | instskip(NEXT) | instid1(SALU_CYCLE_1)
	s_lshl_b64 s[4:5], s[4:5], 2
	s_add_u32 s4, s18, s4
	s_addc_u32 s5, s19, s5
	s_load_b32 s18, s[2:3], 0x0
	s_load_b32 s12, s[4:5], 0x0
	s_waitcnt lgkmcnt(0)
	v_cmp_eq_f32_e64 s2, s18, 0
	v_cmp_eq_f32_e64 s3, s12, 1.0
	s_delay_alu instid0(VALU_DEP_1) | instskip(NEXT) | instid1(SALU_CYCLE_1)
	s_and_b32 s2, s2, s3
	s_and_b32 vcc_lo, exec_lo, s2
	s_cbranch_vccnz .LBB486_29
; %bb.1:
	s_clause 0x2
	s_load_b64 s[2:3], s[0:1], 0x80
	s_load_b64 s[4:5], s[0:1], 0x70
	s_load_b32 s19, s[0:1], 0x78
	v_cmp_neq_f32_e64 s20, s18, 0
	s_waitcnt lgkmcnt(0)
	s_mul_i32 s3, s15, s3
	s_mul_hi_u32 s6, s15, s2
	s_mul_i32 s2, s15, s2
	s_add_i32 s3, s6, s3
	s_delay_alu instid0(SALU_CYCLE_1) | instskip(NEXT) | instid1(SALU_CYCLE_1)
	s_lshl_b64 s[2:3], s[2:3], 2
	s_add_u32 s6, s22, s2
	s_addc_u32 s7, s23, s3
	s_lshl_b64 s[2:3], s[4:5], 2
	s_delay_alu instid0(SALU_CYCLE_1)
	s_add_u32 s6, s6, s2
	v_cmp_eq_u32_e64 s2, 0, v0
	s_addc_u32 s7, s7, s3
	s_and_b32 vcc_lo, exec_lo, s20
	s_cbranch_vccnz .LBB486_6
; %bb.2:
	s_mov_b32 s3, 0
                                        ; implicit-def: $vgpr1
                                        ; implicit-def: $sgpr4_sgpr5
	s_and_saveexec_b32 s20, s2
	s_cbranch_execz .LBB486_7
; %bb.3:
	v_cmp_eq_f32_e64 s2, s12, 0
	v_mov_b32_e32 v1, 0
	s_mul_i32 s4, s14, s19
	s_delay_alu instid0(SALU_CYCLE_1) | instskip(NEXT) | instid1(VALU_DEP_2)
	s_ashr_i32 s5, s4, 31
	s_and_b32 vcc_lo, exec_lo, s2
	s_cbranch_vccnz .LBB486_5
; %bb.4:
	s_lshl_b64 s[22:23], s[4:5], 2
	s_delay_alu instid0(SALU_CYCLE_1)
	s_add_u32 s22, s6, s22
	s_addc_u32 s23, s7, s23
	s_load_b32 s2, s[22:23], 0x0
	s_waitcnt lgkmcnt(0)
	v_mul_f32_e64 v1, s12, s2
.LBB486_5:
	s_mov_b32 s13, exec_lo
	s_or_b32 exec_lo, exec_lo, s20
	s_delay_alu instid0(SALU_CYCLE_1)
	s_and_b32 vcc_lo, exec_lo, s3
	s_cbranch_vccnz .LBB486_8
	s_branch .LBB486_27
.LBB486_6:
                                        ; implicit-def: $vgpr1
                                        ; implicit-def: $sgpr4_sgpr5
	s_cbranch_execnz .LBB486_8
	s_branch .LBB486_27
.LBB486_7:
	s_or_b32 exec_lo, exec_lo, s20
	s_delay_alu instid0(SALU_CYCLE_1)
	s_and_b32 vcc_lo, exec_lo, s3
	s_cbranch_vccz .LBB486_27
.LBB486_8:
	s_mul_i32 s3, s15, s17
	s_mul_hi_u32 s17, s15, s16
	s_mul_i32 s2, s15, s16
	s_add_i32 s3, s17, s3
	s_clause 0x2
	s_load_b128 s[20:23], s[0:1], 0x30
	s_load_b64 s[4:5], s[0:1], 0x40
	s_load_b32 s24, s[0:1], 0x28
	s_lshl_b64 s[16:17], s[2:3], 1
	s_clause 0x1
	s_load_b32 s3, s[0:1], 0x0
	s_load_b32 s1, s[0:1], 0x48
	v_mov_b32_e32 v7, 0
	s_waitcnt lgkmcnt(0)
	s_add_u32 s2, s22, s16
	s_addc_u32 s17, s23, s17
	s_lshl_b64 s[4:5], s[4:5], 1
	s_mul_i32 s21, s15, s21
	s_mul_hi_u32 s22, s15, s20
	s_add_u32 s4, s2, s4
	v_cmp_gt_i32_e32 vcc_lo, s3, v0
	s_mul_i32 s16, s15, s20
	s_addc_u32 s5, s17, s5
	s_add_i32 s17, s22, s21
	s_delay_alu instid0(SALU_CYCLE_1)
	s_lshl_b64 s[16:17], s[16:17], 1
	v_cndmask_b32_e32 v1, 0, v0, vcc_lo
	s_add_u32 s2, s8, s16
	s_addc_u32 s15, s9, s17
	s_lshl_b64 s[8:9], s[10:11], 1
	s_mul_i32 s10, s14, s24
	s_add_u32 s2, s2, s8
	s_addc_u32 s15, s15, s9
	s_ashr_i32 s11, s10, 31
	v_lshlrev_b32_e32 v1, 1, v1
	s_lshl_b64 s[8:9], s[10:11], 1
	s_delay_alu instid0(SALU_CYCLE_1)
	s_add_u32 s0, s8, s2
	s_addc_u32 s8, s9, s15
	s_ashr_i32 s2, s3, 31
	v_add_co_u32 v1, s0, s0, v1
	s_lshr_b32 s2, s2, 24
	v_add_co_ci_u32_e64 v2, null, s8, 0, s0
	s_add_i32 s2, s3, s2
	s_mov_b32 s9, 0
	s_and_b32 s2, s2, 0xffffff00
	s_mov_b32 s8, exec_lo
	v_cmpx_gt_i32_e64 s2, v0
	s_cbranch_execz .LBB486_12
; %bb.9:
	v_mul_lo_u32 v3, v0, s1
	v_dual_mov_b32 v7, 0 :: v_dual_mov_b32 v6, v2
	v_dual_mov_b32 v5, v1 :: v_dual_mov_b32 v8, v0
	s_lshl_b32 s10, s1, 8
	.p2align	6
.LBB486_10:                             ; =>This Inner Loop Header: Depth=1
	s_delay_alu instid0(VALU_DEP_3) | instskip(NEXT) | instid1(VALU_DEP_2)
	v_ashrrev_i32_e32 v4, 31, v3
	v_add_nc_u32_e32 v8, 0x100, v8
	s_delay_alu instid0(VALU_DEP_2) | instskip(NEXT) | instid1(VALU_DEP_2)
	v_lshlrev_b64 v[9:10], 1, v[3:4]
	v_cmp_le_i32_e64 s0, s2, v8
	v_add_nc_u32_e32 v3, s10, v3
	s_delay_alu instid0(VALU_DEP_2) | instskip(NEXT) | instid1(VALU_DEP_3)
	s_or_b32 s9, s0, s9
	v_add_co_u32 v9, vcc_lo, s4, v9
	s_delay_alu instid0(VALU_DEP_4)
	v_add_co_ci_u32_e32 v10, vcc_lo, s5, v10, vcc_lo
	global_load_u16 v4, v[5:6], off
	global_load_u16 v9, v[9:10], off
	v_add_co_u32 v5, vcc_lo, 0x200, v5
	v_add_co_ci_u32_e32 v6, vcc_lo, 0, v6, vcc_lo
	s_waitcnt vmcnt(0)
	v_mul_f16_e32 v4, v4, v9
	s_delay_alu instid0(VALU_DEP_1) | instskip(NEXT) | instid1(VALU_DEP_1)
	v_cvt_f32_f16_e32 v4, v4
	v_add_f32_e32 v7, v7, v4
	s_and_not1_b32 exec_lo, exec_lo, s9
	s_cbranch_execnz .LBB486_10
; %bb.11:
	s_or_b32 exec_lo, exec_lo, s9
.LBB486_12:
	s_delay_alu instid0(SALU_CYCLE_1) | instskip(SKIP_2) | instid1(VALU_DEP_1)
	s_or_b32 exec_lo, exec_lo, s8
	v_add_nc_u32_e32 v3, s2, v0
	s_mov_b32 s0, exec_lo
	v_cmpx_gt_i32_e64 s3, v3
	s_cbranch_execz .LBB486_14
; %bb.13:
	v_mul_lo_u32 v3, v3, s1
	s_ashr_i32 s3, s2, 31
	s_delay_alu instid0(SALU_CYCLE_1) | instskip(NEXT) | instid1(SALU_CYCLE_1)
	s_lshl_b64 s[2:3], s[2:3], 1
	v_add_co_u32 v1, vcc_lo, v1, s2
	v_add_co_ci_u32_e32 v2, vcc_lo, s3, v2, vcc_lo
	s_delay_alu instid0(VALU_DEP_3) | instskip(NEXT) | instid1(VALU_DEP_1)
	v_ashrrev_i32_e32 v4, 31, v3
	v_lshlrev_b64 v[3:4], 1, v[3:4]
	s_delay_alu instid0(VALU_DEP_1) | instskip(NEXT) | instid1(VALU_DEP_2)
	v_add_co_u32 v3, vcc_lo, s4, v3
	v_add_co_ci_u32_e32 v4, vcc_lo, s5, v4, vcc_lo
	global_load_u16 v1, v[1:2], off
	global_load_u16 v2, v[3:4], off
	s_waitcnt vmcnt(0)
	v_mul_f16_e32 v1, v1, v2
	s_delay_alu instid0(VALU_DEP_1) | instskip(NEXT) | instid1(VALU_DEP_1)
	v_cvt_f32_f16_e32 v1, v1
	v_add_f32_e32 v7, v7, v1
.LBB486_14:
	s_or_b32 exec_lo, exec_lo, s0
	v_and_b32_e32 v4, 31, v0
	v_cmp_gt_u32_e32 vcc_lo, 32, v0
	s_delay_alu instid0(VALU_DEP_2)
	v_lshlrev_b32_e32 v1, 2, v4
	s_and_saveexec_b32 s0, vcc_lo
	s_cbranch_execz .LBB486_16
; %bb.15:
	v_mov_b32_e32 v2, 0
	ds_store_b32 v1, v2
.LBB486_16:
	s_or_b32 exec_lo, exec_lo, s0
	v_mbcnt_lo_u32_b32 v5, -1, 0
	s_mov_b32 s1, exec_lo
	s_waitcnt lgkmcnt(0)
	s_barrier
	buffer_gl0_inv
	v_cmp_gt_u32_e64 s0, 16, v5
	s_delay_alu instid0(VALU_DEP_1) | instskip(SKIP_1) | instid1(VALU_DEP_2)
	v_cndmask_b32_e64 v2, 0, 1, s0
	v_cmp_gt_u32_e64 s0, 24, v5
	v_lshlrev_b32_e32 v2, 4, v2
	s_delay_alu instid0(VALU_DEP_2) | instskip(SKIP_1) | instid1(VALU_DEP_3)
	v_cndmask_b32_e64 v3, 0, 1, s0
	v_cmp_gt_u32_e64 s0, 28, v5
	v_add_lshl_u32 v2, v2, v5, 2
	ds_bpermute_b32 v2, v2, v7
	s_waitcnt lgkmcnt(0)
	v_dual_add_f32 v6, v7, v2 :: v_dual_lshlrev_b32 v3, 3, v3
	s_delay_alu instid0(VALU_DEP_1) | instskip(SKIP_4) | instid1(VALU_DEP_1)
	v_add_lshl_u32 v3, v3, v5, 2
	v_cndmask_b32_e64 v2, 0, 1, s0
	v_cmp_gt_u32_e64 s0, 30, v5
	ds_bpermute_b32 v3, v3, v6
	v_lshlrev_b32_e32 v2, 2, v2
	v_add_lshl_u32 v2, v2, v5, 2
	s_waitcnt lgkmcnt(0)
	v_add_f32_e32 v6, v6, v3
	v_cndmask_b32_e64 v3, 0, 1, s0
	v_cmp_ne_u32_e64 s0, 31, v5
	s_delay_alu instid0(VALU_DEP_2) | instskip(NEXT) | instid1(VALU_DEP_1)
	v_lshlrev_b32_e32 v3, 1, v3
	v_add_lshl_u32 v3, v3, v5, 2
	s_delay_alu instid0(VALU_DEP_3) | instskip(NEXT) | instid1(VALU_DEP_1)
	v_add_co_ci_u32_e64 v5, s0, 0, v5, s0
	v_lshlrev_b32_e32 v5, 2, v5
	ds_bpermute_b32 v7, v2, v6
	s_waitcnt lgkmcnt(0)
	v_add_f32_e32 v6, v6, v7
	ds_bpermute_b32 v7, v3, v6
	s_waitcnt lgkmcnt(0)
	v_add_f32_e32 v6, v6, v7
	ds_bpermute_b32 v7, v5, v6
	v_cmpx_eq_u32_e32 0, v4
	s_cbranch_execz .LBB486_18
; %bb.17:
	v_lshrrev_b32_e32 v4, 3, v0
	s_waitcnt lgkmcnt(0)
	v_add_f32_e32 v6, v6, v7
	s_delay_alu instid0(VALU_DEP_2)
	v_and_b32_e32 v4, 28, v4
	ds_store_b32 v4, v6
.LBB486_18:
	s_or_b32 exec_lo, exec_lo, s1
	v_mov_b32_e32 v4, 0
	s_mov_b32 s1, exec_lo
	s_waitcnt lgkmcnt(0)
	s_barrier
	buffer_gl0_inv
	v_cmpx_gt_u32_e32 8, v0
	s_cbranch_execz .LBB486_20
; %bb.19:
	ds_load_b32 v4, v1
.LBB486_20:
	s_or_b32 exec_lo, exec_lo, s1
	s_and_saveexec_b32 s0, vcc_lo
	s_cbranch_execz .LBB486_22
; %bb.21:
	s_waitcnt lgkmcnt(0)
	ds_bpermute_b32 v1, v2, v4
	s_waitcnt lgkmcnt(0)
	v_add_f32_e32 v1, v4, v1
	ds_bpermute_b32 v2, v3, v1
	s_waitcnt lgkmcnt(0)
	v_add_f32_e32 v1, v1, v2
	;; [unrolled: 3-line block ×3, first 2 shown]
.LBB486_22:
	s_or_b32 exec_lo, exec_lo, s0
	s_delay_alu instid0(SALU_CYCLE_1)
	s_mov_b32 s0, exec_lo
                                        ; implicit-def: $vgpr1
                                        ; implicit-def: $sgpr4_sgpr5
	v_cmpx_eq_u32_e32 0, v0
	s_cbranch_execz .LBB486_26
; %bb.23:
	v_cmp_eq_f32_e64 s1, s12, 0
	s_waitcnt lgkmcnt(0)
	v_mul_f32_e32 v1, s18, v4
	s_mul_i32 s4, s14, s19
	s_delay_alu instid0(SALU_CYCLE_1)
	s_ashr_i32 s5, s4, 31
	s_and_b32 vcc_lo, exec_lo, s1
	s_cbranch_vccnz .LBB486_25
; %bb.24:
	s_lshl_b64 s[2:3], s[4:5], 2
	s_delay_alu instid0(SALU_CYCLE_1)
	s_add_u32 s2, s6, s2
	s_addc_u32 s3, s7, s3
	s_load_b32 s1, s[2:3], 0x0
	s_waitcnt lgkmcnt(0)
	v_fmac_f32_e64 v1, s12, s1
.LBB486_25:
	s_or_b32 s13, s13, exec_lo
.LBB486_26:
	s_or_b32 exec_lo, exec_lo, s0
.LBB486_27:
	s_and_saveexec_b32 s0, s13
	s_cbranch_execz .LBB486_29
; %bb.28:
	s_lshl_b64 s[0:1], s[4:5], 2
	v_mov_b32_e32 v0, 0
	s_add_u32 s0, s6, s0
	s_addc_u32 s1, s7, s1
	global_store_b32 v0, v1, s[0:1]
.LBB486_29:
	s_nop 0
	s_sendmsg sendmsg(MSG_DEALLOC_VGPRS)
	s_endpgm
	.section	.rodata,"a",@progbits
	.p2align	6, 0x0
	.amdhsa_kernel _ZL32rocblas_gemvt_warp_reduce_kernelILb0ELi256EiDF16_PKffEviiT3_lPKT2_lT1_lS5_lS6_lS2_lPT4_lS6_li
		.amdhsa_group_segment_fixed_size 128
		.amdhsa_private_segment_fixed_size 0
		.amdhsa_kernarg_size 140
		.amdhsa_user_sgpr_count 14
		.amdhsa_user_sgpr_dispatch_ptr 0
		.amdhsa_user_sgpr_queue_ptr 0
		.amdhsa_user_sgpr_kernarg_segment_ptr 1
		.amdhsa_user_sgpr_dispatch_id 0
		.amdhsa_user_sgpr_private_segment_size 0
		.amdhsa_wavefront_size32 1
		.amdhsa_uses_dynamic_stack 0
		.amdhsa_enable_private_segment 0
		.amdhsa_system_sgpr_workgroup_id_x 1
		.amdhsa_system_sgpr_workgroup_id_y 0
		.amdhsa_system_sgpr_workgroup_id_z 1
		.amdhsa_system_sgpr_workgroup_info 0
		.amdhsa_system_vgpr_workitem_id 0
		.amdhsa_next_free_vgpr 11
		.amdhsa_next_free_sgpr 25
		.amdhsa_reserve_vcc 1
		.amdhsa_float_round_mode_32 0
		.amdhsa_float_round_mode_16_64 0
		.amdhsa_float_denorm_mode_32 3
		.amdhsa_float_denorm_mode_16_64 3
		.amdhsa_dx10_clamp 1
		.amdhsa_ieee_mode 1
		.amdhsa_fp16_overflow 0
		.amdhsa_workgroup_processor_mode 1
		.amdhsa_memory_ordered 1
		.amdhsa_forward_progress 0
		.amdhsa_shared_vgpr_count 0
		.amdhsa_exception_fp_ieee_invalid_op 0
		.amdhsa_exception_fp_denorm_src 0
		.amdhsa_exception_fp_ieee_div_zero 0
		.amdhsa_exception_fp_ieee_overflow 0
		.amdhsa_exception_fp_ieee_underflow 0
		.amdhsa_exception_fp_ieee_inexact 0
		.amdhsa_exception_int_div_zero 0
	.end_amdhsa_kernel
	.section	.text._ZL32rocblas_gemvt_warp_reduce_kernelILb0ELi256EiDF16_PKffEviiT3_lPKT2_lT1_lS5_lS6_lS2_lPT4_lS6_li,"axG",@progbits,_ZL32rocblas_gemvt_warp_reduce_kernelILb0ELi256EiDF16_PKffEviiT3_lPKT2_lT1_lS5_lS6_lS2_lPT4_lS6_li,comdat
.Lfunc_end486:
	.size	_ZL32rocblas_gemvt_warp_reduce_kernelILb0ELi256EiDF16_PKffEviiT3_lPKT2_lT1_lS5_lS6_lS2_lPT4_lS6_li, .Lfunc_end486-_ZL32rocblas_gemvt_warp_reduce_kernelILb0ELi256EiDF16_PKffEviiT3_lPKT2_lT1_lS5_lS6_lS2_lPT4_lS6_li
                                        ; -- End function
	.section	.AMDGPU.csdata,"",@progbits
; Kernel info:
; codeLenInByte = 1472
; NumSgprs: 27
; NumVgprs: 11
; ScratchSize: 0
; MemoryBound: 0
; FloatMode: 240
; IeeeMode: 1
; LDSByteSize: 128 bytes/workgroup (compile time only)
; SGPRBlocks: 3
; VGPRBlocks: 1
; NumSGPRsForWavesPerEU: 27
; NumVGPRsForWavesPerEU: 11
; Occupancy: 16
; WaveLimiterHint : 1
; COMPUTE_PGM_RSRC2:SCRATCH_EN: 0
; COMPUTE_PGM_RSRC2:USER_SGPR: 14
; COMPUTE_PGM_RSRC2:TRAP_HANDLER: 0
; COMPUTE_PGM_RSRC2:TGID_X_EN: 1
; COMPUTE_PGM_RSRC2:TGID_Y_EN: 0
; COMPUTE_PGM_RSRC2:TGID_Z_EN: 1
; COMPUTE_PGM_RSRC2:TIDIG_COMP_CNT: 0
	.section	.text._ZL32rocblas_gemvt_warp_reduce_kernelILb0ELi256ElDF16_PKffEviiT3_lPKT2_lT1_lS5_lS6_lS2_lPT4_lS6_li,"axG",@progbits,_ZL32rocblas_gemvt_warp_reduce_kernelILb0ELi256ElDF16_PKffEviiT3_lPKT2_lT1_lS5_lS6_lS2_lPT4_lS6_li,comdat
	.globl	_ZL32rocblas_gemvt_warp_reduce_kernelILb0ELi256ElDF16_PKffEviiT3_lPKT2_lT1_lS5_lS6_lS2_lPT4_lS6_li ; -- Begin function _ZL32rocblas_gemvt_warp_reduce_kernelILb0ELi256ElDF16_PKffEviiT3_lPKT2_lT1_lS5_lS6_lS2_lPT4_lS6_li
	.p2align	8
	.type	_ZL32rocblas_gemvt_warp_reduce_kernelILb0ELi256ElDF16_PKffEviiT3_lPKT2_lT1_lS5_lS6_lS2_lPT4_lS6_li,@function
_ZL32rocblas_gemvt_warp_reduce_kernelILb0ELi256ElDF16_PKffEviiT3_lPKT2_lT1_lS5_lS6_lS2_lPT4_lS6_li: ; @_ZL32rocblas_gemvt_warp_reduce_kernelILb0ELi256ElDF16_PKffEviiT3_lPKT2_lT1_lS5_lS6_lS2_lPT4_lS6_li
; %bb.0:
	s_clause 0x1
	s_load_b512 s[36:51], s[0:1], 0x8
	s_load_b512 s[16:31], s[0:1], 0x48
	s_mov_b32 s11, 0
	s_waitcnt lgkmcnt(0)
	s_mul_i32 s3, s15, s39
	s_mul_hi_u32 s4, s15, s38
	s_mul_i32 s2, s15, s38
	s_add_i32 s3, s4, s3
	s_mul_i32 s4, s15, s23
	s_lshl_b64 s[2:3], s[2:3], 2
	s_mul_hi_u32 s5, s15, s22
	s_add_u32 s2, s36, s2
	s_addc_u32 s3, s37, s3
	s_add_i32 s5, s5, s4
	s_mul_i32 s4, s15, s22
	s_delay_alu instid0(SALU_CYCLE_1) | instskip(NEXT) | instid1(SALU_CYCLE_1)
	s_lshl_b64 s[4:5], s[4:5], 2
	s_add_u32 s4, s20, s4
	s_addc_u32 s5, s21, s5
	s_load_b32 s12, s[2:3], 0x0
	s_load_b32 s10, s[4:5], 0x0
	s_waitcnt lgkmcnt(0)
	v_cmp_eq_f32_e64 s2, s12, 0
	v_cmp_eq_f32_e64 s3, s10, 1.0
	s_delay_alu instid0(VALU_DEP_1) | instskip(NEXT) | instid1(SALU_CYCLE_1)
	s_and_b32 s2, s2, s3
	s_and_b32 vcc_lo, exec_lo, s2
	s_cbranch_vccnz .LBB487_29
; %bb.1:
	s_mul_i32 s3, s15, s31
	s_mul_hi_u32 s4, s15, s30
	s_mul_i32 s2, s15, s30
	s_add_i32 s3, s4, s3
	v_cmp_neq_f32_e64 s4, s12, 0
	s_lshl_b64 s[2:3], s[2:3], 2
	s_delay_alu instid0(SALU_CYCLE_1) | instskip(SKIP_2) | instid1(SALU_CYCLE_1)
	s_add_u32 s5, s24, s2
	s_addc_u32 s6, s25, s3
	s_lshl_b64 s[2:3], s[26:27], 2
	s_add_u32 s8, s5, s2
	v_cmp_eq_u32_e64 s2, 0, v0
	s_addc_u32 s9, s6, s3
	s_and_b32 vcc_lo, exec_lo, s4
	s_cbranch_vccnz .LBB487_6
; %bb.2:
	s_mov_b32 s3, 0
                                        ; implicit-def: $vgpr1
                                        ; implicit-def: $sgpr4_sgpr5
	s_and_saveexec_b32 s6, s2
	s_cbranch_execz .LBB487_7
; %bb.3:
	v_cmp_eq_f32_e64 s2, s10, 0
	s_mul_i32 s4, s14, s29
	s_mul_hi_u32 s5, s14, s28
	s_ashr_i32 s7, s14, 31
	v_mov_b32_e32 v1, 0
	s_add_i32 s4, s5, s4
	s_mul_i32 s7, s7, s28
	s_and_b32 vcc_lo, exec_lo, s2
	s_add_i32 s5, s4, s7
	s_mul_i32 s4, s14, s28
	s_cbranch_vccnz .LBB487_5
; %bb.4:
	s_lshl_b64 s[20:21], s[4:5], 2
	s_delay_alu instid0(SALU_CYCLE_1)
	s_add_u32 s20, s8, s20
	s_addc_u32 s21, s9, s21
	s_load_b32 s2, s[20:21], 0x0
	s_waitcnt lgkmcnt(0)
	v_mul_f32_e64 v1, s10, s2
.LBB487_5:
	s_mov_b32 s11, exec_lo
	s_or_b32 exec_lo, exec_lo, s6
	s_delay_alu instid0(SALU_CYCLE_1)
	s_and_b32 vcc_lo, exec_lo, s3
	s_cbranch_vccnz .LBB487_8
	s_branch .LBB487_27
.LBB487_6:
                                        ; implicit-def: $vgpr1
                                        ; implicit-def: $sgpr4_sgpr5
	s_cbranch_execnz .LBB487_8
	s_branch .LBB487_27
.LBB487_7:
	s_or_b32 exec_lo, exec_lo, s6
	s_delay_alu instid0(SALU_CYCLE_1)
	s_and_b32 vcc_lo, exec_lo, s3
	s_cbranch_vccz .LBB487_27
.LBB487_8:
	s_load_b32 s5, s[0:1], 0x0
	s_mul_i32 s3, s15, s47
	s_mul_hi_u32 s4, s15, s46
	s_mul_i32 s0, s15, s46
	s_add_i32 s1, s4, s3
	s_mul_i32 s2, s15, s19
	s_mul_hi_u32 s3, s15, s18
	s_lshl_b64 s[0:1], s[0:1], 1
	s_add_i32 s3, s3, s2
	s_add_u32 s2, s40, s0
	s_addc_u32 s4, s41, s1
	s_lshl_b64 s[0:1], s[42:43], 1
	s_mul_hi_u32 s6, s14, s44
	s_add_u32 s0, s2, s0
	s_addc_u32 s2, s4, s1
	s_mul_i32 s4, s14, s45
	s_ashr_i32 s1, s14, 31
	s_add_i32 s4, s6, s4
	s_mul_i32 s6, s1, s44
	v_mov_b32_e32 v7, 0
	s_waitcnt lgkmcnt(0)
	v_cmp_gt_i32_e32 vcc_lo, s5, v0
	s_add_i32 s7, s4, s6
	s_mul_i32 s6, s14, s44
	s_mov_b32 s13, exec_lo
	s_lshl_b64 s[6:7], s[6:7], 1
	v_cndmask_b32_e32 v1, 0, v0, vcc_lo
	s_add_u32 s0, s6, s0
	s_addc_u32 s2, s7, s2
	s_ashr_i32 s4, s5, 31
	s_delay_alu instid0(SALU_CYCLE_1) | instskip(SKIP_2) | instid1(SALU_CYCLE_1)
	s_lshr_b32 s4, s4, 24
	v_lshlrev_b32_e32 v1, 1, v1
	s_add_i32 s4, s5, s4
	s_and_b32 s4, s4, 0xffffff00
	s_delay_alu instid0(VALU_DEP_1) | instskip(NEXT) | instid1(VALU_DEP_1)
	v_add_co_u32 v1, s0, s0, v1
	v_add_co_ci_u32_e64 v2, null, s2, 0, s0
	s_mul_i32 s2, s15, s18
	s_mov_b32 s15, 0
	v_cmpx_gt_i32_e64 s4, v0
	s_cbranch_execz .LBB487_12
; %bb.9:
	v_mad_u64_u32 v[5:6], null, s16, v0, 0
	s_lshl_b64 s[18:19], s[50:51], 1
	s_lshl_b64 s[6:7], s[2:3], 1
	s_add_u32 s0, s48, s18
	s_addc_u32 s18, s49, s19
	s_add_u32 s0, s0, s6
	s_addc_u32 s6, s18, s7
	s_delay_alu instid0(VALU_DEP_1) | instskip(NEXT) | instid1(VALU_DEP_1)
	v_dual_mov_b32 v3, v6 :: v_dual_mov_b32 v8, v0
	v_mad_u64_u32 v[6:7], null, s17, v0, v[3:4]
	v_dual_mov_b32 v7, 0 :: v_dual_mov_b32 v4, v2
	v_mov_b32_e32 v3, v1
	s_delay_alu instid0(VALU_DEP_3) | instskip(NEXT) | instid1(VALU_DEP_1)
	v_lshlrev_b64 v[5:6], 1, v[5:6]
	v_add_co_u32 v5, vcc_lo, s0, v5
	s_delay_alu instid0(VALU_DEP_2)
	v_add_co_ci_u32_e32 v6, vcc_lo, s6, v6, vcc_lo
	s_lshl_b64 s[6:7], s[16:17], 9
	.p2align	6
.LBB487_10:                             ; =>This Inner Loop Header: Depth=1
	global_load_u16 v9, v[3:4], off
	global_load_u16 v10, v[5:6], off
	v_add_co_u32 v3, vcc_lo, 0x200, v3
	v_add_co_ci_u32_e32 v4, vcc_lo, 0, v4, vcc_lo
	v_add_co_u32 v5, vcc_lo, v5, s6
	v_add_co_ci_u32_e32 v6, vcc_lo, s7, v6, vcc_lo
	s_waitcnt vmcnt(0)
	v_mul_f16_e32 v9, v9, v10
	s_delay_alu instid0(VALU_DEP_1) | instskip(NEXT) | instid1(VALU_DEP_1)
	v_cvt_f32_f16_e32 v9, v9
	v_dual_add_f32 v7, v7, v9 :: v_dual_add_nc_u32 v8, 0x100, v8
	s_delay_alu instid0(VALU_DEP_1) | instskip(NEXT) | instid1(VALU_DEP_1)
	v_cmp_le_i32_e64 s0, s4, v8
	s_or_b32 s15, s0, s15
	s_delay_alu instid0(SALU_CYCLE_1)
	s_and_not1_b32 exec_lo, exec_lo, s15
	s_cbranch_execnz .LBB487_10
; %bb.11:
	s_or_b32 exec_lo, exec_lo, s15
.LBB487_12:
	s_delay_alu instid0(SALU_CYCLE_1) | instskip(SKIP_2) | instid1(VALU_DEP_1)
	s_or_b32 exec_lo, exec_lo, s13
	v_add_nc_u32_e32 v3, s4, v0
	s_mov_b32 s0, exec_lo
	v_cmpx_gt_i32_e64 s5, v3
	s_cbranch_execz .LBB487_14
; %bb.13:
	v_ashrrev_i32_e32 v6, 31, v3
	v_mul_lo_u32 v8, v3, s17
	v_mad_u64_u32 v[4:5], null, v3, s16, 0
	s_lshl_b64 s[2:3], s[2:3], 1
	s_delay_alu instid0(VALU_DEP_3) | instskip(SKIP_3) | instid1(SALU_CYCLE_1)
	v_mul_lo_u32 v3, v6, s16
	s_add_u32 s5, s48, s2
	s_addc_u32 s6, s49, s3
	s_lshl_b64 s[2:3], s[50:51], 1
	s_add_u32 s7, s5, s2
	s_addc_u32 s6, s6, s3
	s_ashr_i32 s5, s4, 31
	s_delay_alu instid0(VALU_DEP_1) | instskip(SKIP_1) | instid1(SALU_CYCLE_1)
	v_add3_u32 v5, v5, v8, v3
	s_lshl_b64 s[2:3], s[4:5], 1
	v_add_co_u32 v1, vcc_lo, v1, s2
	s_delay_alu instid0(VALU_DEP_2) | instskip(SKIP_1) | instid1(VALU_DEP_2)
	v_lshlrev_b64 v[3:4], 1, v[4:5]
	v_add_co_ci_u32_e32 v2, vcc_lo, s3, v2, vcc_lo
	v_add_co_u32 v3, vcc_lo, s7, v3
	s_delay_alu instid0(VALU_DEP_3) | instskip(SKIP_4) | instid1(VALU_DEP_1)
	v_add_co_ci_u32_e32 v4, vcc_lo, s6, v4, vcc_lo
	global_load_u16 v1, v[1:2], off
	global_load_u16 v2, v[3:4], off
	s_waitcnt vmcnt(0)
	v_mul_f16_e32 v1, v1, v2
	v_cvt_f32_f16_e32 v1, v1
	s_delay_alu instid0(VALU_DEP_1)
	v_add_f32_e32 v7, v7, v1
.LBB487_14:
	s_or_b32 exec_lo, exec_lo, s0
	v_and_b32_e32 v4, 31, v0
	v_cmp_gt_u32_e32 vcc_lo, 32, v0
	s_delay_alu instid0(VALU_DEP_2)
	v_lshlrev_b32_e32 v1, 2, v4
	s_and_saveexec_b32 s0, vcc_lo
	s_cbranch_execz .LBB487_16
; %bb.15:
	v_mov_b32_e32 v2, 0
	ds_store_b32 v1, v2
.LBB487_16:
	s_or_b32 exec_lo, exec_lo, s0
	v_mbcnt_lo_u32_b32 v5, -1, 0
	s_mov_b32 s2, exec_lo
	s_waitcnt lgkmcnt(0)
	s_barrier
	buffer_gl0_inv
	v_cmp_gt_u32_e64 s0, 16, v5
	s_delay_alu instid0(VALU_DEP_1) | instskip(SKIP_1) | instid1(VALU_DEP_2)
	v_cndmask_b32_e64 v2, 0, 1, s0
	v_cmp_gt_u32_e64 s0, 24, v5
	v_lshlrev_b32_e32 v2, 4, v2
	s_delay_alu instid0(VALU_DEP_2) | instskip(SKIP_1) | instid1(VALU_DEP_3)
	v_cndmask_b32_e64 v3, 0, 1, s0
	v_cmp_gt_u32_e64 s0, 28, v5
	v_add_lshl_u32 v2, v2, v5, 2
	ds_bpermute_b32 v2, v2, v7
	s_waitcnt lgkmcnt(0)
	v_dual_add_f32 v6, v7, v2 :: v_dual_lshlrev_b32 v3, 3, v3
	s_delay_alu instid0(VALU_DEP_1) | instskip(SKIP_4) | instid1(VALU_DEP_1)
	v_add_lshl_u32 v3, v3, v5, 2
	v_cndmask_b32_e64 v2, 0, 1, s0
	v_cmp_gt_u32_e64 s0, 30, v5
	ds_bpermute_b32 v3, v3, v6
	v_lshlrev_b32_e32 v2, 2, v2
	v_add_lshl_u32 v2, v2, v5, 2
	s_waitcnt lgkmcnt(0)
	v_add_f32_e32 v6, v6, v3
	v_cndmask_b32_e64 v3, 0, 1, s0
	v_cmp_ne_u32_e64 s0, 31, v5
	s_delay_alu instid0(VALU_DEP_2) | instskip(NEXT) | instid1(VALU_DEP_1)
	v_lshlrev_b32_e32 v3, 1, v3
	v_add_lshl_u32 v3, v3, v5, 2
	s_delay_alu instid0(VALU_DEP_3) | instskip(NEXT) | instid1(VALU_DEP_1)
	v_add_co_ci_u32_e64 v5, s0, 0, v5, s0
	v_lshlrev_b32_e32 v5, 2, v5
	ds_bpermute_b32 v7, v2, v6
	s_waitcnt lgkmcnt(0)
	v_add_f32_e32 v6, v6, v7
	ds_bpermute_b32 v7, v3, v6
	s_waitcnt lgkmcnt(0)
	v_add_f32_e32 v6, v6, v7
	ds_bpermute_b32 v7, v5, v6
	v_cmpx_eq_u32_e32 0, v4
	s_cbranch_execz .LBB487_18
; %bb.17:
	v_lshrrev_b32_e32 v4, 3, v0
	s_waitcnt lgkmcnt(0)
	v_add_f32_e32 v6, v6, v7
	s_delay_alu instid0(VALU_DEP_2)
	v_and_b32_e32 v4, 28, v4
	ds_store_b32 v4, v6
.LBB487_18:
	s_or_b32 exec_lo, exec_lo, s2
	v_mov_b32_e32 v4, 0
	s_mov_b32 s2, exec_lo
	s_waitcnt lgkmcnt(0)
	s_barrier
	buffer_gl0_inv
	v_cmpx_gt_u32_e32 8, v0
	s_cbranch_execz .LBB487_20
; %bb.19:
	ds_load_b32 v4, v1
.LBB487_20:
	s_or_b32 exec_lo, exec_lo, s2
	s_and_saveexec_b32 s0, vcc_lo
	s_cbranch_execz .LBB487_22
; %bb.21:
	s_waitcnt lgkmcnt(0)
	ds_bpermute_b32 v1, v2, v4
	s_waitcnt lgkmcnt(0)
	v_add_f32_e32 v1, v4, v1
	ds_bpermute_b32 v2, v3, v1
	s_waitcnt lgkmcnt(0)
	v_add_f32_e32 v1, v1, v2
	;; [unrolled: 3-line block ×3, first 2 shown]
.LBB487_22:
	s_or_b32 exec_lo, exec_lo, s0
	s_delay_alu instid0(SALU_CYCLE_1)
	s_mov_b32 s0, exec_lo
                                        ; implicit-def: $vgpr1
                                        ; implicit-def: $sgpr4_sgpr5
	v_cmpx_eq_u32_e32 0, v0
	s_cbranch_execz .LBB487_26
; %bb.23:
	v_cmp_eq_f32_e64 s4, s10, 0
	s_mul_i32 s2, s14, s29
	s_mul_hi_u32 s3, s14, s28
	s_waitcnt lgkmcnt(0)
	v_mul_f32_e32 v1, s12, v4
	s_add_i32 s2, s3, s2
	s_mul_i32 s1, s1, s28
	s_and_b32 vcc_lo, exec_lo, s4
	s_add_i32 s5, s2, s1
	s_mul_i32 s4, s14, s28
	s_cbranch_vccnz .LBB487_25
; %bb.24:
	s_lshl_b64 s[2:3], s[4:5], 2
	s_delay_alu instid0(SALU_CYCLE_1)
	s_add_u32 s2, s8, s2
	s_addc_u32 s3, s9, s3
	s_load_b32 s1, s[2:3], 0x0
	s_waitcnt lgkmcnt(0)
	v_fmac_f32_e64 v1, s10, s1
.LBB487_25:
	s_or_b32 s11, s11, exec_lo
.LBB487_26:
	s_or_b32 exec_lo, exec_lo, s0
.LBB487_27:
	s_and_saveexec_b32 s0, s11
	s_cbranch_execz .LBB487_29
; %bb.28:
	s_lshl_b64 s[0:1], s[4:5], 2
	v_mov_b32_e32 v0, 0
	s_add_u32 s0, s8, s0
	s_addc_u32 s1, s9, s1
	global_store_b32 v0, v1, s[0:1]
.LBB487_29:
	s_nop 0
	s_sendmsg sendmsg(MSG_DEALLOC_VGPRS)
	s_endpgm
	.section	.rodata,"a",@progbits
	.p2align	6, 0x0
	.amdhsa_kernel _ZL32rocblas_gemvt_warp_reduce_kernelILb0ELi256ElDF16_PKffEviiT3_lPKT2_lT1_lS5_lS6_lS2_lPT4_lS6_li
		.amdhsa_group_segment_fixed_size 128
		.amdhsa_private_segment_fixed_size 0
		.amdhsa_kernarg_size 140
		.amdhsa_user_sgpr_count 14
		.amdhsa_user_sgpr_dispatch_ptr 0
		.amdhsa_user_sgpr_queue_ptr 0
		.amdhsa_user_sgpr_kernarg_segment_ptr 1
		.amdhsa_user_sgpr_dispatch_id 0
		.amdhsa_user_sgpr_private_segment_size 0
		.amdhsa_wavefront_size32 1
		.amdhsa_uses_dynamic_stack 0
		.amdhsa_enable_private_segment 0
		.amdhsa_system_sgpr_workgroup_id_x 1
		.amdhsa_system_sgpr_workgroup_id_y 0
		.amdhsa_system_sgpr_workgroup_id_z 1
		.amdhsa_system_sgpr_workgroup_info 0
		.amdhsa_system_vgpr_workitem_id 0
		.amdhsa_next_free_vgpr 11
		.amdhsa_next_free_sgpr 52
		.amdhsa_reserve_vcc 1
		.amdhsa_float_round_mode_32 0
		.amdhsa_float_round_mode_16_64 0
		.amdhsa_float_denorm_mode_32 3
		.amdhsa_float_denorm_mode_16_64 3
		.amdhsa_dx10_clamp 1
		.amdhsa_ieee_mode 1
		.amdhsa_fp16_overflow 0
		.amdhsa_workgroup_processor_mode 1
		.amdhsa_memory_ordered 1
		.amdhsa_forward_progress 0
		.amdhsa_shared_vgpr_count 0
		.amdhsa_exception_fp_ieee_invalid_op 0
		.amdhsa_exception_fp_denorm_src 0
		.amdhsa_exception_fp_ieee_div_zero 0
		.amdhsa_exception_fp_ieee_overflow 0
		.amdhsa_exception_fp_ieee_underflow 0
		.amdhsa_exception_fp_ieee_inexact 0
		.amdhsa_exception_int_div_zero 0
	.end_amdhsa_kernel
	.section	.text._ZL32rocblas_gemvt_warp_reduce_kernelILb0ELi256ElDF16_PKffEviiT3_lPKT2_lT1_lS5_lS6_lS2_lPT4_lS6_li,"axG",@progbits,_ZL32rocblas_gemvt_warp_reduce_kernelILb0ELi256ElDF16_PKffEviiT3_lPKT2_lT1_lS5_lS6_lS2_lPT4_lS6_li,comdat
.Lfunc_end487:
	.size	_ZL32rocblas_gemvt_warp_reduce_kernelILb0ELi256ElDF16_PKffEviiT3_lPKT2_lT1_lS5_lS6_lS2_lPT4_lS6_li, .Lfunc_end487-_ZL32rocblas_gemvt_warp_reduce_kernelILb0ELi256ElDF16_PKffEviiT3_lPKT2_lT1_lS5_lS6_lS2_lPT4_lS6_li
                                        ; -- End function
	.section	.AMDGPU.csdata,"",@progbits
; Kernel info:
; codeLenInByte = 1516
; NumSgprs: 54
; NumVgprs: 11
; ScratchSize: 0
; MemoryBound: 0
; FloatMode: 240
; IeeeMode: 1
; LDSByteSize: 128 bytes/workgroup (compile time only)
; SGPRBlocks: 6
; VGPRBlocks: 1
; NumSGPRsForWavesPerEU: 54
; NumVGPRsForWavesPerEU: 11
; Occupancy: 16
; WaveLimiterHint : 0
; COMPUTE_PGM_RSRC2:SCRATCH_EN: 0
; COMPUTE_PGM_RSRC2:USER_SGPR: 14
; COMPUTE_PGM_RSRC2:TRAP_HANDLER: 0
; COMPUTE_PGM_RSRC2:TGID_X_EN: 1
; COMPUTE_PGM_RSRC2:TGID_Y_EN: 0
; COMPUTE_PGM_RSRC2:TGID_Z_EN: 1
; COMPUTE_PGM_RSRC2:TIDIG_COMP_CNT: 0
	.section	.text._ZL32rocblas_gemvt_warp_reduce_kernelILb0ELi256EiDF16_ffEviiT3_lPKT2_lT1_lS3_lS4_lS0_lPT4_lS4_li,"axG",@progbits,_ZL32rocblas_gemvt_warp_reduce_kernelILb0ELi256EiDF16_ffEviiT3_lPKT2_lT1_lS3_lS4_lS0_lPT4_lS4_li,comdat
	.globl	_ZL32rocblas_gemvt_warp_reduce_kernelILb0ELi256EiDF16_ffEviiT3_lPKT2_lT1_lS3_lS4_lS0_lPT4_lS4_li ; -- Begin function _ZL32rocblas_gemvt_warp_reduce_kernelILb0ELi256EiDF16_ffEviiT3_lPKT2_lT1_lS3_lS4_lS0_lPT4_lS4_li
	.p2align	8
	.type	_ZL32rocblas_gemvt_warp_reduce_kernelILb0ELi256EiDF16_ffEviiT3_lPKT2_lT1_lS3_lS4_lS0_lPT4_lS4_li,@function
_ZL32rocblas_gemvt_warp_reduce_kernelILb0ELi256EiDF16_ffEviiT3_lPKT2_lT1_lS3_lS4_lS0_lPT4_lS4_li: ; @_ZL32rocblas_gemvt_warp_reduce_kernelILb0ELi256EiDF16_ffEviiT3_lPKT2_lT1_lS3_lS4_lS0_lPT4_lS4_li
; %bb.0:
	s_clause 0x1
	s_load_b32 s10, s[0:1], 0x8
	s_load_b32 s8, s[0:1], 0x58
	s_mov_b32 s9, 0
	s_waitcnt lgkmcnt(0)
	v_cmp_eq_f32_e64 s2, s10, 0
	v_cmp_eq_f32_e64 s3, s8, 1.0
	s_delay_alu instid0(VALU_DEP_1) | instskip(NEXT) | instid1(SALU_CYCLE_1)
	s_and_b32 s2, s2, s3
	s_and_b32 vcc_lo, exec_lo, s2
	s_cbranch_vccnz .LBB488_29
; %bb.1:
	s_clause 0x2
	s_load_b64 s[2:3], s[0:1], 0x80
	s_load_b128 s[4:7], s[0:1], 0x68
	s_load_b32 s11, s[0:1], 0x78
	s_waitcnt lgkmcnt(0)
	s_mul_i32 s3, s15, s3
	s_mul_hi_u32 s12, s15, s2
	s_mul_i32 s2, s15, s2
	s_add_i32 s3, s12, s3
	v_cmp_neq_f32_e64 s12, s10, 0
	s_lshl_b64 s[2:3], s[2:3], 2
	s_delay_alu instid0(SALU_CYCLE_1) | instskip(SKIP_2) | instid1(SALU_CYCLE_1)
	s_add_u32 s4, s4, s2
	s_addc_u32 s5, s5, s3
	s_lshl_b64 s[2:3], s[6:7], 2
	s_add_u32 s6, s4, s2
	v_cmp_eq_u32_e64 s2, 0, v0
	s_addc_u32 s7, s5, s3
	s_and_b32 vcc_lo, exec_lo, s12
	s_cbranch_vccnz .LBB488_6
; %bb.2:
	s_mov_b32 s3, 0
                                        ; implicit-def: $vgpr1
                                        ; implicit-def: $sgpr4_sgpr5
	s_and_saveexec_b32 s12, s2
	s_cbranch_execz .LBB488_7
; %bb.3:
	v_cmp_eq_f32_e64 s2, s8, 0
	v_mov_b32_e32 v1, 0
	s_mul_i32 s4, s14, s11
	s_delay_alu instid0(SALU_CYCLE_1) | instskip(NEXT) | instid1(VALU_DEP_2)
	s_ashr_i32 s5, s4, 31
	s_and_b32 vcc_lo, exec_lo, s2
	s_cbranch_vccnz .LBB488_5
; %bb.4:
	s_lshl_b64 s[16:17], s[4:5], 2
	s_delay_alu instid0(SALU_CYCLE_1)
	s_add_u32 s16, s6, s16
	s_addc_u32 s17, s7, s17
	s_load_b32 s2, s[16:17], 0x0
	s_waitcnt lgkmcnt(0)
	v_mul_f32_e64 v1, s2, s8
.LBB488_5:
	s_mov_b32 s9, exec_lo
	s_or_b32 exec_lo, exec_lo, s12
	s_delay_alu instid0(SALU_CYCLE_1)
	s_and_b32 vcc_lo, exec_lo, s3
	s_cbranch_vccnz .LBB488_8
	s_branch .LBB488_27
.LBB488_6:
                                        ; implicit-def: $vgpr1
                                        ; implicit-def: $sgpr4_sgpr5
	s_cbranch_execnz .LBB488_8
	s_branch .LBB488_27
.LBB488_7:
	s_or_b32 exec_lo, exec_lo, s12
	s_delay_alu instid0(SALU_CYCLE_1)
	s_and_b32 vcc_lo, exec_lo, s3
	s_cbranch_vccz .LBB488_27
.LBB488_8:
	s_clause 0x6
	s_load_b64 s[4:5], s[0:1], 0x50
	s_load_b128 s[16:19], s[0:1], 0x30
	s_load_b64 s[12:13], s[0:1], 0x40
	s_load_b32 s3, s[0:1], 0x0
	s_load_b128 s[20:23], s[0:1], 0x18
	s_load_b32 s2, s[0:1], 0x28
	s_load_b32 s1, s[0:1], 0x48
	v_mov_b32_e32 v7, 0
	s_waitcnt lgkmcnt(0)
	s_mul_i32 s0, s15, s5
	s_mul_hi_u32 s5, s15, s4
	s_mul_i32 s4, s15, s4
	s_add_i32 s5, s5, s0
	s_mul_i32 s0, s15, s17
	s_lshl_b64 s[4:5], s[4:5], 1
	s_mul_hi_u32 s17, s15, s16
	s_add_u32 s18, s18, s4
	s_addc_u32 s19, s19, s5
	s_lshl_b64 s[4:5], s[12:13], 1
	v_cmp_gt_i32_e32 vcc_lo, s3, v0
	s_add_u32 s4, s18, s4
	s_mul_i32 s12, s15, s16
	s_addc_u32 s5, s19, s5
	s_add_i32 s13, s17, s0
	v_cndmask_b32_e32 v1, 0, v0, vcc_lo
	s_lshl_b64 s[12:13], s[12:13], 1
	s_mul_i32 s16, s14, s2
	s_add_u32 s0, s20, s12
	s_addc_u32 s15, s21, s13
	s_lshl_b64 s[12:13], s[22:23], 1
	v_lshlrev_b32_e32 v1, 1, v1
	s_add_u32 s0, s0, s12
	s_addc_u32 s2, s15, s13
	s_ashr_i32 s17, s16, 31
	s_delay_alu instid0(SALU_CYCLE_1) | instskip(NEXT) | instid1(SALU_CYCLE_1)
	s_lshl_b64 s[12:13], s[16:17], 1
	s_add_u32 s0, s12, s0
	s_addc_u32 s12, s13, s2
	s_ashr_i32 s2, s3, 31
	v_add_co_u32 v1, s0, s0, v1
	s_lshr_b32 s2, s2, 24
	v_add_co_ci_u32_e64 v2, null, s12, 0, s0
	s_add_i32 s2, s3, s2
	s_mov_b32 s13, 0
	s_and_b32 s2, s2, 0xffffff00
	s_mov_b32 s12, exec_lo
	v_cmpx_gt_i32_e64 s2, v0
	s_cbranch_execz .LBB488_12
; %bb.9:
	v_mul_lo_u32 v3, v0, s1
	v_dual_mov_b32 v7, 0 :: v_dual_mov_b32 v6, v2
	v_dual_mov_b32 v5, v1 :: v_dual_mov_b32 v8, v0
	s_lshl_b32 s15, s1, 8
	.p2align	6
.LBB488_10:                             ; =>This Inner Loop Header: Depth=1
	s_delay_alu instid0(VALU_DEP_3) | instskip(NEXT) | instid1(VALU_DEP_2)
	v_ashrrev_i32_e32 v4, 31, v3
	v_add_nc_u32_e32 v8, 0x100, v8
	s_delay_alu instid0(VALU_DEP_2) | instskip(NEXT) | instid1(VALU_DEP_2)
	v_lshlrev_b64 v[9:10], 1, v[3:4]
	v_cmp_le_i32_e64 s0, s2, v8
	v_add_nc_u32_e32 v3, s15, v3
	s_delay_alu instid0(VALU_DEP_2) | instskip(NEXT) | instid1(VALU_DEP_3)
	s_or_b32 s13, s0, s13
	v_add_co_u32 v9, vcc_lo, s4, v9
	s_delay_alu instid0(VALU_DEP_4)
	v_add_co_ci_u32_e32 v10, vcc_lo, s5, v10, vcc_lo
	global_load_u16 v4, v[5:6], off
	global_load_u16 v9, v[9:10], off
	v_add_co_u32 v5, vcc_lo, 0x200, v5
	v_add_co_ci_u32_e32 v6, vcc_lo, 0, v6, vcc_lo
	s_waitcnt vmcnt(0)
	v_mul_f16_e32 v4, v4, v9
	s_delay_alu instid0(VALU_DEP_1) | instskip(NEXT) | instid1(VALU_DEP_1)
	v_cvt_f32_f16_e32 v4, v4
	v_add_f32_e32 v7, v7, v4
	s_and_not1_b32 exec_lo, exec_lo, s13
	s_cbranch_execnz .LBB488_10
; %bb.11:
	s_or_b32 exec_lo, exec_lo, s13
.LBB488_12:
	s_delay_alu instid0(SALU_CYCLE_1) | instskip(SKIP_2) | instid1(VALU_DEP_1)
	s_or_b32 exec_lo, exec_lo, s12
	v_add_nc_u32_e32 v3, s2, v0
	s_mov_b32 s0, exec_lo
	v_cmpx_gt_i32_e64 s3, v3
	s_cbranch_execz .LBB488_14
; %bb.13:
	v_mul_lo_u32 v3, v3, s1
	s_ashr_i32 s3, s2, 31
	s_delay_alu instid0(SALU_CYCLE_1) | instskip(NEXT) | instid1(SALU_CYCLE_1)
	s_lshl_b64 s[2:3], s[2:3], 1
	v_add_co_u32 v1, vcc_lo, v1, s2
	v_add_co_ci_u32_e32 v2, vcc_lo, s3, v2, vcc_lo
	s_delay_alu instid0(VALU_DEP_3) | instskip(NEXT) | instid1(VALU_DEP_1)
	v_ashrrev_i32_e32 v4, 31, v3
	v_lshlrev_b64 v[3:4], 1, v[3:4]
	s_delay_alu instid0(VALU_DEP_1) | instskip(NEXT) | instid1(VALU_DEP_2)
	v_add_co_u32 v3, vcc_lo, s4, v3
	v_add_co_ci_u32_e32 v4, vcc_lo, s5, v4, vcc_lo
	global_load_u16 v1, v[1:2], off
	global_load_u16 v2, v[3:4], off
	s_waitcnt vmcnt(0)
	v_mul_f16_e32 v1, v1, v2
	s_delay_alu instid0(VALU_DEP_1) | instskip(NEXT) | instid1(VALU_DEP_1)
	v_cvt_f32_f16_e32 v1, v1
	v_add_f32_e32 v7, v7, v1
.LBB488_14:
	s_or_b32 exec_lo, exec_lo, s0
	v_and_b32_e32 v4, 31, v0
	v_cmp_gt_u32_e32 vcc_lo, 32, v0
	s_delay_alu instid0(VALU_DEP_2)
	v_lshlrev_b32_e32 v1, 2, v4
	s_and_saveexec_b32 s0, vcc_lo
	s_cbranch_execz .LBB488_16
; %bb.15:
	v_mov_b32_e32 v2, 0
	ds_store_b32 v1, v2
.LBB488_16:
	s_or_b32 exec_lo, exec_lo, s0
	v_mbcnt_lo_u32_b32 v5, -1, 0
	s_mov_b32 s1, exec_lo
	s_waitcnt lgkmcnt(0)
	s_barrier
	buffer_gl0_inv
	v_cmp_gt_u32_e64 s0, 16, v5
	s_delay_alu instid0(VALU_DEP_1) | instskip(SKIP_1) | instid1(VALU_DEP_2)
	v_cndmask_b32_e64 v2, 0, 1, s0
	v_cmp_gt_u32_e64 s0, 24, v5
	v_lshlrev_b32_e32 v2, 4, v2
	s_delay_alu instid0(VALU_DEP_2) | instskip(SKIP_1) | instid1(VALU_DEP_3)
	v_cndmask_b32_e64 v3, 0, 1, s0
	v_cmp_gt_u32_e64 s0, 28, v5
	v_add_lshl_u32 v2, v2, v5, 2
	ds_bpermute_b32 v2, v2, v7
	s_waitcnt lgkmcnt(0)
	v_dual_add_f32 v6, v7, v2 :: v_dual_lshlrev_b32 v3, 3, v3
	s_delay_alu instid0(VALU_DEP_1) | instskip(SKIP_4) | instid1(VALU_DEP_1)
	v_add_lshl_u32 v3, v3, v5, 2
	v_cndmask_b32_e64 v2, 0, 1, s0
	v_cmp_gt_u32_e64 s0, 30, v5
	ds_bpermute_b32 v3, v3, v6
	v_lshlrev_b32_e32 v2, 2, v2
	v_add_lshl_u32 v2, v2, v5, 2
	s_waitcnt lgkmcnt(0)
	v_add_f32_e32 v6, v6, v3
	v_cndmask_b32_e64 v3, 0, 1, s0
	v_cmp_ne_u32_e64 s0, 31, v5
	s_delay_alu instid0(VALU_DEP_2) | instskip(NEXT) | instid1(VALU_DEP_1)
	v_lshlrev_b32_e32 v3, 1, v3
	v_add_lshl_u32 v3, v3, v5, 2
	s_delay_alu instid0(VALU_DEP_3) | instskip(NEXT) | instid1(VALU_DEP_1)
	v_add_co_ci_u32_e64 v5, s0, 0, v5, s0
	v_lshlrev_b32_e32 v5, 2, v5
	ds_bpermute_b32 v7, v2, v6
	s_waitcnt lgkmcnt(0)
	v_add_f32_e32 v6, v6, v7
	ds_bpermute_b32 v7, v3, v6
	s_waitcnt lgkmcnt(0)
	v_add_f32_e32 v6, v6, v7
	ds_bpermute_b32 v7, v5, v6
	v_cmpx_eq_u32_e32 0, v4
	s_cbranch_execz .LBB488_18
; %bb.17:
	v_lshrrev_b32_e32 v4, 3, v0
	s_waitcnt lgkmcnt(0)
	v_add_f32_e32 v6, v6, v7
	s_delay_alu instid0(VALU_DEP_2)
	v_and_b32_e32 v4, 28, v4
	ds_store_b32 v4, v6
.LBB488_18:
	s_or_b32 exec_lo, exec_lo, s1
	v_mov_b32_e32 v4, 0
	s_mov_b32 s1, exec_lo
	s_waitcnt lgkmcnt(0)
	s_barrier
	buffer_gl0_inv
	v_cmpx_gt_u32_e32 8, v0
	s_cbranch_execz .LBB488_20
; %bb.19:
	ds_load_b32 v4, v1
.LBB488_20:
	s_or_b32 exec_lo, exec_lo, s1
	s_and_saveexec_b32 s0, vcc_lo
	s_cbranch_execz .LBB488_22
; %bb.21:
	s_waitcnt lgkmcnt(0)
	ds_bpermute_b32 v1, v2, v4
	s_waitcnt lgkmcnt(0)
	v_add_f32_e32 v1, v4, v1
	ds_bpermute_b32 v2, v3, v1
	s_waitcnt lgkmcnt(0)
	v_add_f32_e32 v1, v1, v2
	;; [unrolled: 3-line block ×3, first 2 shown]
.LBB488_22:
	s_or_b32 exec_lo, exec_lo, s0
	s_delay_alu instid0(SALU_CYCLE_1)
	s_mov_b32 s0, exec_lo
                                        ; implicit-def: $vgpr1
                                        ; implicit-def: $sgpr4_sgpr5
	v_cmpx_eq_u32_e32 0, v0
	s_cbranch_execz .LBB488_26
; %bb.23:
	v_cmp_eq_f32_e64 s1, s8, 0
	s_waitcnt lgkmcnt(0)
	v_mul_f32_e32 v1, s10, v4
	s_mul_i32 s4, s14, s11
	s_delay_alu instid0(SALU_CYCLE_1)
	s_ashr_i32 s5, s4, 31
	s_and_b32 vcc_lo, exec_lo, s1
	s_cbranch_vccnz .LBB488_25
; %bb.24:
	s_lshl_b64 s[2:3], s[4:5], 2
	s_delay_alu instid0(SALU_CYCLE_1)
	s_add_u32 s2, s6, s2
	s_addc_u32 s3, s7, s3
	s_load_b32 s1, s[2:3], 0x0
	s_waitcnt lgkmcnt(0)
	v_fmac_f32_e64 v1, s1, s8
.LBB488_25:
	s_or_b32 s9, s9, exec_lo
.LBB488_26:
	s_or_b32 exec_lo, exec_lo, s0
.LBB488_27:
	s_and_saveexec_b32 s0, s9
	s_cbranch_execz .LBB488_29
; %bb.28:
	s_lshl_b64 s[0:1], s[4:5], 2
	v_mov_b32_e32 v0, 0
	s_add_u32 s0, s6, s0
	s_addc_u32 s1, s7, s1
	global_store_b32 v0, v1, s[0:1]
.LBB488_29:
	s_nop 0
	s_sendmsg sendmsg(MSG_DEALLOC_VGPRS)
	s_endpgm
	.section	.rodata,"a",@progbits
	.p2align	6, 0x0
	.amdhsa_kernel _ZL32rocblas_gemvt_warp_reduce_kernelILb0ELi256EiDF16_ffEviiT3_lPKT2_lT1_lS3_lS4_lS0_lPT4_lS4_li
		.amdhsa_group_segment_fixed_size 128
		.amdhsa_private_segment_fixed_size 0
		.amdhsa_kernarg_size 140
		.amdhsa_user_sgpr_count 14
		.amdhsa_user_sgpr_dispatch_ptr 0
		.amdhsa_user_sgpr_queue_ptr 0
		.amdhsa_user_sgpr_kernarg_segment_ptr 1
		.amdhsa_user_sgpr_dispatch_id 0
		.amdhsa_user_sgpr_private_segment_size 0
		.amdhsa_wavefront_size32 1
		.amdhsa_uses_dynamic_stack 0
		.amdhsa_enable_private_segment 0
		.amdhsa_system_sgpr_workgroup_id_x 1
		.amdhsa_system_sgpr_workgroup_id_y 0
		.amdhsa_system_sgpr_workgroup_id_z 1
		.amdhsa_system_sgpr_workgroup_info 0
		.amdhsa_system_vgpr_workitem_id 0
		.amdhsa_next_free_vgpr 11
		.amdhsa_next_free_sgpr 24
		.amdhsa_reserve_vcc 1
		.amdhsa_float_round_mode_32 0
		.amdhsa_float_round_mode_16_64 0
		.amdhsa_float_denorm_mode_32 3
		.amdhsa_float_denorm_mode_16_64 3
		.amdhsa_dx10_clamp 1
		.amdhsa_ieee_mode 1
		.amdhsa_fp16_overflow 0
		.amdhsa_workgroup_processor_mode 1
		.amdhsa_memory_ordered 1
		.amdhsa_forward_progress 0
		.amdhsa_shared_vgpr_count 0
		.amdhsa_exception_fp_ieee_invalid_op 0
		.amdhsa_exception_fp_denorm_src 0
		.amdhsa_exception_fp_ieee_div_zero 0
		.amdhsa_exception_fp_ieee_overflow 0
		.amdhsa_exception_fp_ieee_underflow 0
		.amdhsa_exception_fp_ieee_inexact 0
		.amdhsa_exception_int_div_zero 0
	.end_amdhsa_kernel
	.section	.text._ZL32rocblas_gemvt_warp_reduce_kernelILb0ELi256EiDF16_ffEviiT3_lPKT2_lT1_lS3_lS4_lS0_lPT4_lS4_li,"axG",@progbits,_ZL32rocblas_gemvt_warp_reduce_kernelILb0ELi256EiDF16_ffEviiT3_lPKT2_lT1_lS3_lS4_lS0_lPT4_lS4_li,comdat
.Lfunc_end488:
	.size	_ZL32rocblas_gemvt_warp_reduce_kernelILb0ELi256EiDF16_ffEviiT3_lPKT2_lT1_lS3_lS4_lS0_lPT4_lS4_li, .Lfunc_end488-_ZL32rocblas_gemvt_warp_reduce_kernelILb0ELi256EiDF16_ffEviiT3_lPKT2_lT1_lS3_lS4_lS0_lPT4_lS4_li
                                        ; -- End function
	.section	.AMDGPU.csdata,"",@progbits
; Kernel info:
; codeLenInByte = 1396
; NumSgprs: 26
; NumVgprs: 11
; ScratchSize: 0
; MemoryBound: 0
; FloatMode: 240
; IeeeMode: 1
; LDSByteSize: 128 bytes/workgroup (compile time only)
; SGPRBlocks: 3
; VGPRBlocks: 1
; NumSGPRsForWavesPerEU: 26
; NumVGPRsForWavesPerEU: 11
; Occupancy: 16
; WaveLimiterHint : 1
; COMPUTE_PGM_RSRC2:SCRATCH_EN: 0
; COMPUTE_PGM_RSRC2:USER_SGPR: 14
; COMPUTE_PGM_RSRC2:TRAP_HANDLER: 0
; COMPUTE_PGM_RSRC2:TGID_X_EN: 1
; COMPUTE_PGM_RSRC2:TGID_Y_EN: 0
; COMPUTE_PGM_RSRC2:TGID_Z_EN: 1
; COMPUTE_PGM_RSRC2:TIDIG_COMP_CNT: 0
	.section	.text._ZL32rocblas_gemvt_warp_reduce_kernelILb0ELi256ElDF16_ffEviiT3_lPKT2_lT1_lS3_lS4_lS0_lPT4_lS4_li,"axG",@progbits,_ZL32rocblas_gemvt_warp_reduce_kernelILb0ELi256ElDF16_ffEviiT3_lPKT2_lT1_lS3_lS4_lS0_lPT4_lS4_li,comdat
	.globl	_ZL32rocblas_gemvt_warp_reduce_kernelILb0ELi256ElDF16_ffEviiT3_lPKT2_lT1_lS3_lS4_lS0_lPT4_lS4_li ; -- Begin function _ZL32rocblas_gemvt_warp_reduce_kernelILb0ELi256ElDF16_ffEviiT3_lPKT2_lT1_lS3_lS4_lS0_lPT4_lS4_li
	.p2align	8
	.type	_ZL32rocblas_gemvt_warp_reduce_kernelILb0ELi256ElDF16_ffEviiT3_lPKT2_lT1_lS3_lS4_lS0_lPT4_lS4_li,@function
_ZL32rocblas_gemvt_warp_reduce_kernelILb0ELi256ElDF16_ffEviiT3_lPKT2_lT1_lS3_lS4_lS0_lPT4_lS4_li: ; @_ZL32rocblas_gemvt_warp_reduce_kernelILb0ELi256ElDF16_ffEviiT3_lPKT2_lT1_lS3_lS4_lS0_lPT4_lS4_li
; %bb.0:
	s_clause 0x1
	s_load_b32 s33, s[0:1], 0x8
	s_load_b32 s12, s[0:1], 0x58
	s_mov_b32 s13, 0
	s_waitcnt lgkmcnt(0)
	v_cmp_eq_f32_e64 s2, s33, 0
	v_cmp_eq_f32_e64 s3, s12, 1.0
	s_delay_alu instid0(VALU_DEP_1) | instskip(NEXT) | instid1(SALU_CYCLE_1)
	s_and_b32 s2, s2, s3
	s_and_b32 vcc_lo, exec_lo, s2
	s_cbranch_vccnz .LBB489_29
; %bb.1:
	s_load_b256 s[4:11], s[0:1], 0x68
	v_cmp_neq_f32_e64 s16, s33, 0
	s_waitcnt lgkmcnt(0)
	s_mul_i32 s3, s15, s11
	s_mul_hi_u32 s11, s15, s10
	s_mul_i32 s2, s15, s10
	s_add_i32 s3, s11, s3
	s_delay_alu instid0(SALU_CYCLE_1) | instskip(NEXT) | instid1(SALU_CYCLE_1)
	s_lshl_b64 s[2:3], s[2:3], 2
	s_add_u32 s4, s4, s2
	s_addc_u32 s5, s5, s3
	s_lshl_b64 s[2:3], s[6:7], 2
	s_delay_alu instid0(SALU_CYCLE_1)
	s_add_u32 s10, s4, s2
	v_cmp_eq_u32_e64 s2, 0, v0
	s_addc_u32 s11, s5, s3
	s_and_b32 vcc_lo, exec_lo, s16
	s_cbranch_vccnz .LBB489_6
; %bb.2:
	s_mov_b32 s3, 0
                                        ; implicit-def: $vgpr1
                                        ; implicit-def: $sgpr4_sgpr5
	s_and_saveexec_b32 s6, s2
	s_cbranch_execz .LBB489_7
; %bb.3:
	v_cmp_eq_f32_e64 s2, s12, 0
	s_mul_i32 s4, s14, s9
	s_mul_hi_u32 s5, s14, s8
	s_ashr_i32 s7, s14, 31
	v_mov_b32_e32 v1, 0
	s_add_i32 s4, s5, s4
	s_mul_i32 s7, s7, s8
	s_and_b32 vcc_lo, exec_lo, s2
	s_add_i32 s5, s4, s7
	s_mul_i32 s4, s14, s8
	s_cbranch_vccnz .LBB489_5
; %bb.4:
	s_lshl_b64 s[16:17], s[4:5], 2
	s_delay_alu instid0(SALU_CYCLE_1)
	s_add_u32 s16, s10, s16
	s_addc_u32 s17, s11, s17
	s_load_b32 s2, s[16:17], 0x0
	s_waitcnt lgkmcnt(0)
	v_mul_f32_e64 v1, s2, s12
.LBB489_5:
	s_mov_b32 s13, exec_lo
	s_or_b32 exec_lo, exec_lo, s6
	s_delay_alu instid0(SALU_CYCLE_1)
	s_and_b32 vcc_lo, exec_lo, s3
	s_cbranch_vccnz .LBB489_8
	s_branch .LBB489_27
.LBB489_6:
                                        ; implicit-def: $vgpr1
                                        ; implicit-def: $sgpr4_sgpr5
	s_cbranch_execnz .LBB489_8
	s_branch .LBB489_27
.LBB489_7:
	s_or_b32 exec_lo, exec_lo, s6
	s_delay_alu instid0(SALU_CYCLE_1)
	s_and_b32 vcc_lo, exec_lo, s3
	s_cbranch_vccz .LBB489_27
.LBB489_8:
	s_clause 0x1
	s_load_b512 s[16:31], s[0:1], 0x18
	s_load_b32 s5, s[0:1], 0x0
	v_mov_b32_e32 v7, 0
	s_waitcnt lgkmcnt(0)
	s_mul_i32 s1, s15, s23
	s_mul_hi_u32 s4, s15, s22
	s_mul_i32 s0, s15, s22
	s_add_i32 s1, s4, s1
	s_mul_i32 s2, s15, s31
	s_mul_hi_u32 s3, s15, s30
	s_lshl_b64 s[0:1], s[0:1], 1
	s_add_i32 s3, s3, s2
	v_cmp_gt_i32_e32 vcc_lo, s5, v0
	s_add_u32 s2, s16, s0
	s_addc_u32 s6, s17, s1
	s_lshl_b64 s[0:1], s[18:19], 1
	s_mul_i32 s4, s14, s21
	s_add_u32 s0, s2, s0
	s_mul_hi_u32 s7, s14, s20
	s_addc_u32 s2, s6, s1
	s_ashr_i32 s1, s14, 31
	v_cndmask_b32_e32 v1, 0, v0, vcc_lo
	s_add_i32 s4, s7, s4
	s_mul_i32 s7, s1, s20
	s_mul_i32 s6, s14, s20
	s_add_i32 s7, s4, s7
	v_lshlrev_b32_e32 v1, 1, v1
	s_lshl_b64 s[6:7], s[6:7], 1
	s_mov_b32 s16, 0
	s_add_u32 s0, s6, s0
	s_addc_u32 s2, s7, s2
	s_ashr_i32 s4, s5, 31
	v_add_co_u32 v1, s0, s0, v1
	s_lshr_b32 s4, s4, 24
	v_add_co_ci_u32_e64 v2, null, s2, 0, s0
	s_add_i32 s4, s5, s4
	s_mul_i32 s2, s15, s30
	s_and_b32 s4, s4, 0xffffff00
	s_mov_b32 s15, exec_lo
	v_cmpx_gt_i32_e64 s4, v0
	s_cbranch_execz .LBB489_12
; %bb.9:
	v_mad_u64_u32 v[5:6], null, s28, v0, 0
	s_lshl_b64 s[18:19], s[26:27], 1
	s_lshl_b64 s[6:7], s[2:3], 1
	s_add_u32 s0, s24, s18
	s_addc_u32 s17, s25, s19
	s_add_u32 s0, s0, s6
	s_addc_u32 s6, s17, s7
	s_delay_alu instid0(VALU_DEP_1) | instskip(NEXT) | instid1(VALU_DEP_1)
	v_dual_mov_b32 v3, v6 :: v_dual_mov_b32 v8, v0
	v_mad_u64_u32 v[6:7], null, s29, v0, v[3:4]
	v_dual_mov_b32 v7, 0 :: v_dual_mov_b32 v4, v2
	v_mov_b32_e32 v3, v1
	s_delay_alu instid0(VALU_DEP_3) | instskip(NEXT) | instid1(VALU_DEP_1)
	v_lshlrev_b64 v[5:6], 1, v[5:6]
	v_add_co_u32 v5, vcc_lo, s0, v5
	s_delay_alu instid0(VALU_DEP_2)
	v_add_co_ci_u32_e32 v6, vcc_lo, s6, v6, vcc_lo
	s_lshl_b64 s[6:7], s[28:29], 9
	.p2align	6
.LBB489_10:                             ; =>This Inner Loop Header: Depth=1
	global_load_u16 v9, v[3:4], off
	global_load_u16 v10, v[5:6], off
	v_add_co_u32 v3, vcc_lo, 0x200, v3
	v_add_co_ci_u32_e32 v4, vcc_lo, 0, v4, vcc_lo
	v_add_co_u32 v5, vcc_lo, v5, s6
	v_add_co_ci_u32_e32 v6, vcc_lo, s7, v6, vcc_lo
	s_waitcnt vmcnt(0)
	v_mul_f16_e32 v9, v9, v10
	s_delay_alu instid0(VALU_DEP_1) | instskip(NEXT) | instid1(VALU_DEP_1)
	v_cvt_f32_f16_e32 v9, v9
	v_dual_add_f32 v7, v7, v9 :: v_dual_add_nc_u32 v8, 0x100, v8
	s_delay_alu instid0(VALU_DEP_1) | instskip(NEXT) | instid1(VALU_DEP_1)
	v_cmp_le_i32_e64 s0, s4, v8
	s_or_b32 s16, s0, s16
	s_delay_alu instid0(SALU_CYCLE_1)
	s_and_not1_b32 exec_lo, exec_lo, s16
	s_cbranch_execnz .LBB489_10
; %bb.11:
	s_or_b32 exec_lo, exec_lo, s16
.LBB489_12:
	s_delay_alu instid0(SALU_CYCLE_1) | instskip(SKIP_2) | instid1(VALU_DEP_1)
	s_or_b32 exec_lo, exec_lo, s15
	v_add_nc_u32_e32 v3, s4, v0
	s_mov_b32 s0, exec_lo
	v_cmpx_gt_i32_e64 s5, v3
	s_cbranch_execz .LBB489_14
; %bb.13:
	v_ashrrev_i32_e32 v6, 31, v3
	v_mul_lo_u32 v8, v3, s29
	v_mad_u64_u32 v[4:5], null, v3, s28, 0
	s_lshl_b64 s[2:3], s[2:3], 1
	s_delay_alu instid0(VALU_DEP_3) | instskip(SKIP_3) | instid1(SALU_CYCLE_1)
	v_mul_lo_u32 v3, v6, s28
	s_add_u32 s5, s24, s2
	s_addc_u32 s6, s25, s3
	s_lshl_b64 s[2:3], s[26:27], 1
	s_add_u32 s7, s5, s2
	s_addc_u32 s6, s6, s3
	s_ashr_i32 s5, s4, 31
	s_delay_alu instid0(VALU_DEP_1) | instskip(SKIP_1) | instid1(SALU_CYCLE_1)
	v_add3_u32 v5, v5, v8, v3
	s_lshl_b64 s[2:3], s[4:5], 1
	v_add_co_u32 v1, vcc_lo, v1, s2
	s_delay_alu instid0(VALU_DEP_2) | instskip(SKIP_1) | instid1(VALU_DEP_2)
	v_lshlrev_b64 v[3:4], 1, v[4:5]
	v_add_co_ci_u32_e32 v2, vcc_lo, s3, v2, vcc_lo
	v_add_co_u32 v3, vcc_lo, s7, v3
	s_delay_alu instid0(VALU_DEP_3) | instskip(SKIP_4) | instid1(VALU_DEP_1)
	v_add_co_ci_u32_e32 v4, vcc_lo, s6, v4, vcc_lo
	global_load_u16 v1, v[1:2], off
	global_load_u16 v2, v[3:4], off
	s_waitcnt vmcnt(0)
	v_mul_f16_e32 v1, v1, v2
	v_cvt_f32_f16_e32 v1, v1
	s_delay_alu instid0(VALU_DEP_1)
	v_add_f32_e32 v7, v7, v1
.LBB489_14:
	s_or_b32 exec_lo, exec_lo, s0
	v_and_b32_e32 v4, 31, v0
	v_cmp_gt_u32_e32 vcc_lo, 32, v0
	s_delay_alu instid0(VALU_DEP_2)
	v_lshlrev_b32_e32 v1, 2, v4
	s_and_saveexec_b32 s0, vcc_lo
	s_cbranch_execz .LBB489_16
; %bb.15:
	v_mov_b32_e32 v2, 0
	ds_store_b32 v1, v2
.LBB489_16:
	s_or_b32 exec_lo, exec_lo, s0
	v_mbcnt_lo_u32_b32 v5, -1, 0
	s_mov_b32 s2, exec_lo
	s_waitcnt lgkmcnt(0)
	s_barrier
	buffer_gl0_inv
	v_cmp_gt_u32_e64 s0, 16, v5
	s_delay_alu instid0(VALU_DEP_1) | instskip(SKIP_1) | instid1(VALU_DEP_2)
	v_cndmask_b32_e64 v2, 0, 1, s0
	v_cmp_gt_u32_e64 s0, 24, v5
	v_lshlrev_b32_e32 v2, 4, v2
	s_delay_alu instid0(VALU_DEP_2) | instskip(SKIP_1) | instid1(VALU_DEP_3)
	v_cndmask_b32_e64 v3, 0, 1, s0
	v_cmp_gt_u32_e64 s0, 28, v5
	v_add_lshl_u32 v2, v2, v5, 2
	ds_bpermute_b32 v2, v2, v7
	s_waitcnt lgkmcnt(0)
	v_dual_add_f32 v6, v7, v2 :: v_dual_lshlrev_b32 v3, 3, v3
	s_delay_alu instid0(VALU_DEP_1) | instskip(SKIP_4) | instid1(VALU_DEP_1)
	v_add_lshl_u32 v3, v3, v5, 2
	v_cndmask_b32_e64 v2, 0, 1, s0
	v_cmp_gt_u32_e64 s0, 30, v5
	ds_bpermute_b32 v3, v3, v6
	v_lshlrev_b32_e32 v2, 2, v2
	v_add_lshl_u32 v2, v2, v5, 2
	s_waitcnt lgkmcnt(0)
	v_add_f32_e32 v6, v6, v3
	v_cndmask_b32_e64 v3, 0, 1, s0
	v_cmp_ne_u32_e64 s0, 31, v5
	s_delay_alu instid0(VALU_DEP_2) | instskip(NEXT) | instid1(VALU_DEP_1)
	v_lshlrev_b32_e32 v3, 1, v3
	v_add_lshl_u32 v3, v3, v5, 2
	s_delay_alu instid0(VALU_DEP_3) | instskip(NEXT) | instid1(VALU_DEP_1)
	v_add_co_ci_u32_e64 v5, s0, 0, v5, s0
	v_lshlrev_b32_e32 v5, 2, v5
	ds_bpermute_b32 v7, v2, v6
	s_waitcnt lgkmcnt(0)
	v_add_f32_e32 v6, v6, v7
	ds_bpermute_b32 v7, v3, v6
	s_waitcnt lgkmcnt(0)
	v_add_f32_e32 v6, v6, v7
	ds_bpermute_b32 v7, v5, v6
	v_cmpx_eq_u32_e32 0, v4
	s_cbranch_execz .LBB489_18
; %bb.17:
	v_lshrrev_b32_e32 v4, 3, v0
	s_waitcnt lgkmcnt(0)
	v_add_f32_e32 v6, v6, v7
	s_delay_alu instid0(VALU_DEP_2)
	v_and_b32_e32 v4, 28, v4
	ds_store_b32 v4, v6
.LBB489_18:
	s_or_b32 exec_lo, exec_lo, s2
	v_mov_b32_e32 v4, 0
	s_mov_b32 s2, exec_lo
	s_waitcnt lgkmcnt(0)
	s_barrier
	buffer_gl0_inv
	v_cmpx_gt_u32_e32 8, v0
	s_cbranch_execz .LBB489_20
; %bb.19:
	ds_load_b32 v4, v1
.LBB489_20:
	s_or_b32 exec_lo, exec_lo, s2
	s_and_saveexec_b32 s0, vcc_lo
	s_cbranch_execz .LBB489_22
; %bb.21:
	s_waitcnt lgkmcnt(0)
	ds_bpermute_b32 v1, v2, v4
	s_waitcnt lgkmcnt(0)
	v_add_f32_e32 v1, v4, v1
	ds_bpermute_b32 v2, v3, v1
	s_waitcnt lgkmcnt(0)
	v_add_f32_e32 v1, v1, v2
	;; [unrolled: 3-line block ×3, first 2 shown]
.LBB489_22:
	s_or_b32 exec_lo, exec_lo, s0
	s_delay_alu instid0(SALU_CYCLE_1)
	s_mov_b32 s0, exec_lo
                                        ; implicit-def: $vgpr1
                                        ; implicit-def: $sgpr4_sgpr5
	v_cmpx_eq_u32_e32 0, v0
	s_cbranch_execz .LBB489_26
; %bb.23:
	v_cmp_eq_f32_e64 s4, s12, 0
	s_mul_i32 s2, s14, s9
	s_mul_hi_u32 s3, s14, s8
	s_waitcnt lgkmcnt(0)
	v_mul_f32_e32 v1, s33, v4
	s_add_i32 s2, s3, s2
	s_mul_i32 s1, s1, s8
	s_and_b32 vcc_lo, exec_lo, s4
	s_add_i32 s5, s2, s1
	s_mul_i32 s4, s14, s8
	s_cbranch_vccnz .LBB489_25
; %bb.24:
	s_lshl_b64 s[2:3], s[4:5], 2
	s_delay_alu instid0(SALU_CYCLE_1)
	s_add_u32 s2, s10, s2
	s_addc_u32 s3, s11, s3
	s_load_b32 s1, s[2:3], 0x0
	s_waitcnt lgkmcnt(0)
	v_fmac_f32_e64 v1, s1, s12
.LBB489_25:
	s_or_b32 s13, s13, exec_lo
.LBB489_26:
	s_or_b32 exec_lo, exec_lo, s0
.LBB489_27:
	s_and_saveexec_b32 s0, s13
	s_cbranch_execz .LBB489_29
; %bb.28:
	s_lshl_b64 s[0:1], s[4:5], 2
	v_mov_b32_e32 v0, 0
	s_add_u32 s0, s10, s0
	s_addc_u32 s1, s11, s1
	global_store_b32 v0, v1, s[0:1]
.LBB489_29:
	s_nop 0
	s_sendmsg sendmsg(MSG_DEALLOC_VGPRS)
	s_endpgm
	.section	.rodata,"a",@progbits
	.p2align	6, 0x0
	.amdhsa_kernel _ZL32rocblas_gemvt_warp_reduce_kernelILb0ELi256ElDF16_ffEviiT3_lPKT2_lT1_lS3_lS4_lS0_lPT4_lS4_li
		.amdhsa_group_segment_fixed_size 128
		.amdhsa_private_segment_fixed_size 0
		.amdhsa_kernarg_size 140
		.amdhsa_user_sgpr_count 14
		.amdhsa_user_sgpr_dispatch_ptr 0
		.amdhsa_user_sgpr_queue_ptr 0
		.amdhsa_user_sgpr_kernarg_segment_ptr 1
		.amdhsa_user_sgpr_dispatch_id 0
		.amdhsa_user_sgpr_private_segment_size 0
		.amdhsa_wavefront_size32 1
		.amdhsa_uses_dynamic_stack 0
		.amdhsa_enable_private_segment 0
		.amdhsa_system_sgpr_workgroup_id_x 1
		.amdhsa_system_sgpr_workgroup_id_y 0
		.amdhsa_system_sgpr_workgroup_id_z 1
		.amdhsa_system_sgpr_workgroup_info 0
		.amdhsa_system_vgpr_workitem_id 0
		.amdhsa_next_free_vgpr 11
		.amdhsa_next_free_sgpr 34
		.amdhsa_reserve_vcc 1
		.amdhsa_float_round_mode_32 0
		.amdhsa_float_round_mode_16_64 0
		.amdhsa_float_denorm_mode_32 3
		.amdhsa_float_denorm_mode_16_64 3
		.amdhsa_dx10_clamp 1
		.amdhsa_ieee_mode 1
		.amdhsa_fp16_overflow 0
		.amdhsa_workgroup_processor_mode 1
		.amdhsa_memory_ordered 1
		.amdhsa_forward_progress 0
		.amdhsa_shared_vgpr_count 0
		.amdhsa_exception_fp_ieee_invalid_op 0
		.amdhsa_exception_fp_denorm_src 0
		.amdhsa_exception_fp_ieee_div_zero 0
		.amdhsa_exception_fp_ieee_overflow 0
		.amdhsa_exception_fp_ieee_underflow 0
		.amdhsa_exception_fp_ieee_inexact 0
		.amdhsa_exception_int_div_zero 0
	.end_amdhsa_kernel
	.section	.text._ZL32rocblas_gemvt_warp_reduce_kernelILb0ELi256ElDF16_ffEviiT3_lPKT2_lT1_lS3_lS4_lS0_lPT4_lS4_li,"axG",@progbits,_ZL32rocblas_gemvt_warp_reduce_kernelILb0ELi256ElDF16_ffEviiT3_lPKT2_lT1_lS3_lS4_lS0_lPT4_lS4_li,comdat
.Lfunc_end489:
	.size	_ZL32rocblas_gemvt_warp_reduce_kernelILb0ELi256ElDF16_ffEviiT3_lPKT2_lT1_lS3_lS4_lS0_lPT4_lS4_li, .Lfunc_end489-_ZL32rocblas_gemvt_warp_reduce_kernelILb0ELi256ElDF16_ffEviiT3_lPKT2_lT1_lS3_lS4_lS0_lPT4_lS4_li
                                        ; -- End function
	.section	.AMDGPU.csdata,"",@progbits
; Kernel info:
; codeLenInByte = 1456
; NumSgprs: 36
; NumVgprs: 11
; ScratchSize: 0
; MemoryBound: 0
; FloatMode: 240
; IeeeMode: 1
; LDSByteSize: 128 bytes/workgroup (compile time only)
; SGPRBlocks: 4
; VGPRBlocks: 1
; NumSGPRsForWavesPerEU: 36
; NumVGPRsForWavesPerEU: 11
; Occupancy: 16
; WaveLimiterHint : 1
; COMPUTE_PGM_RSRC2:SCRATCH_EN: 0
; COMPUTE_PGM_RSRC2:USER_SGPR: 14
; COMPUTE_PGM_RSRC2:TRAP_HANDLER: 0
; COMPUTE_PGM_RSRC2:TGID_X_EN: 1
; COMPUTE_PGM_RSRC2:TGID_Y_EN: 0
; COMPUTE_PGM_RSRC2:TGID_Z_EN: 1
; COMPUTE_PGM_RSRC2:TIDIG_COMP_CNT: 0
	.section	.text._ZL20rocblas_gemvt_kernelILb0ELi256EDF16_PKffEviiT2_lPKT1_lilS5_lilS2_lPT3_lili,"axG",@progbits,_ZL20rocblas_gemvt_kernelILb0ELi256EDF16_PKffEviiT2_lPKT1_lilS5_lilS2_lPT3_lili,comdat
	.globl	_ZL20rocblas_gemvt_kernelILb0ELi256EDF16_PKffEviiT2_lPKT1_lilS5_lilS2_lPT3_lili ; -- Begin function _ZL20rocblas_gemvt_kernelILb0ELi256EDF16_PKffEviiT2_lPKT1_lilS5_lilS2_lPT3_lili
	.p2align	8
	.type	_ZL20rocblas_gemvt_kernelILb0ELi256EDF16_PKffEviiT2_lPKT1_lilS5_lilS2_lPT3_lili,@function
_ZL20rocblas_gemvt_kernelILb0ELi256EDF16_PKffEviiT2_lPKT1_lilS5_lilS2_lPT3_lili: ; @_ZL20rocblas_gemvt_kernelILb0ELi256EDF16_PKffEviiT2_lPKT1_lilS5_lilS2_lPT3_lili
; %bb.0:
	s_clause 0x1
	s_load_b256 s[16:23], s[0:1], 0x8
	s_load_b256 s[4:11], s[0:1], 0x50
	s_waitcnt lgkmcnt(0)
	s_mul_i32 s3, s15, s19
	s_mul_hi_u32 s12, s15, s18
	s_mul_i32 s2, s15, s18
	s_add_i32 s3, s12, s3
	s_mul_i32 s9, s15, s9
	s_lshl_b64 s[2:3], s[2:3], 2
	s_mul_hi_u32 s12, s15, s8
	s_add_u32 s2, s16, s2
	s_addc_u32 s3, s17, s3
	s_add_i32 s9, s12, s9
	s_mul_i32 s8, s15, s8
	s_mov_b32 s17, 0
	s_lshl_b64 s[8:9], s[8:9], 2
	s_delay_alu instid0(SALU_CYCLE_1)
	s_add_u32 s6, s6, s8
	s_addc_u32 s7, s7, s9
	s_load_b32 s18, s[2:3], 0x0
	s_load_b32 s16, s[6:7], 0x0
	s_waitcnt lgkmcnt(0)
	v_cmp_eq_f32_e64 s2, s18, 0
	v_cmp_eq_f32_e64 s3, s16, 1.0
	s_delay_alu instid0(VALU_DEP_1) | instskip(NEXT) | instid1(SALU_CYCLE_1)
	s_and_b32 s2, s2, s3
	s_and_b32 vcc_lo, exec_lo, s2
	s_cbranch_vccnz .LBB490_36
; %bb.1:
	s_clause 0x2
	s_load_b64 s[2:3], s[0:1], 0x80
	s_load_b64 s[6:7], s[0:1], 0x70
	s_load_b32 s19, s[0:1], 0x78
	s_waitcnt lgkmcnt(0)
	s_mul_i32 s3, s15, s3
	s_mul_hi_u32 s8, s15, s2
	s_mul_i32 s2, s15, s2
	s_add_i32 s3, s8, s3
	v_cmp_neq_f32_e64 s8, s18, 0
	s_lshl_b64 s[2:3], s[2:3], 2
	s_delay_alu instid0(SALU_CYCLE_1) | instskip(SKIP_2) | instid1(SALU_CYCLE_1)
	s_add_u32 s9, s10, s2
	s_addc_u32 s10, s11, s3
	s_lshl_b64 s[2:3], s[6:7], 2
	s_add_u32 s12, s9, s2
	v_cmp_eq_u32_e64 s2, 0, v0
	s_addc_u32 s13, s10, s3
	s_and_b32 vcc_lo, exec_lo, s8
	s_cbranch_vccnz .LBB490_6
; %bb.2:
	s_mov_b32 s3, 0
                                        ; implicit-def: $vgpr1
                                        ; implicit-def: $sgpr6_sgpr7
	s_and_saveexec_b32 s8, s2
	s_cbranch_execz .LBB490_7
; %bb.3:
	v_cmp_eq_f32_e64 s2, s16, 0
	v_mov_b32_e32 v1, 0
	s_mul_hi_i32 s7, s19, s14
	s_mul_i32 s6, s19, s14
	s_delay_alu instid0(VALU_DEP_2)
	s_and_b32 vcc_lo, exec_lo, s2
	s_cbranch_vccnz .LBB490_5
; %bb.4:
	s_lshl_b64 s[10:11], s[6:7], 2
	s_delay_alu instid0(SALU_CYCLE_1)
	s_add_u32 s10, s12, s10
	s_addc_u32 s11, s13, s11
	s_load_b32 s2, s[10:11], 0x0
	s_waitcnt lgkmcnt(0)
	v_mul_f32_e64 v1, s16, s2
.LBB490_5:
	s_mov_b32 s17, exec_lo
	s_or_b32 exec_lo, exec_lo, s8
	s_delay_alu instid0(SALU_CYCLE_1)
	s_and_b32 vcc_lo, exec_lo, s3
	s_cbranch_vccnz .LBB490_8
	s_branch .LBB490_34
.LBB490_6:
                                        ; implicit-def: $vgpr1
                                        ; implicit-def: $sgpr6_sgpr7
	s_cbranch_execnz .LBB490_8
	s_branch .LBB490_34
.LBB490_7:
	s_or_b32 exec_lo, exec_lo, s8
	s_delay_alu instid0(SALU_CYCLE_1)
	s_and_b32 vcc_lo, exec_lo, s3
	s_cbranch_vccz .LBB490_34
.LBB490_8:
	s_clause 0x4
	s_load_b128 s[8:11], s[0:1], 0x30
	s_load_b32 s7, s[0:1], 0x0
	s_load_b32 s6, s[0:1], 0x28
	s_load_b64 s[2:3], s[0:1], 0x40
	s_load_b32 s0, s[0:1], 0x48
	s_mul_i32 s5, s15, s5
	s_mul_hi_u32 s24, s15, s4
	v_mov_b32_e32 v7, 0
	s_add_i32 s5, s24, s5
	s_mul_i32 s4, s15, s4
	s_waitcnt lgkmcnt(0)
	s_mul_i32 s1, s15, s9
	s_mul_hi_u32 s9, s15, s8
	v_cmp_gt_i32_e32 vcc_lo, s7, v0
	s_mul_i32 s8, s15, s8
	s_add_i32 s9, s9, s1
	s_mul_hi_i32 s25, s6, s14
	s_lshl_b64 s[8:9], s[8:9], 1
	v_cndmask_b32_e32 v1, 0, v0, vcc_lo
	s_add_u32 s1, s20, s8
	s_addc_u32 s20, s21, s9
	s_lshl_b64 s[8:9], s[22:23], 1
	s_mul_i32 s24, s6, s14
	s_add_u32 s1, s1, s8
	s_addc_u32 s6, s20, s9
	s_lshl_b64 s[8:9], s[24:25], 1
	v_lshlrev_b32_e32 v1, 1, v1
	s_add_u32 s1, s8, s1
	s_addc_u32 s6, s9, s6
	s_ashr_i32 s8, s7, 31
	s_mov_b32 s15, 0
	s_lshr_b32 s8, s8, 24
	v_add_co_u32 v1, s1, s1, v1
	s_add_i32 s8, s7, s8
	v_add_co_ci_u32_e64 v2, null, s6, 0, s1
	s_and_b32 s6, s8, 0xffffff00
	s_cmpk_lt_i32 s7, 0x100
	s_cbranch_scc1 .LBB490_11
; %bb.9:
	v_mad_i64_i32 v[3:4], null, s0, v0, 0
	s_lshl_b64 s[20:21], s[2:3], 1
	s_ashr_i32 s1, s0, 31
	s_lshl_b64 s[8:9], s[4:5], 1
	s_add_u32 s20, s10, s20
	s_addc_u32 s21, s11, s21
	s_add_u32 s8, s20, s8
	s_delay_alu instid0(VALU_DEP_1) | instskip(SKIP_3) | instid1(VALU_DEP_3)
	v_lshlrev_b64 v[3:4], 1, v[3:4]
	s_addc_u32 s9, s21, s9
	v_dual_mov_b32 v7, 0 :: v_dual_mov_b32 v6, v2
	v_mov_b32_e32 v5, v1
	v_add_co_u32 v3, vcc_lo, s8, v3
	s_delay_alu instid0(VALU_DEP_4)
	v_add_co_ci_u32_e32 v4, vcc_lo, s9, v4, vcc_lo
	s_lshl_b64 s[8:9], s[0:1], 9
	.p2align	6
.LBB490_10:                             ; =>This Inner Loop Header: Depth=1
	global_load_u16 v8, v[5:6], off
	global_load_u16 v9, v[3:4], off
	v_add_co_u32 v3, vcc_lo, v3, s8
	v_add_co_ci_u32_e32 v4, vcc_lo, s9, v4, vcc_lo
	v_add_co_u32 v5, vcc_lo, 0x200, v5
	v_add_co_ci_u32_e32 v6, vcc_lo, 0, v6, vcc_lo
	s_addk_i32 s15, 0x100
	s_delay_alu instid0(SALU_CYCLE_1) | instskip(SKIP_2) | instid1(VALU_DEP_1)
	s_cmp_ge_i32 s15, s6
	s_waitcnt vmcnt(0)
	v_mul_f16_e32 v8, v8, v9
	v_cvt_f32_f16_e32 v8, v8
	s_delay_alu instid0(VALU_DEP_1)
	v_add_f32_e32 v7, v7, v8
	s_cbranch_scc0 .LBB490_10
.LBB490_11:
	v_add_nc_u32_e32 v3, s6, v0
	s_mov_b32 s1, exec_lo
	s_delay_alu instid0(VALU_DEP_1)
	v_cmpx_gt_i32_e64 s7, v3
	s_cbranch_execz .LBB490_13
; %bb.12:
	v_mad_i64_i32 v[4:5], null, s0, v3, 0
	s_lshl_b64 s[4:5], s[4:5], 1
	s_delay_alu instid0(SALU_CYCLE_1) | instskip(SKIP_2) | instid1(SALU_CYCLE_1)
	s_add_u32 s4, s10, s4
	s_addc_u32 s5, s11, s5
	s_lshl_b64 s[2:3], s[2:3], 1
	s_add_u32 s0, s4, s2
	s_addc_u32 s4, s5, s3
	s_ashr_i32 s7, s6, 31
	v_lshlrev_b64 v[3:4], 1, v[4:5]
	s_lshl_b64 s[2:3], s[6:7], 1
	s_delay_alu instid0(SALU_CYCLE_1) | instskip(SKIP_1) | instid1(VALU_DEP_3)
	v_add_co_u32 v1, vcc_lo, v1, s2
	v_add_co_ci_u32_e32 v2, vcc_lo, s3, v2, vcc_lo
	v_add_co_u32 v3, vcc_lo, s0, v3
	s_delay_alu instid0(VALU_DEP_4) | instskip(SKIP_4) | instid1(VALU_DEP_1)
	v_add_co_ci_u32_e32 v4, vcc_lo, s4, v4, vcc_lo
	global_load_u16 v1, v[1:2], off
	global_load_u16 v2, v[3:4], off
	s_waitcnt vmcnt(0)
	v_mul_f16_e32 v1, v1, v2
	v_cvt_f32_f16_e32 v1, v1
	s_delay_alu instid0(VALU_DEP_1)
	v_add_f32_e32 v7, v7, v1
.LBB490_13:
	s_or_b32 exec_lo, exec_lo, s1
	v_lshlrev_b32_e32 v1, 2, v0
	s_mov_b32 s0, exec_lo
	ds_store_b32 v1, v7
	s_waitcnt lgkmcnt(0)
	s_barrier
	buffer_gl0_inv
	v_cmpx_gt_u32_e32 0x80, v0
	s_cbranch_execz .LBB490_15
; %bb.14:
	ds_load_2addr_stride64_b32 v[2:3], v1 offset1:2
	s_waitcnt lgkmcnt(0)
	v_add_f32_e32 v2, v3, v2
	ds_store_b32 v1, v2
.LBB490_15:
	s_or_b32 exec_lo, exec_lo, s0
	s_delay_alu instid0(SALU_CYCLE_1)
	s_mov_b32 s0, exec_lo
	s_waitcnt lgkmcnt(0)
	s_barrier
	buffer_gl0_inv
	v_cmpx_gt_u32_e32 64, v0
	s_cbranch_execz .LBB490_17
; %bb.16:
	ds_load_2addr_stride64_b32 v[2:3], v1 offset1:1
	s_waitcnt lgkmcnt(0)
	v_add_f32_e32 v2, v3, v2
	ds_store_b32 v1, v2
.LBB490_17:
	s_or_b32 exec_lo, exec_lo, s0
	s_delay_alu instid0(SALU_CYCLE_1)
	s_mov_b32 s0, exec_lo
	s_waitcnt lgkmcnt(0)
	s_barrier
	buffer_gl0_inv
	v_cmpx_gt_u32_e32 32, v0
	s_cbranch_execz .LBB490_19
; %bb.18:
	ds_load_2addr_b32 v[2:3], v1 offset1:32
	s_waitcnt lgkmcnt(0)
	v_add_f32_e32 v2, v3, v2
	ds_store_b32 v1, v2
.LBB490_19:
	s_or_b32 exec_lo, exec_lo, s0
	s_delay_alu instid0(SALU_CYCLE_1)
	s_mov_b32 s0, exec_lo
	s_waitcnt lgkmcnt(0)
	s_barrier
	buffer_gl0_inv
	v_cmpx_gt_u32_e32 16, v0
	s_cbranch_execz .LBB490_21
; %bb.20:
	ds_load_2addr_b32 v[2:3], v1 offset1:16
	s_waitcnt lgkmcnt(0)
	v_add_f32_e32 v2, v3, v2
	ds_store_b32 v1, v2
.LBB490_21:
	;; [unrolled: 14-line block ×5, first 2 shown]
	s_or_b32 exec_lo, exec_lo, s0
	v_cmp_eq_u32_e32 vcc_lo, 0, v0
	s_waitcnt lgkmcnt(0)
	s_barrier
	buffer_gl0_inv
	s_and_saveexec_b32 s0, vcc_lo
	s_cbranch_execz .LBB490_29
; %bb.28:
	v_mov_b32_e32 v2, 0
	ds_load_b64 v[0:1], v2
	s_waitcnt lgkmcnt(0)
	v_add_f32_e32 v0, v1, v0
	ds_store_b32 v2, v0
.LBB490_29:
	s_or_b32 exec_lo, exec_lo, s0
	s_waitcnt lgkmcnt(0)
	s_barrier
	buffer_gl0_inv
                                        ; implicit-def: $vgpr1
                                        ; implicit-def: $sgpr6_sgpr7
	s_and_saveexec_b32 s0, vcc_lo
	s_cbranch_execz .LBB490_33
; %bb.30:
	v_mov_b32_e32 v0, 0
	v_cmp_eq_f32_e64 s1, s16, 0
	s_mul_hi_i32 s7, s19, s14
	s_mul_i32 s6, s19, s14
	ds_load_b32 v0, v0
	s_and_b32 vcc_lo, exec_lo, s1
	s_waitcnt lgkmcnt(0)
	v_mul_f32_e32 v1, s18, v0
	s_cbranch_vccnz .LBB490_32
; %bb.31:
	s_lshl_b64 s[2:3], s[6:7], 2
	s_delay_alu instid0(SALU_CYCLE_1)
	s_add_u32 s2, s12, s2
	s_addc_u32 s3, s13, s3
	s_load_b32 s1, s[2:3], 0x0
	s_waitcnt lgkmcnt(0)
	v_fmac_f32_e64 v1, s16, s1
.LBB490_32:
	s_or_b32 s17, s17, exec_lo
.LBB490_33:
	s_or_b32 exec_lo, exec_lo, s0
.LBB490_34:
	s_and_saveexec_b32 s0, s17
	s_cbranch_execz .LBB490_36
; %bb.35:
	s_lshl_b64 s[0:1], s[6:7], 2
	v_mov_b32_e32 v0, 0
	s_add_u32 s0, s12, s0
	s_addc_u32 s1, s13, s1
	global_store_b32 v0, v1, s[0:1]
.LBB490_36:
	s_nop 0
	s_sendmsg sendmsg(MSG_DEALLOC_VGPRS)
	s_endpgm
	.section	.rodata,"a",@progbits
	.p2align	6, 0x0
	.amdhsa_kernel _ZL20rocblas_gemvt_kernelILb0ELi256EDF16_PKffEviiT2_lPKT1_lilS5_lilS2_lPT3_lili
		.amdhsa_group_segment_fixed_size 1024
		.amdhsa_private_segment_fixed_size 0
		.amdhsa_kernarg_size 140
		.amdhsa_user_sgpr_count 14
		.amdhsa_user_sgpr_dispatch_ptr 0
		.amdhsa_user_sgpr_queue_ptr 0
		.amdhsa_user_sgpr_kernarg_segment_ptr 1
		.amdhsa_user_sgpr_dispatch_id 0
		.amdhsa_user_sgpr_private_segment_size 0
		.amdhsa_wavefront_size32 1
		.amdhsa_uses_dynamic_stack 0
		.amdhsa_enable_private_segment 0
		.amdhsa_system_sgpr_workgroup_id_x 1
		.amdhsa_system_sgpr_workgroup_id_y 0
		.amdhsa_system_sgpr_workgroup_id_z 1
		.amdhsa_system_sgpr_workgroup_info 0
		.amdhsa_system_vgpr_workitem_id 0
		.amdhsa_next_free_vgpr 10
		.amdhsa_next_free_sgpr 26
		.amdhsa_reserve_vcc 1
		.amdhsa_float_round_mode_32 0
		.amdhsa_float_round_mode_16_64 0
		.amdhsa_float_denorm_mode_32 3
		.amdhsa_float_denorm_mode_16_64 3
		.amdhsa_dx10_clamp 1
		.amdhsa_ieee_mode 1
		.amdhsa_fp16_overflow 0
		.amdhsa_workgroup_processor_mode 1
		.amdhsa_memory_ordered 1
		.amdhsa_forward_progress 0
		.amdhsa_shared_vgpr_count 0
		.amdhsa_exception_fp_ieee_invalid_op 0
		.amdhsa_exception_fp_denorm_src 0
		.amdhsa_exception_fp_ieee_div_zero 0
		.amdhsa_exception_fp_ieee_overflow 0
		.amdhsa_exception_fp_ieee_underflow 0
		.amdhsa_exception_fp_ieee_inexact 0
		.amdhsa_exception_int_div_zero 0
	.end_amdhsa_kernel
	.section	.text._ZL20rocblas_gemvt_kernelILb0ELi256EDF16_PKffEviiT2_lPKT1_lilS5_lilS2_lPT3_lili,"axG",@progbits,_ZL20rocblas_gemvt_kernelILb0ELi256EDF16_PKffEviiT2_lPKT1_lilS5_lilS2_lPT3_lili,comdat
.Lfunc_end490:
	.size	_ZL20rocblas_gemvt_kernelILb0ELi256EDF16_PKffEviiT2_lPKT1_lilS5_lilS2_lPT3_lili, .Lfunc_end490-_ZL20rocblas_gemvt_kernelILb0ELi256EDF16_PKffEviiT2_lPKT1_lilS5_lilS2_lPT3_lili
                                        ; -- End function
	.section	.AMDGPU.csdata,"",@progbits
; Kernel info:
; codeLenInByte = 1512
; NumSgprs: 28
; NumVgprs: 10
; ScratchSize: 0
; MemoryBound: 0
; FloatMode: 240
; IeeeMode: 1
; LDSByteSize: 1024 bytes/workgroup (compile time only)
; SGPRBlocks: 3
; VGPRBlocks: 1
; NumSGPRsForWavesPerEU: 28
; NumVGPRsForWavesPerEU: 10
; Occupancy: 16
; WaveLimiterHint : 1
; COMPUTE_PGM_RSRC2:SCRATCH_EN: 0
; COMPUTE_PGM_RSRC2:USER_SGPR: 14
; COMPUTE_PGM_RSRC2:TRAP_HANDLER: 0
; COMPUTE_PGM_RSRC2:TGID_X_EN: 1
; COMPUTE_PGM_RSRC2:TGID_Y_EN: 0
; COMPUTE_PGM_RSRC2:TGID_Z_EN: 1
; COMPUTE_PGM_RSRC2:TIDIG_COMP_CNT: 0
	.section	.text._ZL20rocblas_gemvt_kernelILb0ELi256EDF16_ffEviiT2_lPKT1_lilS3_lilS0_lPT3_lili,"axG",@progbits,_ZL20rocblas_gemvt_kernelILb0ELi256EDF16_ffEviiT2_lPKT1_lilS3_lilS0_lPT3_lili,comdat
	.globl	_ZL20rocblas_gemvt_kernelILb0ELi256EDF16_ffEviiT2_lPKT1_lilS3_lilS0_lPT3_lili ; -- Begin function _ZL20rocblas_gemvt_kernelILb0ELi256EDF16_ffEviiT2_lPKT1_lilS3_lilS0_lPT3_lili
	.p2align	8
	.type	_ZL20rocblas_gemvt_kernelILb0ELi256EDF16_ffEviiT2_lPKT1_lilS3_lilS0_lPT3_lili,@function
_ZL20rocblas_gemvt_kernelILb0ELi256EDF16_ffEviiT2_lPKT1_lilS3_lilS0_lPT3_lili: ; @_ZL20rocblas_gemvt_kernelILb0ELi256EDF16_ffEviiT2_lPKT1_lilS3_lilS0_lPT3_lili
; %bb.0:
	s_clause 0x1
	s_load_b32 s18, s[0:1], 0x8
	s_load_b32 s16, s[0:1], 0x58
	s_mov_b32 s17, 0
	s_waitcnt lgkmcnt(0)
	v_cmp_eq_f32_e64 s2, s18, 0
	v_cmp_eq_f32_e64 s3, s16, 1.0
	s_delay_alu instid0(VALU_DEP_1) | instskip(NEXT) | instid1(SALU_CYCLE_1)
	s_and_b32 s2, s2, s3
	s_and_b32 vcc_lo, exec_lo, s2
	s_cbranch_vccnz .LBB491_36
; %bb.1:
	s_clause 0x2
	s_load_b64 s[2:3], s[0:1], 0x80
	s_load_b128 s[4:7], s[0:1], 0x68
	s_load_b32 s19, s[0:1], 0x78
	s_waitcnt lgkmcnt(0)
	s_mul_i32 s3, s15, s3
	s_mul_hi_u32 s8, s15, s2
	s_mul_i32 s2, s15, s2
	s_add_i32 s3, s8, s3
	v_cmp_neq_f32_e64 s8, s18, 0
	s_lshl_b64 s[2:3], s[2:3], 2
	s_delay_alu instid0(SALU_CYCLE_1) | instskip(SKIP_2) | instid1(SALU_CYCLE_1)
	s_add_u32 s4, s4, s2
	s_addc_u32 s5, s5, s3
	s_lshl_b64 s[2:3], s[6:7], 2
	s_add_u32 s12, s4, s2
	v_cmp_eq_u32_e64 s2, 0, v0
	s_addc_u32 s13, s5, s3
	s_and_b32 vcc_lo, exec_lo, s8
	s_cbranch_vccnz .LBB491_6
; %bb.2:
	s_mov_b32 s3, 0
                                        ; implicit-def: $vgpr1
                                        ; implicit-def: $sgpr4_sgpr5
	s_and_saveexec_b32 s6, s2
	s_cbranch_execz .LBB491_7
; %bb.3:
	v_cmp_eq_f32_e64 s2, s16, 0
	v_mov_b32_e32 v1, 0
	s_mul_hi_i32 s5, s19, s14
	s_mul_i32 s4, s19, s14
	s_delay_alu instid0(VALU_DEP_2)
	s_and_b32 vcc_lo, exec_lo, s2
	s_cbranch_vccnz .LBB491_5
; %bb.4:
	s_lshl_b64 s[8:9], s[4:5], 2
	s_delay_alu instid0(SALU_CYCLE_1)
	s_add_u32 s8, s12, s8
	s_addc_u32 s9, s13, s9
	s_load_b32 s2, s[8:9], 0x0
	s_waitcnt lgkmcnt(0)
	v_mul_f32_e64 v1, s2, s16
.LBB491_5:
	s_mov_b32 s17, exec_lo
	s_or_b32 exec_lo, exec_lo, s6
	s_delay_alu instid0(SALU_CYCLE_1)
	s_and_b32 vcc_lo, exec_lo, s3
	s_cbranch_vccnz .LBB491_8
	s_branch .LBB491_34
.LBB491_6:
                                        ; implicit-def: $vgpr1
                                        ; implicit-def: $sgpr4_sgpr5
	s_cbranch_execnz .LBB491_8
	s_branch .LBB491_34
.LBB491_7:
	s_or_b32 exec_lo, exec_lo, s6
	s_delay_alu instid0(SALU_CYCLE_1)
	s_and_b32 vcc_lo, exec_lo, s3
	s_cbranch_vccz .LBB491_34
.LBB491_8:
	s_clause 0x6
	s_load_b64 s[10:11], s[0:1], 0x50
	s_load_b128 s[4:7], s[0:1], 0x30
	s_load_b32 s9, s[0:1], 0x0
	s_load_b32 s8, s[0:1], 0x28
	s_load_b128 s[20:23], s[0:1], 0x18
	s_load_b64 s[2:3], s[0:1], 0x40
	s_load_b32 s0, s[0:1], 0x48
	v_mov_b32_e32 v7, 0
	s_waitcnt lgkmcnt(0)
	s_mul_i32 s1, s15, s11
	s_mul_i32 s5, s15, s5
	s_mul_hi_u32 s24, s15, s4
	v_cmp_gt_i32_e32 vcc_lo, s9, v0
	s_mul_i32 s4, s15, s4
	s_add_i32 s5, s24, s5
	s_mul_hi_u32 s11, s15, s10
	s_lshl_b64 s[26:27], s[4:5], 1
	v_cndmask_b32_e32 v1, 0, v0, vcc_lo
	s_add_i32 s5, s11, s1
	s_add_u32 s1, s20, s26
	s_addc_u32 s4, s21, s27
	s_lshl_b64 s[20:21], s[22:23], 1
	s_mul_hi_i32 s25, s8, s14
	s_mul_i32 s24, s8, s14
	s_add_u32 s1, s1, s20
	s_addc_u32 s4, s4, s21
	s_lshl_b64 s[20:21], s[24:25], 1
	v_lshlrev_b32_e32 v1, 1, v1
	s_add_u32 s1, s20, s1
	s_addc_u32 s8, s21, s4
	s_ashr_i32 s4, s9, 31
	s_delay_alu instid0(SALU_CYCLE_1)
	s_lshr_b32 s11, s4, 24
	v_add_co_u32 v1, s1, s1, v1
	s_mul_i32 s4, s15, s10
	s_add_i32 s10, s9, s11
	v_add_co_ci_u32_e64 v2, null, s8, 0, s1
	s_and_b32 s8, s10, 0xffffff00
	s_cmpk_lt_i32 s9, 0x100
	s_mov_b32 s15, 0
	s_cbranch_scc1 .LBB491_11
; %bb.9:
	v_mad_i64_i32 v[3:4], null, s0, v0, 0
	s_lshl_b64 s[20:21], s[2:3], 1
	s_ashr_i32 s1, s0, 31
	s_lshl_b64 s[10:11], s[4:5], 1
	s_add_u32 s20, s6, s20
	s_addc_u32 s21, s7, s21
	s_add_u32 s10, s20, s10
	s_delay_alu instid0(VALU_DEP_1) | instskip(SKIP_3) | instid1(VALU_DEP_3)
	v_lshlrev_b64 v[3:4], 1, v[3:4]
	s_addc_u32 s11, s21, s11
	v_dual_mov_b32 v7, 0 :: v_dual_mov_b32 v6, v2
	v_mov_b32_e32 v5, v1
	v_add_co_u32 v3, vcc_lo, s10, v3
	s_delay_alu instid0(VALU_DEP_4)
	v_add_co_ci_u32_e32 v4, vcc_lo, s11, v4, vcc_lo
	s_lshl_b64 s[10:11], s[0:1], 9
	.p2align	6
.LBB491_10:                             ; =>This Inner Loop Header: Depth=1
	global_load_u16 v8, v[5:6], off
	global_load_u16 v9, v[3:4], off
	v_add_co_u32 v3, vcc_lo, v3, s10
	v_add_co_ci_u32_e32 v4, vcc_lo, s11, v4, vcc_lo
	v_add_co_u32 v5, vcc_lo, 0x200, v5
	v_add_co_ci_u32_e32 v6, vcc_lo, 0, v6, vcc_lo
	s_addk_i32 s15, 0x100
	s_delay_alu instid0(SALU_CYCLE_1) | instskip(SKIP_2) | instid1(VALU_DEP_1)
	s_cmp_ge_i32 s15, s8
	s_waitcnt vmcnt(0)
	v_mul_f16_e32 v8, v8, v9
	v_cvt_f32_f16_e32 v8, v8
	s_delay_alu instid0(VALU_DEP_1)
	v_add_f32_e32 v7, v7, v8
	s_cbranch_scc0 .LBB491_10
.LBB491_11:
	v_add_nc_u32_e32 v3, s8, v0
	s_mov_b32 s1, exec_lo
	s_delay_alu instid0(VALU_DEP_1)
	v_cmpx_gt_i32_e64 s9, v3
	s_cbranch_execz .LBB491_13
; %bb.12:
	v_mad_i64_i32 v[4:5], null, s0, v3, 0
	s_lshl_b64 s[4:5], s[4:5], 1
	s_delay_alu instid0(SALU_CYCLE_1) | instskip(SKIP_2) | instid1(SALU_CYCLE_1)
	s_add_u32 s4, s6, s4
	s_addc_u32 s5, s7, s5
	s_lshl_b64 s[2:3], s[2:3], 1
	s_add_u32 s0, s4, s2
	s_addc_u32 s4, s5, s3
	s_ashr_i32 s9, s8, 31
	v_lshlrev_b64 v[3:4], 1, v[4:5]
	s_lshl_b64 s[2:3], s[8:9], 1
	s_delay_alu instid0(SALU_CYCLE_1) | instskip(SKIP_1) | instid1(VALU_DEP_3)
	v_add_co_u32 v1, vcc_lo, v1, s2
	v_add_co_ci_u32_e32 v2, vcc_lo, s3, v2, vcc_lo
	v_add_co_u32 v3, vcc_lo, s0, v3
	s_delay_alu instid0(VALU_DEP_4) | instskip(SKIP_4) | instid1(VALU_DEP_1)
	v_add_co_ci_u32_e32 v4, vcc_lo, s4, v4, vcc_lo
	global_load_u16 v1, v[1:2], off
	global_load_u16 v2, v[3:4], off
	s_waitcnt vmcnt(0)
	v_mul_f16_e32 v1, v1, v2
	v_cvt_f32_f16_e32 v1, v1
	s_delay_alu instid0(VALU_DEP_1)
	v_add_f32_e32 v7, v7, v1
.LBB491_13:
	s_or_b32 exec_lo, exec_lo, s1
	v_lshlrev_b32_e32 v1, 2, v0
	s_mov_b32 s0, exec_lo
	ds_store_b32 v1, v7
	s_waitcnt lgkmcnt(0)
	s_barrier
	buffer_gl0_inv
	v_cmpx_gt_u32_e32 0x80, v0
	s_cbranch_execz .LBB491_15
; %bb.14:
	ds_load_2addr_stride64_b32 v[2:3], v1 offset1:2
	s_waitcnt lgkmcnt(0)
	v_add_f32_e32 v2, v3, v2
	ds_store_b32 v1, v2
.LBB491_15:
	s_or_b32 exec_lo, exec_lo, s0
	s_delay_alu instid0(SALU_CYCLE_1)
	s_mov_b32 s0, exec_lo
	s_waitcnt lgkmcnt(0)
	s_barrier
	buffer_gl0_inv
	v_cmpx_gt_u32_e32 64, v0
	s_cbranch_execz .LBB491_17
; %bb.16:
	ds_load_2addr_stride64_b32 v[2:3], v1 offset1:1
	s_waitcnt lgkmcnt(0)
	v_add_f32_e32 v2, v3, v2
	ds_store_b32 v1, v2
.LBB491_17:
	s_or_b32 exec_lo, exec_lo, s0
	s_delay_alu instid0(SALU_CYCLE_1)
	s_mov_b32 s0, exec_lo
	s_waitcnt lgkmcnt(0)
	s_barrier
	buffer_gl0_inv
	v_cmpx_gt_u32_e32 32, v0
	s_cbranch_execz .LBB491_19
; %bb.18:
	ds_load_2addr_b32 v[2:3], v1 offset1:32
	s_waitcnt lgkmcnt(0)
	v_add_f32_e32 v2, v3, v2
	ds_store_b32 v1, v2
.LBB491_19:
	s_or_b32 exec_lo, exec_lo, s0
	s_delay_alu instid0(SALU_CYCLE_1)
	s_mov_b32 s0, exec_lo
	s_waitcnt lgkmcnt(0)
	s_barrier
	buffer_gl0_inv
	v_cmpx_gt_u32_e32 16, v0
	s_cbranch_execz .LBB491_21
; %bb.20:
	ds_load_2addr_b32 v[2:3], v1 offset1:16
	s_waitcnt lgkmcnt(0)
	v_add_f32_e32 v2, v3, v2
	ds_store_b32 v1, v2
.LBB491_21:
	;; [unrolled: 14-line block ×5, first 2 shown]
	s_or_b32 exec_lo, exec_lo, s0
	v_cmp_eq_u32_e32 vcc_lo, 0, v0
	s_waitcnt lgkmcnt(0)
	s_barrier
	buffer_gl0_inv
	s_and_saveexec_b32 s0, vcc_lo
	s_cbranch_execz .LBB491_29
; %bb.28:
	v_mov_b32_e32 v2, 0
	ds_load_b64 v[0:1], v2
	s_waitcnt lgkmcnt(0)
	v_add_f32_e32 v0, v1, v0
	ds_store_b32 v2, v0
.LBB491_29:
	s_or_b32 exec_lo, exec_lo, s0
	s_waitcnt lgkmcnt(0)
	s_barrier
	buffer_gl0_inv
                                        ; implicit-def: $vgpr1
                                        ; implicit-def: $sgpr4_sgpr5
	s_and_saveexec_b32 s0, vcc_lo
	s_cbranch_execz .LBB491_33
; %bb.30:
	v_mov_b32_e32 v0, 0
	v_cmp_eq_f32_e64 s1, s16, 0
	s_mul_hi_i32 s5, s19, s14
	s_mul_i32 s4, s19, s14
	ds_load_b32 v0, v0
	s_and_b32 vcc_lo, exec_lo, s1
	s_waitcnt lgkmcnt(0)
	v_mul_f32_e32 v1, s18, v0
	s_cbranch_vccnz .LBB491_32
; %bb.31:
	s_lshl_b64 s[2:3], s[4:5], 2
	s_delay_alu instid0(SALU_CYCLE_1)
	s_add_u32 s2, s12, s2
	s_addc_u32 s3, s13, s3
	s_load_b32 s1, s[2:3], 0x0
	s_waitcnt lgkmcnt(0)
	v_fmac_f32_e64 v1, s1, s16
.LBB491_32:
	s_or_b32 s17, s17, exec_lo
.LBB491_33:
	s_or_b32 exec_lo, exec_lo, s0
.LBB491_34:
	s_and_saveexec_b32 s0, s17
	s_cbranch_execz .LBB491_36
; %bb.35:
	s_lshl_b64 s[0:1], s[4:5], 2
	v_mov_b32_e32 v0, 0
	s_add_u32 s0, s12, s0
	s_addc_u32 s1, s13, s1
	global_store_b32 v0, v1, s[0:1]
.LBB491_36:
	s_nop 0
	s_sendmsg sendmsg(MSG_DEALLOC_VGPRS)
	s_endpgm
	.section	.rodata,"a",@progbits
	.p2align	6, 0x0
	.amdhsa_kernel _ZL20rocblas_gemvt_kernelILb0ELi256EDF16_ffEviiT2_lPKT1_lilS3_lilS0_lPT3_lili
		.amdhsa_group_segment_fixed_size 1024
		.amdhsa_private_segment_fixed_size 0
		.amdhsa_kernarg_size 140
		.amdhsa_user_sgpr_count 14
		.amdhsa_user_sgpr_dispatch_ptr 0
		.amdhsa_user_sgpr_queue_ptr 0
		.amdhsa_user_sgpr_kernarg_segment_ptr 1
		.amdhsa_user_sgpr_dispatch_id 0
		.amdhsa_user_sgpr_private_segment_size 0
		.amdhsa_wavefront_size32 1
		.amdhsa_uses_dynamic_stack 0
		.amdhsa_enable_private_segment 0
		.amdhsa_system_sgpr_workgroup_id_x 1
		.amdhsa_system_sgpr_workgroup_id_y 0
		.amdhsa_system_sgpr_workgroup_id_z 1
		.amdhsa_system_sgpr_workgroup_info 0
		.amdhsa_system_vgpr_workitem_id 0
		.amdhsa_next_free_vgpr 10
		.amdhsa_next_free_sgpr 28
		.amdhsa_reserve_vcc 1
		.amdhsa_float_round_mode_32 0
		.amdhsa_float_round_mode_16_64 0
		.amdhsa_float_denorm_mode_32 3
		.amdhsa_float_denorm_mode_16_64 3
		.amdhsa_dx10_clamp 1
		.amdhsa_ieee_mode 1
		.amdhsa_fp16_overflow 0
		.amdhsa_workgroup_processor_mode 1
		.amdhsa_memory_ordered 1
		.amdhsa_forward_progress 0
		.amdhsa_shared_vgpr_count 0
		.amdhsa_exception_fp_ieee_invalid_op 0
		.amdhsa_exception_fp_denorm_src 0
		.amdhsa_exception_fp_ieee_div_zero 0
		.amdhsa_exception_fp_ieee_overflow 0
		.amdhsa_exception_fp_ieee_underflow 0
		.amdhsa_exception_fp_ieee_inexact 0
		.amdhsa_exception_int_div_zero 0
	.end_amdhsa_kernel
	.section	.text._ZL20rocblas_gemvt_kernelILb0ELi256EDF16_ffEviiT2_lPKT1_lilS3_lilS0_lPT3_lili,"axG",@progbits,_ZL20rocblas_gemvt_kernelILb0ELi256EDF16_ffEviiT2_lPKT1_lilS3_lilS0_lPT3_lili,comdat
.Lfunc_end491:
	.size	_ZL20rocblas_gemvt_kernelILb0ELi256EDF16_ffEviiT2_lPKT1_lilS3_lilS0_lPT3_lili, .Lfunc_end491-_ZL20rocblas_gemvt_kernelILb0ELi256EDF16_ffEviiT2_lPKT1_lilS3_lilS0_lPT3_lili
                                        ; -- End function
	.section	.AMDGPU.csdata,"",@progbits
; Kernel info:
; codeLenInByte = 1452
; NumSgprs: 30
; NumVgprs: 10
; ScratchSize: 0
; MemoryBound: 0
; FloatMode: 240
; IeeeMode: 1
; LDSByteSize: 1024 bytes/workgroup (compile time only)
; SGPRBlocks: 3
; VGPRBlocks: 1
; NumSGPRsForWavesPerEU: 30
; NumVGPRsForWavesPerEU: 10
; Occupancy: 16
; WaveLimiterHint : 1
; COMPUTE_PGM_RSRC2:SCRATCH_EN: 0
; COMPUTE_PGM_RSRC2:USER_SGPR: 14
; COMPUTE_PGM_RSRC2:TRAP_HANDLER: 0
; COMPUTE_PGM_RSRC2:TGID_X_EN: 1
; COMPUTE_PGM_RSRC2:TGID_Y_EN: 0
; COMPUTE_PGM_RSRC2:TGID_Z_EN: 1
; COMPUTE_PGM_RSRC2:TIDIG_COMP_CNT: 0
	.section	.text._ZL32rocblas_gemvt_warp_reduce_kernelILb0ELi1024EiDF16_PKffEviiT3_lPKT2_lT1_lS5_lS6_lS2_lPT4_lS6_li,"axG",@progbits,_ZL32rocblas_gemvt_warp_reduce_kernelILb0ELi1024EiDF16_PKffEviiT3_lPKT2_lT1_lS5_lS6_lS2_lPT4_lS6_li,comdat
	.globl	_ZL32rocblas_gemvt_warp_reduce_kernelILb0ELi1024EiDF16_PKffEviiT3_lPKT2_lT1_lS5_lS6_lS2_lPT4_lS6_li ; -- Begin function _ZL32rocblas_gemvt_warp_reduce_kernelILb0ELi1024EiDF16_PKffEviiT3_lPKT2_lT1_lS5_lS6_lS2_lPT4_lS6_li
	.p2align	8
	.type	_ZL32rocblas_gemvt_warp_reduce_kernelILb0ELi1024EiDF16_PKffEviiT3_lPKT2_lT1_lS5_lS6_lS2_lPT4_lS6_li,@function
_ZL32rocblas_gemvt_warp_reduce_kernelILb0ELi1024EiDF16_PKffEviiT3_lPKT2_lT1_lS5_lS6_lS2_lPT4_lS6_li: ; @_ZL32rocblas_gemvt_warp_reduce_kernelILb0ELi1024EiDF16_PKffEviiT3_lPKT2_lT1_lS5_lS6_lS2_lPT4_lS6_li
; %bb.0:
	s_clause 0x1
	s_load_b256 s[4:11], s[0:1], 0x8
	s_load_b256 s[16:23], s[0:1], 0x50
	s_mov_b32 s13, 0
	s_waitcnt lgkmcnt(0)
	s_mul_i32 s3, s15, s7
	s_mul_hi_u32 s7, s15, s6
	s_mul_i32 s2, s15, s6
	s_add_i32 s3, s7, s3
	s_mul_i32 s6, s15, s21
	s_lshl_b64 s[2:3], s[2:3], 2
	s_mul_hi_u32 s7, s15, s20
	s_add_u32 s2, s4, s2
	s_addc_u32 s3, s5, s3
	s_add_i32 s5, s7, s6
	s_mul_i32 s4, s15, s20
	s_delay_alu instid0(SALU_CYCLE_1) | instskip(NEXT) | instid1(SALU_CYCLE_1)
	s_lshl_b64 s[4:5], s[4:5], 2
	s_add_u32 s4, s18, s4
	s_addc_u32 s5, s19, s5
	s_load_b32 s18, s[2:3], 0x0
	s_load_b32 s12, s[4:5], 0x0
	s_waitcnt lgkmcnt(0)
	v_cmp_eq_f32_e64 s2, s18, 0
	v_cmp_eq_f32_e64 s3, s12, 1.0
	s_delay_alu instid0(VALU_DEP_1) | instskip(NEXT) | instid1(SALU_CYCLE_1)
	s_and_b32 s2, s2, s3
	s_and_b32 vcc_lo, exec_lo, s2
	s_cbranch_vccnz .LBB492_29
; %bb.1:
	s_clause 0x2
	s_load_b64 s[2:3], s[0:1], 0x80
	s_load_b64 s[4:5], s[0:1], 0x70
	s_load_b32 s19, s[0:1], 0x78
	v_cmp_neq_f32_e64 s20, s18, 0
	s_waitcnt lgkmcnt(0)
	s_mul_i32 s3, s15, s3
	s_mul_hi_u32 s6, s15, s2
	s_mul_i32 s2, s15, s2
	s_add_i32 s3, s6, s3
	s_delay_alu instid0(SALU_CYCLE_1) | instskip(NEXT) | instid1(SALU_CYCLE_1)
	s_lshl_b64 s[2:3], s[2:3], 2
	s_add_u32 s6, s22, s2
	s_addc_u32 s7, s23, s3
	s_lshl_b64 s[2:3], s[4:5], 2
	s_delay_alu instid0(SALU_CYCLE_1)
	s_add_u32 s6, s6, s2
	v_cmp_eq_u32_e64 s2, 0, v0
	s_addc_u32 s7, s7, s3
	s_and_b32 vcc_lo, exec_lo, s20
	s_cbranch_vccnz .LBB492_6
; %bb.2:
	s_mov_b32 s3, 0
                                        ; implicit-def: $vgpr1
                                        ; implicit-def: $sgpr4_sgpr5
	s_and_saveexec_b32 s20, s2
	s_cbranch_execz .LBB492_7
; %bb.3:
	v_cmp_eq_f32_e64 s2, s12, 0
	v_mov_b32_e32 v1, 0
	s_mul_i32 s4, s14, s19
	s_delay_alu instid0(SALU_CYCLE_1) | instskip(NEXT) | instid1(VALU_DEP_2)
	s_ashr_i32 s5, s4, 31
	s_and_b32 vcc_lo, exec_lo, s2
	s_cbranch_vccnz .LBB492_5
; %bb.4:
	s_lshl_b64 s[22:23], s[4:5], 2
	s_delay_alu instid0(SALU_CYCLE_1)
	s_add_u32 s22, s6, s22
	s_addc_u32 s23, s7, s23
	s_load_b32 s2, s[22:23], 0x0
	s_waitcnt lgkmcnt(0)
	v_mul_f32_e64 v1, s12, s2
.LBB492_5:
	s_mov_b32 s13, exec_lo
	s_or_b32 exec_lo, exec_lo, s20
	s_delay_alu instid0(SALU_CYCLE_1)
	s_and_b32 vcc_lo, exec_lo, s3
	s_cbranch_vccnz .LBB492_8
	s_branch .LBB492_27
.LBB492_6:
                                        ; implicit-def: $vgpr1
                                        ; implicit-def: $sgpr4_sgpr5
	s_cbranch_execnz .LBB492_8
	s_branch .LBB492_27
.LBB492_7:
	s_or_b32 exec_lo, exec_lo, s20
	s_delay_alu instid0(SALU_CYCLE_1)
	s_and_b32 vcc_lo, exec_lo, s3
	s_cbranch_vccz .LBB492_27
.LBB492_8:
	s_mul_i32 s3, s15, s17
	s_mul_hi_u32 s17, s15, s16
	s_mul_i32 s2, s15, s16
	s_add_i32 s3, s17, s3
	s_clause 0x2
	s_load_b128 s[20:23], s[0:1], 0x30
	s_load_b64 s[4:5], s[0:1], 0x40
	s_load_b32 s24, s[0:1], 0x28
	s_lshl_b64 s[16:17], s[2:3], 1
	s_clause 0x1
	s_load_b32 s3, s[0:1], 0x0
	s_load_b32 s1, s[0:1], 0x48
	v_mov_b32_e32 v7, 0
	s_waitcnt lgkmcnt(0)
	s_add_u32 s2, s22, s16
	s_addc_u32 s17, s23, s17
	s_lshl_b64 s[4:5], s[4:5], 1
	s_mul_i32 s21, s15, s21
	s_mul_hi_u32 s22, s15, s20
	s_add_u32 s4, s2, s4
	v_cmp_gt_i32_e32 vcc_lo, s3, v0
	s_mul_i32 s16, s15, s20
	s_addc_u32 s5, s17, s5
	s_add_i32 s17, s22, s21
	s_delay_alu instid0(SALU_CYCLE_1)
	s_lshl_b64 s[16:17], s[16:17], 1
	v_cndmask_b32_e32 v1, 0, v0, vcc_lo
	s_add_u32 s2, s8, s16
	s_addc_u32 s15, s9, s17
	s_lshl_b64 s[8:9], s[10:11], 1
	s_mul_i32 s10, s14, s24
	s_add_u32 s2, s2, s8
	s_addc_u32 s15, s15, s9
	s_ashr_i32 s11, s10, 31
	v_lshlrev_b32_e32 v1, 1, v1
	s_lshl_b64 s[8:9], s[10:11], 1
	s_delay_alu instid0(SALU_CYCLE_1)
	s_add_u32 s0, s8, s2
	s_addc_u32 s8, s9, s15
	s_ashr_i32 s2, s3, 31
	v_add_co_u32 v1, s0, s0, v1
	s_lshr_b32 s2, s2, 22
	v_add_co_ci_u32_e64 v2, null, s8, 0, s0
	s_add_i32 s2, s3, s2
	s_mov_b32 s9, 0
	s_and_b32 s2, s2, 0xfffffc00
	s_mov_b32 s8, exec_lo
	v_cmpx_gt_i32_e64 s2, v0
	s_cbranch_execz .LBB492_12
; %bb.9:
	v_mul_lo_u32 v3, v0, s1
	v_dual_mov_b32 v7, 0 :: v_dual_mov_b32 v6, v2
	v_dual_mov_b32 v5, v1 :: v_dual_mov_b32 v8, v0
	s_lshl_b32 s10, s1, 10
	.p2align	6
.LBB492_10:                             ; =>This Inner Loop Header: Depth=1
	s_delay_alu instid0(VALU_DEP_3) | instskip(NEXT) | instid1(VALU_DEP_2)
	v_ashrrev_i32_e32 v4, 31, v3
	v_add_nc_u32_e32 v8, 0x400, v8
	s_delay_alu instid0(VALU_DEP_2) | instskip(NEXT) | instid1(VALU_DEP_2)
	v_lshlrev_b64 v[9:10], 1, v[3:4]
	v_cmp_le_i32_e64 s0, s2, v8
	v_add_nc_u32_e32 v3, s10, v3
	s_delay_alu instid0(VALU_DEP_2) | instskip(NEXT) | instid1(VALU_DEP_3)
	s_or_b32 s9, s0, s9
	v_add_co_u32 v9, vcc_lo, s4, v9
	s_delay_alu instid0(VALU_DEP_4)
	v_add_co_ci_u32_e32 v10, vcc_lo, s5, v10, vcc_lo
	global_load_u16 v4, v[5:6], off
	global_load_u16 v9, v[9:10], off
	v_add_co_u32 v5, vcc_lo, 0x800, v5
	v_add_co_ci_u32_e32 v6, vcc_lo, 0, v6, vcc_lo
	s_waitcnt vmcnt(0)
	v_mul_f16_e32 v4, v4, v9
	s_delay_alu instid0(VALU_DEP_1) | instskip(NEXT) | instid1(VALU_DEP_1)
	v_cvt_f32_f16_e32 v4, v4
	v_add_f32_e32 v7, v7, v4
	s_and_not1_b32 exec_lo, exec_lo, s9
	s_cbranch_execnz .LBB492_10
; %bb.11:
	s_or_b32 exec_lo, exec_lo, s9
.LBB492_12:
	s_delay_alu instid0(SALU_CYCLE_1) | instskip(SKIP_2) | instid1(VALU_DEP_1)
	s_or_b32 exec_lo, exec_lo, s8
	v_or_b32_e32 v3, s2, v0
	s_mov_b32 s0, exec_lo
	v_cmpx_gt_i32_e64 s3, v3
	s_cbranch_execz .LBB492_14
; %bb.13:
	v_mul_lo_u32 v3, v3, s1
	s_ashr_i32 s3, s2, 31
	s_delay_alu instid0(SALU_CYCLE_1) | instskip(NEXT) | instid1(SALU_CYCLE_1)
	s_lshl_b64 s[2:3], s[2:3], 1
	v_add_co_u32 v1, vcc_lo, v1, s2
	v_add_co_ci_u32_e32 v2, vcc_lo, s3, v2, vcc_lo
	s_delay_alu instid0(VALU_DEP_3) | instskip(NEXT) | instid1(VALU_DEP_1)
	v_ashrrev_i32_e32 v4, 31, v3
	v_lshlrev_b64 v[3:4], 1, v[3:4]
	s_delay_alu instid0(VALU_DEP_1) | instskip(NEXT) | instid1(VALU_DEP_2)
	v_add_co_u32 v3, vcc_lo, s4, v3
	v_add_co_ci_u32_e32 v4, vcc_lo, s5, v4, vcc_lo
	global_load_u16 v1, v[1:2], off
	global_load_u16 v2, v[3:4], off
	s_waitcnt vmcnt(0)
	v_mul_f16_e32 v1, v1, v2
	s_delay_alu instid0(VALU_DEP_1) | instskip(NEXT) | instid1(VALU_DEP_1)
	v_cvt_f32_f16_e32 v1, v1
	v_add_f32_e32 v7, v7, v1
.LBB492_14:
	s_or_b32 exec_lo, exec_lo, s0
	v_and_b32_e32 v6, 31, v0
	v_cmp_gt_u32_e32 vcc_lo, 32, v0
	s_delay_alu instid0(VALU_DEP_2)
	v_lshlrev_b32_e32 v1, 2, v6
	s_and_saveexec_b32 s0, vcc_lo
	s_cbranch_execz .LBB492_16
; %bb.15:
	v_mov_b32_e32 v2, 0
	ds_store_b32 v1, v2
.LBB492_16:
	s_or_b32 exec_lo, exec_lo, s0
	v_mbcnt_lo_u32_b32 v8, -1, 0
	s_mov_b32 s1, exec_lo
	s_waitcnt lgkmcnt(0)
	s_barrier
	buffer_gl0_inv
	v_cmp_gt_u32_e64 s0, 16, v8
	s_delay_alu instid0(VALU_DEP_1) | instskip(SKIP_1) | instid1(VALU_DEP_2)
	v_cndmask_b32_e64 v2, 0, 1, s0
	v_cmp_gt_u32_e64 s0, 24, v8
	v_lshlrev_b32_e32 v2, 4, v2
	s_delay_alu instid0(VALU_DEP_2) | instskip(SKIP_1) | instid1(VALU_DEP_3)
	v_cndmask_b32_e64 v3, 0, 1, s0
	v_cmp_gt_u32_e64 s0, 28, v8
	v_add_lshl_u32 v2, v2, v8, 2
	s_delay_alu instid0(VALU_DEP_3)
	v_lshlrev_b32_e32 v3, 3, v3
	ds_bpermute_b32 v4, v2, v7
	v_add_lshl_u32 v3, v3, v8, 2
	s_waitcnt lgkmcnt(0)
	v_add_f32_e32 v5, v7, v4
	v_cndmask_b32_e64 v4, 0, 1, s0
	v_cmp_gt_u32_e64 s0, 30, v8
	ds_bpermute_b32 v7, v3, v5
	s_waitcnt lgkmcnt(0)
	v_dual_add_f32 v7, v5, v7 :: v_dual_lshlrev_b32 v4, 2, v4
	s_delay_alu instid0(VALU_DEP_1)
	v_add_lshl_u32 v4, v4, v8, 2
	v_cndmask_b32_e64 v5, 0, 1, s0
	v_cmp_ne_u32_e64 s0, 31, v8
	ds_bpermute_b32 v9, v4, v7
	v_lshlrev_b32_e32 v5, 1, v5
	v_add_co_ci_u32_e64 v10, s0, 0, v8, s0
	s_delay_alu instid0(VALU_DEP_2)
	v_add_lshl_u32 v5, v5, v8, 2
	s_waitcnt lgkmcnt(0)
	v_add_f32_e32 v7, v7, v9
	ds_bpermute_b32 v9, v5, v7
	s_waitcnt lgkmcnt(0)
	v_dual_add_f32 v8, v7, v9 :: v_dual_lshlrev_b32 v7, 2, v10
	ds_bpermute_b32 v9, v7, v8
	v_cmpx_eq_u32_e32 0, v6
	s_cbranch_execz .LBB492_18
; %bb.17:
	v_lshrrev_b32_e32 v6, 3, v0
	s_waitcnt lgkmcnt(0)
	v_add_f32_e32 v8, v8, v9
	s_delay_alu instid0(VALU_DEP_2)
	v_and_b32_e32 v6, 0x7c, v6
	ds_store_b32 v6, v8
.LBB492_18:
	s_or_b32 exec_lo, exec_lo, s1
	v_mov_b32_e32 v6, 0
	s_waitcnt lgkmcnt(0)
	s_barrier
	buffer_gl0_inv
	s_and_saveexec_b32 s0, vcc_lo
	s_cbranch_execz .LBB492_20
; %bb.19:
	ds_load_b32 v6, v1
.LBB492_20:
	s_or_b32 exec_lo, exec_lo, s0
	s_and_saveexec_b32 s0, vcc_lo
	s_cbranch_execz .LBB492_22
; %bb.21:
	s_waitcnt lgkmcnt(0)
	ds_bpermute_b32 v1, v2, v6
	s_waitcnt lgkmcnt(0)
	v_add_f32_e32 v1, v6, v1
	ds_bpermute_b32 v2, v3, v1
	s_waitcnt lgkmcnt(0)
	v_add_f32_e32 v1, v1, v2
	;; [unrolled: 3-line block ×5, first 2 shown]
.LBB492_22:
	s_or_b32 exec_lo, exec_lo, s0
	s_delay_alu instid0(SALU_CYCLE_1)
	s_mov_b32 s0, exec_lo
                                        ; implicit-def: $vgpr1
                                        ; implicit-def: $sgpr4_sgpr5
	v_cmpx_eq_u32_e32 0, v0
	s_cbranch_execz .LBB492_26
; %bb.23:
	v_cmp_eq_f32_e64 s1, s12, 0
	s_waitcnt lgkmcnt(0)
	v_mul_f32_e32 v1, s18, v6
	s_mul_i32 s4, s14, s19
	s_delay_alu instid0(SALU_CYCLE_1)
	s_ashr_i32 s5, s4, 31
	s_and_b32 vcc_lo, exec_lo, s1
	s_cbranch_vccnz .LBB492_25
; %bb.24:
	s_lshl_b64 s[2:3], s[4:5], 2
	s_delay_alu instid0(SALU_CYCLE_1)
	s_add_u32 s2, s6, s2
	s_addc_u32 s3, s7, s3
	s_load_b32 s1, s[2:3], 0x0
	s_waitcnt lgkmcnt(0)
	v_fmac_f32_e64 v1, s12, s1
.LBB492_25:
	s_or_b32 s13, s13, exec_lo
.LBB492_26:
	s_or_b32 exec_lo, exec_lo, s0
.LBB492_27:
	s_and_saveexec_b32 s0, s13
	s_cbranch_execz .LBB492_29
; %bb.28:
	s_lshl_b64 s[0:1], s[4:5], 2
	v_mov_b32_e32 v0, 0
	s_add_u32 s0, s6, s0
	s_addc_u32 s1, s7, s1
	global_store_b32 v0, v1, s[0:1]
.LBB492_29:
	s_nop 0
	s_sendmsg sendmsg(MSG_DEALLOC_VGPRS)
	s_endpgm
	.section	.rodata,"a",@progbits
	.p2align	6, 0x0
	.amdhsa_kernel _ZL32rocblas_gemvt_warp_reduce_kernelILb0ELi1024EiDF16_PKffEviiT3_lPKT2_lT1_lS5_lS6_lS2_lPT4_lS6_li
		.amdhsa_group_segment_fixed_size 128
		.amdhsa_private_segment_fixed_size 0
		.amdhsa_kernarg_size 140
		.amdhsa_user_sgpr_count 14
		.amdhsa_user_sgpr_dispatch_ptr 0
		.amdhsa_user_sgpr_queue_ptr 0
		.amdhsa_user_sgpr_kernarg_segment_ptr 1
		.amdhsa_user_sgpr_dispatch_id 0
		.amdhsa_user_sgpr_private_segment_size 0
		.amdhsa_wavefront_size32 1
		.amdhsa_uses_dynamic_stack 0
		.amdhsa_enable_private_segment 0
		.amdhsa_system_sgpr_workgroup_id_x 1
		.amdhsa_system_sgpr_workgroup_id_y 0
		.amdhsa_system_sgpr_workgroup_id_z 1
		.amdhsa_system_sgpr_workgroup_info 0
		.amdhsa_system_vgpr_workitem_id 0
		.amdhsa_next_free_vgpr 11
		.amdhsa_next_free_sgpr 25
		.amdhsa_reserve_vcc 1
		.amdhsa_float_round_mode_32 0
		.amdhsa_float_round_mode_16_64 0
		.amdhsa_float_denorm_mode_32 3
		.amdhsa_float_denorm_mode_16_64 3
		.amdhsa_dx10_clamp 1
		.amdhsa_ieee_mode 1
		.amdhsa_fp16_overflow 0
		.amdhsa_workgroup_processor_mode 1
		.amdhsa_memory_ordered 1
		.amdhsa_forward_progress 0
		.amdhsa_shared_vgpr_count 0
		.amdhsa_exception_fp_ieee_invalid_op 0
		.amdhsa_exception_fp_denorm_src 0
		.amdhsa_exception_fp_ieee_div_zero 0
		.amdhsa_exception_fp_ieee_overflow 0
		.amdhsa_exception_fp_ieee_underflow 0
		.amdhsa_exception_fp_ieee_inexact 0
		.amdhsa_exception_int_div_zero 0
	.end_amdhsa_kernel
	.section	.text._ZL32rocblas_gemvt_warp_reduce_kernelILb0ELi1024EiDF16_PKffEviiT3_lPKT2_lT1_lS5_lS6_lS2_lPT4_lS6_li,"axG",@progbits,_ZL32rocblas_gemvt_warp_reduce_kernelILb0ELi1024EiDF16_PKffEviiT3_lPKT2_lT1_lS5_lS6_lS2_lPT4_lS6_li,comdat
.Lfunc_end492:
	.size	_ZL32rocblas_gemvt_warp_reduce_kernelILb0ELi1024EiDF16_PKffEviiT3_lPKT2_lT1_lS5_lS6_lS2_lPT4_lS6_li, .Lfunc_end492-_ZL32rocblas_gemvt_warp_reduce_kernelILb0ELi1024EiDF16_PKffEviiT3_lPKT2_lT1_lS5_lS6_lS2_lPT4_lS6_li
                                        ; -- End function
	.section	.AMDGPU.csdata,"",@progbits
; Kernel info:
; codeLenInByte = 1504
; NumSgprs: 27
; NumVgprs: 11
; ScratchSize: 0
; MemoryBound: 0
; FloatMode: 240
; IeeeMode: 1
; LDSByteSize: 128 bytes/workgroup (compile time only)
; SGPRBlocks: 3
; VGPRBlocks: 1
; NumSGPRsForWavesPerEU: 27
; NumVGPRsForWavesPerEU: 11
; Occupancy: 16
; WaveLimiterHint : 1
; COMPUTE_PGM_RSRC2:SCRATCH_EN: 0
; COMPUTE_PGM_RSRC2:USER_SGPR: 14
; COMPUTE_PGM_RSRC2:TRAP_HANDLER: 0
; COMPUTE_PGM_RSRC2:TGID_X_EN: 1
; COMPUTE_PGM_RSRC2:TGID_Y_EN: 0
; COMPUTE_PGM_RSRC2:TGID_Z_EN: 1
; COMPUTE_PGM_RSRC2:TIDIG_COMP_CNT: 0
	.section	.text._ZL32rocblas_gemvt_warp_reduce_kernelILb0ELi1024ElDF16_PKffEviiT3_lPKT2_lT1_lS5_lS6_lS2_lPT4_lS6_li,"axG",@progbits,_ZL32rocblas_gemvt_warp_reduce_kernelILb0ELi1024ElDF16_PKffEviiT3_lPKT2_lT1_lS5_lS6_lS2_lPT4_lS6_li,comdat
	.globl	_ZL32rocblas_gemvt_warp_reduce_kernelILb0ELi1024ElDF16_PKffEviiT3_lPKT2_lT1_lS5_lS6_lS2_lPT4_lS6_li ; -- Begin function _ZL32rocblas_gemvt_warp_reduce_kernelILb0ELi1024ElDF16_PKffEviiT3_lPKT2_lT1_lS5_lS6_lS2_lPT4_lS6_li
	.p2align	8
	.type	_ZL32rocblas_gemvt_warp_reduce_kernelILb0ELi1024ElDF16_PKffEviiT3_lPKT2_lT1_lS5_lS6_lS2_lPT4_lS6_li,@function
_ZL32rocblas_gemvt_warp_reduce_kernelILb0ELi1024ElDF16_PKffEviiT3_lPKT2_lT1_lS5_lS6_lS2_lPT4_lS6_li: ; @_ZL32rocblas_gemvt_warp_reduce_kernelILb0ELi1024ElDF16_PKffEviiT3_lPKT2_lT1_lS5_lS6_lS2_lPT4_lS6_li
; %bb.0:
	s_clause 0x1
	s_load_b512 s[36:51], s[0:1], 0x8
	s_load_b512 s[16:31], s[0:1], 0x48
	s_mov_b32 s11, 0
	s_waitcnt lgkmcnt(0)
	s_mul_i32 s3, s15, s39
	s_mul_hi_u32 s4, s15, s38
	s_mul_i32 s2, s15, s38
	s_add_i32 s3, s4, s3
	s_mul_i32 s4, s15, s23
	s_lshl_b64 s[2:3], s[2:3], 2
	s_mul_hi_u32 s5, s15, s22
	s_add_u32 s2, s36, s2
	s_addc_u32 s3, s37, s3
	s_add_i32 s5, s5, s4
	s_mul_i32 s4, s15, s22
	s_delay_alu instid0(SALU_CYCLE_1) | instskip(NEXT) | instid1(SALU_CYCLE_1)
	s_lshl_b64 s[4:5], s[4:5], 2
	s_add_u32 s4, s20, s4
	s_addc_u32 s5, s21, s5
	s_load_b32 s12, s[2:3], 0x0
	s_load_b32 s10, s[4:5], 0x0
	s_waitcnt lgkmcnt(0)
	v_cmp_eq_f32_e64 s2, s12, 0
	v_cmp_eq_f32_e64 s3, s10, 1.0
	s_delay_alu instid0(VALU_DEP_1) | instskip(NEXT) | instid1(SALU_CYCLE_1)
	s_and_b32 s2, s2, s3
	s_and_b32 vcc_lo, exec_lo, s2
	s_cbranch_vccnz .LBB493_29
; %bb.1:
	s_mul_i32 s3, s15, s31
	s_mul_hi_u32 s4, s15, s30
	s_mul_i32 s2, s15, s30
	s_add_i32 s3, s4, s3
	v_cmp_neq_f32_e64 s4, s12, 0
	s_lshl_b64 s[2:3], s[2:3], 2
	s_delay_alu instid0(SALU_CYCLE_1) | instskip(SKIP_2) | instid1(SALU_CYCLE_1)
	s_add_u32 s5, s24, s2
	s_addc_u32 s6, s25, s3
	s_lshl_b64 s[2:3], s[26:27], 2
	s_add_u32 s8, s5, s2
	v_cmp_eq_u32_e64 s2, 0, v0
	s_addc_u32 s9, s6, s3
	s_and_b32 vcc_lo, exec_lo, s4
	s_cbranch_vccnz .LBB493_6
; %bb.2:
	s_mov_b32 s3, 0
                                        ; implicit-def: $vgpr1
                                        ; implicit-def: $sgpr4_sgpr5
	s_and_saveexec_b32 s6, s2
	s_cbranch_execz .LBB493_7
; %bb.3:
	v_cmp_eq_f32_e64 s2, s10, 0
	s_mul_i32 s4, s14, s29
	s_mul_hi_u32 s5, s14, s28
	s_ashr_i32 s7, s14, 31
	v_mov_b32_e32 v1, 0
	s_add_i32 s4, s5, s4
	s_mul_i32 s7, s7, s28
	s_and_b32 vcc_lo, exec_lo, s2
	s_add_i32 s5, s4, s7
	s_mul_i32 s4, s14, s28
	s_cbranch_vccnz .LBB493_5
; %bb.4:
	s_lshl_b64 s[20:21], s[4:5], 2
	s_delay_alu instid0(SALU_CYCLE_1)
	s_add_u32 s20, s8, s20
	s_addc_u32 s21, s9, s21
	s_load_b32 s2, s[20:21], 0x0
	s_waitcnt lgkmcnt(0)
	v_mul_f32_e64 v1, s10, s2
.LBB493_5:
	s_mov_b32 s11, exec_lo
	s_or_b32 exec_lo, exec_lo, s6
	s_delay_alu instid0(SALU_CYCLE_1)
	s_and_b32 vcc_lo, exec_lo, s3
	s_cbranch_vccnz .LBB493_8
	s_branch .LBB493_27
.LBB493_6:
                                        ; implicit-def: $vgpr1
                                        ; implicit-def: $sgpr4_sgpr5
	s_cbranch_execnz .LBB493_8
	s_branch .LBB493_27
.LBB493_7:
	s_or_b32 exec_lo, exec_lo, s6
	s_delay_alu instid0(SALU_CYCLE_1)
	s_and_b32 vcc_lo, exec_lo, s3
	s_cbranch_vccz .LBB493_27
.LBB493_8:
	s_load_b32 s5, s[0:1], 0x0
	s_mul_i32 s3, s15, s47
	s_mul_hi_u32 s4, s15, s46
	s_mul_i32 s0, s15, s46
	s_add_i32 s1, s4, s3
	s_mul_i32 s2, s15, s19
	s_mul_hi_u32 s3, s15, s18
	s_lshl_b64 s[0:1], s[0:1], 1
	s_add_i32 s3, s3, s2
	s_add_u32 s2, s40, s0
	s_addc_u32 s4, s41, s1
	s_lshl_b64 s[0:1], s[42:43], 1
	s_mul_hi_u32 s6, s14, s44
	s_add_u32 s0, s2, s0
	s_addc_u32 s2, s4, s1
	s_mul_i32 s4, s14, s45
	s_ashr_i32 s1, s14, 31
	s_add_i32 s4, s6, s4
	s_mul_i32 s6, s1, s44
	v_mov_b32_e32 v7, 0
	s_waitcnt lgkmcnt(0)
	v_cmp_gt_i32_e32 vcc_lo, s5, v0
	s_add_i32 s7, s4, s6
	s_mul_i32 s6, s14, s44
	s_mov_b32 s13, exec_lo
	s_lshl_b64 s[6:7], s[6:7], 1
	v_cndmask_b32_e32 v1, 0, v0, vcc_lo
	s_add_u32 s0, s6, s0
	s_addc_u32 s2, s7, s2
	s_ashr_i32 s4, s5, 31
	s_delay_alu instid0(SALU_CYCLE_1) | instskip(SKIP_2) | instid1(SALU_CYCLE_1)
	s_lshr_b32 s4, s4, 22
	v_lshlrev_b32_e32 v1, 1, v1
	s_add_i32 s4, s5, s4
	s_and_b32 s4, s4, 0xfffffc00
	s_delay_alu instid0(VALU_DEP_1) | instskip(NEXT) | instid1(VALU_DEP_1)
	v_add_co_u32 v1, s0, s0, v1
	v_add_co_ci_u32_e64 v2, null, s2, 0, s0
	s_mul_i32 s2, s15, s18
	s_mov_b32 s15, 0
	v_cmpx_gt_i32_e64 s4, v0
	s_cbranch_execz .LBB493_12
; %bb.9:
	v_mad_u64_u32 v[5:6], null, s16, v0, 0
	s_lshl_b64 s[18:19], s[50:51], 1
	s_lshl_b64 s[6:7], s[2:3], 1
	s_add_u32 s0, s48, s18
	s_addc_u32 s18, s49, s19
	s_add_u32 s0, s0, s6
	s_addc_u32 s6, s18, s7
	s_delay_alu instid0(VALU_DEP_1) | instskip(NEXT) | instid1(VALU_DEP_1)
	v_dual_mov_b32 v3, v6 :: v_dual_mov_b32 v8, v0
	v_mad_u64_u32 v[6:7], null, s17, v0, v[3:4]
	v_dual_mov_b32 v7, 0 :: v_dual_mov_b32 v4, v2
	v_mov_b32_e32 v3, v1
	s_delay_alu instid0(VALU_DEP_3) | instskip(NEXT) | instid1(VALU_DEP_1)
	v_lshlrev_b64 v[5:6], 1, v[5:6]
	v_add_co_u32 v5, vcc_lo, s0, v5
	s_delay_alu instid0(VALU_DEP_2)
	v_add_co_ci_u32_e32 v6, vcc_lo, s6, v6, vcc_lo
	s_lshl_b64 s[6:7], s[16:17], 11
	.p2align	6
.LBB493_10:                             ; =>This Inner Loop Header: Depth=1
	global_load_u16 v9, v[3:4], off
	global_load_u16 v10, v[5:6], off
	v_add_co_u32 v3, vcc_lo, 0x800, v3
	v_add_co_ci_u32_e32 v4, vcc_lo, 0, v4, vcc_lo
	v_add_co_u32 v5, vcc_lo, v5, s6
	v_add_co_ci_u32_e32 v6, vcc_lo, s7, v6, vcc_lo
	s_waitcnt vmcnt(0)
	v_mul_f16_e32 v9, v9, v10
	s_delay_alu instid0(VALU_DEP_1) | instskip(NEXT) | instid1(VALU_DEP_1)
	v_cvt_f32_f16_e32 v9, v9
	v_dual_add_f32 v7, v7, v9 :: v_dual_add_nc_u32 v8, 0x400, v8
	s_delay_alu instid0(VALU_DEP_1) | instskip(NEXT) | instid1(VALU_DEP_1)
	v_cmp_le_i32_e64 s0, s4, v8
	s_or_b32 s15, s0, s15
	s_delay_alu instid0(SALU_CYCLE_1)
	s_and_not1_b32 exec_lo, exec_lo, s15
	s_cbranch_execnz .LBB493_10
; %bb.11:
	s_or_b32 exec_lo, exec_lo, s15
.LBB493_12:
	s_delay_alu instid0(SALU_CYCLE_1) | instskip(SKIP_2) | instid1(VALU_DEP_1)
	s_or_b32 exec_lo, exec_lo, s13
	v_or_b32_e32 v3, s4, v0
	s_mov_b32 s0, exec_lo
	v_cmpx_gt_i32_e64 s5, v3
	s_cbranch_execz .LBB493_14
; %bb.13:
	v_ashrrev_i32_e32 v6, 31, v3
	v_mul_lo_u32 v8, v3, s17
	v_mad_u64_u32 v[4:5], null, v3, s16, 0
	s_lshl_b64 s[2:3], s[2:3], 1
	s_delay_alu instid0(VALU_DEP_3) | instskip(SKIP_3) | instid1(SALU_CYCLE_1)
	v_mul_lo_u32 v3, v6, s16
	s_add_u32 s5, s48, s2
	s_addc_u32 s6, s49, s3
	s_lshl_b64 s[2:3], s[50:51], 1
	s_add_u32 s7, s5, s2
	s_addc_u32 s6, s6, s3
	s_ashr_i32 s5, s4, 31
	s_delay_alu instid0(VALU_DEP_1) | instskip(SKIP_1) | instid1(SALU_CYCLE_1)
	v_add3_u32 v5, v5, v8, v3
	s_lshl_b64 s[2:3], s[4:5], 1
	v_add_co_u32 v1, vcc_lo, v1, s2
	s_delay_alu instid0(VALU_DEP_2) | instskip(SKIP_1) | instid1(VALU_DEP_2)
	v_lshlrev_b64 v[3:4], 1, v[4:5]
	v_add_co_ci_u32_e32 v2, vcc_lo, s3, v2, vcc_lo
	v_add_co_u32 v3, vcc_lo, s7, v3
	s_delay_alu instid0(VALU_DEP_3) | instskip(SKIP_4) | instid1(VALU_DEP_1)
	v_add_co_ci_u32_e32 v4, vcc_lo, s6, v4, vcc_lo
	global_load_u16 v1, v[1:2], off
	global_load_u16 v2, v[3:4], off
	s_waitcnt vmcnt(0)
	v_mul_f16_e32 v1, v1, v2
	v_cvt_f32_f16_e32 v1, v1
	s_delay_alu instid0(VALU_DEP_1)
	v_add_f32_e32 v7, v7, v1
.LBB493_14:
	s_or_b32 exec_lo, exec_lo, s0
	v_and_b32_e32 v6, 31, v0
	v_cmp_gt_u32_e32 vcc_lo, 32, v0
	s_delay_alu instid0(VALU_DEP_2)
	v_lshlrev_b32_e32 v1, 2, v6
	s_and_saveexec_b32 s0, vcc_lo
	s_cbranch_execz .LBB493_16
; %bb.15:
	v_mov_b32_e32 v2, 0
	ds_store_b32 v1, v2
.LBB493_16:
	s_or_b32 exec_lo, exec_lo, s0
	v_mbcnt_lo_u32_b32 v8, -1, 0
	s_mov_b32 s2, exec_lo
	s_waitcnt lgkmcnt(0)
	s_barrier
	buffer_gl0_inv
	v_cmp_gt_u32_e64 s0, 16, v8
	s_delay_alu instid0(VALU_DEP_1) | instskip(SKIP_1) | instid1(VALU_DEP_2)
	v_cndmask_b32_e64 v2, 0, 1, s0
	v_cmp_gt_u32_e64 s0, 24, v8
	v_lshlrev_b32_e32 v2, 4, v2
	s_delay_alu instid0(VALU_DEP_2) | instskip(SKIP_1) | instid1(VALU_DEP_3)
	v_cndmask_b32_e64 v3, 0, 1, s0
	v_cmp_gt_u32_e64 s0, 28, v8
	v_add_lshl_u32 v2, v2, v8, 2
	s_delay_alu instid0(VALU_DEP_3)
	v_lshlrev_b32_e32 v3, 3, v3
	ds_bpermute_b32 v4, v2, v7
	v_add_lshl_u32 v3, v3, v8, 2
	s_waitcnt lgkmcnt(0)
	v_add_f32_e32 v5, v7, v4
	v_cndmask_b32_e64 v4, 0, 1, s0
	v_cmp_gt_u32_e64 s0, 30, v8
	ds_bpermute_b32 v7, v3, v5
	s_waitcnt lgkmcnt(0)
	v_dual_add_f32 v7, v5, v7 :: v_dual_lshlrev_b32 v4, 2, v4
	s_delay_alu instid0(VALU_DEP_1)
	v_add_lshl_u32 v4, v4, v8, 2
	v_cndmask_b32_e64 v5, 0, 1, s0
	v_cmp_ne_u32_e64 s0, 31, v8
	ds_bpermute_b32 v9, v4, v7
	v_lshlrev_b32_e32 v5, 1, v5
	v_add_co_ci_u32_e64 v10, s0, 0, v8, s0
	s_delay_alu instid0(VALU_DEP_2)
	v_add_lshl_u32 v5, v5, v8, 2
	s_waitcnt lgkmcnt(0)
	v_add_f32_e32 v7, v7, v9
	ds_bpermute_b32 v9, v5, v7
	s_waitcnt lgkmcnt(0)
	v_dual_add_f32 v8, v7, v9 :: v_dual_lshlrev_b32 v7, 2, v10
	ds_bpermute_b32 v9, v7, v8
	v_cmpx_eq_u32_e32 0, v6
	s_cbranch_execz .LBB493_18
; %bb.17:
	v_lshrrev_b32_e32 v6, 3, v0
	s_waitcnt lgkmcnt(0)
	v_add_f32_e32 v8, v8, v9
	s_delay_alu instid0(VALU_DEP_2)
	v_and_b32_e32 v6, 0x7c, v6
	ds_store_b32 v6, v8
.LBB493_18:
	s_or_b32 exec_lo, exec_lo, s2
	v_mov_b32_e32 v6, 0
	s_waitcnt lgkmcnt(0)
	s_barrier
	buffer_gl0_inv
	s_and_saveexec_b32 s0, vcc_lo
	s_cbranch_execz .LBB493_20
; %bb.19:
	ds_load_b32 v6, v1
.LBB493_20:
	s_or_b32 exec_lo, exec_lo, s0
	s_and_saveexec_b32 s0, vcc_lo
	s_cbranch_execz .LBB493_22
; %bb.21:
	s_waitcnt lgkmcnt(0)
	ds_bpermute_b32 v1, v2, v6
	s_waitcnt lgkmcnt(0)
	v_add_f32_e32 v1, v6, v1
	ds_bpermute_b32 v2, v3, v1
	s_waitcnt lgkmcnt(0)
	v_add_f32_e32 v1, v1, v2
	;; [unrolled: 3-line block ×5, first 2 shown]
.LBB493_22:
	s_or_b32 exec_lo, exec_lo, s0
	s_delay_alu instid0(SALU_CYCLE_1)
	s_mov_b32 s0, exec_lo
                                        ; implicit-def: $vgpr1
                                        ; implicit-def: $sgpr4_sgpr5
	v_cmpx_eq_u32_e32 0, v0
	s_cbranch_execz .LBB493_26
; %bb.23:
	v_cmp_eq_f32_e64 s4, s10, 0
	s_mul_i32 s2, s14, s29
	s_mul_hi_u32 s3, s14, s28
	s_waitcnt lgkmcnt(0)
	v_mul_f32_e32 v1, s12, v6
	s_add_i32 s2, s3, s2
	s_mul_i32 s1, s1, s28
	s_and_b32 vcc_lo, exec_lo, s4
	s_add_i32 s5, s2, s1
	s_mul_i32 s4, s14, s28
	s_cbranch_vccnz .LBB493_25
; %bb.24:
	s_lshl_b64 s[2:3], s[4:5], 2
	s_delay_alu instid0(SALU_CYCLE_1)
	s_add_u32 s2, s8, s2
	s_addc_u32 s3, s9, s3
	s_load_b32 s1, s[2:3], 0x0
	s_waitcnt lgkmcnt(0)
	v_fmac_f32_e64 v1, s10, s1
.LBB493_25:
	s_or_b32 s11, s11, exec_lo
.LBB493_26:
	s_or_b32 exec_lo, exec_lo, s0
.LBB493_27:
	s_and_saveexec_b32 s0, s11
	s_cbranch_execz .LBB493_29
; %bb.28:
	s_lshl_b64 s[0:1], s[4:5], 2
	v_mov_b32_e32 v0, 0
	s_add_u32 s0, s8, s0
	s_addc_u32 s1, s9, s1
	global_store_b32 v0, v1, s[0:1]
.LBB493_29:
	s_nop 0
	s_sendmsg sendmsg(MSG_DEALLOC_VGPRS)
	s_endpgm
	.section	.rodata,"a",@progbits
	.p2align	6, 0x0
	.amdhsa_kernel _ZL32rocblas_gemvt_warp_reduce_kernelILb0ELi1024ElDF16_PKffEviiT3_lPKT2_lT1_lS5_lS6_lS2_lPT4_lS6_li
		.amdhsa_group_segment_fixed_size 128
		.amdhsa_private_segment_fixed_size 0
		.amdhsa_kernarg_size 140
		.amdhsa_user_sgpr_count 14
		.amdhsa_user_sgpr_dispatch_ptr 0
		.amdhsa_user_sgpr_queue_ptr 0
		.amdhsa_user_sgpr_kernarg_segment_ptr 1
		.amdhsa_user_sgpr_dispatch_id 0
		.amdhsa_user_sgpr_private_segment_size 0
		.amdhsa_wavefront_size32 1
		.amdhsa_uses_dynamic_stack 0
		.amdhsa_enable_private_segment 0
		.amdhsa_system_sgpr_workgroup_id_x 1
		.amdhsa_system_sgpr_workgroup_id_y 0
		.amdhsa_system_sgpr_workgroup_id_z 1
		.amdhsa_system_sgpr_workgroup_info 0
		.amdhsa_system_vgpr_workitem_id 0
		.amdhsa_next_free_vgpr 11
		.amdhsa_next_free_sgpr 52
		.amdhsa_reserve_vcc 1
		.amdhsa_float_round_mode_32 0
		.amdhsa_float_round_mode_16_64 0
		.amdhsa_float_denorm_mode_32 3
		.amdhsa_float_denorm_mode_16_64 3
		.amdhsa_dx10_clamp 1
		.amdhsa_ieee_mode 1
		.amdhsa_fp16_overflow 0
		.amdhsa_workgroup_processor_mode 1
		.amdhsa_memory_ordered 1
		.amdhsa_forward_progress 0
		.amdhsa_shared_vgpr_count 0
		.amdhsa_exception_fp_ieee_invalid_op 0
		.amdhsa_exception_fp_denorm_src 0
		.amdhsa_exception_fp_ieee_div_zero 0
		.amdhsa_exception_fp_ieee_overflow 0
		.amdhsa_exception_fp_ieee_underflow 0
		.amdhsa_exception_fp_ieee_inexact 0
		.amdhsa_exception_int_div_zero 0
	.end_amdhsa_kernel
	.section	.text._ZL32rocblas_gemvt_warp_reduce_kernelILb0ELi1024ElDF16_PKffEviiT3_lPKT2_lT1_lS5_lS6_lS2_lPT4_lS6_li,"axG",@progbits,_ZL32rocblas_gemvt_warp_reduce_kernelILb0ELi1024ElDF16_PKffEviiT3_lPKT2_lT1_lS5_lS6_lS2_lPT4_lS6_li,comdat
.Lfunc_end493:
	.size	_ZL32rocblas_gemvt_warp_reduce_kernelILb0ELi1024ElDF16_PKffEviiT3_lPKT2_lT1_lS5_lS6_lS2_lPT4_lS6_li, .Lfunc_end493-_ZL32rocblas_gemvt_warp_reduce_kernelILb0ELi1024ElDF16_PKffEviiT3_lPKT2_lT1_lS5_lS6_lS2_lPT4_lS6_li
                                        ; -- End function
	.section	.AMDGPU.csdata,"",@progbits
; Kernel info:
; codeLenInByte = 1548
; NumSgprs: 54
; NumVgprs: 11
; ScratchSize: 0
; MemoryBound: 0
; FloatMode: 240
; IeeeMode: 1
; LDSByteSize: 128 bytes/workgroup (compile time only)
; SGPRBlocks: 6
; VGPRBlocks: 1
; NumSGPRsForWavesPerEU: 54
; NumVGPRsForWavesPerEU: 11
; Occupancy: 16
; WaveLimiterHint : 0
; COMPUTE_PGM_RSRC2:SCRATCH_EN: 0
; COMPUTE_PGM_RSRC2:USER_SGPR: 14
; COMPUTE_PGM_RSRC2:TRAP_HANDLER: 0
; COMPUTE_PGM_RSRC2:TGID_X_EN: 1
; COMPUTE_PGM_RSRC2:TGID_Y_EN: 0
; COMPUTE_PGM_RSRC2:TGID_Z_EN: 1
; COMPUTE_PGM_RSRC2:TIDIG_COMP_CNT: 0
	.section	.text._ZL32rocblas_gemvt_warp_reduce_kernelILb0ELi1024EiDF16_ffEviiT3_lPKT2_lT1_lS3_lS4_lS0_lPT4_lS4_li,"axG",@progbits,_ZL32rocblas_gemvt_warp_reduce_kernelILb0ELi1024EiDF16_ffEviiT3_lPKT2_lT1_lS3_lS4_lS0_lPT4_lS4_li,comdat
	.globl	_ZL32rocblas_gemvt_warp_reduce_kernelILb0ELi1024EiDF16_ffEviiT3_lPKT2_lT1_lS3_lS4_lS0_lPT4_lS4_li ; -- Begin function _ZL32rocblas_gemvt_warp_reduce_kernelILb0ELi1024EiDF16_ffEviiT3_lPKT2_lT1_lS3_lS4_lS0_lPT4_lS4_li
	.p2align	8
	.type	_ZL32rocblas_gemvt_warp_reduce_kernelILb0ELi1024EiDF16_ffEviiT3_lPKT2_lT1_lS3_lS4_lS0_lPT4_lS4_li,@function
_ZL32rocblas_gemvt_warp_reduce_kernelILb0ELi1024EiDF16_ffEviiT3_lPKT2_lT1_lS3_lS4_lS0_lPT4_lS4_li: ; @_ZL32rocblas_gemvt_warp_reduce_kernelILb0ELi1024EiDF16_ffEviiT3_lPKT2_lT1_lS3_lS4_lS0_lPT4_lS4_li
; %bb.0:
	s_clause 0x1
	s_load_b32 s10, s[0:1], 0x8
	s_load_b32 s8, s[0:1], 0x58
	s_mov_b32 s9, 0
	s_waitcnt lgkmcnt(0)
	v_cmp_eq_f32_e64 s2, s10, 0
	v_cmp_eq_f32_e64 s3, s8, 1.0
	s_delay_alu instid0(VALU_DEP_1) | instskip(NEXT) | instid1(SALU_CYCLE_1)
	s_and_b32 s2, s2, s3
	s_and_b32 vcc_lo, exec_lo, s2
	s_cbranch_vccnz .LBB494_29
; %bb.1:
	s_clause 0x2
	s_load_b64 s[2:3], s[0:1], 0x80
	s_load_b128 s[4:7], s[0:1], 0x68
	s_load_b32 s11, s[0:1], 0x78
	s_waitcnt lgkmcnt(0)
	s_mul_i32 s3, s15, s3
	s_mul_hi_u32 s12, s15, s2
	s_mul_i32 s2, s15, s2
	s_add_i32 s3, s12, s3
	v_cmp_neq_f32_e64 s12, s10, 0
	s_lshl_b64 s[2:3], s[2:3], 2
	s_delay_alu instid0(SALU_CYCLE_1) | instskip(SKIP_2) | instid1(SALU_CYCLE_1)
	s_add_u32 s4, s4, s2
	s_addc_u32 s5, s5, s3
	s_lshl_b64 s[2:3], s[6:7], 2
	s_add_u32 s6, s4, s2
	v_cmp_eq_u32_e64 s2, 0, v0
	s_addc_u32 s7, s5, s3
	s_and_b32 vcc_lo, exec_lo, s12
	s_cbranch_vccnz .LBB494_6
; %bb.2:
	s_mov_b32 s3, 0
                                        ; implicit-def: $vgpr1
                                        ; implicit-def: $sgpr4_sgpr5
	s_and_saveexec_b32 s12, s2
	s_cbranch_execz .LBB494_7
; %bb.3:
	v_cmp_eq_f32_e64 s2, s8, 0
	v_mov_b32_e32 v1, 0
	s_mul_i32 s4, s14, s11
	s_delay_alu instid0(SALU_CYCLE_1) | instskip(NEXT) | instid1(VALU_DEP_2)
	s_ashr_i32 s5, s4, 31
	s_and_b32 vcc_lo, exec_lo, s2
	s_cbranch_vccnz .LBB494_5
; %bb.4:
	s_lshl_b64 s[16:17], s[4:5], 2
	s_delay_alu instid0(SALU_CYCLE_1)
	s_add_u32 s16, s6, s16
	s_addc_u32 s17, s7, s17
	s_load_b32 s2, s[16:17], 0x0
	s_waitcnt lgkmcnt(0)
	v_mul_f32_e64 v1, s2, s8
.LBB494_5:
	s_mov_b32 s9, exec_lo
	s_or_b32 exec_lo, exec_lo, s12
	s_delay_alu instid0(SALU_CYCLE_1)
	s_and_b32 vcc_lo, exec_lo, s3
	s_cbranch_vccnz .LBB494_8
	s_branch .LBB494_27
.LBB494_6:
                                        ; implicit-def: $vgpr1
                                        ; implicit-def: $sgpr4_sgpr5
	s_cbranch_execnz .LBB494_8
	s_branch .LBB494_27
.LBB494_7:
	s_or_b32 exec_lo, exec_lo, s12
	s_delay_alu instid0(SALU_CYCLE_1)
	s_and_b32 vcc_lo, exec_lo, s3
	s_cbranch_vccz .LBB494_27
.LBB494_8:
	s_clause 0x6
	s_load_b64 s[4:5], s[0:1], 0x50
	s_load_b128 s[16:19], s[0:1], 0x30
	s_load_b64 s[12:13], s[0:1], 0x40
	s_load_b32 s3, s[0:1], 0x0
	s_load_b128 s[20:23], s[0:1], 0x18
	s_load_b32 s2, s[0:1], 0x28
	s_load_b32 s1, s[0:1], 0x48
	v_mov_b32_e32 v7, 0
	s_waitcnt lgkmcnt(0)
	s_mul_i32 s0, s15, s5
	s_mul_hi_u32 s5, s15, s4
	s_mul_i32 s4, s15, s4
	s_add_i32 s5, s5, s0
	s_mul_i32 s0, s15, s17
	s_lshl_b64 s[4:5], s[4:5], 1
	s_mul_hi_u32 s17, s15, s16
	s_add_u32 s18, s18, s4
	s_addc_u32 s19, s19, s5
	s_lshl_b64 s[4:5], s[12:13], 1
	v_cmp_gt_i32_e32 vcc_lo, s3, v0
	s_add_u32 s4, s18, s4
	s_mul_i32 s12, s15, s16
	s_addc_u32 s5, s19, s5
	s_add_i32 s13, s17, s0
	v_cndmask_b32_e32 v1, 0, v0, vcc_lo
	s_lshl_b64 s[12:13], s[12:13], 1
	s_mul_i32 s16, s14, s2
	s_add_u32 s0, s20, s12
	s_addc_u32 s15, s21, s13
	s_lshl_b64 s[12:13], s[22:23], 1
	v_lshlrev_b32_e32 v1, 1, v1
	s_add_u32 s0, s0, s12
	s_addc_u32 s2, s15, s13
	s_ashr_i32 s17, s16, 31
	s_delay_alu instid0(SALU_CYCLE_1) | instskip(NEXT) | instid1(SALU_CYCLE_1)
	s_lshl_b64 s[12:13], s[16:17], 1
	s_add_u32 s0, s12, s0
	s_addc_u32 s12, s13, s2
	s_ashr_i32 s2, s3, 31
	v_add_co_u32 v1, s0, s0, v1
	s_lshr_b32 s2, s2, 22
	v_add_co_ci_u32_e64 v2, null, s12, 0, s0
	s_add_i32 s2, s3, s2
	s_mov_b32 s13, 0
	s_and_b32 s2, s2, 0xfffffc00
	s_mov_b32 s12, exec_lo
	v_cmpx_gt_i32_e64 s2, v0
	s_cbranch_execz .LBB494_12
; %bb.9:
	v_mul_lo_u32 v3, v0, s1
	v_dual_mov_b32 v7, 0 :: v_dual_mov_b32 v6, v2
	v_dual_mov_b32 v5, v1 :: v_dual_mov_b32 v8, v0
	s_lshl_b32 s15, s1, 10
	.p2align	6
.LBB494_10:                             ; =>This Inner Loop Header: Depth=1
	s_delay_alu instid0(VALU_DEP_3) | instskip(NEXT) | instid1(VALU_DEP_2)
	v_ashrrev_i32_e32 v4, 31, v3
	v_add_nc_u32_e32 v8, 0x400, v8
	s_delay_alu instid0(VALU_DEP_2) | instskip(NEXT) | instid1(VALU_DEP_2)
	v_lshlrev_b64 v[9:10], 1, v[3:4]
	v_cmp_le_i32_e64 s0, s2, v8
	v_add_nc_u32_e32 v3, s15, v3
	s_delay_alu instid0(VALU_DEP_2) | instskip(NEXT) | instid1(VALU_DEP_3)
	s_or_b32 s13, s0, s13
	v_add_co_u32 v9, vcc_lo, s4, v9
	s_delay_alu instid0(VALU_DEP_4)
	v_add_co_ci_u32_e32 v10, vcc_lo, s5, v10, vcc_lo
	global_load_u16 v4, v[5:6], off
	global_load_u16 v9, v[9:10], off
	v_add_co_u32 v5, vcc_lo, 0x800, v5
	v_add_co_ci_u32_e32 v6, vcc_lo, 0, v6, vcc_lo
	s_waitcnt vmcnt(0)
	v_mul_f16_e32 v4, v4, v9
	s_delay_alu instid0(VALU_DEP_1) | instskip(NEXT) | instid1(VALU_DEP_1)
	v_cvt_f32_f16_e32 v4, v4
	v_add_f32_e32 v7, v7, v4
	s_and_not1_b32 exec_lo, exec_lo, s13
	s_cbranch_execnz .LBB494_10
; %bb.11:
	s_or_b32 exec_lo, exec_lo, s13
.LBB494_12:
	s_delay_alu instid0(SALU_CYCLE_1) | instskip(SKIP_2) | instid1(VALU_DEP_1)
	s_or_b32 exec_lo, exec_lo, s12
	v_or_b32_e32 v3, s2, v0
	s_mov_b32 s0, exec_lo
	v_cmpx_gt_i32_e64 s3, v3
	s_cbranch_execz .LBB494_14
; %bb.13:
	v_mul_lo_u32 v3, v3, s1
	s_ashr_i32 s3, s2, 31
	s_delay_alu instid0(SALU_CYCLE_1) | instskip(NEXT) | instid1(SALU_CYCLE_1)
	s_lshl_b64 s[2:3], s[2:3], 1
	v_add_co_u32 v1, vcc_lo, v1, s2
	v_add_co_ci_u32_e32 v2, vcc_lo, s3, v2, vcc_lo
	s_delay_alu instid0(VALU_DEP_3) | instskip(NEXT) | instid1(VALU_DEP_1)
	v_ashrrev_i32_e32 v4, 31, v3
	v_lshlrev_b64 v[3:4], 1, v[3:4]
	s_delay_alu instid0(VALU_DEP_1) | instskip(NEXT) | instid1(VALU_DEP_2)
	v_add_co_u32 v3, vcc_lo, s4, v3
	v_add_co_ci_u32_e32 v4, vcc_lo, s5, v4, vcc_lo
	global_load_u16 v1, v[1:2], off
	global_load_u16 v2, v[3:4], off
	s_waitcnt vmcnt(0)
	v_mul_f16_e32 v1, v1, v2
	s_delay_alu instid0(VALU_DEP_1) | instskip(NEXT) | instid1(VALU_DEP_1)
	v_cvt_f32_f16_e32 v1, v1
	v_add_f32_e32 v7, v7, v1
.LBB494_14:
	s_or_b32 exec_lo, exec_lo, s0
	v_and_b32_e32 v6, 31, v0
	v_cmp_gt_u32_e32 vcc_lo, 32, v0
	s_delay_alu instid0(VALU_DEP_2)
	v_lshlrev_b32_e32 v1, 2, v6
	s_and_saveexec_b32 s0, vcc_lo
	s_cbranch_execz .LBB494_16
; %bb.15:
	v_mov_b32_e32 v2, 0
	ds_store_b32 v1, v2
.LBB494_16:
	s_or_b32 exec_lo, exec_lo, s0
	v_mbcnt_lo_u32_b32 v8, -1, 0
	s_mov_b32 s1, exec_lo
	s_waitcnt lgkmcnt(0)
	s_barrier
	buffer_gl0_inv
	v_cmp_gt_u32_e64 s0, 16, v8
	s_delay_alu instid0(VALU_DEP_1) | instskip(SKIP_1) | instid1(VALU_DEP_2)
	v_cndmask_b32_e64 v2, 0, 1, s0
	v_cmp_gt_u32_e64 s0, 24, v8
	v_lshlrev_b32_e32 v2, 4, v2
	s_delay_alu instid0(VALU_DEP_2) | instskip(SKIP_1) | instid1(VALU_DEP_3)
	v_cndmask_b32_e64 v3, 0, 1, s0
	v_cmp_gt_u32_e64 s0, 28, v8
	v_add_lshl_u32 v2, v2, v8, 2
	s_delay_alu instid0(VALU_DEP_3)
	v_lshlrev_b32_e32 v3, 3, v3
	ds_bpermute_b32 v4, v2, v7
	v_add_lshl_u32 v3, v3, v8, 2
	s_waitcnt lgkmcnt(0)
	v_add_f32_e32 v5, v7, v4
	v_cndmask_b32_e64 v4, 0, 1, s0
	v_cmp_gt_u32_e64 s0, 30, v8
	ds_bpermute_b32 v7, v3, v5
	s_waitcnt lgkmcnt(0)
	v_dual_add_f32 v7, v5, v7 :: v_dual_lshlrev_b32 v4, 2, v4
	s_delay_alu instid0(VALU_DEP_1)
	v_add_lshl_u32 v4, v4, v8, 2
	v_cndmask_b32_e64 v5, 0, 1, s0
	v_cmp_ne_u32_e64 s0, 31, v8
	ds_bpermute_b32 v9, v4, v7
	v_lshlrev_b32_e32 v5, 1, v5
	v_add_co_ci_u32_e64 v10, s0, 0, v8, s0
	s_delay_alu instid0(VALU_DEP_2)
	v_add_lshl_u32 v5, v5, v8, 2
	s_waitcnt lgkmcnt(0)
	v_add_f32_e32 v7, v7, v9
	ds_bpermute_b32 v9, v5, v7
	s_waitcnt lgkmcnt(0)
	v_dual_add_f32 v8, v7, v9 :: v_dual_lshlrev_b32 v7, 2, v10
	ds_bpermute_b32 v9, v7, v8
	v_cmpx_eq_u32_e32 0, v6
	s_cbranch_execz .LBB494_18
; %bb.17:
	v_lshrrev_b32_e32 v6, 3, v0
	s_waitcnt lgkmcnt(0)
	v_add_f32_e32 v8, v8, v9
	s_delay_alu instid0(VALU_DEP_2)
	v_and_b32_e32 v6, 0x7c, v6
	ds_store_b32 v6, v8
.LBB494_18:
	s_or_b32 exec_lo, exec_lo, s1
	v_mov_b32_e32 v6, 0
	s_waitcnt lgkmcnt(0)
	s_barrier
	buffer_gl0_inv
	s_and_saveexec_b32 s0, vcc_lo
	s_cbranch_execz .LBB494_20
; %bb.19:
	ds_load_b32 v6, v1
.LBB494_20:
	s_or_b32 exec_lo, exec_lo, s0
	s_and_saveexec_b32 s0, vcc_lo
	s_cbranch_execz .LBB494_22
; %bb.21:
	s_waitcnt lgkmcnt(0)
	ds_bpermute_b32 v1, v2, v6
	s_waitcnt lgkmcnt(0)
	v_add_f32_e32 v1, v6, v1
	ds_bpermute_b32 v2, v3, v1
	s_waitcnt lgkmcnt(0)
	v_add_f32_e32 v1, v1, v2
	;; [unrolled: 3-line block ×5, first 2 shown]
.LBB494_22:
	s_or_b32 exec_lo, exec_lo, s0
	s_delay_alu instid0(SALU_CYCLE_1)
	s_mov_b32 s0, exec_lo
                                        ; implicit-def: $vgpr1
                                        ; implicit-def: $sgpr4_sgpr5
	v_cmpx_eq_u32_e32 0, v0
	s_cbranch_execz .LBB494_26
; %bb.23:
	v_cmp_eq_f32_e64 s1, s8, 0
	s_waitcnt lgkmcnt(0)
	v_mul_f32_e32 v1, s10, v6
	s_mul_i32 s4, s14, s11
	s_delay_alu instid0(SALU_CYCLE_1)
	s_ashr_i32 s5, s4, 31
	s_and_b32 vcc_lo, exec_lo, s1
	s_cbranch_vccnz .LBB494_25
; %bb.24:
	s_lshl_b64 s[2:3], s[4:5], 2
	s_delay_alu instid0(SALU_CYCLE_1)
	s_add_u32 s2, s6, s2
	s_addc_u32 s3, s7, s3
	s_load_b32 s1, s[2:3], 0x0
	s_waitcnt lgkmcnt(0)
	v_fmac_f32_e64 v1, s1, s8
.LBB494_25:
	s_or_b32 s9, s9, exec_lo
.LBB494_26:
	s_or_b32 exec_lo, exec_lo, s0
.LBB494_27:
	s_and_saveexec_b32 s0, s9
	s_cbranch_execz .LBB494_29
; %bb.28:
	s_lshl_b64 s[0:1], s[4:5], 2
	v_mov_b32_e32 v0, 0
	s_add_u32 s0, s6, s0
	s_addc_u32 s1, s7, s1
	global_store_b32 v0, v1, s[0:1]
.LBB494_29:
	s_nop 0
	s_sendmsg sendmsg(MSG_DEALLOC_VGPRS)
	s_endpgm
	.section	.rodata,"a",@progbits
	.p2align	6, 0x0
	.amdhsa_kernel _ZL32rocblas_gemvt_warp_reduce_kernelILb0ELi1024EiDF16_ffEviiT3_lPKT2_lT1_lS3_lS4_lS0_lPT4_lS4_li
		.amdhsa_group_segment_fixed_size 128
		.amdhsa_private_segment_fixed_size 0
		.amdhsa_kernarg_size 140
		.amdhsa_user_sgpr_count 14
		.amdhsa_user_sgpr_dispatch_ptr 0
		.amdhsa_user_sgpr_queue_ptr 0
		.amdhsa_user_sgpr_kernarg_segment_ptr 1
		.amdhsa_user_sgpr_dispatch_id 0
		.amdhsa_user_sgpr_private_segment_size 0
		.amdhsa_wavefront_size32 1
		.amdhsa_uses_dynamic_stack 0
		.amdhsa_enable_private_segment 0
		.amdhsa_system_sgpr_workgroup_id_x 1
		.amdhsa_system_sgpr_workgroup_id_y 0
		.amdhsa_system_sgpr_workgroup_id_z 1
		.amdhsa_system_sgpr_workgroup_info 0
		.amdhsa_system_vgpr_workitem_id 0
		.amdhsa_next_free_vgpr 11
		.amdhsa_next_free_sgpr 24
		.amdhsa_reserve_vcc 1
		.amdhsa_float_round_mode_32 0
		.amdhsa_float_round_mode_16_64 0
		.amdhsa_float_denorm_mode_32 3
		.amdhsa_float_denorm_mode_16_64 3
		.amdhsa_dx10_clamp 1
		.amdhsa_ieee_mode 1
		.amdhsa_fp16_overflow 0
		.amdhsa_workgroup_processor_mode 1
		.amdhsa_memory_ordered 1
		.amdhsa_forward_progress 0
		.amdhsa_shared_vgpr_count 0
		.amdhsa_exception_fp_ieee_invalid_op 0
		.amdhsa_exception_fp_denorm_src 0
		.amdhsa_exception_fp_ieee_div_zero 0
		.amdhsa_exception_fp_ieee_overflow 0
		.amdhsa_exception_fp_ieee_underflow 0
		.amdhsa_exception_fp_ieee_inexact 0
		.amdhsa_exception_int_div_zero 0
	.end_amdhsa_kernel
	.section	.text._ZL32rocblas_gemvt_warp_reduce_kernelILb0ELi1024EiDF16_ffEviiT3_lPKT2_lT1_lS3_lS4_lS0_lPT4_lS4_li,"axG",@progbits,_ZL32rocblas_gemvt_warp_reduce_kernelILb0ELi1024EiDF16_ffEviiT3_lPKT2_lT1_lS3_lS4_lS0_lPT4_lS4_li,comdat
.Lfunc_end494:
	.size	_ZL32rocblas_gemvt_warp_reduce_kernelILb0ELi1024EiDF16_ffEviiT3_lPKT2_lT1_lS3_lS4_lS0_lPT4_lS4_li, .Lfunc_end494-_ZL32rocblas_gemvt_warp_reduce_kernelILb0ELi1024EiDF16_ffEviiT3_lPKT2_lT1_lS3_lS4_lS0_lPT4_lS4_li
                                        ; -- End function
	.section	.AMDGPU.csdata,"",@progbits
; Kernel info:
; codeLenInByte = 1428
; NumSgprs: 26
; NumVgprs: 11
; ScratchSize: 0
; MemoryBound: 0
; FloatMode: 240
; IeeeMode: 1
; LDSByteSize: 128 bytes/workgroup (compile time only)
; SGPRBlocks: 3
; VGPRBlocks: 1
; NumSGPRsForWavesPerEU: 26
; NumVGPRsForWavesPerEU: 11
; Occupancy: 16
; WaveLimiterHint : 1
; COMPUTE_PGM_RSRC2:SCRATCH_EN: 0
; COMPUTE_PGM_RSRC2:USER_SGPR: 14
; COMPUTE_PGM_RSRC2:TRAP_HANDLER: 0
; COMPUTE_PGM_RSRC2:TGID_X_EN: 1
; COMPUTE_PGM_RSRC2:TGID_Y_EN: 0
; COMPUTE_PGM_RSRC2:TGID_Z_EN: 1
; COMPUTE_PGM_RSRC2:TIDIG_COMP_CNT: 0
	.section	.text._ZL32rocblas_gemvt_warp_reduce_kernelILb0ELi1024ElDF16_ffEviiT3_lPKT2_lT1_lS3_lS4_lS0_lPT4_lS4_li,"axG",@progbits,_ZL32rocblas_gemvt_warp_reduce_kernelILb0ELi1024ElDF16_ffEviiT3_lPKT2_lT1_lS3_lS4_lS0_lPT4_lS4_li,comdat
	.globl	_ZL32rocblas_gemvt_warp_reduce_kernelILb0ELi1024ElDF16_ffEviiT3_lPKT2_lT1_lS3_lS4_lS0_lPT4_lS4_li ; -- Begin function _ZL32rocblas_gemvt_warp_reduce_kernelILb0ELi1024ElDF16_ffEviiT3_lPKT2_lT1_lS3_lS4_lS0_lPT4_lS4_li
	.p2align	8
	.type	_ZL32rocblas_gemvt_warp_reduce_kernelILb0ELi1024ElDF16_ffEviiT3_lPKT2_lT1_lS3_lS4_lS0_lPT4_lS4_li,@function
_ZL32rocblas_gemvt_warp_reduce_kernelILb0ELi1024ElDF16_ffEviiT3_lPKT2_lT1_lS3_lS4_lS0_lPT4_lS4_li: ; @_ZL32rocblas_gemvt_warp_reduce_kernelILb0ELi1024ElDF16_ffEviiT3_lPKT2_lT1_lS3_lS4_lS0_lPT4_lS4_li
; %bb.0:
	s_clause 0x1
	s_load_b32 s33, s[0:1], 0x8
	s_load_b32 s12, s[0:1], 0x58
	s_mov_b32 s13, 0
	s_waitcnt lgkmcnt(0)
	v_cmp_eq_f32_e64 s2, s33, 0
	v_cmp_eq_f32_e64 s3, s12, 1.0
	s_delay_alu instid0(VALU_DEP_1) | instskip(NEXT) | instid1(SALU_CYCLE_1)
	s_and_b32 s2, s2, s3
	s_and_b32 vcc_lo, exec_lo, s2
	s_cbranch_vccnz .LBB495_29
; %bb.1:
	s_load_b256 s[4:11], s[0:1], 0x68
	v_cmp_neq_f32_e64 s16, s33, 0
	s_waitcnt lgkmcnt(0)
	s_mul_i32 s3, s15, s11
	s_mul_hi_u32 s11, s15, s10
	s_mul_i32 s2, s15, s10
	s_add_i32 s3, s11, s3
	s_delay_alu instid0(SALU_CYCLE_1) | instskip(NEXT) | instid1(SALU_CYCLE_1)
	s_lshl_b64 s[2:3], s[2:3], 2
	s_add_u32 s4, s4, s2
	s_addc_u32 s5, s5, s3
	s_lshl_b64 s[2:3], s[6:7], 2
	s_delay_alu instid0(SALU_CYCLE_1)
	s_add_u32 s10, s4, s2
	v_cmp_eq_u32_e64 s2, 0, v0
	s_addc_u32 s11, s5, s3
	s_and_b32 vcc_lo, exec_lo, s16
	s_cbranch_vccnz .LBB495_6
; %bb.2:
	s_mov_b32 s3, 0
                                        ; implicit-def: $vgpr1
                                        ; implicit-def: $sgpr4_sgpr5
	s_and_saveexec_b32 s6, s2
	s_cbranch_execz .LBB495_7
; %bb.3:
	v_cmp_eq_f32_e64 s2, s12, 0
	s_mul_i32 s4, s14, s9
	s_mul_hi_u32 s5, s14, s8
	s_ashr_i32 s7, s14, 31
	v_mov_b32_e32 v1, 0
	s_add_i32 s4, s5, s4
	s_mul_i32 s7, s7, s8
	s_and_b32 vcc_lo, exec_lo, s2
	s_add_i32 s5, s4, s7
	s_mul_i32 s4, s14, s8
	s_cbranch_vccnz .LBB495_5
; %bb.4:
	s_lshl_b64 s[16:17], s[4:5], 2
	s_delay_alu instid0(SALU_CYCLE_1)
	s_add_u32 s16, s10, s16
	s_addc_u32 s17, s11, s17
	s_load_b32 s2, s[16:17], 0x0
	s_waitcnt lgkmcnt(0)
	v_mul_f32_e64 v1, s2, s12
.LBB495_5:
	s_mov_b32 s13, exec_lo
	s_or_b32 exec_lo, exec_lo, s6
	s_delay_alu instid0(SALU_CYCLE_1)
	s_and_b32 vcc_lo, exec_lo, s3
	s_cbranch_vccnz .LBB495_8
	s_branch .LBB495_27
.LBB495_6:
                                        ; implicit-def: $vgpr1
                                        ; implicit-def: $sgpr4_sgpr5
	s_cbranch_execnz .LBB495_8
	s_branch .LBB495_27
.LBB495_7:
	s_or_b32 exec_lo, exec_lo, s6
	s_delay_alu instid0(SALU_CYCLE_1)
	s_and_b32 vcc_lo, exec_lo, s3
	s_cbranch_vccz .LBB495_27
.LBB495_8:
	s_clause 0x1
	s_load_b512 s[16:31], s[0:1], 0x18
	s_load_b32 s5, s[0:1], 0x0
	v_mov_b32_e32 v7, 0
	s_waitcnt lgkmcnt(0)
	s_mul_i32 s1, s15, s23
	s_mul_hi_u32 s4, s15, s22
	s_mul_i32 s0, s15, s22
	s_add_i32 s1, s4, s1
	s_mul_i32 s2, s15, s31
	s_mul_hi_u32 s3, s15, s30
	s_lshl_b64 s[0:1], s[0:1], 1
	s_add_i32 s3, s3, s2
	v_cmp_gt_i32_e32 vcc_lo, s5, v0
	s_add_u32 s2, s16, s0
	s_addc_u32 s6, s17, s1
	s_lshl_b64 s[0:1], s[18:19], 1
	s_mul_i32 s4, s14, s21
	s_add_u32 s0, s2, s0
	s_mul_hi_u32 s7, s14, s20
	s_addc_u32 s2, s6, s1
	s_ashr_i32 s1, s14, 31
	v_cndmask_b32_e32 v1, 0, v0, vcc_lo
	s_add_i32 s4, s7, s4
	s_mul_i32 s7, s1, s20
	s_mul_i32 s6, s14, s20
	s_add_i32 s7, s4, s7
	v_lshlrev_b32_e32 v1, 1, v1
	s_lshl_b64 s[6:7], s[6:7], 1
	s_mov_b32 s16, 0
	s_add_u32 s0, s6, s0
	s_addc_u32 s2, s7, s2
	s_ashr_i32 s4, s5, 31
	v_add_co_u32 v1, s0, s0, v1
	s_lshr_b32 s4, s4, 22
	v_add_co_ci_u32_e64 v2, null, s2, 0, s0
	s_add_i32 s4, s5, s4
	s_mul_i32 s2, s15, s30
	s_and_b32 s4, s4, 0xfffffc00
	s_mov_b32 s15, exec_lo
	v_cmpx_gt_i32_e64 s4, v0
	s_cbranch_execz .LBB495_12
; %bb.9:
	v_mad_u64_u32 v[5:6], null, s28, v0, 0
	s_lshl_b64 s[18:19], s[26:27], 1
	s_lshl_b64 s[6:7], s[2:3], 1
	s_add_u32 s0, s24, s18
	s_addc_u32 s17, s25, s19
	s_add_u32 s0, s0, s6
	s_addc_u32 s6, s17, s7
	s_delay_alu instid0(VALU_DEP_1) | instskip(NEXT) | instid1(VALU_DEP_1)
	v_dual_mov_b32 v3, v6 :: v_dual_mov_b32 v8, v0
	v_mad_u64_u32 v[6:7], null, s29, v0, v[3:4]
	v_dual_mov_b32 v7, 0 :: v_dual_mov_b32 v4, v2
	v_mov_b32_e32 v3, v1
	s_delay_alu instid0(VALU_DEP_3) | instskip(NEXT) | instid1(VALU_DEP_1)
	v_lshlrev_b64 v[5:6], 1, v[5:6]
	v_add_co_u32 v5, vcc_lo, s0, v5
	s_delay_alu instid0(VALU_DEP_2)
	v_add_co_ci_u32_e32 v6, vcc_lo, s6, v6, vcc_lo
	s_lshl_b64 s[6:7], s[28:29], 11
	.p2align	6
.LBB495_10:                             ; =>This Inner Loop Header: Depth=1
	global_load_u16 v9, v[3:4], off
	global_load_u16 v10, v[5:6], off
	v_add_co_u32 v3, vcc_lo, 0x800, v3
	v_add_co_ci_u32_e32 v4, vcc_lo, 0, v4, vcc_lo
	v_add_co_u32 v5, vcc_lo, v5, s6
	v_add_co_ci_u32_e32 v6, vcc_lo, s7, v6, vcc_lo
	s_waitcnt vmcnt(0)
	v_mul_f16_e32 v9, v9, v10
	s_delay_alu instid0(VALU_DEP_1) | instskip(NEXT) | instid1(VALU_DEP_1)
	v_cvt_f32_f16_e32 v9, v9
	v_dual_add_f32 v7, v7, v9 :: v_dual_add_nc_u32 v8, 0x400, v8
	s_delay_alu instid0(VALU_DEP_1) | instskip(NEXT) | instid1(VALU_DEP_1)
	v_cmp_le_i32_e64 s0, s4, v8
	s_or_b32 s16, s0, s16
	s_delay_alu instid0(SALU_CYCLE_1)
	s_and_not1_b32 exec_lo, exec_lo, s16
	s_cbranch_execnz .LBB495_10
; %bb.11:
	s_or_b32 exec_lo, exec_lo, s16
.LBB495_12:
	s_delay_alu instid0(SALU_CYCLE_1) | instskip(SKIP_2) | instid1(VALU_DEP_1)
	s_or_b32 exec_lo, exec_lo, s15
	v_or_b32_e32 v3, s4, v0
	s_mov_b32 s0, exec_lo
	v_cmpx_gt_i32_e64 s5, v3
	s_cbranch_execz .LBB495_14
; %bb.13:
	v_ashrrev_i32_e32 v6, 31, v3
	v_mul_lo_u32 v8, v3, s29
	v_mad_u64_u32 v[4:5], null, v3, s28, 0
	s_lshl_b64 s[2:3], s[2:3], 1
	s_delay_alu instid0(VALU_DEP_3) | instskip(SKIP_3) | instid1(SALU_CYCLE_1)
	v_mul_lo_u32 v3, v6, s28
	s_add_u32 s5, s24, s2
	s_addc_u32 s6, s25, s3
	s_lshl_b64 s[2:3], s[26:27], 1
	s_add_u32 s7, s5, s2
	s_addc_u32 s6, s6, s3
	s_ashr_i32 s5, s4, 31
	s_delay_alu instid0(VALU_DEP_1) | instskip(SKIP_1) | instid1(SALU_CYCLE_1)
	v_add3_u32 v5, v5, v8, v3
	s_lshl_b64 s[2:3], s[4:5], 1
	v_add_co_u32 v1, vcc_lo, v1, s2
	s_delay_alu instid0(VALU_DEP_2) | instskip(SKIP_1) | instid1(VALU_DEP_2)
	v_lshlrev_b64 v[3:4], 1, v[4:5]
	v_add_co_ci_u32_e32 v2, vcc_lo, s3, v2, vcc_lo
	v_add_co_u32 v3, vcc_lo, s7, v3
	s_delay_alu instid0(VALU_DEP_3) | instskip(SKIP_4) | instid1(VALU_DEP_1)
	v_add_co_ci_u32_e32 v4, vcc_lo, s6, v4, vcc_lo
	global_load_u16 v1, v[1:2], off
	global_load_u16 v2, v[3:4], off
	s_waitcnt vmcnt(0)
	v_mul_f16_e32 v1, v1, v2
	v_cvt_f32_f16_e32 v1, v1
	s_delay_alu instid0(VALU_DEP_1)
	v_add_f32_e32 v7, v7, v1
.LBB495_14:
	s_or_b32 exec_lo, exec_lo, s0
	v_and_b32_e32 v6, 31, v0
	v_cmp_gt_u32_e32 vcc_lo, 32, v0
	s_delay_alu instid0(VALU_DEP_2)
	v_lshlrev_b32_e32 v1, 2, v6
	s_and_saveexec_b32 s0, vcc_lo
	s_cbranch_execz .LBB495_16
; %bb.15:
	v_mov_b32_e32 v2, 0
	ds_store_b32 v1, v2
.LBB495_16:
	s_or_b32 exec_lo, exec_lo, s0
	v_mbcnt_lo_u32_b32 v8, -1, 0
	s_mov_b32 s2, exec_lo
	s_waitcnt lgkmcnt(0)
	s_barrier
	buffer_gl0_inv
	v_cmp_gt_u32_e64 s0, 16, v8
	s_delay_alu instid0(VALU_DEP_1) | instskip(SKIP_1) | instid1(VALU_DEP_2)
	v_cndmask_b32_e64 v2, 0, 1, s0
	v_cmp_gt_u32_e64 s0, 24, v8
	v_lshlrev_b32_e32 v2, 4, v2
	s_delay_alu instid0(VALU_DEP_2) | instskip(SKIP_1) | instid1(VALU_DEP_3)
	v_cndmask_b32_e64 v3, 0, 1, s0
	v_cmp_gt_u32_e64 s0, 28, v8
	v_add_lshl_u32 v2, v2, v8, 2
	s_delay_alu instid0(VALU_DEP_3)
	v_lshlrev_b32_e32 v3, 3, v3
	ds_bpermute_b32 v4, v2, v7
	v_add_lshl_u32 v3, v3, v8, 2
	s_waitcnt lgkmcnt(0)
	v_add_f32_e32 v5, v7, v4
	v_cndmask_b32_e64 v4, 0, 1, s0
	v_cmp_gt_u32_e64 s0, 30, v8
	ds_bpermute_b32 v7, v3, v5
	s_waitcnt lgkmcnt(0)
	v_dual_add_f32 v7, v5, v7 :: v_dual_lshlrev_b32 v4, 2, v4
	s_delay_alu instid0(VALU_DEP_1)
	v_add_lshl_u32 v4, v4, v8, 2
	v_cndmask_b32_e64 v5, 0, 1, s0
	v_cmp_ne_u32_e64 s0, 31, v8
	ds_bpermute_b32 v9, v4, v7
	v_lshlrev_b32_e32 v5, 1, v5
	v_add_co_ci_u32_e64 v10, s0, 0, v8, s0
	s_delay_alu instid0(VALU_DEP_2)
	v_add_lshl_u32 v5, v5, v8, 2
	s_waitcnt lgkmcnt(0)
	v_add_f32_e32 v7, v7, v9
	ds_bpermute_b32 v9, v5, v7
	s_waitcnt lgkmcnt(0)
	v_dual_add_f32 v8, v7, v9 :: v_dual_lshlrev_b32 v7, 2, v10
	ds_bpermute_b32 v9, v7, v8
	v_cmpx_eq_u32_e32 0, v6
	s_cbranch_execz .LBB495_18
; %bb.17:
	v_lshrrev_b32_e32 v6, 3, v0
	s_waitcnt lgkmcnt(0)
	v_add_f32_e32 v8, v8, v9
	s_delay_alu instid0(VALU_DEP_2)
	v_and_b32_e32 v6, 0x7c, v6
	ds_store_b32 v6, v8
.LBB495_18:
	s_or_b32 exec_lo, exec_lo, s2
	v_mov_b32_e32 v6, 0
	s_waitcnt lgkmcnt(0)
	s_barrier
	buffer_gl0_inv
	s_and_saveexec_b32 s0, vcc_lo
	s_cbranch_execz .LBB495_20
; %bb.19:
	ds_load_b32 v6, v1
.LBB495_20:
	s_or_b32 exec_lo, exec_lo, s0
	s_and_saveexec_b32 s0, vcc_lo
	s_cbranch_execz .LBB495_22
; %bb.21:
	s_waitcnt lgkmcnt(0)
	ds_bpermute_b32 v1, v2, v6
	s_waitcnt lgkmcnt(0)
	v_add_f32_e32 v1, v6, v1
	ds_bpermute_b32 v2, v3, v1
	s_waitcnt lgkmcnt(0)
	v_add_f32_e32 v1, v1, v2
	;; [unrolled: 3-line block ×5, first 2 shown]
.LBB495_22:
	s_or_b32 exec_lo, exec_lo, s0
	s_delay_alu instid0(SALU_CYCLE_1)
	s_mov_b32 s0, exec_lo
                                        ; implicit-def: $vgpr1
                                        ; implicit-def: $sgpr4_sgpr5
	v_cmpx_eq_u32_e32 0, v0
	s_cbranch_execz .LBB495_26
; %bb.23:
	v_cmp_eq_f32_e64 s4, s12, 0
	s_mul_i32 s2, s14, s9
	s_mul_hi_u32 s3, s14, s8
	s_waitcnt lgkmcnt(0)
	v_mul_f32_e32 v1, s33, v6
	s_add_i32 s2, s3, s2
	s_mul_i32 s1, s1, s8
	s_and_b32 vcc_lo, exec_lo, s4
	s_add_i32 s5, s2, s1
	s_mul_i32 s4, s14, s8
	s_cbranch_vccnz .LBB495_25
; %bb.24:
	s_lshl_b64 s[2:3], s[4:5], 2
	s_delay_alu instid0(SALU_CYCLE_1)
	s_add_u32 s2, s10, s2
	s_addc_u32 s3, s11, s3
	s_load_b32 s1, s[2:3], 0x0
	s_waitcnt lgkmcnt(0)
	v_fmac_f32_e64 v1, s1, s12
.LBB495_25:
	s_or_b32 s13, s13, exec_lo
.LBB495_26:
	s_or_b32 exec_lo, exec_lo, s0
.LBB495_27:
	s_and_saveexec_b32 s0, s13
	s_cbranch_execz .LBB495_29
; %bb.28:
	s_lshl_b64 s[0:1], s[4:5], 2
	v_mov_b32_e32 v0, 0
	s_add_u32 s0, s10, s0
	s_addc_u32 s1, s11, s1
	global_store_b32 v0, v1, s[0:1]
.LBB495_29:
	s_nop 0
	s_sendmsg sendmsg(MSG_DEALLOC_VGPRS)
	s_endpgm
	.section	.rodata,"a",@progbits
	.p2align	6, 0x0
	.amdhsa_kernel _ZL32rocblas_gemvt_warp_reduce_kernelILb0ELi1024ElDF16_ffEviiT3_lPKT2_lT1_lS3_lS4_lS0_lPT4_lS4_li
		.amdhsa_group_segment_fixed_size 128
		.amdhsa_private_segment_fixed_size 0
		.amdhsa_kernarg_size 140
		.amdhsa_user_sgpr_count 14
		.amdhsa_user_sgpr_dispatch_ptr 0
		.amdhsa_user_sgpr_queue_ptr 0
		.amdhsa_user_sgpr_kernarg_segment_ptr 1
		.amdhsa_user_sgpr_dispatch_id 0
		.amdhsa_user_sgpr_private_segment_size 0
		.amdhsa_wavefront_size32 1
		.amdhsa_uses_dynamic_stack 0
		.amdhsa_enable_private_segment 0
		.amdhsa_system_sgpr_workgroup_id_x 1
		.amdhsa_system_sgpr_workgroup_id_y 0
		.amdhsa_system_sgpr_workgroup_id_z 1
		.amdhsa_system_sgpr_workgroup_info 0
		.amdhsa_system_vgpr_workitem_id 0
		.amdhsa_next_free_vgpr 11
		.amdhsa_next_free_sgpr 34
		.amdhsa_reserve_vcc 1
		.amdhsa_float_round_mode_32 0
		.amdhsa_float_round_mode_16_64 0
		.amdhsa_float_denorm_mode_32 3
		.amdhsa_float_denorm_mode_16_64 3
		.amdhsa_dx10_clamp 1
		.amdhsa_ieee_mode 1
		.amdhsa_fp16_overflow 0
		.amdhsa_workgroup_processor_mode 1
		.amdhsa_memory_ordered 1
		.amdhsa_forward_progress 0
		.amdhsa_shared_vgpr_count 0
		.amdhsa_exception_fp_ieee_invalid_op 0
		.amdhsa_exception_fp_denorm_src 0
		.amdhsa_exception_fp_ieee_div_zero 0
		.amdhsa_exception_fp_ieee_overflow 0
		.amdhsa_exception_fp_ieee_underflow 0
		.amdhsa_exception_fp_ieee_inexact 0
		.amdhsa_exception_int_div_zero 0
	.end_amdhsa_kernel
	.section	.text._ZL32rocblas_gemvt_warp_reduce_kernelILb0ELi1024ElDF16_ffEviiT3_lPKT2_lT1_lS3_lS4_lS0_lPT4_lS4_li,"axG",@progbits,_ZL32rocblas_gemvt_warp_reduce_kernelILb0ELi1024ElDF16_ffEviiT3_lPKT2_lT1_lS3_lS4_lS0_lPT4_lS4_li,comdat
.Lfunc_end495:
	.size	_ZL32rocblas_gemvt_warp_reduce_kernelILb0ELi1024ElDF16_ffEviiT3_lPKT2_lT1_lS3_lS4_lS0_lPT4_lS4_li, .Lfunc_end495-_ZL32rocblas_gemvt_warp_reduce_kernelILb0ELi1024ElDF16_ffEviiT3_lPKT2_lT1_lS3_lS4_lS0_lPT4_lS4_li
                                        ; -- End function
	.section	.AMDGPU.csdata,"",@progbits
; Kernel info:
; codeLenInByte = 1488
; NumSgprs: 36
; NumVgprs: 11
; ScratchSize: 0
; MemoryBound: 0
; FloatMode: 240
; IeeeMode: 1
; LDSByteSize: 128 bytes/workgroup (compile time only)
; SGPRBlocks: 4
; VGPRBlocks: 1
; NumSGPRsForWavesPerEU: 36
; NumVGPRsForWavesPerEU: 11
; Occupancy: 16
; WaveLimiterHint : 1
; COMPUTE_PGM_RSRC2:SCRATCH_EN: 0
; COMPUTE_PGM_RSRC2:USER_SGPR: 14
; COMPUTE_PGM_RSRC2:TRAP_HANDLER: 0
; COMPUTE_PGM_RSRC2:TGID_X_EN: 1
; COMPUTE_PGM_RSRC2:TGID_Y_EN: 0
; COMPUTE_PGM_RSRC2:TGID_Z_EN: 1
; COMPUTE_PGM_RSRC2:TIDIG_COMP_CNT: 0
	.section	.text._ZL22rocblas_gemvtsm_kernelILb1ELi256EDF16_PKffEviiT2_lPKT1_lilS5_lilS2_lPT3_lil,"axG",@progbits,_ZL22rocblas_gemvtsm_kernelILb1ELi256EDF16_PKffEviiT2_lPKT1_lilS5_lilS2_lPT3_lil,comdat
	.globl	_ZL22rocblas_gemvtsm_kernelILb1ELi256EDF16_PKffEviiT2_lPKT1_lilS5_lilS2_lPT3_lil ; -- Begin function _ZL22rocblas_gemvtsm_kernelILb1ELi256EDF16_PKffEviiT2_lPKT1_lilS5_lilS2_lPT3_lil
	.p2align	8
	.type	_ZL22rocblas_gemvtsm_kernelILb1ELi256EDF16_PKffEviiT2_lPKT1_lilS5_lilS2_lPT3_lil,@function
_ZL22rocblas_gemvtsm_kernelILb1ELi256EDF16_PKffEviiT2_lPKT1_lilS5_lilS2_lPT3_lil: ; @_ZL22rocblas_gemvtsm_kernelILb1ELi256EDF16_PKffEviiT2_lPKT1_lilS5_lilS2_lPT3_lil
; %bb.0:
	s_clause 0x1
	s_load_b256 s[4:11], s[0:1], 0x8
	s_load_b256 s[16:23], s[0:1], 0x50
	s_waitcnt lgkmcnt(0)
	s_mul_i32 s3, s15, s7
	s_mul_hi_u32 s7, s15, s6
	s_mul_i32 s2, s15, s6
	s_add_i32 s3, s7, s3
	s_mul_i32 s6, s15, s21
	s_lshl_b64 s[2:3], s[2:3], 2
	s_mul_hi_u32 s7, s15, s20
	s_add_u32 s2, s4, s2
	s_addc_u32 s3, s5, s3
	s_add_i32 s5, s7, s6
	s_mul_i32 s4, s15, s20
	s_delay_alu instid0(SALU_CYCLE_1) | instskip(NEXT) | instid1(SALU_CYCLE_1)
	s_lshl_b64 s[4:5], s[4:5], 2
	s_add_u32 s4, s18, s4
	s_addc_u32 s5, s19, s5
	s_load_b32 s26, s[2:3], 0x0
	s_load_b32 s14, s[4:5], 0x0
	s_waitcnt lgkmcnt(0)
	v_cmp_eq_f32_e64 s2, s26, 0
	v_cmp_eq_f32_e64 s3, s14, 1.0
	s_delay_alu instid0(VALU_DEP_1) | instskip(NEXT) | instid1(SALU_CYCLE_1)
	s_and_b32 s2, s2, s3
	s_and_b32 vcc_lo, exec_lo, s2
	s_cbranch_vccnz .LBB496_34
; %bb.1:
	s_clause 0x3
	s_load_b64 s[2:3], s[0:1], 0x80
	s_load_b32 s12, s[0:1], 0x78
	s_load_b64 s[20:21], s[0:1], 0x70
	s_load_b64 s[18:19], s[0:1], 0x0
	v_cmp_neq_f32_e64 s4, s26, 0
	s_delay_alu instid0(VALU_DEP_1)
	s_and_b32 vcc_lo, exec_lo, s4
	s_waitcnt lgkmcnt(0)
	s_mul_i32 s3, s15, s3
	s_mul_hi_u32 s4, s15, s2
	s_mul_i32 s24, s15, s2
	s_add_i32 s25, s4, s3
	s_cbranch_vccnz .LBB496_9
; %bb.2:
	s_cmp_gt_i32 s19, 0
	v_cmp_neq_f32_e64 s2, s14, 0
	s_cselect_b32 s4, -1, 0
	s_delay_alu instid0(SALU_CYCLE_1) | instskip(NEXT) | instid1(VALU_DEP_2)
	v_cndmask_b32_e64 v1, 0, 1, s4
	s_and_b32 vcc_lo, exec_lo, s2
	s_delay_alu instid0(VALU_DEP_1)
	v_cmp_ne_u32_e64 s2, 1, v1
	s_cbranch_vccnz .LBB496_10
; %bb.3:
	s_delay_alu instid0(VALU_DEP_1)
	s_and_b32 vcc_lo, exec_lo, s2
	s_cbranch_vccnz .LBB496_8
; %bb.4:
	v_mad_i64_i32 v[1:2], null, s12, v0, 0
	s_lshl_b64 s[6:7], s[20:21], 2
	s_ashr_i32 s13, s12, 31
	s_lshl_b64 s[2:3], s[24:25], 2
	s_add_u32 s5, s22, s6
	s_addc_u32 s6, s23, s7
	s_add_u32 s2, s5, s2
	s_delay_alu instid0(VALU_DEP_1) | instskip(SKIP_3) | instid1(VALU_DEP_2)
	v_lshlrev_b64 v[1:2], 2, v[1:2]
	s_addc_u32 s3, s6, s3
	v_mov_b32_e32 v3, 0
	s_mov_b32 s5, 0
	v_add_co_u32 v1, vcc_lo, s2, v1
	s_delay_alu instid0(VALU_DEP_3)
	v_add_co_ci_u32_e32 v2, vcc_lo, s3, v2, vcc_lo
	s_lshl_b64 s[2:3], s[12:13], 10
	s_branch .LBB496_6
.LBB496_5:                              ;   in Loop: Header=BB496_6 Depth=1
	s_or_b32 exec_lo, exec_lo, s6
	v_add_co_u32 v1, vcc_lo, v1, s2
	v_add_co_ci_u32_e32 v2, vcc_lo, s3, v2, vcc_lo
	s_addk_i32 s5, 0x100
	s_delay_alu instid0(SALU_CYCLE_1)
	s_cmp_ge_i32 s5, s19
	s_cbranch_scc1 .LBB496_8
.LBB496_6:                              ; =>This Inner Loop Header: Depth=1
	v_add_nc_u32_e32 v4, s5, v0
	s_mov_b32 s6, exec_lo
	s_delay_alu instid0(VALU_DEP_1)
	v_cmpx_gt_i32_e64 s19, v4
	s_cbranch_execz .LBB496_5
; %bb.7:                                ;   in Loop: Header=BB496_6 Depth=1
	global_store_b32 v[1:2], v3, off
	s_branch .LBB496_5
.LBB496_8:
	s_cbranch_execz .LBB496_11
	s_branch .LBB496_16
.LBB496_9:
	s_branch .LBB496_17
.LBB496_10:
.LBB496_11:
	s_and_not1_b32 vcc_lo, exec_lo, s4
	s_cbranch_vccnz .LBB496_16
; %bb.12:
	v_mad_i64_i32 v[1:2], null, s12, v0, 0
	s_lshl_b64 s[4:5], s[20:21], 2
	s_ashr_i32 s13, s12, 31
	s_lshl_b64 s[2:3], s[24:25], 2
	s_add_u32 s4, s22, s4
	s_addc_u32 s5, s23, s5
	s_add_u32 s2, s4, s2
	s_delay_alu instid0(VALU_DEP_1) | instskip(SKIP_2) | instid1(VALU_DEP_1)
	v_lshlrev_b64 v[1:2], 2, v[1:2]
	s_addc_u32 s3, s5, s3
	s_mov_b32 s4, 0
	v_add_co_u32 v1, vcc_lo, s2, v1
	s_delay_alu instid0(VALU_DEP_2)
	v_add_co_ci_u32_e32 v2, vcc_lo, s3, v2, vcc_lo
	s_lshl_b64 s[2:3], s[12:13], 10
	s_branch .LBB496_14
	.p2align	6
.LBB496_13:                             ;   in Loop: Header=BB496_14 Depth=1
	s_or_b32 exec_lo, exec_lo, s5
	v_add_co_u32 v1, vcc_lo, v1, s2
	v_add_co_ci_u32_e32 v2, vcc_lo, s3, v2, vcc_lo
	s_addk_i32 s4, 0x100
	s_delay_alu instid0(SALU_CYCLE_1)
	s_cmp_ge_i32 s4, s19
	s_cbranch_scc1 .LBB496_16
.LBB496_14:                             ; =>This Inner Loop Header: Depth=1
	v_add_nc_u32_e32 v3, s4, v0
	s_mov_b32 s5, exec_lo
	s_delay_alu instid0(VALU_DEP_1)
	v_cmpx_gt_i32_e64 s19, v3
	s_cbranch_execz .LBB496_13
; %bb.15:                               ;   in Loop: Header=BB496_14 Depth=1
	global_load_b32 v3, v[1:2], off
	s_waitcnt vmcnt(0)
	v_mul_f32_e32 v3, s14, v3
	global_store_b32 v[1:2], v3, off
	s_branch .LBB496_13
.LBB496_16:
	s_cbranch_execnz .LBB496_34
.LBB496_17:
	s_clause 0x1
	s_load_b128 s[4:7], s[0:1], 0x30
	s_load_b64 s[2:3], s[0:1], 0x40
	s_mov_b32 s13, exec_lo
	v_cmpx_gt_i32_e64 s18, v0
	s_cbranch_execz .LBB496_19
; %bb.18:
	s_load_b32 s27, s[0:1], 0x48
	s_mul_i32 s17, s15, s17
	s_mul_hi_u32 s28, s15, s16
	s_mul_i32 s16, s15, s16
	s_add_i32 s17, s28, s17
	s_delay_alu instid0(SALU_CYCLE_1) | instskip(SKIP_4) | instid1(SALU_CYCLE_1)
	s_lshl_b64 s[16:17], s[16:17], 1
	s_waitcnt lgkmcnt(0)
	s_add_u32 s6, s6, s16
	s_addc_u32 s7, s7, s17
	s_lshl_b64 s[2:3], s[2:3], 1
	s_add_u32 s2, s6, s2
	s_addc_u32 s3, s7, s3
	v_mad_i64_i32 v[1:2], null, s27, v0, 0
	s_delay_alu instid0(VALU_DEP_1) | instskip(NEXT) | instid1(VALU_DEP_1)
	v_lshlrev_b64 v[1:2], 1, v[1:2]
	v_add_co_u32 v1, vcc_lo, s2, v1
	s_delay_alu instid0(VALU_DEP_2) | instskip(SKIP_4) | instid1(VALU_DEP_1)
	v_add_co_ci_u32_e32 v2, vcc_lo, s3, v2, vcc_lo
	global_load_u16 v1, v[1:2], off
	v_lshlrev_b32_e32 v2, 2, v0
	s_waitcnt vmcnt(0)
	v_cvt_f32_f16_e32 v1, v1
	v_mul_f32_e32 v1, s26, v1
	ds_store_b32 v2, v1
.LBB496_19:
	s_or_b32 exec_lo, exec_lo, s13
	s_cmp_lt_i32 s19, 1
	s_waitcnt lgkmcnt(0)
	s_waitcnt_vscnt null, 0x0
	s_barrier
	buffer_gl0_inv
	s_cbranch_scc1 .LBB496_34
; %bb.20:
	s_load_b32 s0, s[0:1], 0x28
	s_lshl_b64 s[2:3], s[24:25], 2
	s_mul_i32 s17, s5, s15
	s_add_u32 s1, s22, s2
	s_mul_hi_u32 s25, s4, s15
	s_mul_i32 s24, s4, s15
	s_addc_u32 s6, s23, s3
	s_lshl_b64 s[4:5], s[20:21], 2
	v_cmp_neq_f32_e64 s2, s14, 0
	s_add_u32 s3, s1, s4
	s_addc_u32 s4, s6, s5
	s_ashr_i32 s5, s12, 31
	s_waitcnt lgkmcnt(0)
	s_ashr_i32 s1, s0, 31
	s_cmp_gt_i32 s18, 0
	v_mad_i64_i32 v[1:2], null, s0, v0, 0
	s_cselect_b32 s6, -1, 0
	s_and_b32 s7, s18, 7
	s_cmp_gt_u32 s18, 7
	s_cselect_b32 s13, -1, 0
	s_and_b32 s15, s18, 0x7ffffff8
	s_cmp_lg_u32 s7, 0
	s_delay_alu instid0(VALU_DEP_1)
	v_lshlrev_b64 v[1:2], 1, v[1:2]
	s_cselect_b32 s16, -1, 0
	s_add_i32 s25, s25, s17
	s_lshl_b64 s[10:11], s[10:11], 1
	s_lshl_b64 s[20:21], s[24:25], 1
	s_add_u32 s8, s8, s10
	s_addc_u32 s9, s9, s11
	s_add_u32 s8, s8, s20
	s_addc_u32 s9, s9, s21
	v_add_co_u32 v7, vcc_lo, s8, v1
	v_add_co_ci_u32_e32 v8, vcc_lo, s9, v2, vcc_lo
	s_mov_b32 s8, 0
	s_delay_alu instid0(VALU_DEP_2) | instskip(NEXT) | instid1(VALU_DEP_2)
	v_add_co_u32 v1, vcc_lo, v7, 14
	v_add_co_ci_u32_e32 v2, vcc_lo, 0, v8, vcc_lo
	s_lshl_b64 s[0:1], s[0:1], 9
	s_branch .LBB496_23
.LBB496_21:                             ;   in Loop: Header=BB496_23 Depth=1
	s_delay_alu instid0(VALU_DEP_2)
	v_add_co_u32 v3, vcc_lo, s3, v3
	v_add_co_ci_u32_e32 v4, vcc_lo, s4, v4, vcc_lo
	global_store_b32 v[3:4], v9, off
.LBB496_22:                             ;   in Loop: Header=BB496_23 Depth=1
	s_or_b32 exec_lo, exec_lo, s9
	v_add_co_u32 v1, vcc_lo, v1, s0
	v_add_co_ci_u32_e32 v2, vcc_lo, s1, v2, vcc_lo
	v_add_co_u32 v7, vcc_lo, v7, s0
	v_add_co_ci_u32_e32 v8, vcc_lo, s1, v8, vcc_lo
	s_addk_i32 s8, 0x100
	s_delay_alu instid0(SALU_CYCLE_1)
	s_cmp_ge_i32 s8, s19
	s_cbranch_scc1 .LBB496_34
.LBB496_23:                             ; =>This Loop Header: Depth=1
                                        ;     Child Loop BB496_29 Depth 2
                                        ;     Child Loop BB496_33 Depth 2
	v_add_nc_u32_e32 v3, s8, v0
	s_mov_b32 s9, exec_lo
	s_delay_alu instid0(VALU_DEP_1)
	v_cmpx_gt_i32_e64 s19, v3
	s_cbranch_execz .LBB496_22
; %bb.24:                               ;   in Loop: Header=BB496_23 Depth=1
	v_mad_u64_u32 v[4:5], null, v3, s12, 0
	s_and_not1_b32 vcc_lo, exec_lo, s2
	s_delay_alu instid0(VALU_DEP_1) | instskip(NEXT) | instid1(VALU_DEP_1)
	v_mad_u64_u32 v[9:10], null, v3, s5, v[5:6]
	v_mov_b32_e32 v5, v9
	s_delay_alu instid0(VALU_DEP_1)
	v_lshlrev_b64 v[3:4], 2, v[4:5]
	s_cbranch_vccnz .LBB496_26
; %bb.25:                               ;   in Loop: Header=BB496_23 Depth=1
	s_delay_alu instid0(VALU_DEP_1) | instskip(NEXT) | instid1(VALU_DEP_2)
	v_add_co_u32 v5, vcc_lo, s3, v3
	v_add_co_ci_u32_e32 v6, vcc_lo, s4, v4, vcc_lo
	global_load_b32 v5, v[5:6], off
	s_waitcnt vmcnt(0)
	v_mul_f32_e32 v9, s14, v5
	s_and_not1_b32 vcc_lo, exec_lo, s6
	s_cbranch_vccz .LBB496_27
	s_branch .LBB496_21
.LBB496_26:                             ;   in Loop: Header=BB496_23 Depth=1
	v_mov_b32_e32 v9, 0
	s_and_not1_b32 vcc_lo, exec_lo, s6
	s_cbranch_vccnz .LBB496_21
.LBB496_27:                             ;   in Loop: Header=BB496_23 Depth=1
	s_and_not1_b32 vcc_lo, exec_lo, s13
	s_cbranch_vccnz .LBB496_31
; %bb.28:                               ;   in Loop: Header=BB496_23 Depth=1
	v_dual_mov_b32 v6, v2 :: v_dual_mov_b32 v5, v1
	s_mov_b32 s10, 0
	s_mov_b32 s11, 0
	.p2align	6
.LBB496_29:                             ;   Parent Loop BB496_23 Depth=1
                                        ; =>  This Inner Loop Header: Depth=2
	global_load_b128 v[10:13], v[5:6], off offset:-14
	v_mov_b32_e32 v18, s10
	v_add_co_u32 v5, vcc_lo, v5, 16
	v_add_co_ci_u32_e32 v6, vcc_lo, 0, v6, vcc_lo
	ds_load_b128 v[14:17], v18
	ds_load_b128 v[18:21], v18 offset:16
	s_add_i32 s11, s11, 8
	s_add_i32 s10, s10, 32
	s_cmp_eq_u32 s15, s11
	s_waitcnt vmcnt(0) lgkmcnt(1)
	v_fma_mix_f32 v9, v14, v10, v9 op_sel_hi:[0,1,0]
	s_delay_alu instid0(VALU_DEP_1) | instskip(NEXT) | instid1(VALU_DEP_1)
	v_fma_mix_f32 v9, v15, v10, v9 op_sel:[0,1,0] op_sel_hi:[0,1,0]
	v_fma_mix_f32 v9, v16, v11, v9 op_sel_hi:[0,1,0]
	s_delay_alu instid0(VALU_DEP_1) | instskip(SKIP_1) | instid1(VALU_DEP_1)
	v_fma_mix_f32 v9, v17, v11, v9 op_sel:[0,1,0] op_sel_hi:[0,1,0]
	s_waitcnt lgkmcnt(0)
	v_fma_mix_f32 v9, v18, v12, v9 op_sel_hi:[0,1,0]
	s_delay_alu instid0(VALU_DEP_1) | instskip(NEXT) | instid1(VALU_DEP_1)
	v_fma_mix_f32 v9, v19, v12, v9 op_sel:[0,1,0] op_sel_hi:[0,1,0]
	v_fma_mix_f32 v9, v20, v13, v9 op_sel_hi:[0,1,0]
	s_delay_alu instid0(VALU_DEP_1)
	v_fma_mix_f32 v9, v21, v13, v9 op_sel:[0,1,0] op_sel_hi:[0,1,0]
	s_cbranch_scc0 .LBB496_29
; %bb.30:                               ;   in Loop: Header=BB496_23 Depth=1
	s_mov_b32 s10, s15
	s_and_not1_b32 vcc_lo, exec_lo, s16
	s_cbranch_vccz .LBB496_32
	s_branch .LBB496_21
.LBB496_31:                             ;   in Loop: Header=BB496_23 Depth=1
	s_mov_b32 s10, 0
	s_and_not1_b32 vcc_lo, exec_lo, s16
	s_cbranch_vccnz .LBB496_21
.LBB496_32:                             ;   in Loop: Header=BB496_23 Depth=1
	s_lshl_b32 s11, s10, 1
	s_lshl_b32 s10, s10, 2
	v_add_co_u32 v5, vcc_lo, v7, s11
	v_add_co_ci_u32_e32 v6, vcc_lo, 0, v8, vcc_lo
	s_mov_b32 s11, s7
.LBB496_33:                             ;   Parent Loop BB496_23 Depth=1
                                        ; =>  This Inner Loop Header: Depth=2
	global_load_u16 v10, v[5:6], off
	v_mov_b32_e32 v11, s10
	v_add_co_u32 v5, vcc_lo, v5, 2
	v_add_co_ci_u32_e32 v6, vcc_lo, 0, v6, vcc_lo
	ds_load_b32 v11, v11
	s_add_i32 s11, s11, -1
	s_add_i32 s10, s10, 4
	s_cmp_lg_u32 s11, 0
	s_waitcnt vmcnt(0) lgkmcnt(0)
	v_fma_mix_f32 v9, v11, v10, v9 op_sel_hi:[0,1,0]
	s_cbranch_scc1 .LBB496_33
	s_branch .LBB496_21
.LBB496_34:
	s_nop 0
	s_sendmsg sendmsg(MSG_DEALLOC_VGPRS)
	s_endpgm
	.section	.rodata,"a",@progbits
	.p2align	6, 0x0
	.amdhsa_kernel _ZL22rocblas_gemvtsm_kernelILb1ELi256EDF16_PKffEviiT2_lPKT1_lilS5_lilS2_lPT3_lil
		.amdhsa_group_segment_fixed_size 256
		.amdhsa_private_segment_fixed_size 0
		.amdhsa_kernarg_size 136
		.amdhsa_user_sgpr_count 15
		.amdhsa_user_sgpr_dispatch_ptr 0
		.amdhsa_user_sgpr_queue_ptr 0
		.amdhsa_user_sgpr_kernarg_segment_ptr 1
		.amdhsa_user_sgpr_dispatch_id 0
		.amdhsa_user_sgpr_private_segment_size 0
		.amdhsa_wavefront_size32 1
		.amdhsa_uses_dynamic_stack 0
		.amdhsa_enable_private_segment 0
		.amdhsa_system_sgpr_workgroup_id_x 1
		.amdhsa_system_sgpr_workgroup_id_y 0
		.amdhsa_system_sgpr_workgroup_id_z 0
		.amdhsa_system_sgpr_workgroup_info 0
		.amdhsa_system_vgpr_workitem_id 0
		.amdhsa_next_free_vgpr 22
		.amdhsa_next_free_sgpr 29
		.amdhsa_reserve_vcc 1
		.amdhsa_float_round_mode_32 0
		.amdhsa_float_round_mode_16_64 0
		.amdhsa_float_denorm_mode_32 3
		.amdhsa_float_denorm_mode_16_64 3
		.amdhsa_dx10_clamp 1
		.amdhsa_ieee_mode 1
		.amdhsa_fp16_overflow 0
		.amdhsa_workgroup_processor_mode 1
		.amdhsa_memory_ordered 1
		.amdhsa_forward_progress 0
		.amdhsa_shared_vgpr_count 0
		.amdhsa_exception_fp_ieee_invalid_op 0
		.amdhsa_exception_fp_denorm_src 0
		.amdhsa_exception_fp_ieee_div_zero 0
		.amdhsa_exception_fp_ieee_overflow 0
		.amdhsa_exception_fp_ieee_underflow 0
		.amdhsa_exception_fp_ieee_inexact 0
		.amdhsa_exception_int_div_zero 0
	.end_amdhsa_kernel
	.section	.text._ZL22rocblas_gemvtsm_kernelILb1ELi256EDF16_PKffEviiT2_lPKT1_lilS5_lilS2_lPT3_lil,"axG",@progbits,_ZL22rocblas_gemvtsm_kernelILb1ELi256EDF16_PKffEviiT2_lPKT1_lilS5_lilS2_lPT3_lil,comdat
.Lfunc_end496:
	.size	_ZL22rocblas_gemvtsm_kernelILb1ELi256EDF16_PKffEviiT2_lPKT1_lilS5_lilS2_lPT3_lil, .Lfunc_end496-_ZL22rocblas_gemvtsm_kernelILb1ELi256EDF16_PKffEviiT2_lPKT1_lilS5_lilS2_lPT3_lil
                                        ; -- End function
	.section	.AMDGPU.csdata,"",@progbits
; Kernel info:
; codeLenInByte = 1472
; NumSgprs: 31
; NumVgprs: 22
; ScratchSize: 0
; MemoryBound: 0
; FloatMode: 240
; IeeeMode: 1
; LDSByteSize: 256 bytes/workgroup (compile time only)
; SGPRBlocks: 3
; VGPRBlocks: 2
; NumSGPRsForWavesPerEU: 31
; NumVGPRsForWavesPerEU: 22
; Occupancy: 16
; WaveLimiterHint : 1
; COMPUTE_PGM_RSRC2:SCRATCH_EN: 0
; COMPUTE_PGM_RSRC2:USER_SGPR: 15
; COMPUTE_PGM_RSRC2:TRAP_HANDLER: 0
; COMPUTE_PGM_RSRC2:TGID_X_EN: 1
; COMPUTE_PGM_RSRC2:TGID_Y_EN: 0
; COMPUTE_PGM_RSRC2:TGID_Z_EN: 0
; COMPUTE_PGM_RSRC2:TIDIG_COMP_CNT: 0
	.section	.text._ZL22rocblas_gemvtsm_kernelILb1ELi256EDF16_ffEviiT2_lPKT1_lilS3_lilS0_lPT3_lil,"axG",@progbits,_ZL22rocblas_gemvtsm_kernelILb1ELi256EDF16_ffEviiT2_lPKT1_lilS3_lilS0_lPT3_lil,comdat
	.globl	_ZL22rocblas_gemvtsm_kernelILb1ELi256EDF16_ffEviiT2_lPKT1_lilS3_lilS0_lPT3_lil ; -- Begin function _ZL22rocblas_gemvtsm_kernelILb1ELi256EDF16_ffEviiT2_lPKT1_lilS3_lilS0_lPT3_lil
	.p2align	8
	.type	_ZL22rocblas_gemvtsm_kernelILb1ELi256EDF16_ffEviiT2_lPKT1_lilS3_lilS0_lPT3_lil,@function
_ZL22rocblas_gemvtsm_kernelILb1ELi256EDF16_ffEviiT2_lPKT1_lilS3_lilS0_lPT3_lil: ; @_ZL22rocblas_gemvtsm_kernelILb1ELi256EDF16_ffEviiT2_lPKT1_lilS3_lilS0_lPT3_lil
; %bb.0:
	s_load_b128 s[4:7], s[0:1], 0x0
	s_waitcnt lgkmcnt(0)
	s_load_b32 s7, s[0:1], 0x58
	v_cmp_eq_f32_e64 s2, s6, 0
	s_waitcnt lgkmcnt(0)
	v_cmp_eq_f32_e64 s3, s7, 1.0
	s_delay_alu instid0(VALU_DEP_1) | instskip(NEXT) | instid1(SALU_CYCLE_1)
	s_and_b32 s2, s2, s3
	s_and_b32 vcc_lo, exec_lo, s2
	s_cbranch_vccnz .LBB497_34
; %bb.1:
	s_clause 0x2
	s_load_b64 s[2:3], s[0:1], 0x80
	s_load_b128 s[8:11], s[0:1], 0x68
	s_load_b32 s12, s[0:1], 0x78
	v_cmp_neq_f32_e64 s13, s6, 0
	s_delay_alu instid0(VALU_DEP_1)
	s_and_b32 vcc_lo, exec_lo, s13
	s_waitcnt lgkmcnt(0)
	s_mul_i32 s3, s15, s3
	s_mul_hi_u32 s13, s15, s2
	s_mul_i32 s20, s15, s2
	s_add_i32 s21, s13, s3
	s_cbranch_vccnz .LBB497_9
; %bb.2:
	s_cmp_gt_i32 s5, 0
	v_cmp_neq_f32_e64 s2, s7, 0
	s_cselect_b32 s14, -1, 0
	s_delay_alu instid0(SALU_CYCLE_1) | instskip(NEXT) | instid1(VALU_DEP_2)
	v_cndmask_b32_e64 v1, 0, 1, s14
	s_and_b32 vcc_lo, exec_lo, s2
	s_delay_alu instid0(VALU_DEP_1)
	v_cmp_ne_u32_e64 s2, 1, v1
	s_cbranch_vccnz .LBB497_10
; %bb.3:
	s_delay_alu instid0(VALU_DEP_1)
	s_and_b32 vcc_lo, exec_lo, s2
	s_cbranch_vccnz .LBB497_8
; %bb.4:
	v_mad_i64_i32 v[1:2], null, s12, v0, 0
	s_lshl_b64 s[16:17], s[10:11], 2
	s_ashr_i32 s13, s12, 31
	s_lshl_b64 s[2:3], s[20:21], 2
	s_add_u32 s16, s8, s16
	s_addc_u32 s17, s9, s17
	s_add_u32 s2, s16, s2
	s_delay_alu instid0(VALU_DEP_1) | instskip(SKIP_2) | instid1(VALU_DEP_2)
	v_lshlrev_b64 v[1:2], 2, v[1:2]
	s_addc_u32 s3, s17, s3
	v_mov_b32_e32 v3, 0
	v_add_co_u32 v1, vcc_lo, s2, v1
	s_delay_alu instid0(VALU_DEP_3)
	v_add_co_ci_u32_e32 v2, vcc_lo, s3, v2, vcc_lo
	s_lshl_b64 s[2:3], s[12:13], 10
	s_mov_b32 s13, 0
	s_branch .LBB497_6
.LBB497_5:                              ;   in Loop: Header=BB497_6 Depth=1
	s_or_b32 exec_lo, exec_lo, s16
	v_add_co_u32 v1, vcc_lo, v1, s2
	v_add_co_ci_u32_e32 v2, vcc_lo, s3, v2, vcc_lo
	s_addk_i32 s13, 0x100
	s_delay_alu instid0(SALU_CYCLE_1)
	s_cmp_ge_i32 s13, s5
	s_cbranch_scc1 .LBB497_8
.LBB497_6:                              ; =>This Inner Loop Header: Depth=1
	v_add_nc_u32_e32 v4, s13, v0
	s_mov_b32 s16, exec_lo
	s_delay_alu instid0(VALU_DEP_1)
	v_cmpx_gt_i32_e64 s5, v4
	s_cbranch_execz .LBB497_5
; %bb.7:                                ;   in Loop: Header=BB497_6 Depth=1
	global_store_b32 v[1:2], v3, off
	s_branch .LBB497_5
.LBB497_8:
	s_cbranch_execz .LBB497_11
	s_branch .LBB497_16
.LBB497_9:
	s_branch .LBB497_17
.LBB497_10:
.LBB497_11:
	s_and_not1_b32 vcc_lo, exec_lo, s14
	s_cbranch_vccnz .LBB497_16
; %bb.12:
	v_mad_i64_i32 v[1:2], null, s12, v0, 0
	s_lshl_b64 s[16:17], s[10:11], 2
	s_ashr_i32 s13, s12, 31
	s_lshl_b64 s[2:3], s[20:21], 2
	s_add_u32 s14, s8, s16
	s_addc_u32 s16, s9, s17
	s_add_u32 s2, s14, s2
	s_delay_alu instid0(VALU_DEP_1) | instskip(SKIP_1) | instid1(VALU_DEP_1)
	v_lshlrev_b64 v[1:2], 2, v[1:2]
	s_addc_u32 s3, s16, s3
	v_add_co_u32 v1, vcc_lo, s2, v1
	s_delay_alu instid0(VALU_DEP_2)
	v_add_co_ci_u32_e32 v2, vcc_lo, s3, v2, vcc_lo
	s_lshl_b64 s[2:3], s[12:13], 10
	s_mov_b32 s13, 0
	s_branch .LBB497_14
	.p2align	6
.LBB497_13:                             ;   in Loop: Header=BB497_14 Depth=1
	s_or_b32 exec_lo, exec_lo, s14
	v_add_co_u32 v1, vcc_lo, v1, s2
	v_add_co_ci_u32_e32 v2, vcc_lo, s3, v2, vcc_lo
	s_addk_i32 s13, 0x100
	s_delay_alu instid0(SALU_CYCLE_1)
	s_cmp_ge_i32 s13, s5
	s_cbranch_scc1 .LBB497_16
.LBB497_14:                             ; =>This Inner Loop Header: Depth=1
	v_add_nc_u32_e32 v3, s13, v0
	s_mov_b32 s14, exec_lo
	s_delay_alu instid0(VALU_DEP_1)
	v_cmpx_gt_i32_e64 s5, v3
	s_cbranch_execz .LBB497_13
; %bb.15:                               ;   in Loop: Header=BB497_14 Depth=1
	global_load_b32 v3, v[1:2], off
	s_waitcnt vmcnt(0)
	v_mul_f32_e32 v3, s7, v3
	global_store_b32 v[1:2], v3, off
	s_branch .LBB497_13
.LBB497_16:
	s_cbranch_execnz .LBB497_34
.LBB497_17:
	s_clause 0x1
	s_load_b128 s[16:19], s[0:1], 0x30
	s_load_b64 s[2:3], s[0:1], 0x40
	s_mov_b32 s13, exec_lo
	v_cmpx_gt_i32_e64 s4, v0
	s_cbranch_execz .LBB497_19
; %bb.18:
	s_clause 0x1
	s_load_b64 s[22:23], s[0:1], 0x50
	s_load_b32 s14, s[0:1], 0x48
	s_waitcnt lgkmcnt(0)
	s_mul_i32 s23, s15, s23
	v_mad_i64_i32 v[1:2], null, s14, v0, 0
	s_mul_hi_u32 s24, s15, s22
	s_mul_i32 s22, s15, s22
	s_add_i32 s23, s24, s23
	s_delay_alu instid0(SALU_CYCLE_1) | instskip(NEXT) | instid1(SALU_CYCLE_1)
	s_lshl_b64 s[22:23], s[22:23], 1
	s_add_u32 s14, s18, s22
	s_delay_alu instid0(VALU_DEP_1) | instskip(SKIP_2) | instid1(SALU_CYCLE_1)
	v_lshlrev_b64 v[1:2], 1, v[1:2]
	s_addc_u32 s18, s19, s23
	s_lshl_b64 s[2:3], s[2:3], 1
	s_add_u32 s2, s14, s2
	s_addc_u32 s3, s18, s3
	s_delay_alu instid0(VALU_DEP_1)
	v_add_co_u32 v1, vcc_lo, s2, v1
	v_add_co_ci_u32_e32 v2, vcc_lo, s3, v2, vcc_lo
	global_load_u16 v1, v[1:2], off
	v_lshlrev_b32_e32 v2, 2, v0
	s_waitcnt vmcnt(0)
	v_cvt_f32_f16_e32 v1, v1
	s_delay_alu instid0(VALU_DEP_1)
	v_mul_f32_e32 v1, s6, v1
	ds_store_b32 v2, v1
.LBB497_19:
	s_or_b32 exec_lo, exec_lo, s13
	s_cmp_lt_i32 s5, 1
	s_waitcnt lgkmcnt(0)
	s_waitcnt_vscnt null, 0x0
	s_barrier
	buffer_gl0_inv
	s_cbranch_scc1 .LBB497_34
; %bb.20:
	s_clause 0x1
	s_load_b32 s18, s[0:1], 0x28
	s_load_b128 s[0:3], s[0:1], 0x18
	s_lshl_b64 s[20:21], s[20:21], 2
	s_mul_i32 s17, s17, s15
	s_add_u32 s13, s8, s20
	s_addc_u32 s14, s9, s21
	s_lshl_b64 s[8:9], s[10:11], 2
	s_mul_hi_u32 s22, s16, s15
	s_add_u32 s8, s13, s8
	s_addc_u32 s9, s14, s9
	s_ashr_i32 s10, s12, 31
	s_mul_i32 s16, s16, s15
	v_cmp_neq_f32_e64 s6, s7, 0
	s_waitcnt lgkmcnt(0)
	s_ashr_i32 s19, s18, 31
	s_cmp_gt_i32 s4, 0
	v_mad_i64_i32 v[1:2], null, s18, v0, 0
	s_cselect_b32 s11, -1, 0
	s_and_b32 s13, s4, 7
	s_cmp_gt_u32 s4, 7
	s_cselect_b32 s14, -1, 0
	s_and_b32 s4, s4, 0x7ffffff8
	s_cmp_lg_u32 s13, 0
	s_delay_alu instid0(VALU_DEP_1)
	v_lshlrev_b64 v[1:2], 1, v[1:2]
	s_cselect_b32 s15, -1, 0
	s_add_i32 s17, s22, s17
	s_lshl_b64 s[2:3], s[2:3], 1
	s_lshl_b64 s[16:17], s[16:17], 1
	s_add_u32 s0, s0, s2
	s_addc_u32 s1, s1, s3
	s_add_u32 s0, s0, s16
	s_addc_u32 s1, s1, s17
	v_add_co_u32 v7, vcc_lo, s0, v1
	v_add_co_ci_u32_e32 v8, vcc_lo, s1, v2, vcc_lo
	s_mov_b32 s2, 0
	s_delay_alu instid0(VALU_DEP_2) | instskip(NEXT) | instid1(VALU_DEP_2)
	v_add_co_u32 v1, vcc_lo, v7, 14
	v_add_co_ci_u32_e32 v2, vcc_lo, 0, v8, vcc_lo
	s_lshl_b64 s[0:1], s[18:19], 9
	s_branch .LBB497_23
.LBB497_21:                             ;   in Loop: Header=BB497_23 Depth=1
	s_delay_alu instid0(VALU_DEP_2)
	v_add_co_u32 v3, vcc_lo, s8, v3
	v_add_co_ci_u32_e32 v4, vcc_lo, s9, v4, vcc_lo
	global_store_b32 v[3:4], v9, off
.LBB497_22:                             ;   in Loop: Header=BB497_23 Depth=1
	s_or_b32 exec_lo, exec_lo, s3
	v_add_co_u32 v1, vcc_lo, v1, s0
	v_add_co_ci_u32_e32 v2, vcc_lo, s1, v2, vcc_lo
	v_add_co_u32 v7, vcc_lo, v7, s0
	v_add_co_ci_u32_e32 v8, vcc_lo, s1, v8, vcc_lo
	s_addk_i32 s2, 0x100
	s_delay_alu instid0(SALU_CYCLE_1)
	s_cmp_ge_i32 s2, s5
	s_cbranch_scc1 .LBB497_34
.LBB497_23:                             ; =>This Loop Header: Depth=1
                                        ;     Child Loop BB497_29 Depth 2
                                        ;     Child Loop BB497_33 Depth 2
	v_add_nc_u32_e32 v3, s2, v0
	s_mov_b32 s3, exec_lo
	s_delay_alu instid0(VALU_DEP_1)
	v_cmpx_gt_i32_e64 s5, v3
	s_cbranch_execz .LBB497_22
; %bb.24:                               ;   in Loop: Header=BB497_23 Depth=1
	v_mad_u64_u32 v[4:5], null, v3, s12, 0
	s_and_not1_b32 vcc_lo, exec_lo, s6
	s_delay_alu instid0(VALU_DEP_1) | instskip(NEXT) | instid1(VALU_DEP_1)
	v_mad_u64_u32 v[9:10], null, v3, s10, v[5:6]
	v_mov_b32_e32 v5, v9
	s_delay_alu instid0(VALU_DEP_1)
	v_lshlrev_b64 v[3:4], 2, v[4:5]
	s_cbranch_vccnz .LBB497_26
; %bb.25:                               ;   in Loop: Header=BB497_23 Depth=1
	s_delay_alu instid0(VALU_DEP_1) | instskip(NEXT) | instid1(VALU_DEP_2)
	v_add_co_u32 v5, vcc_lo, s8, v3
	v_add_co_ci_u32_e32 v6, vcc_lo, s9, v4, vcc_lo
	global_load_b32 v5, v[5:6], off
	s_waitcnt vmcnt(0)
	v_mul_f32_e32 v9, s7, v5
	s_and_not1_b32 vcc_lo, exec_lo, s11
	s_cbranch_vccz .LBB497_27
	s_branch .LBB497_21
.LBB497_26:                             ;   in Loop: Header=BB497_23 Depth=1
	v_mov_b32_e32 v9, 0
	s_and_not1_b32 vcc_lo, exec_lo, s11
	s_cbranch_vccnz .LBB497_21
.LBB497_27:                             ;   in Loop: Header=BB497_23 Depth=1
	s_and_not1_b32 vcc_lo, exec_lo, s14
	s_cbranch_vccnz .LBB497_31
; %bb.28:                               ;   in Loop: Header=BB497_23 Depth=1
	v_dual_mov_b32 v6, v2 :: v_dual_mov_b32 v5, v1
	s_mov_b32 s16, 0
	s_mov_b32 s17, 0
	.p2align	6
.LBB497_29:                             ;   Parent Loop BB497_23 Depth=1
                                        ; =>  This Inner Loop Header: Depth=2
	global_load_b128 v[10:13], v[5:6], off offset:-14
	v_mov_b32_e32 v18, s16
	v_add_co_u32 v5, vcc_lo, v5, 16
	v_add_co_ci_u32_e32 v6, vcc_lo, 0, v6, vcc_lo
	ds_load_b128 v[14:17], v18
	ds_load_b128 v[18:21], v18 offset:16
	s_add_i32 s17, s17, 8
	s_add_i32 s16, s16, 32
	s_cmp_eq_u32 s4, s17
	s_waitcnt vmcnt(0) lgkmcnt(1)
	v_fma_mix_f32 v9, v14, v10, v9 op_sel_hi:[0,1,0]
	s_delay_alu instid0(VALU_DEP_1) | instskip(NEXT) | instid1(VALU_DEP_1)
	v_fma_mix_f32 v9, v15, v10, v9 op_sel:[0,1,0] op_sel_hi:[0,1,0]
	v_fma_mix_f32 v9, v16, v11, v9 op_sel_hi:[0,1,0]
	s_delay_alu instid0(VALU_DEP_1) | instskip(SKIP_1) | instid1(VALU_DEP_1)
	v_fma_mix_f32 v9, v17, v11, v9 op_sel:[0,1,0] op_sel_hi:[0,1,0]
	s_waitcnt lgkmcnt(0)
	v_fma_mix_f32 v9, v18, v12, v9 op_sel_hi:[0,1,0]
	s_delay_alu instid0(VALU_DEP_1) | instskip(NEXT) | instid1(VALU_DEP_1)
	v_fma_mix_f32 v9, v19, v12, v9 op_sel:[0,1,0] op_sel_hi:[0,1,0]
	v_fma_mix_f32 v9, v20, v13, v9 op_sel_hi:[0,1,0]
	s_delay_alu instid0(VALU_DEP_1)
	v_fma_mix_f32 v9, v21, v13, v9 op_sel:[0,1,0] op_sel_hi:[0,1,0]
	s_cbranch_scc0 .LBB497_29
; %bb.30:                               ;   in Loop: Header=BB497_23 Depth=1
	s_mov_b32 s16, s4
	s_and_not1_b32 vcc_lo, exec_lo, s15
	s_cbranch_vccz .LBB497_32
	s_branch .LBB497_21
.LBB497_31:                             ;   in Loop: Header=BB497_23 Depth=1
	s_mov_b32 s16, 0
	s_and_not1_b32 vcc_lo, exec_lo, s15
	s_cbranch_vccnz .LBB497_21
.LBB497_32:                             ;   in Loop: Header=BB497_23 Depth=1
	s_lshl_b32 s17, s16, 1
	s_lshl_b32 s16, s16, 2
	v_add_co_u32 v5, vcc_lo, v7, s17
	v_add_co_ci_u32_e32 v6, vcc_lo, 0, v8, vcc_lo
	s_mov_b32 s17, s13
.LBB497_33:                             ;   Parent Loop BB497_23 Depth=1
                                        ; =>  This Inner Loop Header: Depth=2
	global_load_u16 v10, v[5:6], off
	v_mov_b32_e32 v11, s16
	v_add_co_u32 v5, vcc_lo, v5, 2
	v_add_co_ci_u32_e32 v6, vcc_lo, 0, v6, vcc_lo
	ds_load_b32 v11, v11
	s_add_i32 s17, s17, -1
	s_add_i32 s16, s16, 4
	s_cmp_lg_u32 s17, 0
	s_waitcnt vmcnt(0) lgkmcnt(0)
	v_fma_mix_f32 v9, v11, v10, v9 op_sel_hi:[0,1,0]
	s_cbranch_scc1 .LBB497_33
	s_branch .LBB497_21
.LBB497_34:
	s_nop 0
	s_sendmsg sendmsg(MSG_DEALLOC_VGPRS)
	s_endpgm
	.section	.rodata,"a",@progbits
	.p2align	6, 0x0
	.amdhsa_kernel _ZL22rocblas_gemvtsm_kernelILb1ELi256EDF16_ffEviiT2_lPKT1_lilS3_lilS0_lPT3_lil
		.amdhsa_group_segment_fixed_size 256
		.amdhsa_private_segment_fixed_size 0
		.amdhsa_kernarg_size 136
		.amdhsa_user_sgpr_count 15
		.amdhsa_user_sgpr_dispatch_ptr 0
		.amdhsa_user_sgpr_queue_ptr 0
		.amdhsa_user_sgpr_kernarg_segment_ptr 1
		.amdhsa_user_sgpr_dispatch_id 0
		.amdhsa_user_sgpr_private_segment_size 0
		.amdhsa_wavefront_size32 1
		.amdhsa_uses_dynamic_stack 0
		.amdhsa_enable_private_segment 0
		.amdhsa_system_sgpr_workgroup_id_x 1
		.amdhsa_system_sgpr_workgroup_id_y 0
		.amdhsa_system_sgpr_workgroup_id_z 0
		.amdhsa_system_sgpr_workgroup_info 0
		.amdhsa_system_vgpr_workitem_id 0
		.amdhsa_next_free_vgpr 22
		.amdhsa_next_free_sgpr 25
		.amdhsa_reserve_vcc 1
		.amdhsa_float_round_mode_32 0
		.amdhsa_float_round_mode_16_64 0
		.amdhsa_float_denorm_mode_32 3
		.amdhsa_float_denorm_mode_16_64 3
		.amdhsa_dx10_clamp 1
		.amdhsa_ieee_mode 1
		.amdhsa_fp16_overflow 0
		.amdhsa_workgroup_processor_mode 1
		.amdhsa_memory_ordered 1
		.amdhsa_forward_progress 0
		.amdhsa_shared_vgpr_count 0
		.amdhsa_exception_fp_ieee_invalid_op 0
		.amdhsa_exception_fp_denorm_src 0
		.amdhsa_exception_fp_ieee_div_zero 0
		.amdhsa_exception_fp_ieee_overflow 0
		.amdhsa_exception_fp_ieee_underflow 0
		.amdhsa_exception_fp_ieee_inexact 0
		.amdhsa_exception_int_div_zero 0
	.end_amdhsa_kernel
	.section	.text._ZL22rocblas_gemvtsm_kernelILb1ELi256EDF16_ffEviiT2_lPKT1_lilS3_lilS0_lPT3_lil,"axG",@progbits,_ZL22rocblas_gemvtsm_kernelILb1ELi256EDF16_ffEviiT2_lPKT1_lilS3_lilS0_lPT3_lil,comdat
.Lfunc_end497:
	.size	_ZL22rocblas_gemvtsm_kernelILb1ELi256EDF16_ffEviiT2_lPKT1_lilS3_lilS0_lPT3_lil, .Lfunc_end497-_ZL22rocblas_gemvtsm_kernelILb1ELi256EDF16_ffEviiT2_lPKT1_lilS3_lilS0_lPT3_lil
                                        ; -- End function
	.section	.AMDGPU.csdata,"",@progbits
; Kernel info:
; codeLenInByte = 1412
; NumSgprs: 27
; NumVgprs: 22
; ScratchSize: 0
; MemoryBound: 0
; FloatMode: 240
; IeeeMode: 1
; LDSByteSize: 256 bytes/workgroup (compile time only)
; SGPRBlocks: 3
; VGPRBlocks: 2
; NumSGPRsForWavesPerEU: 27
; NumVGPRsForWavesPerEU: 22
; Occupancy: 16
; WaveLimiterHint : 1
; COMPUTE_PGM_RSRC2:SCRATCH_EN: 0
; COMPUTE_PGM_RSRC2:USER_SGPR: 15
; COMPUTE_PGM_RSRC2:TRAP_HANDLER: 0
; COMPUTE_PGM_RSRC2:TGID_X_EN: 1
; COMPUTE_PGM_RSRC2:TGID_Y_EN: 0
; COMPUTE_PGM_RSRC2:TGID_Z_EN: 0
; COMPUTE_PGM_RSRC2:TIDIG_COMP_CNT: 0
	.section	.text._ZL20rocblas_gemvt_kernelILb1ELi256EDF16_PKffEviiT2_lPKT1_lilS5_lilS2_lPT3_lili,"axG",@progbits,_ZL20rocblas_gemvt_kernelILb1ELi256EDF16_PKffEviiT2_lPKT1_lilS5_lilS2_lPT3_lili,comdat
	.globl	_ZL20rocblas_gemvt_kernelILb1ELi256EDF16_PKffEviiT2_lPKT1_lilS5_lilS2_lPT3_lili ; -- Begin function _ZL20rocblas_gemvt_kernelILb1ELi256EDF16_PKffEviiT2_lPKT1_lilS5_lilS2_lPT3_lili
	.p2align	8
	.type	_ZL20rocblas_gemvt_kernelILb1ELi256EDF16_PKffEviiT2_lPKT1_lilS5_lilS2_lPT3_lili,@function
_ZL20rocblas_gemvt_kernelILb1ELi256EDF16_PKffEviiT2_lPKT1_lilS5_lilS2_lPT3_lili: ; @_ZL20rocblas_gemvt_kernelILb1ELi256EDF16_PKffEviiT2_lPKT1_lilS5_lilS2_lPT3_lili
; %bb.0:
	s_clause 0x1
	s_load_b256 s[16:23], s[0:1], 0x8
	s_load_b256 s[4:11], s[0:1], 0x50
	s_waitcnt lgkmcnt(0)
	s_mul_i32 s3, s15, s19
	s_mul_hi_u32 s12, s15, s18
	s_mul_i32 s2, s15, s18
	s_add_i32 s3, s12, s3
	s_mul_i32 s9, s15, s9
	s_lshl_b64 s[2:3], s[2:3], 2
	s_mul_hi_u32 s12, s15, s8
	s_add_u32 s2, s16, s2
	s_addc_u32 s3, s17, s3
	s_add_i32 s9, s12, s9
	s_mul_i32 s8, s15, s8
	s_mov_b32 s17, 0
	s_lshl_b64 s[8:9], s[8:9], 2
	s_delay_alu instid0(SALU_CYCLE_1)
	s_add_u32 s6, s6, s8
	s_addc_u32 s7, s7, s9
	s_load_b32 s18, s[2:3], 0x0
	s_load_b32 s16, s[6:7], 0x0
	s_waitcnt lgkmcnt(0)
	v_cmp_eq_f32_e64 s2, s18, 0
	v_cmp_eq_f32_e64 s3, s16, 1.0
	s_delay_alu instid0(VALU_DEP_1) | instskip(NEXT) | instid1(SALU_CYCLE_1)
	s_and_b32 s2, s2, s3
	s_and_b32 vcc_lo, exec_lo, s2
	s_cbranch_vccnz .LBB498_36
; %bb.1:
	s_clause 0x2
	s_load_b64 s[2:3], s[0:1], 0x80
	s_load_b64 s[6:7], s[0:1], 0x70
	s_load_b32 s19, s[0:1], 0x78
	s_waitcnt lgkmcnt(0)
	s_mul_i32 s3, s15, s3
	s_mul_hi_u32 s8, s15, s2
	s_mul_i32 s2, s15, s2
	s_add_i32 s3, s8, s3
	v_cmp_neq_f32_e64 s8, s18, 0
	s_lshl_b64 s[2:3], s[2:3], 2
	s_delay_alu instid0(SALU_CYCLE_1) | instskip(SKIP_2) | instid1(SALU_CYCLE_1)
	s_add_u32 s9, s10, s2
	s_addc_u32 s10, s11, s3
	s_lshl_b64 s[2:3], s[6:7], 2
	s_add_u32 s12, s9, s2
	v_cmp_eq_u32_e64 s2, 0, v0
	s_addc_u32 s13, s10, s3
	s_and_b32 vcc_lo, exec_lo, s8
	s_cbranch_vccnz .LBB498_6
; %bb.2:
	s_mov_b32 s3, 0
                                        ; implicit-def: $vgpr1
                                        ; implicit-def: $sgpr6_sgpr7
	s_and_saveexec_b32 s8, s2
	s_cbranch_execz .LBB498_7
; %bb.3:
	v_cmp_eq_f32_e64 s2, s16, 0
	v_mov_b32_e32 v1, 0
	s_mul_hi_i32 s7, s19, s14
	s_mul_i32 s6, s19, s14
	s_delay_alu instid0(VALU_DEP_2)
	s_and_b32 vcc_lo, exec_lo, s2
	s_cbranch_vccnz .LBB498_5
; %bb.4:
	s_lshl_b64 s[10:11], s[6:7], 2
	s_delay_alu instid0(SALU_CYCLE_1)
	s_add_u32 s10, s12, s10
	s_addc_u32 s11, s13, s11
	s_load_b32 s2, s[10:11], 0x0
	s_waitcnt lgkmcnt(0)
	v_mul_f32_e64 v1, s16, s2
.LBB498_5:
	s_mov_b32 s17, exec_lo
	s_or_b32 exec_lo, exec_lo, s8
	s_delay_alu instid0(SALU_CYCLE_1)
	s_and_b32 vcc_lo, exec_lo, s3
	s_cbranch_vccnz .LBB498_8
	s_branch .LBB498_34
.LBB498_6:
                                        ; implicit-def: $vgpr1
                                        ; implicit-def: $sgpr6_sgpr7
	s_cbranch_execnz .LBB498_8
	s_branch .LBB498_34
.LBB498_7:
	s_or_b32 exec_lo, exec_lo, s8
	s_delay_alu instid0(SALU_CYCLE_1)
	s_and_b32 vcc_lo, exec_lo, s3
	s_cbranch_vccz .LBB498_34
.LBB498_8:
	s_clause 0x4
	s_load_b128 s[8:11], s[0:1], 0x30
	s_load_b32 s7, s[0:1], 0x0
	s_load_b32 s6, s[0:1], 0x28
	s_load_b64 s[2:3], s[0:1], 0x40
	s_load_b32 s0, s[0:1], 0x48
	s_mul_i32 s5, s15, s5
	s_mul_hi_u32 s24, s15, s4
	v_mov_b32_e32 v7, 0
	s_add_i32 s5, s24, s5
	s_mul_i32 s4, s15, s4
	s_waitcnt lgkmcnt(0)
	s_mul_i32 s1, s15, s9
	s_mul_hi_u32 s9, s15, s8
	v_cmp_gt_i32_e32 vcc_lo, s7, v0
	s_mul_i32 s8, s15, s8
	s_add_i32 s9, s9, s1
	s_mul_hi_i32 s25, s6, s14
	s_lshl_b64 s[8:9], s[8:9], 1
	v_cndmask_b32_e32 v1, 0, v0, vcc_lo
	s_add_u32 s1, s20, s8
	s_addc_u32 s20, s21, s9
	s_lshl_b64 s[8:9], s[22:23], 1
	s_mul_i32 s24, s6, s14
	s_add_u32 s1, s1, s8
	s_addc_u32 s6, s20, s9
	s_lshl_b64 s[8:9], s[24:25], 1
	v_lshlrev_b32_e32 v1, 1, v1
	s_add_u32 s1, s8, s1
	s_addc_u32 s6, s9, s6
	s_ashr_i32 s8, s7, 31
	s_mov_b32 s15, 0
	s_lshr_b32 s8, s8, 24
	v_add_co_u32 v1, s1, s1, v1
	s_add_i32 s8, s7, s8
	v_add_co_ci_u32_e64 v2, null, s6, 0, s1
	s_and_b32 s6, s8, 0xffffff00
	s_cmpk_lt_i32 s7, 0x100
	s_cbranch_scc1 .LBB498_11
; %bb.9:
	v_mad_i64_i32 v[3:4], null, s0, v0, 0
	s_lshl_b64 s[20:21], s[2:3], 1
	s_ashr_i32 s1, s0, 31
	s_lshl_b64 s[8:9], s[4:5], 1
	s_add_u32 s20, s10, s20
	s_addc_u32 s21, s11, s21
	s_add_u32 s8, s20, s8
	s_delay_alu instid0(VALU_DEP_1) | instskip(SKIP_3) | instid1(VALU_DEP_3)
	v_lshlrev_b64 v[3:4], 1, v[3:4]
	s_addc_u32 s9, s21, s9
	v_dual_mov_b32 v7, 0 :: v_dual_mov_b32 v6, v2
	v_mov_b32_e32 v5, v1
	v_add_co_u32 v3, vcc_lo, s8, v3
	s_delay_alu instid0(VALU_DEP_4)
	v_add_co_ci_u32_e32 v4, vcc_lo, s9, v4, vcc_lo
	s_lshl_b64 s[8:9], s[0:1], 9
	.p2align	6
.LBB498_10:                             ; =>This Inner Loop Header: Depth=1
	global_load_u16 v8, v[5:6], off
	global_load_u16 v9, v[3:4], off
	v_add_co_u32 v3, vcc_lo, v3, s8
	v_add_co_ci_u32_e32 v4, vcc_lo, s9, v4, vcc_lo
	v_add_co_u32 v5, vcc_lo, 0x200, v5
	v_add_co_ci_u32_e32 v6, vcc_lo, 0, v6, vcc_lo
	s_addk_i32 s15, 0x100
	s_delay_alu instid0(SALU_CYCLE_1) | instskip(SKIP_2) | instid1(VALU_DEP_1)
	s_cmp_ge_i32 s15, s6
	s_waitcnt vmcnt(0)
	v_mul_f16_e32 v8, v8, v9
	v_cvt_f32_f16_e32 v8, v8
	s_delay_alu instid0(VALU_DEP_1)
	v_add_f32_e32 v7, v7, v8
	s_cbranch_scc0 .LBB498_10
.LBB498_11:
	v_add_nc_u32_e32 v3, s6, v0
	s_mov_b32 s1, exec_lo
	s_delay_alu instid0(VALU_DEP_1)
	v_cmpx_gt_i32_e64 s7, v3
	s_cbranch_execz .LBB498_13
; %bb.12:
	v_mad_i64_i32 v[4:5], null, s0, v3, 0
	s_lshl_b64 s[4:5], s[4:5], 1
	s_delay_alu instid0(SALU_CYCLE_1) | instskip(SKIP_2) | instid1(SALU_CYCLE_1)
	s_add_u32 s4, s10, s4
	s_addc_u32 s5, s11, s5
	s_lshl_b64 s[2:3], s[2:3], 1
	s_add_u32 s0, s4, s2
	s_addc_u32 s4, s5, s3
	s_ashr_i32 s7, s6, 31
	v_lshlrev_b64 v[3:4], 1, v[4:5]
	s_lshl_b64 s[2:3], s[6:7], 1
	s_delay_alu instid0(SALU_CYCLE_1) | instskip(SKIP_1) | instid1(VALU_DEP_3)
	v_add_co_u32 v1, vcc_lo, v1, s2
	v_add_co_ci_u32_e32 v2, vcc_lo, s3, v2, vcc_lo
	v_add_co_u32 v3, vcc_lo, s0, v3
	s_delay_alu instid0(VALU_DEP_4) | instskip(SKIP_4) | instid1(VALU_DEP_1)
	v_add_co_ci_u32_e32 v4, vcc_lo, s4, v4, vcc_lo
	global_load_u16 v1, v[1:2], off
	global_load_u16 v2, v[3:4], off
	s_waitcnt vmcnt(0)
	v_mul_f16_e32 v1, v1, v2
	v_cvt_f32_f16_e32 v1, v1
	s_delay_alu instid0(VALU_DEP_1)
	v_add_f32_e32 v7, v7, v1
.LBB498_13:
	s_or_b32 exec_lo, exec_lo, s1
	v_lshlrev_b32_e32 v1, 2, v0
	s_mov_b32 s0, exec_lo
	ds_store_b32 v1, v7
	s_waitcnt lgkmcnt(0)
	s_barrier
	buffer_gl0_inv
	v_cmpx_gt_u32_e32 0x80, v0
	s_cbranch_execz .LBB498_15
; %bb.14:
	ds_load_2addr_stride64_b32 v[2:3], v1 offset1:2
	s_waitcnt lgkmcnt(0)
	v_add_f32_e32 v2, v3, v2
	ds_store_b32 v1, v2
.LBB498_15:
	s_or_b32 exec_lo, exec_lo, s0
	s_delay_alu instid0(SALU_CYCLE_1)
	s_mov_b32 s0, exec_lo
	s_waitcnt lgkmcnt(0)
	s_barrier
	buffer_gl0_inv
	v_cmpx_gt_u32_e32 64, v0
	s_cbranch_execz .LBB498_17
; %bb.16:
	ds_load_2addr_stride64_b32 v[2:3], v1 offset1:1
	s_waitcnt lgkmcnt(0)
	v_add_f32_e32 v2, v3, v2
	ds_store_b32 v1, v2
.LBB498_17:
	s_or_b32 exec_lo, exec_lo, s0
	s_delay_alu instid0(SALU_CYCLE_1)
	s_mov_b32 s0, exec_lo
	s_waitcnt lgkmcnt(0)
	s_barrier
	buffer_gl0_inv
	v_cmpx_gt_u32_e32 32, v0
	s_cbranch_execz .LBB498_19
; %bb.18:
	ds_load_2addr_b32 v[2:3], v1 offset1:32
	s_waitcnt lgkmcnt(0)
	v_add_f32_e32 v2, v3, v2
	ds_store_b32 v1, v2
.LBB498_19:
	s_or_b32 exec_lo, exec_lo, s0
	s_delay_alu instid0(SALU_CYCLE_1)
	s_mov_b32 s0, exec_lo
	s_waitcnt lgkmcnt(0)
	s_barrier
	buffer_gl0_inv
	v_cmpx_gt_u32_e32 16, v0
	s_cbranch_execz .LBB498_21
; %bb.20:
	ds_load_2addr_b32 v[2:3], v1 offset1:16
	s_waitcnt lgkmcnt(0)
	v_add_f32_e32 v2, v3, v2
	ds_store_b32 v1, v2
.LBB498_21:
	;; [unrolled: 14-line block ×5, first 2 shown]
	s_or_b32 exec_lo, exec_lo, s0
	v_cmp_eq_u32_e32 vcc_lo, 0, v0
	s_waitcnt lgkmcnt(0)
	s_barrier
	buffer_gl0_inv
	s_and_saveexec_b32 s0, vcc_lo
	s_cbranch_execz .LBB498_29
; %bb.28:
	v_mov_b32_e32 v2, 0
	ds_load_b64 v[0:1], v2
	s_waitcnt lgkmcnt(0)
	v_add_f32_e32 v0, v1, v0
	ds_store_b32 v2, v0
.LBB498_29:
	s_or_b32 exec_lo, exec_lo, s0
	s_waitcnt lgkmcnt(0)
	s_barrier
	buffer_gl0_inv
                                        ; implicit-def: $vgpr1
                                        ; implicit-def: $sgpr6_sgpr7
	s_and_saveexec_b32 s0, vcc_lo
	s_cbranch_execz .LBB498_33
; %bb.30:
	v_mov_b32_e32 v0, 0
	v_cmp_eq_f32_e64 s1, s16, 0
	s_mul_hi_i32 s7, s19, s14
	s_mul_i32 s6, s19, s14
	ds_load_b32 v0, v0
	s_and_b32 vcc_lo, exec_lo, s1
	s_waitcnt lgkmcnt(0)
	v_mul_f32_e32 v1, s18, v0
	s_cbranch_vccnz .LBB498_32
; %bb.31:
	s_lshl_b64 s[2:3], s[6:7], 2
	s_delay_alu instid0(SALU_CYCLE_1)
	s_add_u32 s2, s12, s2
	s_addc_u32 s3, s13, s3
	s_load_b32 s1, s[2:3], 0x0
	s_waitcnt lgkmcnt(0)
	v_fmac_f32_e64 v1, s16, s1
.LBB498_32:
	s_or_b32 s17, s17, exec_lo
.LBB498_33:
	s_or_b32 exec_lo, exec_lo, s0
.LBB498_34:
	s_and_saveexec_b32 s0, s17
	s_cbranch_execz .LBB498_36
; %bb.35:
	s_lshl_b64 s[0:1], s[6:7], 2
	v_mov_b32_e32 v0, 0
	s_add_u32 s0, s12, s0
	s_addc_u32 s1, s13, s1
	global_store_b32 v0, v1, s[0:1]
.LBB498_36:
	s_nop 0
	s_sendmsg sendmsg(MSG_DEALLOC_VGPRS)
	s_endpgm
	.section	.rodata,"a",@progbits
	.p2align	6, 0x0
	.amdhsa_kernel _ZL20rocblas_gemvt_kernelILb1ELi256EDF16_PKffEviiT2_lPKT1_lilS5_lilS2_lPT3_lili
		.amdhsa_group_segment_fixed_size 1024
		.amdhsa_private_segment_fixed_size 0
		.amdhsa_kernarg_size 140
		.amdhsa_user_sgpr_count 14
		.amdhsa_user_sgpr_dispatch_ptr 0
		.amdhsa_user_sgpr_queue_ptr 0
		.amdhsa_user_sgpr_kernarg_segment_ptr 1
		.amdhsa_user_sgpr_dispatch_id 0
		.amdhsa_user_sgpr_private_segment_size 0
		.amdhsa_wavefront_size32 1
		.amdhsa_uses_dynamic_stack 0
		.amdhsa_enable_private_segment 0
		.amdhsa_system_sgpr_workgroup_id_x 1
		.amdhsa_system_sgpr_workgroup_id_y 0
		.amdhsa_system_sgpr_workgroup_id_z 1
		.amdhsa_system_sgpr_workgroup_info 0
		.amdhsa_system_vgpr_workitem_id 0
		.amdhsa_next_free_vgpr 10
		.amdhsa_next_free_sgpr 26
		.amdhsa_reserve_vcc 1
		.amdhsa_float_round_mode_32 0
		.amdhsa_float_round_mode_16_64 0
		.amdhsa_float_denorm_mode_32 3
		.amdhsa_float_denorm_mode_16_64 3
		.amdhsa_dx10_clamp 1
		.amdhsa_ieee_mode 1
		.amdhsa_fp16_overflow 0
		.amdhsa_workgroup_processor_mode 1
		.amdhsa_memory_ordered 1
		.amdhsa_forward_progress 0
		.amdhsa_shared_vgpr_count 0
		.amdhsa_exception_fp_ieee_invalid_op 0
		.amdhsa_exception_fp_denorm_src 0
		.amdhsa_exception_fp_ieee_div_zero 0
		.amdhsa_exception_fp_ieee_overflow 0
		.amdhsa_exception_fp_ieee_underflow 0
		.amdhsa_exception_fp_ieee_inexact 0
		.amdhsa_exception_int_div_zero 0
	.end_amdhsa_kernel
	.section	.text._ZL20rocblas_gemvt_kernelILb1ELi256EDF16_PKffEviiT2_lPKT1_lilS5_lilS2_lPT3_lili,"axG",@progbits,_ZL20rocblas_gemvt_kernelILb1ELi256EDF16_PKffEviiT2_lPKT1_lilS5_lilS2_lPT3_lili,comdat
.Lfunc_end498:
	.size	_ZL20rocblas_gemvt_kernelILb1ELi256EDF16_PKffEviiT2_lPKT1_lilS5_lilS2_lPT3_lili, .Lfunc_end498-_ZL20rocblas_gemvt_kernelILb1ELi256EDF16_PKffEviiT2_lPKT1_lilS5_lilS2_lPT3_lili
                                        ; -- End function
	.section	.AMDGPU.csdata,"",@progbits
; Kernel info:
; codeLenInByte = 1512
; NumSgprs: 28
; NumVgprs: 10
; ScratchSize: 0
; MemoryBound: 0
; FloatMode: 240
; IeeeMode: 1
; LDSByteSize: 1024 bytes/workgroup (compile time only)
; SGPRBlocks: 3
; VGPRBlocks: 1
; NumSGPRsForWavesPerEU: 28
; NumVGPRsForWavesPerEU: 10
; Occupancy: 16
; WaveLimiterHint : 1
; COMPUTE_PGM_RSRC2:SCRATCH_EN: 0
; COMPUTE_PGM_RSRC2:USER_SGPR: 14
; COMPUTE_PGM_RSRC2:TRAP_HANDLER: 0
; COMPUTE_PGM_RSRC2:TGID_X_EN: 1
; COMPUTE_PGM_RSRC2:TGID_Y_EN: 0
; COMPUTE_PGM_RSRC2:TGID_Z_EN: 1
; COMPUTE_PGM_RSRC2:TIDIG_COMP_CNT: 0
	.section	.text._ZL20rocblas_gemvt_kernelILb1ELi256EDF16_ffEviiT2_lPKT1_lilS3_lilS0_lPT3_lili,"axG",@progbits,_ZL20rocblas_gemvt_kernelILb1ELi256EDF16_ffEviiT2_lPKT1_lilS3_lilS0_lPT3_lili,comdat
	.globl	_ZL20rocblas_gemvt_kernelILb1ELi256EDF16_ffEviiT2_lPKT1_lilS3_lilS0_lPT3_lili ; -- Begin function _ZL20rocblas_gemvt_kernelILb1ELi256EDF16_ffEviiT2_lPKT1_lilS3_lilS0_lPT3_lili
	.p2align	8
	.type	_ZL20rocblas_gemvt_kernelILb1ELi256EDF16_ffEviiT2_lPKT1_lilS3_lilS0_lPT3_lili,@function
_ZL20rocblas_gemvt_kernelILb1ELi256EDF16_ffEviiT2_lPKT1_lilS3_lilS0_lPT3_lili: ; @_ZL20rocblas_gemvt_kernelILb1ELi256EDF16_ffEviiT2_lPKT1_lilS3_lilS0_lPT3_lili
; %bb.0:
	s_clause 0x1
	s_load_b32 s18, s[0:1], 0x8
	s_load_b32 s16, s[0:1], 0x58
	s_mov_b32 s17, 0
	s_waitcnt lgkmcnt(0)
	v_cmp_eq_f32_e64 s2, s18, 0
	v_cmp_eq_f32_e64 s3, s16, 1.0
	s_delay_alu instid0(VALU_DEP_1) | instskip(NEXT) | instid1(SALU_CYCLE_1)
	s_and_b32 s2, s2, s3
	s_and_b32 vcc_lo, exec_lo, s2
	s_cbranch_vccnz .LBB499_36
; %bb.1:
	s_clause 0x2
	s_load_b64 s[2:3], s[0:1], 0x80
	s_load_b128 s[4:7], s[0:1], 0x68
	s_load_b32 s19, s[0:1], 0x78
	s_waitcnt lgkmcnt(0)
	s_mul_i32 s3, s15, s3
	s_mul_hi_u32 s8, s15, s2
	s_mul_i32 s2, s15, s2
	s_add_i32 s3, s8, s3
	v_cmp_neq_f32_e64 s8, s18, 0
	s_lshl_b64 s[2:3], s[2:3], 2
	s_delay_alu instid0(SALU_CYCLE_1) | instskip(SKIP_2) | instid1(SALU_CYCLE_1)
	s_add_u32 s4, s4, s2
	s_addc_u32 s5, s5, s3
	s_lshl_b64 s[2:3], s[6:7], 2
	s_add_u32 s12, s4, s2
	v_cmp_eq_u32_e64 s2, 0, v0
	s_addc_u32 s13, s5, s3
	s_and_b32 vcc_lo, exec_lo, s8
	s_cbranch_vccnz .LBB499_6
; %bb.2:
	s_mov_b32 s3, 0
                                        ; implicit-def: $vgpr1
                                        ; implicit-def: $sgpr4_sgpr5
	s_and_saveexec_b32 s6, s2
	s_cbranch_execz .LBB499_7
; %bb.3:
	v_cmp_eq_f32_e64 s2, s16, 0
	v_mov_b32_e32 v1, 0
	s_mul_hi_i32 s5, s19, s14
	s_mul_i32 s4, s19, s14
	s_delay_alu instid0(VALU_DEP_2)
	s_and_b32 vcc_lo, exec_lo, s2
	s_cbranch_vccnz .LBB499_5
; %bb.4:
	s_lshl_b64 s[8:9], s[4:5], 2
	s_delay_alu instid0(SALU_CYCLE_1)
	s_add_u32 s8, s12, s8
	s_addc_u32 s9, s13, s9
	s_load_b32 s2, s[8:9], 0x0
	s_waitcnt lgkmcnt(0)
	v_mul_f32_e64 v1, s2, s16
.LBB499_5:
	s_mov_b32 s17, exec_lo
	s_or_b32 exec_lo, exec_lo, s6
	s_delay_alu instid0(SALU_CYCLE_1)
	s_and_b32 vcc_lo, exec_lo, s3
	s_cbranch_vccnz .LBB499_8
	s_branch .LBB499_34
.LBB499_6:
                                        ; implicit-def: $vgpr1
                                        ; implicit-def: $sgpr4_sgpr5
	s_cbranch_execnz .LBB499_8
	s_branch .LBB499_34
.LBB499_7:
	s_or_b32 exec_lo, exec_lo, s6
	s_delay_alu instid0(SALU_CYCLE_1)
	s_and_b32 vcc_lo, exec_lo, s3
	s_cbranch_vccz .LBB499_34
.LBB499_8:
	s_clause 0x6
	s_load_b64 s[10:11], s[0:1], 0x50
	s_load_b128 s[4:7], s[0:1], 0x30
	s_load_b32 s9, s[0:1], 0x0
	s_load_b32 s8, s[0:1], 0x28
	s_load_b128 s[20:23], s[0:1], 0x18
	s_load_b64 s[2:3], s[0:1], 0x40
	s_load_b32 s0, s[0:1], 0x48
	v_mov_b32_e32 v7, 0
	s_waitcnt lgkmcnt(0)
	s_mul_i32 s1, s15, s11
	s_mul_i32 s5, s15, s5
	s_mul_hi_u32 s24, s15, s4
	v_cmp_gt_i32_e32 vcc_lo, s9, v0
	s_mul_i32 s4, s15, s4
	s_add_i32 s5, s24, s5
	s_mul_hi_u32 s11, s15, s10
	s_lshl_b64 s[26:27], s[4:5], 1
	v_cndmask_b32_e32 v1, 0, v0, vcc_lo
	s_add_i32 s5, s11, s1
	s_add_u32 s1, s20, s26
	s_addc_u32 s4, s21, s27
	s_lshl_b64 s[20:21], s[22:23], 1
	s_mul_hi_i32 s25, s8, s14
	s_mul_i32 s24, s8, s14
	s_add_u32 s1, s1, s20
	s_addc_u32 s4, s4, s21
	s_lshl_b64 s[20:21], s[24:25], 1
	v_lshlrev_b32_e32 v1, 1, v1
	s_add_u32 s1, s20, s1
	s_addc_u32 s8, s21, s4
	s_ashr_i32 s4, s9, 31
	s_delay_alu instid0(SALU_CYCLE_1)
	s_lshr_b32 s11, s4, 24
	v_add_co_u32 v1, s1, s1, v1
	s_mul_i32 s4, s15, s10
	s_add_i32 s10, s9, s11
	v_add_co_ci_u32_e64 v2, null, s8, 0, s1
	s_and_b32 s8, s10, 0xffffff00
	s_cmpk_lt_i32 s9, 0x100
	s_mov_b32 s15, 0
	s_cbranch_scc1 .LBB499_11
; %bb.9:
	v_mad_i64_i32 v[3:4], null, s0, v0, 0
	s_lshl_b64 s[20:21], s[2:3], 1
	s_ashr_i32 s1, s0, 31
	s_lshl_b64 s[10:11], s[4:5], 1
	s_add_u32 s20, s6, s20
	s_addc_u32 s21, s7, s21
	s_add_u32 s10, s20, s10
	s_delay_alu instid0(VALU_DEP_1) | instskip(SKIP_3) | instid1(VALU_DEP_3)
	v_lshlrev_b64 v[3:4], 1, v[3:4]
	s_addc_u32 s11, s21, s11
	v_dual_mov_b32 v7, 0 :: v_dual_mov_b32 v6, v2
	v_mov_b32_e32 v5, v1
	v_add_co_u32 v3, vcc_lo, s10, v3
	s_delay_alu instid0(VALU_DEP_4)
	v_add_co_ci_u32_e32 v4, vcc_lo, s11, v4, vcc_lo
	s_lshl_b64 s[10:11], s[0:1], 9
	.p2align	6
.LBB499_10:                             ; =>This Inner Loop Header: Depth=1
	global_load_u16 v8, v[5:6], off
	global_load_u16 v9, v[3:4], off
	v_add_co_u32 v3, vcc_lo, v3, s10
	v_add_co_ci_u32_e32 v4, vcc_lo, s11, v4, vcc_lo
	v_add_co_u32 v5, vcc_lo, 0x200, v5
	v_add_co_ci_u32_e32 v6, vcc_lo, 0, v6, vcc_lo
	s_addk_i32 s15, 0x100
	s_delay_alu instid0(SALU_CYCLE_1) | instskip(SKIP_2) | instid1(VALU_DEP_1)
	s_cmp_ge_i32 s15, s8
	s_waitcnt vmcnt(0)
	v_mul_f16_e32 v8, v8, v9
	v_cvt_f32_f16_e32 v8, v8
	s_delay_alu instid0(VALU_DEP_1)
	v_add_f32_e32 v7, v7, v8
	s_cbranch_scc0 .LBB499_10
.LBB499_11:
	v_add_nc_u32_e32 v3, s8, v0
	s_mov_b32 s1, exec_lo
	s_delay_alu instid0(VALU_DEP_1)
	v_cmpx_gt_i32_e64 s9, v3
	s_cbranch_execz .LBB499_13
; %bb.12:
	v_mad_i64_i32 v[4:5], null, s0, v3, 0
	s_lshl_b64 s[4:5], s[4:5], 1
	s_delay_alu instid0(SALU_CYCLE_1) | instskip(SKIP_2) | instid1(SALU_CYCLE_1)
	s_add_u32 s4, s6, s4
	s_addc_u32 s5, s7, s5
	s_lshl_b64 s[2:3], s[2:3], 1
	s_add_u32 s0, s4, s2
	s_addc_u32 s4, s5, s3
	s_ashr_i32 s9, s8, 31
	v_lshlrev_b64 v[3:4], 1, v[4:5]
	s_lshl_b64 s[2:3], s[8:9], 1
	s_delay_alu instid0(SALU_CYCLE_1) | instskip(SKIP_1) | instid1(VALU_DEP_3)
	v_add_co_u32 v1, vcc_lo, v1, s2
	v_add_co_ci_u32_e32 v2, vcc_lo, s3, v2, vcc_lo
	v_add_co_u32 v3, vcc_lo, s0, v3
	s_delay_alu instid0(VALU_DEP_4) | instskip(SKIP_4) | instid1(VALU_DEP_1)
	v_add_co_ci_u32_e32 v4, vcc_lo, s4, v4, vcc_lo
	global_load_u16 v1, v[1:2], off
	global_load_u16 v2, v[3:4], off
	s_waitcnt vmcnt(0)
	v_mul_f16_e32 v1, v1, v2
	v_cvt_f32_f16_e32 v1, v1
	s_delay_alu instid0(VALU_DEP_1)
	v_add_f32_e32 v7, v7, v1
.LBB499_13:
	s_or_b32 exec_lo, exec_lo, s1
	v_lshlrev_b32_e32 v1, 2, v0
	s_mov_b32 s0, exec_lo
	ds_store_b32 v1, v7
	s_waitcnt lgkmcnt(0)
	s_barrier
	buffer_gl0_inv
	v_cmpx_gt_u32_e32 0x80, v0
	s_cbranch_execz .LBB499_15
; %bb.14:
	ds_load_2addr_stride64_b32 v[2:3], v1 offset1:2
	s_waitcnt lgkmcnt(0)
	v_add_f32_e32 v2, v3, v2
	ds_store_b32 v1, v2
.LBB499_15:
	s_or_b32 exec_lo, exec_lo, s0
	s_delay_alu instid0(SALU_CYCLE_1)
	s_mov_b32 s0, exec_lo
	s_waitcnt lgkmcnt(0)
	s_barrier
	buffer_gl0_inv
	v_cmpx_gt_u32_e32 64, v0
	s_cbranch_execz .LBB499_17
; %bb.16:
	ds_load_2addr_stride64_b32 v[2:3], v1 offset1:1
	s_waitcnt lgkmcnt(0)
	v_add_f32_e32 v2, v3, v2
	ds_store_b32 v1, v2
.LBB499_17:
	s_or_b32 exec_lo, exec_lo, s0
	s_delay_alu instid0(SALU_CYCLE_1)
	s_mov_b32 s0, exec_lo
	s_waitcnt lgkmcnt(0)
	s_barrier
	buffer_gl0_inv
	v_cmpx_gt_u32_e32 32, v0
	s_cbranch_execz .LBB499_19
; %bb.18:
	ds_load_2addr_b32 v[2:3], v1 offset1:32
	s_waitcnt lgkmcnt(0)
	v_add_f32_e32 v2, v3, v2
	ds_store_b32 v1, v2
.LBB499_19:
	s_or_b32 exec_lo, exec_lo, s0
	s_delay_alu instid0(SALU_CYCLE_1)
	s_mov_b32 s0, exec_lo
	s_waitcnt lgkmcnt(0)
	s_barrier
	buffer_gl0_inv
	v_cmpx_gt_u32_e32 16, v0
	s_cbranch_execz .LBB499_21
; %bb.20:
	ds_load_2addr_b32 v[2:3], v1 offset1:16
	s_waitcnt lgkmcnt(0)
	v_add_f32_e32 v2, v3, v2
	ds_store_b32 v1, v2
.LBB499_21:
	;; [unrolled: 14-line block ×5, first 2 shown]
	s_or_b32 exec_lo, exec_lo, s0
	v_cmp_eq_u32_e32 vcc_lo, 0, v0
	s_waitcnt lgkmcnt(0)
	s_barrier
	buffer_gl0_inv
	s_and_saveexec_b32 s0, vcc_lo
	s_cbranch_execz .LBB499_29
; %bb.28:
	v_mov_b32_e32 v2, 0
	ds_load_b64 v[0:1], v2
	s_waitcnt lgkmcnt(0)
	v_add_f32_e32 v0, v1, v0
	ds_store_b32 v2, v0
.LBB499_29:
	s_or_b32 exec_lo, exec_lo, s0
	s_waitcnt lgkmcnt(0)
	s_barrier
	buffer_gl0_inv
                                        ; implicit-def: $vgpr1
                                        ; implicit-def: $sgpr4_sgpr5
	s_and_saveexec_b32 s0, vcc_lo
	s_cbranch_execz .LBB499_33
; %bb.30:
	v_mov_b32_e32 v0, 0
	v_cmp_eq_f32_e64 s1, s16, 0
	s_mul_hi_i32 s5, s19, s14
	s_mul_i32 s4, s19, s14
	ds_load_b32 v0, v0
	s_and_b32 vcc_lo, exec_lo, s1
	s_waitcnt lgkmcnt(0)
	v_mul_f32_e32 v1, s18, v0
	s_cbranch_vccnz .LBB499_32
; %bb.31:
	s_lshl_b64 s[2:3], s[4:5], 2
	s_delay_alu instid0(SALU_CYCLE_1)
	s_add_u32 s2, s12, s2
	s_addc_u32 s3, s13, s3
	s_load_b32 s1, s[2:3], 0x0
	s_waitcnt lgkmcnt(0)
	v_fmac_f32_e64 v1, s1, s16
.LBB499_32:
	s_or_b32 s17, s17, exec_lo
.LBB499_33:
	s_or_b32 exec_lo, exec_lo, s0
.LBB499_34:
	s_and_saveexec_b32 s0, s17
	s_cbranch_execz .LBB499_36
; %bb.35:
	s_lshl_b64 s[0:1], s[4:5], 2
	v_mov_b32_e32 v0, 0
	s_add_u32 s0, s12, s0
	s_addc_u32 s1, s13, s1
	global_store_b32 v0, v1, s[0:1]
.LBB499_36:
	s_nop 0
	s_sendmsg sendmsg(MSG_DEALLOC_VGPRS)
	s_endpgm
	.section	.rodata,"a",@progbits
	.p2align	6, 0x0
	.amdhsa_kernel _ZL20rocblas_gemvt_kernelILb1ELi256EDF16_ffEviiT2_lPKT1_lilS3_lilS0_lPT3_lili
		.amdhsa_group_segment_fixed_size 1024
		.amdhsa_private_segment_fixed_size 0
		.amdhsa_kernarg_size 140
		.amdhsa_user_sgpr_count 14
		.amdhsa_user_sgpr_dispatch_ptr 0
		.amdhsa_user_sgpr_queue_ptr 0
		.amdhsa_user_sgpr_kernarg_segment_ptr 1
		.amdhsa_user_sgpr_dispatch_id 0
		.amdhsa_user_sgpr_private_segment_size 0
		.amdhsa_wavefront_size32 1
		.amdhsa_uses_dynamic_stack 0
		.amdhsa_enable_private_segment 0
		.amdhsa_system_sgpr_workgroup_id_x 1
		.amdhsa_system_sgpr_workgroup_id_y 0
		.amdhsa_system_sgpr_workgroup_id_z 1
		.amdhsa_system_sgpr_workgroup_info 0
		.amdhsa_system_vgpr_workitem_id 0
		.amdhsa_next_free_vgpr 10
		.amdhsa_next_free_sgpr 28
		.amdhsa_reserve_vcc 1
		.amdhsa_float_round_mode_32 0
		.amdhsa_float_round_mode_16_64 0
		.amdhsa_float_denorm_mode_32 3
		.amdhsa_float_denorm_mode_16_64 3
		.amdhsa_dx10_clamp 1
		.amdhsa_ieee_mode 1
		.amdhsa_fp16_overflow 0
		.amdhsa_workgroup_processor_mode 1
		.amdhsa_memory_ordered 1
		.amdhsa_forward_progress 0
		.amdhsa_shared_vgpr_count 0
		.amdhsa_exception_fp_ieee_invalid_op 0
		.amdhsa_exception_fp_denorm_src 0
		.amdhsa_exception_fp_ieee_div_zero 0
		.amdhsa_exception_fp_ieee_overflow 0
		.amdhsa_exception_fp_ieee_underflow 0
		.amdhsa_exception_fp_ieee_inexact 0
		.amdhsa_exception_int_div_zero 0
	.end_amdhsa_kernel
	.section	.text._ZL20rocblas_gemvt_kernelILb1ELi256EDF16_ffEviiT2_lPKT1_lilS3_lilS0_lPT3_lili,"axG",@progbits,_ZL20rocblas_gemvt_kernelILb1ELi256EDF16_ffEviiT2_lPKT1_lilS3_lilS0_lPT3_lili,comdat
.Lfunc_end499:
	.size	_ZL20rocblas_gemvt_kernelILb1ELi256EDF16_ffEviiT2_lPKT1_lilS3_lilS0_lPT3_lili, .Lfunc_end499-_ZL20rocblas_gemvt_kernelILb1ELi256EDF16_ffEviiT2_lPKT1_lilS3_lilS0_lPT3_lili
                                        ; -- End function
	.section	.AMDGPU.csdata,"",@progbits
; Kernel info:
; codeLenInByte = 1452
; NumSgprs: 30
; NumVgprs: 10
; ScratchSize: 0
; MemoryBound: 0
; FloatMode: 240
; IeeeMode: 1
; LDSByteSize: 1024 bytes/workgroup (compile time only)
; SGPRBlocks: 3
; VGPRBlocks: 1
; NumSGPRsForWavesPerEU: 30
; NumVGPRsForWavesPerEU: 10
; Occupancy: 16
; WaveLimiterHint : 1
; COMPUTE_PGM_RSRC2:SCRATCH_EN: 0
; COMPUTE_PGM_RSRC2:USER_SGPR: 14
; COMPUTE_PGM_RSRC2:TRAP_HANDLER: 0
; COMPUTE_PGM_RSRC2:TGID_X_EN: 1
; COMPUTE_PGM_RSRC2:TGID_Y_EN: 0
; COMPUTE_PGM_RSRC2:TGID_Z_EN: 1
; COMPUTE_PGM_RSRC2:TIDIG_COMP_CNT: 0
	.section	.text._ZL32rocblas_gemvt_warp_reduce_kernelILb1ELi1024EiDF16_PKffEviiT3_lPKT2_lT1_lS5_lS6_lS2_lPT4_lS6_li,"axG",@progbits,_ZL32rocblas_gemvt_warp_reduce_kernelILb1ELi1024EiDF16_PKffEviiT3_lPKT2_lT1_lS5_lS6_lS2_lPT4_lS6_li,comdat
	.globl	_ZL32rocblas_gemvt_warp_reduce_kernelILb1ELi1024EiDF16_PKffEviiT3_lPKT2_lT1_lS5_lS6_lS2_lPT4_lS6_li ; -- Begin function _ZL32rocblas_gemvt_warp_reduce_kernelILb1ELi1024EiDF16_PKffEviiT3_lPKT2_lT1_lS5_lS6_lS2_lPT4_lS6_li
	.p2align	8
	.type	_ZL32rocblas_gemvt_warp_reduce_kernelILb1ELi1024EiDF16_PKffEviiT3_lPKT2_lT1_lS5_lS6_lS2_lPT4_lS6_li,@function
_ZL32rocblas_gemvt_warp_reduce_kernelILb1ELi1024EiDF16_PKffEviiT3_lPKT2_lT1_lS5_lS6_lS2_lPT4_lS6_li: ; @_ZL32rocblas_gemvt_warp_reduce_kernelILb1ELi1024EiDF16_PKffEviiT3_lPKT2_lT1_lS5_lS6_lS2_lPT4_lS6_li
; %bb.0:
	s_clause 0x1
	s_load_b256 s[4:11], s[0:1], 0x8
	s_load_b256 s[16:23], s[0:1], 0x50
	s_mov_b32 s13, 0
	s_waitcnt lgkmcnt(0)
	s_mul_i32 s3, s15, s7
	s_mul_hi_u32 s7, s15, s6
	s_mul_i32 s2, s15, s6
	s_add_i32 s3, s7, s3
	s_mul_i32 s6, s15, s21
	s_lshl_b64 s[2:3], s[2:3], 2
	s_mul_hi_u32 s7, s15, s20
	s_add_u32 s2, s4, s2
	s_addc_u32 s3, s5, s3
	s_add_i32 s5, s7, s6
	s_mul_i32 s4, s15, s20
	s_delay_alu instid0(SALU_CYCLE_1) | instskip(NEXT) | instid1(SALU_CYCLE_1)
	s_lshl_b64 s[4:5], s[4:5], 2
	s_add_u32 s4, s18, s4
	s_addc_u32 s5, s19, s5
	s_load_b32 s18, s[2:3], 0x0
	s_load_b32 s12, s[4:5], 0x0
	s_waitcnt lgkmcnt(0)
	v_cmp_eq_f32_e64 s2, s18, 0
	v_cmp_eq_f32_e64 s3, s12, 1.0
	s_delay_alu instid0(VALU_DEP_1) | instskip(NEXT) | instid1(SALU_CYCLE_1)
	s_and_b32 s2, s2, s3
	s_and_b32 vcc_lo, exec_lo, s2
	s_cbranch_vccnz .LBB500_29
; %bb.1:
	s_clause 0x2
	s_load_b64 s[2:3], s[0:1], 0x80
	s_load_b64 s[4:5], s[0:1], 0x70
	s_load_b32 s19, s[0:1], 0x78
	v_cmp_neq_f32_e64 s20, s18, 0
	s_waitcnt lgkmcnt(0)
	s_mul_i32 s3, s15, s3
	s_mul_hi_u32 s6, s15, s2
	s_mul_i32 s2, s15, s2
	s_add_i32 s3, s6, s3
	s_delay_alu instid0(SALU_CYCLE_1) | instskip(NEXT) | instid1(SALU_CYCLE_1)
	s_lshl_b64 s[2:3], s[2:3], 2
	s_add_u32 s6, s22, s2
	s_addc_u32 s7, s23, s3
	s_lshl_b64 s[2:3], s[4:5], 2
	s_delay_alu instid0(SALU_CYCLE_1)
	s_add_u32 s6, s6, s2
	v_cmp_eq_u32_e64 s2, 0, v0
	s_addc_u32 s7, s7, s3
	s_and_b32 vcc_lo, exec_lo, s20
	s_cbranch_vccnz .LBB500_6
; %bb.2:
	s_mov_b32 s3, 0
                                        ; implicit-def: $vgpr1
                                        ; implicit-def: $sgpr4_sgpr5
	s_and_saveexec_b32 s20, s2
	s_cbranch_execz .LBB500_7
; %bb.3:
	v_cmp_eq_f32_e64 s2, s12, 0
	v_mov_b32_e32 v1, 0
	s_mul_i32 s4, s14, s19
	s_delay_alu instid0(SALU_CYCLE_1) | instskip(NEXT) | instid1(VALU_DEP_2)
	s_ashr_i32 s5, s4, 31
	s_and_b32 vcc_lo, exec_lo, s2
	s_cbranch_vccnz .LBB500_5
; %bb.4:
	s_lshl_b64 s[22:23], s[4:5], 2
	s_delay_alu instid0(SALU_CYCLE_1)
	s_add_u32 s22, s6, s22
	s_addc_u32 s23, s7, s23
	s_load_b32 s2, s[22:23], 0x0
	s_waitcnt lgkmcnt(0)
	v_mul_f32_e64 v1, s12, s2
.LBB500_5:
	s_mov_b32 s13, exec_lo
	s_or_b32 exec_lo, exec_lo, s20
	s_delay_alu instid0(SALU_CYCLE_1)
	s_and_b32 vcc_lo, exec_lo, s3
	s_cbranch_vccnz .LBB500_8
	s_branch .LBB500_27
.LBB500_6:
                                        ; implicit-def: $vgpr1
                                        ; implicit-def: $sgpr4_sgpr5
	s_cbranch_execnz .LBB500_8
	s_branch .LBB500_27
.LBB500_7:
	s_or_b32 exec_lo, exec_lo, s20
	s_delay_alu instid0(SALU_CYCLE_1)
	s_and_b32 vcc_lo, exec_lo, s3
	s_cbranch_vccz .LBB500_27
.LBB500_8:
	s_mul_i32 s3, s15, s17
	s_mul_hi_u32 s17, s15, s16
	s_mul_i32 s2, s15, s16
	s_add_i32 s3, s17, s3
	s_clause 0x2
	s_load_b128 s[20:23], s[0:1], 0x30
	s_load_b64 s[4:5], s[0:1], 0x40
	s_load_b32 s24, s[0:1], 0x28
	s_lshl_b64 s[16:17], s[2:3], 1
	s_clause 0x1
	s_load_b32 s3, s[0:1], 0x0
	s_load_b32 s1, s[0:1], 0x48
	v_mov_b32_e32 v7, 0
	s_waitcnt lgkmcnt(0)
	s_add_u32 s2, s22, s16
	s_addc_u32 s17, s23, s17
	s_lshl_b64 s[4:5], s[4:5], 1
	s_mul_i32 s21, s15, s21
	s_mul_hi_u32 s22, s15, s20
	s_add_u32 s4, s2, s4
	v_cmp_gt_i32_e32 vcc_lo, s3, v0
	s_mul_i32 s16, s15, s20
	s_addc_u32 s5, s17, s5
	s_add_i32 s17, s22, s21
	s_delay_alu instid0(SALU_CYCLE_1)
	s_lshl_b64 s[16:17], s[16:17], 1
	v_cndmask_b32_e32 v1, 0, v0, vcc_lo
	s_add_u32 s2, s8, s16
	s_addc_u32 s15, s9, s17
	s_lshl_b64 s[8:9], s[10:11], 1
	s_mul_i32 s10, s14, s24
	s_add_u32 s2, s2, s8
	s_addc_u32 s15, s15, s9
	s_ashr_i32 s11, s10, 31
	v_lshlrev_b32_e32 v1, 1, v1
	s_lshl_b64 s[8:9], s[10:11], 1
	s_delay_alu instid0(SALU_CYCLE_1)
	s_add_u32 s0, s8, s2
	s_addc_u32 s8, s9, s15
	s_ashr_i32 s2, s3, 31
	v_add_co_u32 v1, s0, s0, v1
	s_lshr_b32 s2, s2, 22
	v_add_co_ci_u32_e64 v2, null, s8, 0, s0
	s_add_i32 s2, s3, s2
	s_mov_b32 s9, 0
	s_and_b32 s2, s2, 0xfffffc00
	s_mov_b32 s8, exec_lo
	v_cmpx_gt_i32_e64 s2, v0
	s_cbranch_execz .LBB500_12
; %bb.9:
	v_mul_lo_u32 v3, v0, s1
	v_dual_mov_b32 v7, 0 :: v_dual_mov_b32 v6, v2
	v_dual_mov_b32 v5, v1 :: v_dual_mov_b32 v8, v0
	s_lshl_b32 s10, s1, 10
	.p2align	6
.LBB500_10:                             ; =>This Inner Loop Header: Depth=1
	s_delay_alu instid0(VALU_DEP_3) | instskip(NEXT) | instid1(VALU_DEP_2)
	v_ashrrev_i32_e32 v4, 31, v3
	v_add_nc_u32_e32 v8, 0x400, v8
	s_delay_alu instid0(VALU_DEP_2) | instskip(NEXT) | instid1(VALU_DEP_2)
	v_lshlrev_b64 v[9:10], 1, v[3:4]
	v_cmp_le_i32_e64 s0, s2, v8
	v_add_nc_u32_e32 v3, s10, v3
	s_delay_alu instid0(VALU_DEP_2) | instskip(NEXT) | instid1(VALU_DEP_3)
	s_or_b32 s9, s0, s9
	v_add_co_u32 v9, vcc_lo, s4, v9
	s_delay_alu instid0(VALU_DEP_4)
	v_add_co_ci_u32_e32 v10, vcc_lo, s5, v10, vcc_lo
	global_load_u16 v4, v[5:6], off
	global_load_u16 v9, v[9:10], off
	v_add_co_u32 v5, vcc_lo, 0x800, v5
	v_add_co_ci_u32_e32 v6, vcc_lo, 0, v6, vcc_lo
	s_waitcnt vmcnt(0)
	v_mul_f16_e32 v4, v4, v9
	s_delay_alu instid0(VALU_DEP_1) | instskip(NEXT) | instid1(VALU_DEP_1)
	v_cvt_f32_f16_e32 v4, v4
	v_add_f32_e32 v7, v7, v4
	s_and_not1_b32 exec_lo, exec_lo, s9
	s_cbranch_execnz .LBB500_10
; %bb.11:
	s_or_b32 exec_lo, exec_lo, s9
.LBB500_12:
	s_delay_alu instid0(SALU_CYCLE_1) | instskip(SKIP_2) | instid1(VALU_DEP_1)
	s_or_b32 exec_lo, exec_lo, s8
	v_or_b32_e32 v3, s2, v0
	s_mov_b32 s0, exec_lo
	v_cmpx_gt_i32_e64 s3, v3
	s_cbranch_execz .LBB500_14
; %bb.13:
	v_mul_lo_u32 v3, v3, s1
	s_ashr_i32 s3, s2, 31
	s_delay_alu instid0(SALU_CYCLE_1) | instskip(NEXT) | instid1(SALU_CYCLE_1)
	s_lshl_b64 s[2:3], s[2:3], 1
	v_add_co_u32 v1, vcc_lo, v1, s2
	v_add_co_ci_u32_e32 v2, vcc_lo, s3, v2, vcc_lo
	s_delay_alu instid0(VALU_DEP_3) | instskip(NEXT) | instid1(VALU_DEP_1)
	v_ashrrev_i32_e32 v4, 31, v3
	v_lshlrev_b64 v[3:4], 1, v[3:4]
	s_delay_alu instid0(VALU_DEP_1) | instskip(NEXT) | instid1(VALU_DEP_2)
	v_add_co_u32 v3, vcc_lo, s4, v3
	v_add_co_ci_u32_e32 v4, vcc_lo, s5, v4, vcc_lo
	global_load_u16 v1, v[1:2], off
	global_load_u16 v2, v[3:4], off
	s_waitcnt vmcnt(0)
	v_mul_f16_e32 v1, v1, v2
	s_delay_alu instid0(VALU_DEP_1) | instskip(NEXT) | instid1(VALU_DEP_1)
	v_cvt_f32_f16_e32 v1, v1
	v_add_f32_e32 v7, v7, v1
.LBB500_14:
	s_or_b32 exec_lo, exec_lo, s0
	v_and_b32_e32 v6, 31, v0
	v_cmp_gt_u32_e32 vcc_lo, 32, v0
	s_delay_alu instid0(VALU_DEP_2)
	v_lshlrev_b32_e32 v1, 2, v6
	s_and_saveexec_b32 s0, vcc_lo
	s_cbranch_execz .LBB500_16
; %bb.15:
	v_mov_b32_e32 v2, 0
	ds_store_b32 v1, v2
.LBB500_16:
	s_or_b32 exec_lo, exec_lo, s0
	v_mbcnt_lo_u32_b32 v8, -1, 0
	s_mov_b32 s1, exec_lo
	s_waitcnt lgkmcnt(0)
	s_barrier
	buffer_gl0_inv
	v_cmp_gt_u32_e64 s0, 16, v8
	s_delay_alu instid0(VALU_DEP_1) | instskip(SKIP_1) | instid1(VALU_DEP_2)
	v_cndmask_b32_e64 v2, 0, 1, s0
	v_cmp_gt_u32_e64 s0, 24, v8
	v_lshlrev_b32_e32 v2, 4, v2
	s_delay_alu instid0(VALU_DEP_2) | instskip(SKIP_1) | instid1(VALU_DEP_3)
	v_cndmask_b32_e64 v3, 0, 1, s0
	v_cmp_gt_u32_e64 s0, 28, v8
	v_add_lshl_u32 v2, v2, v8, 2
	s_delay_alu instid0(VALU_DEP_3)
	v_lshlrev_b32_e32 v3, 3, v3
	ds_bpermute_b32 v4, v2, v7
	v_add_lshl_u32 v3, v3, v8, 2
	s_waitcnt lgkmcnt(0)
	v_add_f32_e32 v5, v7, v4
	v_cndmask_b32_e64 v4, 0, 1, s0
	v_cmp_gt_u32_e64 s0, 30, v8
	ds_bpermute_b32 v7, v3, v5
	s_waitcnt lgkmcnt(0)
	v_dual_add_f32 v7, v5, v7 :: v_dual_lshlrev_b32 v4, 2, v4
	s_delay_alu instid0(VALU_DEP_1)
	v_add_lshl_u32 v4, v4, v8, 2
	v_cndmask_b32_e64 v5, 0, 1, s0
	v_cmp_ne_u32_e64 s0, 31, v8
	ds_bpermute_b32 v9, v4, v7
	v_lshlrev_b32_e32 v5, 1, v5
	v_add_co_ci_u32_e64 v10, s0, 0, v8, s0
	s_delay_alu instid0(VALU_DEP_2)
	v_add_lshl_u32 v5, v5, v8, 2
	s_waitcnt lgkmcnt(0)
	v_add_f32_e32 v7, v7, v9
	ds_bpermute_b32 v9, v5, v7
	s_waitcnt lgkmcnt(0)
	v_dual_add_f32 v8, v7, v9 :: v_dual_lshlrev_b32 v7, 2, v10
	ds_bpermute_b32 v9, v7, v8
	v_cmpx_eq_u32_e32 0, v6
	s_cbranch_execz .LBB500_18
; %bb.17:
	v_lshrrev_b32_e32 v6, 3, v0
	s_waitcnt lgkmcnt(0)
	v_add_f32_e32 v8, v8, v9
	s_delay_alu instid0(VALU_DEP_2)
	v_and_b32_e32 v6, 0x7c, v6
	ds_store_b32 v6, v8
.LBB500_18:
	s_or_b32 exec_lo, exec_lo, s1
	v_mov_b32_e32 v6, 0
	s_waitcnt lgkmcnt(0)
	s_barrier
	buffer_gl0_inv
	s_and_saveexec_b32 s0, vcc_lo
	s_cbranch_execz .LBB500_20
; %bb.19:
	ds_load_b32 v6, v1
.LBB500_20:
	s_or_b32 exec_lo, exec_lo, s0
	s_and_saveexec_b32 s0, vcc_lo
	s_cbranch_execz .LBB500_22
; %bb.21:
	s_waitcnt lgkmcnt(0)
	ds_bpermute_b32 v1, v2, v6
	s_waitcnt lgkmcnt(0)
	v_add_f32_e32 v1, v6, v1
	ds_bpermute_b32 v2, v3, v1
	s_waitcnt lgkmcnt(0)
	v_add_f32_e32 v1, v1, v2
	;; [unrolled: 3-line block ×5, first 2 shown]
.LBB500_22:
	s_or_b32 exec_lo, exec_lo, s0
	s_delay_alu instid0(SALU_CYCLE_1)
	s_mov_b32 s0, exec_lo
                                        ; implicit-def: $vgpr1
                                        ; implicit-def: $sgpr4_sgpr5
	v_cmpx_eq_u32_e32 0, v0
	s_cbranch_execz .LBB500_26
; %bb.23:
	v_cmp_eq_f32_e64 s1, s12, 0
	s_waitcnt lgkmcnt(0)
	v_mul_f32_e32 v1, s18, v6
	s_mul_i32 s4, s14, s19
	s_delay_alu instid0(SALU_CYCLE_1)
	s_ashr_i32 s5, s4, 31
	s_and_b32 vcc_lo, exec_lo, s1
	s_cbranch_vccnz .LBB500_25
; %bb.24:
	s_lshl_b64 s[2:3], s[4:5], 2
	s_delay_alu instid0(SALU_CYCLE_1)
	s_add_u32 s2, s6, s2
	s_addc_u32 s3, s7, s3
	s_load_b32 s1, s[2:3], 0x0
	s_waitcnt lgkmcnt(0)
	v_fmac_f32_e64 v1, s12, s1
.LBB500_25:
	s_or_b32 s13, s13, exec_lo
.LBB500_26:
	s_or_b32 exec_lo, exec_lo, s0
.LBB500_27:
	s_and_saveexec_b32 s0, s13
	s_cbranch_execz .LBB500_29
; %bb.28:
	s_lshl_b64 s[0:1], s[4:5], 2
	v_mov_b32_e32 v0, 0
	s_add_u32 s0, s6, s0
	s_addc_u32 s1, s7, s1
	global_store_b32 v0, v1, s[0:1]
.LBB500_29:
	s_nop 0
	s_sendmsg sendmsg(MSG_DEALLOC_VGPRS)
	s_endpgm
	.section	.rodata,"a",@progbits
	.p2align	6, 0x0
	.amdhsa_kernel _ZL32rocblas_gemvt_warp_reduce_kernelILb1ELi1024EiDF16_PKffEviiT3_lPKT2_lT1_lS5_lS6_lS2_lPT4_lS6_li
		.amdhsa_group_segment_fixed_size 128
		.amdhsa_private_segment_fixed_size 0
		.amdhsa_kernarg_size 140
		.amdhsa_user_sgpr_count 14
		.amdhsa_user_sgpr_dispatch_ptr 0
		.amdhsa_user_sgpr_queue_ptr 0
		.amdhsa_user_sgpr_kernarg_segment_ptr 1
		.amdhsa_user_sgpr_dispatch_id 0
		.amdhsa_user_sgpr_private_segment_size 0
		.amdhsa_wavefront_size32 1
		.amdhsa_uses_dynamic_stack 0
		.amdhsa_enable_private_segment 0
		.amdhsa_system_sgpr_workgroup_id_x 1
		.amdhsa_system_sgpr_workgroup_id_y 0
		.amdhsa_system_sgpr_workgroup_id_z 1
		.amdhsa_system_sgpr_workgroup_info 0
		.amdhsa_system_vgpr_workitem_id 0
		.amdhsa_next_free_vgpr 11
		.amdhsa_next_free_sgpr 25
		.amdhsa_reserve_vcc 1
		.amdhsa_float_round_mode_32 0
		.amdhsa_float_round_mode_16_64 0
		.amdhsa_float_denorm_mode_32 3
		.amdhsa_float_denorm_mode_16_64 3
		.amdhsa_dx10_clamp 1
		.amdhsa_ieee_mode 1
		.amdhsa_fp16_overflow 0
		.amdhsa_workgroup_processor_mode 1
		.amdhsa_memory_ordered 1
		.amdhsa_forward_progress 0
		.amdhsa_shared_vgpr_count 0
		.amdhsa_exception_fp_ieee_invalid_op 0
		.amdhsa_exception_fp_denorm_src 0
		.amdhsa_exception_fp_ieee_div_zero 0
		.amdhsa_exception_fp_ieee_overflow 0
		.amdhsa_exception_fp_ieee_underflow 0
		.amdhsa_exception_fp_ieee_inexact 0
		.amdhsa_exception_int_div_zero 0
	.end_amdhsa_kernel
	.section	.text._ZL32rocblas_gemvt_warp_reduce_kernelILb1ELi1024EiDF16_PKffEviiT3_lPKT2_lT1_lS5_lS6_lS2_lPT4_lS6_li,"axG",@progbits,_ZL32rocblas_gemvt_warp_reduce_kernelILb1ELi1024EiDF16_PKffEviiT3_lPKT2_lT1_lS5_lS6_lS2_lPT4_lS6_li,comdat
.Lfunc_end500:
	.size	_ZL32rocblas_gemvt_warp_reduce_kernelILb1ELi1024EiDF16_PKffEviiT3_lPKT2_lT1_lS5_lS6_lS2_lPT4_lS6_li, .Lfunc_end500-_ZL32rocblas_gemvt_warp_reduce_kernelILb1ELi1024EiDF16_PKffEviiT3_lPKT2_lT1_lS5_lS6_lS2_lPT4_lS6_li
                                        ; -- End function
	.section	.AMDGPU.csdata,"",@progbits
; Kernel info:
; codeLenInByte = 1504
; NumSgprs: 27
; NumVgprs: 11
; ScratchSize: 0
; MemoryBound: 0
; FloatMode: 240
; IeeeMode: 1
; LDSByteSize: 128 bytes/workgroup (compile time only)
; SGPRBlocks: 3
; VGPRBlocks: 1
; NumSGPRsForWavesPerEU: 27
; NumVGPRsForWavesPerEU: 11
; Occupancy: 16
; WaveLimiterHint : 1
; COMPUTE_PGM_RSRC2:SCRATCH_EN: 0
; COMPUTE_PGM_RSRC2:USER_SGPR: 14
; COMPUTE_PGM_RSRC2:TRAP_HANDLER: 0
; COMPUTE_PGM_RSRC2:TGID_X_EN: 1
; COMPUTE_PGM_RSRC2:TGID_Y_EN: 0
; COMPUTE_PGM_RSRC2:TGID_Z_EN: 1
; COMPUTE_PGM_RSRC2:TIDIG_COMP_CNT: 0
	.section	.text._ZL32rocblas_gemvt_warp_reduce_kernelILb1ELi1024ElDF16_PKffEviiT3_lPKT2_lT1_lS5_lS6_lS2_lPT4_lS6_li,"axG",@progbits,_ZL32rocblas_gemvt_warp_reduce_kernelILb1ELi1024ElDF16_PKffEviiT3_lPKT2_lT1_lS5_lS6_lS2_lPT4_lS6_li,comdat
	.globl	_ZL32rocblas_gemvt_warp_reduce_kernelILb1ELi1024ElDF16_PKffEviiT3_lPKT2_lT1_lS5_lS6_lS2_lPT4_lS6_li ; -- Begin function _ZL32rocblas_gemvt_warp_reduce_kernelILb1ELi1024ElDF16_PKffEviiT3_lPKT2_lT1_lS5_lS6_lS2_lPT4_lS6_li
	.p2align	8
	.type	_ZL32rocblas_gemvt_warp_reduce_kernelILb1ELi1024ElDF16_PKffEviiT3_lPKT2_lT1_lS5_lS6_lS2_lPT4_lS6_li,@function
_ZL32rocblas_gemvt_warp_reduce_kernelILb1ELi1024ElDF16_PKffEviiT3_lPKT2_lT1_lS5_lS6_lS2_lPT4_lS6_li: ; @_ZL32rocblas_gemvt_warp_reduce_kernelILb1ELi1024ElDF16_PKffEviiT3_lPKT2_lT1_lS5_lS6_lS2_lPT4_lS6_li
; %bb.0:
	s_clause 0x1
	s_load_b512 s[36:51], s[0:1], 0x8
	s_load_b512 s[16:31], s[0:1], 0x48
	s_mov_b32 s11, 0
	s_waitcnt lgkmcnt(0)
	s_mul_i32 s3, s15, s39
	s_mul_hi_u32 s4, s15, s38
	s_mul_i32 s2, s15, s38
	s_add_i32 s3, s4, s3
	s_mul_i32 s4, s15, s23
	s_lshl_b64 s[2:3], s[2:3], 2
	s_mul_hi_u32 s5, s15, s22
	s_add_u32 s2, s36, s2
	s_addc_u32 s3, s37, s3
	s_add_i32 s5, s5, s4
	s_mul_i32 s4, s15, s22
	s_delay_alu instid0(SALU_CYCLE_1) | instskip(NEXT) | instid1(SALU_CYCLE_1)
	s_lshl_b64 s[4:5], s[4:5], 2
	s_add_u32 s4, s20, s4
	s_addc_u32 s5, s21, s5
	s_load_b32 s12, s[2:3], 0x0
	s_load_b32 s10, s[4:5], 0x0
	s_waitcnt lgkmcnt(0)
	v_cmp_eq_f32_e64 s2, s12, 0
	v_cmp_eq_f32_e64 s3, s10, 1.0
	s_delay_alu instid0(VALU_DEP_1) | instskip(NEXT) | instid1(SALU_CYCLE_1)
	s_and_b32 s2, s2, s3
	s_and_b32 vcc_lo, exec_lo, s2
	s_cbranch_vccnz .LBB501_29
; %bb.1:
	s_mul_i32 s3, s15, s31
	s_mul_hi_u32 s4, s15, s30
	s_mul_i32 s2, s15, s30
	s_add_i32 s3, s4, s3
	v_cmp_neq_f32_e64 s4, s12, 0
	s_lshl_b64 s[2:3], s[2:3], 2
	s_delay_alu instid0(SALU_CYCLE_1) | instskip(SKIP_2) | instid1(SALU_CYCLE_1)
	s_add_u32 s5, s24, s2
	s_addc_u32 s6, s25, s3
	s_lshl_b64 s[2:3], s[26:27], 2
	s_add_u32 s8, s5, s2
	v_cmp_eq_u32_e64 s2, 0, v0
	s_addc_u32 s9, s6, s3
	s_and_b32 vcc_lo, exec_lo, s4
	s_cbranch_vccnz .LBB501_6
; %bb.2:
	s_mov_b32 s3, 0
                                        ; implicit-def: $vgpr1
                                        ; implicit-def: $sgpr4_sgpr5
	s_and_saveexec_b32 s6, s2
	s_cbranch_execz .LBB501_7
; %bb.3:
	v_cmp_eq_f32_e64 s2, s10, 0
	s_mul_i32 s4, s14, s29
	s_mul_hi_u32 s5, s14, s28
	s_ashr_i32 s7, s14, 31
	v_mov_b32_e32 v1, 0
	s_add_i32 s4, s5, s4
	s_mul_i32 s7, s7, s28
	s_and_b32 vcc_lo, exec_lo, s2
	s_add_i32 s5, s4, s7
	s_mul_i32 s4, s14, s28
	s_cbranch_vccnz .LBB501_5
; %bb.4:
	s_lshl_b64 s[20:21], s[4:5], 2
	s_delay_alu instid0(SALU_CYCLE_1)
	s_add_u32 s20, s8, s20
	s_addc_u32 s21, s9, s21
	s_load_b32 s2, s[20:21], 0x0
	s_waitcnt lgkmcnt(0)
	v_mul_f32_e64 v1, s10, s2
.LBB501_5:
	s_mov_b32 s11, exec_lo
	s_or_b32 exec_lo, exec_lo, s6
	s_delay_alu instid0(SALU_CYCLE_1)
	s_and_b32 vcc_lo, exec_lo, s3
	s_cbranch_vccnz .LBB501_8
	s_branch .LBB501_27
.LBB501_6:
                                        ; implicit-def: $vgpr1
                                        ; implicit-def: $sgpr4_sgpr5
	s_cbranch_execnz .LBB501_8
	s_branch .LBB501_27
.LBB501_7:
	s_or_b32 exec_lo, exec_lo, s6
	s_delay_alu instid0(SALU_CYCLE_1)
	s_and_b32 vcc_lo, exec_lo, s3
	s_cbranch_vccz .LBB501_27
.LBB501_8:
	s_load_b32 s5, s[0:1], 0x0
	s_mul_i32 s3, s15, s47
	s_mul_hi_u32 s4, s15, s46
	s_mul_i32 s0, s15, s46
	s_add_i32 s1, s4, s3
	s_mul_i32 s2, s15, s19
	s_mul_hi_u32 s3, s15, s18
	s_lshl_b64 s[0:1], s[0:1], 1
	s_add_i32 s3, s3, s2
	s_add_u32 s2, s40, s0
	s_addc_u32 s4, s41, s1
	s_lshl_b64 s[0:1], s[42:43], 1
	s_mul_hi_u32 s6, s14, s44
	s_add_u32 s0, s2, s0
	s_addc_u32 s2, s4, s1
	s_mul_i32 s4, s14, s45
	s_ashr_i32 s1, s14, 31
	s_add_i32 s4, s6, s4
	s_mul_i32 s6, s1, s44
	v_mov_b32_e32 v7, 0
	s_waitcnt lgkmcnt(0)
	v_cmp_gt_i32_e32 vcc_lo, s5, v0
	s_add_i32 s7, s4, s6
	s_mul_i32 s6, s14, s44
	s_mov_b32 s13, exec_lo
	s_lshl_b64 s[6:7], s[6:7], 1
	v_cndmask_b32_e32 v1, 0, v0, vcc_lo
	s_add_u32 s0, s6, s0
	s_addc_u32 s2, s7, s2
	s_ashr_i32 s4, s5, 31
	s_delay_alu instid0(SALU_CYCLE_1) | instskip(SKIP_2) | instid1(SALU_CYCLE_1)
	s_lshr_b32 s4, s4, 22
	v_lshlrev_b32_e32 v1, 1, v1
	s_add_i32 s4, s5, s4
	s_and_b32 s4, s4, 0xfffffc00
	s_delay_alu instid0(VALU_DEP_1) | instskip(NEXT) | instid1(VALU_DEP_1)
	v_add_co_u32 v1, s0, s0, v1
	v_add_co_ci_u32_e64 v2, null, s2, 0, s0
	s_mul_i32 s2, s15, s18
	s_mov_b32 s15, 0
	v_cmpx_gt_i32_e64 s4, v0
	s_cbranch_execz .LBB501_12
; %bb.9:
	v_mad_u64_u32 v[5:6], null, s16, v0, 0
	s_lshl_b64 s[18:19], s[50:51], 1
	s_lshl_b64 s[6:7], s[2:3], 1
	s_add_u32 s0, s48, s18
	s_addc_u32 s18, s49, s19
	s_add_u32 s0, s0, s6
	s_addc_u32 s6, s18, s7
	s_delay_alu instid0(VALU_DEP_1) | instskip(NEXT) | instid1(VALU_DEP_1)
	v_dual_mov_b32 v3, v6 :: v_dual_mov_b32 v8, v0
	v_mad_u64_u32 v[6:7], null, s17, v0, v[3:4]
	v_dual_mov_b32 v7, 0 :: v_dual_mov_b32 v4, v2
	v_mov_b32_e32 v3, v1
	s_delay_alu instid0(VALU_DEP_3) | instskip(NEXT) | instid1(VALU_DEP_1)
	v_lshlrev_b64 v[5:6], 1, v[5:6]
	v_add_co_u32 v5, vcc_lo, s0, v5
	s_delay_alu instid0(VALU_DEP_2)
	v_add_co_ci_u32_e32 v6, vcc_lo, s6, v6, vcc_lo
	s_lshl_b64 s[6:7], s[16:17], 11
	.p2align	6
.LBB501_10:                             ; =>This Inner Loop Header: Depth=1
	global_load_u16 v9, v[3:4], off
	global_load_u16 v10, v[5:6], off
	v_add_co_u32 v3, vcc_lo, 0x800, v3
	v_add_co_ci_u32_e32 v4, vcc_lo, 0, v4, vcc_lo
	v_add_co_u32 v5, vcc_lo, v5, s6
	v_add_co_ci_u32_e32 v6, vcc_lo, s7, v6, vcc_lo
	s_waitcnt vmcnt(0)
	v_mul_f16_e32 v9, v9, v10
	s_delay_alu instid0(VALU_DEP_1) | instskip(NEXT) | instid1(VALU_DEP_1)
	v_cvt_f32_f16_e32 v9, v9
	v_dual_add_f32 v7, v7, v9 :: v_dual_add_nc_u32 v8, 0x400, v8
	s_delay_alu instid0(VALU_DEP_1) | instskip(NEXT) | instid1(VALU_DEP_1)
	v_cmp_le_i32_e64 s0, s4, v8
	s_or_b32 s15, s0, s15
	s_delay_alu instid0(SALU_CYCLE_1)
	s_and_not1_b32 exec_lo, exec_lo, s15
	s_cbranch_execnz .LBB501_10
; %bb.11:
	s_or_b32 exec_lo, exec_lo, s15
.LBB501_12:
	s_delay_alu instid0(SALU_CYCLE_1) | instskip(SKIP_2) | instid1(VALU_DEP_1)
	s_or_b32 exec_lo, exec_lo, s13
	v_or_b32_e32 v3, s4, v0
	s_mov_b32 s0, exec_lo
	v_cmpx_gt_i32_e64 s5, v3
	s_cbranch_execz .LBB501_14
; %bb.13:
	v_ashrrev_i32_e32 v6, 31, v3
	v_mul_lo_u32 v8, v3, s17
	v_mad_u64_u32 v[4:5], null, v3, s16, 0
	s_lshl_b64 s[2:3], s[2:3], 1
	s_delay_alu instid0(VALU_DEP_3) | instskip(SKIP_3) | instid1(SALU_CYCLE_1)
	v_mul_lo_u32 v3, v6, s16
	s_add_u32 s5, s48, s2
	s_addc_u32 s6, s49, s3
	s_lshl_b64 s[2:3], s[50:51], 1
	s_add_u32 s7, s5, s2
	s_addc_u32 s6, s6, s3
	s_ashr_i32 s5, s4, 31
	s_delay_alu instid0(VALU_DEP_1) | instskip(SKIP_1) | instid1(SALU_CYCLE_1)
	v_add3_u32 v5, v5, v8, v3
	s_lshl_b64 s[2:3], s[4:5], 1
	v_add_co_u32 v1, vcc_lo, v1, s2
	s_delay_alu instid0(VALU_DEP_2) | instskip(SKIP_1) | instid1(VALU_DEP_2)
	v_lshlrev_b64 v[3:4], 1, v[4:5]
	v_add_co_ci_u32_e32 v2, vcc_lo, s3, v2, vcc_lo
	v_add_co_u32 v3, vcc_lo, s7, v3
	s_delay_alu instid0(VALU_DEP_3) | instskip(SKIP_4) | instid1(VALU_DEP_1)
	v_add_co_ci_u32_e32 v4, vcc_lo, s6, v4, vcc_lo
	global_load_u16 v1, v[1:2], off
	global_load_u16 v2, v[3:4], off
	s_waitcnt vmcnt(0)
	v_mul_f16_e32 v1, v1, v2
	v_cvt_f32_f16_e32 v1, v1
	s_delay_alu instid0(VALU_DEP_1)
	v_add_f32_e32 v7, v7, v1
.LBB501_14:
	s_or_b32 exec_lo, exec_lo, s0
	v_and_b32_e32 v6, 31, v0
	v_cmp_gt_u32_e32 vcc_lo, 32, v0
	s_delay_alu instid0(VALU_DEP_2)
	v_lshlrev_b32_e32 v1, 2, v6
	s_and_saveexec_b32 s0, vcc_lo
	s_cbranch_execz .LBB501_16
; %bb.15:
	v_mov_b32_e32 v2, 0
	ds_store_b32 v1, v2
.LBB501_16:
	s_or_b32 exec_lo, exec_lo, s0
	v_mbcnt_lo_u32_b32 v8, -1, 0
	s_mov_b32 s2, exec_lo
	s_waitcnt lgkmcnt(0)
	s_barrier
	buffer_gl0_inv
	v_cmp_gt_u32_e64 s0, 16, v8
	s_delay_alu instid0(VALU_DEP_1) | instskip(SKIP_1) | instid1(VALU_DEP_2)
	v_cndmask_b32_e64 v2, 0, 1, s0
	v_cmp_gt_u32_e64 s0, 24, v8
	v_lshlrev_b32_e32 v2, 4, v2
	s_delay_alu instid0(VALU_DEP_2) | instskip(SKIP_1) | instid1(VALU_DEP_3)
	v_cndmask_b32_e64 v3, 0, 1, s0
	v_cmp_gt_u32_e64 s0, 28, v8
	v_add_lshl_u32 v2, v2, v8, 2
	s_delay_alu instid0(VALU_DEP_3)
	v_lshlrev_b32_e32 v3, 3, v3
	ds_bpermute_b32 v4, v2, v7
	v_add_lshl_u32 v3, v3, v8, 2
	s_waitcnt lgkmcnt(0)
	v_add_f32_e32 v5, v7, v4
	v_cndmask_b32_e64 v4, 0, 1, s0
	v_cmp_gt_u32_e64 s0, 30, v8
	ds_bpermute_b32 v7, v3, v5
	s_waitcnt lgkmcnt(0)
	v_dual_add_f32 v7, v5, v7 :: v_dual_lshlrev_b32 v4, 2, v4
	s_delay_alu instid0(VALU_DEP_1)
	v_add_lshl_u32 v4, v4, v8, 2
	v_cndmask_b32_e64 v5, 0, 1, s0
	v_cmp_ne_u32_e64 s0, 31, v8
	ds_bpermute_b32 v9, v4, v7
	v_lshlrev_b32_e32 v5, 1, v5
	v_add_co_ci_u32_e64 v10, s0, 0, v8, s0
	s_delay_alu instid0(VALU_DEP_2)
	v_add_lshl_u32 v5, v5, v8, 2
	s_waitcnt lgkmcnt(0)
	v_add_f32_e32 v7, v7, v9
	ds_bpermute_b32 v9, v5, v7
	s_waitcnt lgkmcnt(0)
	v_dual_add_f32 v8, v7, v9 :: v_dual_lshlrev_b32 v7, 2, v10
	ds_bpermute_b32 v9, v7, v8
	v_cmpx_eq_u32_e32 0, v6
	s_cbranch_execz .LBB501_18
; %bb.17:
	v_lshrrev_b32_e32 v6, 3, v0
	s_waitcnt lgkmcnt(0)
	v_add_f32_e32 v8, v8, v9
	s_delay_alu instid0(VALU_DEP_2)
	v_and_b32_e32 v6, 0x7c, v6
	ds_store_b32 v6, v8
.LBB501_18:
	s_or_b32 exec_lo, exec_lo, s2
	v_mov_b32_e32 v6, 0
	s_waitcnt lgkmcnt(0)
	s_barrier
	buffer_gl0_inv
	s_and_saveexec_b32 s0, vcc_lo
	s_cbranch_execz .LBB501_20
; %bb.19:
	ds_load_b32 v6, v1
.LBB501_20:
	s_or_b32 exec_lo, exec_lo, s0
	s_and_saveexec_b32 s0, vcc_lo
	s_cbranch_execz .LBB501_22
; %bb.21:
	s_waitcnt lgkmcnt(0)
	ds_bpermute_b32 v1, v2, v6
	s_waitcnt lgkmcnt(0)
	v_add_f32_e32 v1, v6, v1
	ds_bpermute_b32 v2, v3, v1
	s_waitcnt lgkmcnt(0)
	v_add_f32_e32 v1, v1, v2
	;; [unrolled: 3-line block ×5, first 2 shown]
.LBB501_22:
	s_or_b32 exec_lo, exec_lo, s0
	s_delay_alu instid0(SALU_CYCLE_1)
	s_mov_b32 s0, exec_lo
                                        ; implicit-def: $vgpr1
                                        ; implicit-def: $sgpr4_sgpr5
	v_cmpx_eq_u32_e32 0, v0
	s_cbranch_execz .LBB501_26
; %bb.23:
	v_cmp_eq_f32_e64 s4, s10, 0
	s_mul_i32 s2, s14, s29
	s_mul_hi_u32 s3, s14, s28
	s_waitcnt lgkmcnt(0)
	v_mul_f32_e32 v1, s12, v6
	s_add_i32 s2, s3, s2
	s_mul_i32 s1, s1, s28
	s_and_b32 vcc_lo, exec_lo, s4
	s_add_i32 s5, s2, s1
	s_mul_i32 s4, s14, s28
	s_cbranch_vccnz .LBB501_25
; %bb.24:
	s_lshl_b64 s[2:3], s[4:5], 2
	s_delay_alu instid0(SALU_CYCLE_1)
	s_add_u32 s2, s8, s2
	s_addc_u32 s3, s9, s3
	s_load_b32 s1, s[2:3], 0x0
	s_waitcnt lgkmcnt(0)
	v_fmac_f32_e64 v1, s10, s1
.LBB501_25:
	s_or_b32 s11, s11, exec_lo
.LBB501_26:
	s_or_b32 exec_lo, exec_lo, s0
.LBB501_27:
	s_and_saveexec_b32 s0, s11
	s_cbranch_execz .LBB501_29
; %bb.28:
	s_lshl_b64 s[0:1], s[4:5], 2
	v_mov_b32_e32 v0, 0
	s_add_u32 s0, s8, s0
	s_addc_u32 s1, s9, s1
	global_store_b32 v0, v1, s[0:1]
.LBB501_29:
	s_nop 0
	s_sendmsg sendmsg(MSG_DEALLOC_VGPRS)
	s_endpgm
	.section	.rodata,"a",@progbits
	.p2align	6, 0x0
	.amdhsa_kernel _ZL32rocblas_gemvt_warp_reduce_kernelILb1ELi1024ElDF16_PKffEviiT3_lPKT2_lT1_lS5_lS6_lS2_lPT4_lS6_li
		.amdhsa_group_segment_fixed_size 128
		.amdhsa_private_segment_fixed_size 0
		.amdhsa_kernarg_size 140
		.amdhsa_user_sgpr_count 14
		.amdhsa_user_sgpr_dispatch_ptr 0
		.amdhsa_user_sgpr_queue_ptr 0
		.amdhsa_user_sgpr_kernarg_segment_ptr 1
		.amdhsa_user_sgpr_dispatch_id 0
		.amdhsa_user_sgpr_private_segment_size 0
		.amdhsa_wavefront_size32 1
		.amdhsa_uses_dynamic_stack 0
		.amdhsa_enable_private_segment 0
		.amdhsa_system_sgpr_workgroup_id_x 1
		.amdhsa_system_sgpr_workgroup_id_y 0
		.amdhsa_system_sgpr_workgroup_id_z 1
		.amdhsa_system_sgpr_workgroup_info 0
		.amdhsa_system_vgpr_workitem_id 0
		.amdhsa_next_free_vgpr 11
		.amdhsa_next_free_sgpr 52
		.amdhsa_reserve_vcc 1
		.amdhsa_float_round_mode_32 0
		.amdhsa_float_round_mode_16_64 0
		.amdhsa_float_denorm_mode_32 3
		.amdhsa_float_denorm_mode_16_64 3
		.amdhsa_dx10_clamp 1
		.amdhsa_ieee_mode 1
		.amdhsa_fp16_overflow 0
		.amdhsa_workgroup_processor_mode 1
		.amdhsa_memory_ordered 1
		.amdhsa_forward_progress 0
		.amdhsa_shared_vgpr_count 0
		.amdhsa_exception_fp_ieee_invalid_op 0
		.amdhsa_exception_fp_denorm_src 0
		.amdhsa_exception_fp_ieee_div_zero 0
		.amdhsa_exception_fp_ieee_overflow 0
		.amdhsa_exception_fp_ieee_underflow 0
		.amdhsa_exception_fp_ieee_inexact 0
		.amdhsa_exception_int_div_zero 0
	.end_amdhsa_kernel
	.section	.text._ZL32rocblas_gemvt_warp_reduce_kernelILb1ELi1024ElDF16_PKffEviiT3_lPKT2_lT1_lS5_lS6_lS2_lPT4_lS6_li,"axG",@progbits,_ZL32rocblas_gemvt_warp_reduce_kernelILb1ELi1024ElDF16_PKffEviiT3_lPKT2_lT1_lS5_lS6_lS2_lPT4_lS6_li,comdat
.Lfunc_end501:
	.size	_ZL32rocblas_gemvt_warp_reduce_kernelILb1ELi1024ElDF16_PKffEviiT3_lPKT2_lT1_lS5_lS6_lS2_lPT4_lS6_li, .Lfunc_end501-_ZL32rocblas_gemvt_warp_reduce_kernelILb1ELi1024ElDF16_PKffEviiT3_lPKT2_lT1_lS5_lS6_lS2_lPT4_lS6_li
                                        ; -- End function
	.section	.AMDGPU.csdata,"",@progbits
; Kernel info:
; codeLenInByte = 1548
; NumSgprs: 54
; NumVgprs: 11
; ScratchSize: 0
; MemoryBound: 0
; FloatMode: 240
; IeeeMode: 1
; LDSByteSize: 128 bytes/workgroup (compile time only)
; SGPRBlocks: 6
; VGPRBlocks: 1
; NumSGPRsForWavesPerEU: 54
; NumVGPRsForWavesPerEU: 11
; Occupancy: 16
; WaveLimiterHint : 0
; COMPUTE_PGM_RSRC2:SCRATCH_EN: 0
; COMPUTE_PGM_RSRC2:USER_SGPR: 14
; COMPUTE_PGM_RSRC2:TRAP_HANDLER: 0
; COMPUTE_PGM_RSRC2:TGID_X_EN: 1
; COMPUTE_PGM_RSRC2:TGID_Y_EN: 0
; COMPUTE_PGM_RSRC2:TGID_Z_EN: 1
; COMPUTE_PGM_RSRC2:TIDIG_COMP_CNT: 0
	.section	.text._ZL32rocblas_gemvt_warp_reduce_kernelILb1ELi1024EiDF16_ffEviiT3_lPKT2_lT1_lS3_lS4_lS0_lPT4_lS4_li,"axG",@progbits,_ZL32rocblas_gemvt_warp_reduce_kernelILb1ELi1024EiDF16_ffEviiT3_lPKT2_lT1_lS3_lS4_lS0_lPT4_lS4_li,comdat
	.globl	_ZL32rocblas_gemvt_warp_reduce_kernelILb1ELi1024EiDF16_ffEviiT3_lPKT2_lT1_lS3_lS4_lS0_lPT4_lS4_li ; -- Begin function _ZL32rocblas_gemvt_warp_reduce_kernelILb1ELi1024EiDF16_ffEviiT3_lPKT2_lT1_lS3_lS4_lS0_lPT4_lS4_li
	.p2align	8
	.type	_ZL32rocblas_gemvt_warp_reduce_kernelILb1ELi1024EiDF16_ffEviiT3_lPKT2_lT1_lS3_lS4_lS0_lPT4_lS4_li,@function
_ZL32rocblas_gemvt_warp_reduce_kernelILb1ELi1024EiDF16_ffEviiT3_lPKT2_lT1_lS3_lS4_lS0_lPT4_lS4_li: ; @_ZL32rocblas_gemvt_warp_reduce_kernelILb1ELi1024EiDF16_ffEviiT3_lPKT2_lT1_lS3_lS4_lS0_lPT4_lS4_li
; %bb.0:
	s_clause 0x1
	s_load_b32 s10, s[0:1], 0x8
	s_load_b32 s8, s[0:1], 0x58
	s_mov_b32 s9, 0
	s_waitcnt lgkmcnt(0)
	v_cmp_eq_f32_e64 s2, s10, 0
	v_cmp_eq_f32_e64 s3, s8, 1.0
	s_delay_alu instid0(VALU_DEP_1) | instskip(NEXT) | instid1(SALU_CYCLE_1)
	s_and_b32 s2, s2, s3
	s_and_b32 vcc_lo, exec_lo, s2
	s_cbranch_vccnz .LBB502_29
; %bb.1:
	s_clause 0x2
	s_load_b64 s[2:3], s[0:1], 0x80
	s_load_b128 s[4:7], s[0:1], 0x68
	s_load_b32 s11, s[0:1], 0x78
	s_waitcnt lgkmcnt(0)
	s_mul_i32 s3, s15, s3
	s_mul_hi_u32 s12, s15, s2
	s_mul_i32 s2, s15, s2
	s_add_i32 s3, s12, s3
	v_cmp_neq_f32_e64 s12, s10, 0
	s_lshl_b64 s[2:3], s[2:3], 2
	s_delay_alu instid0(SALU_CYCLE_1) | instskip(SKIP_2) | instid1(SALU_CYCLE_1)
	s_add_u32 s4, s4, s2
	s_addc_u32 s5, s5, s3
	s_lshl_b64 s[2:3], s[6:7], 2
	s_add_u32 s6, s4, s2
	v_cmp_eq_u32_e64 s2, 0, v0
	s_addc_u32 s7, s5, s3
	s_and_b32 vcc_lo, exec_lo, s12
	s_cbranch_vccnz .LBB502_6
; %bb.2:
	s_mov_b32 s3, 0
                                        ; implicit-def: $vgpr1
                                        ; implicit-def: $sgpr4_sgpr5
	s_and_saveexec_b32 s12, s2
	s_cbranch_execz .LBB502_7
; %bb.3:
	v_cmp_eq_f32_e64 s2, s8, 0
	v_mov_b32_e32 v1, 0
	s_mul_i32 s4, s14, s11
	s_delay_alu instid0(SALU_CYCLE_1) | instskip(NEXT) | instid1(VALU_DEP_2)
	s_ashr_i32 s5, s4, 31
	s_and_b32 vcc_lo, exec_lo, s2
	s_cbranch_vccnz .LBB502_5
; %bb.4:
	s_lshl_b64 s[16:17], s[4:5], 2
	s_delay_alu instid0(SALU_CYCLE_1)
	s_add_u32 s16, s6, s16
	s_addc_u32 s17, s7, s17
	s_load_b32 s2, s[16:17], 0x0
	s_waitcnt lgkmcnt(0)
	v_mul_f32_e64 v1, s2, s8
.LBB502_5:
	s_mov_b32 s9, exec_lo
	s_or_b32 exec_lo, exec_lo, s12
	s_delay_alu instid0(SALU_CYCLE_1)
	s_and_b32 vcc_lo, exec_lo, s3
	s_cbranch_vccnz .LBB502_8
	s_branch .LBB502_27
.LBB502_6:
                                        ; implicit-def: $vgpr1
                                        ; implicit-def: $sgpr4_sgpr5
	s_cbranch_execnz .LBB502_8
	s_branch .LBB502_27
.LBB502_7:
	s_or_b32 exec_lo, exec_lo, s12
	s_delay_alu instid0(SALU_CYCLE_1)
	s_and_b32 vcc_lo, exec_lo, s3
	s_cbranch_vccz .LBB502_27
.LBB502_8:
	s_clause 0x6
	s_load_b64 s[4:5], s[0:1], 0x50
	s_load_b128 s[16:19], s[0:1], 0x30
	s_load_b64 s[12:13], s[0:1], 0x40
	s_load_b32 s3, s[0:1], 0x0
	s_load_b128 s[20:23], s[0:1], 0x18
	s_load_b32 s2, s[0:1], 0x28
	s_load_b32 s1, s[0:1], 0x48
	v_mov_b32_e32 v7, 0
	s_waitcnt lgkmcnt(0)
	s_mul_i32 s0, s15, s5
	s_mul_hi_u32 s5, s15, s4
	s_mul_i32 s4, s15, s4
	s_add_i32 s5, s5, s0
	s_mul_i32 s0, s15, s17
	s_lshl_b64 s[4:5], s[4:5], 1
	s_mul_hi_u32 s17, s15, s16
	s_add_u32 s18, s18, s4
	s_addc_u32 s19, s19, s5
	s_lshl_b64 s[4:5], s[12:13], 1
	v_cmp_gt_i32_e32 vcc_lo, s3, v0
	s_add_u32 s4, s18, s4
	s_mul_i32 s12, s15, s16
	s_addc_u32 s5, s19, s5
	s_add_i32 s13, s17, s0
	v_cndmask_b32_e32 v1, 0, v0, vcc_lo
	s_lshl_b64 s[12:13], s[12:13], 1
	s_mul_i32 s16, s14, s2
	s_add_u32 s0, s20, s12
	s_addc_u32 s15, s21, s13
	s_lshl_b64 s[12:13], s[22:23], 1
	v_lshlrev_b32_e32 v1, 1, v1
	s_add_u32 s0, s0, s12
	s_addc_u32 s2, s15, s13
	s_ashr_i32 s17, s16, 31
	s_delay_alu instid0(SALU_CYCLE_1) | instskip(NEXT) | instid1(SALU_CYCLE_1)
	s_lshl_b64 s[12:13], s[16:17], 1
	s_add_u32 s0, s12, s0
	s_addc_u32 s12, s13, s2
	s_ashr_i32 s2, s3, 31
	v_add_co_u32 v1, s0, s0, v1
	s_lshr_b32 s2, s2, 22
	v_add_co_ci_u32_e64 v2, null, s12, 0, s0
	s_add_i32 s2, s3, s2
	s_mov_b32 s13, 0
	s_and_b32 s2, s2, 0xfffffc00
	s_mov_b32 s12, exec_lo
	v_cmpx_gt_i32_e64 s2, v0
	s_cbranch_execz .LBB502_12
; %bb.9:
	v_mul_lo_u32 v3, v0, s1
	v_dual_mov_b32 v7, 0 :: v_dual_mov_b32 v6, v2
	v_dual_mov_b32 v5, v1 :: v_dual_mov_b32 v8, v0
	s_lshl_b32 s15, s1, 10
	.p2align	6
.LBB502_10:                             ; =>This Inner Loop Header: Depth=1
	s_delay_alu instid0(VALU_DEP_3) | instskip(NEXT) | instid1(VALU_DEP_2)
	v_ashrrev_i32_e32 v4, 31, v3
	v_add_nc_u32_e32 v8, 0x400, v8
	s_delay_alu instid0(VALU_DEP_2) | instskip(NEXT) | instid1(VALU_DEP_2)
	v_lshlrev_b64 v[9:10], 1, v[3:4]
	v_cmp_le_i32_e64 s0, s2, v8
	v_add_nc_u32_e32 v3, s15, v3
	s_delay_alu instid0(VALU_DEP_2) | instskip(NEXT) | instid1(VALU_DEP_3)
	s_or_b32 s13, s0, s13
	v_add_co_u32 v9, vcc_lo, s4, v9
	s_delay_alu instid0(VALU_DEP_4)
	v_add_co_ci_u32_e32 v10, vcc_lo, s5, v10, vcc_lo
	global_load_u16 v4, v[5:6], off
	global_load_u16 v9, v[9:10], off
	v_add_co_u32 v5, vcc_lo, 0x800, v5
	v_add_co_ci_u32_e32 v6, vcc_lo, 0, v6, vcc_lo
	s_waitcnt vmcnt(0)
	v_mul_f16_e32 v4, v4, v9
	s_delay_alu instid0(VALU_DEP_1) | instskip(NEXT) | instid1(VALU_DEP_1)
	v_cvt_f32_f16_e32 v4, v4
	v_add_f32_e32 v7, v7, v4
	s_and_not1_b32 exec_lo, exec_lo, s13
	s_cbranch_execnz .LBB502_10
; %bb.11:
	s_or_b32 exec_lo, exec_lo, s13
.LBB502_12:
	s_delay_alu instid0(SALU_CYCLE_1) | instskip(SKIP_2) | instid1(VALU_DEP_1)
	s_or_b32 exec_lo, exec_lo, s12
	v_or_b32_e32 v3, s2, v0
	s_mov_b32 s0, exec_lo
	v_cmpx_gt_i32_e64 s3, v3
	s_cbranch_execz .LBB502_14
; %bb.13:
	v_mul_lo_u32 v3, v3, s1
	s_ashr_i32 s3, s2, 31
	s_delay_alu instid0(SALU_CYCLE_1) | instskip(NEXT) | instid1(SALU_CYCLE_1)
	s_lshl_b64 s[2:3], s[2:3], 1
	v_add_co_u32 v1, vcc_lo, v1, s2
	v_add_co_ci_u32_e32 v2, vcc_lo, s3, v2, vcc_lo
	s_delay_alu instid0(VALU_DEP_3) | instskip(NEXT) | instid1(VALU_DEP_1)
	v_ashrrev_i32_e32 v4, 31, v3
	v_lshlrev_b64 v[3:4], 1, v[3:4]
	s_delay_alu instid0(VALU_DEP_1) | instskip(NEXT) | instid1(VALU_DEP_2)
	v_add_co_u32 v3, vcc_lo, s4, v3
	v_add_co_ci_u32_e32 v4, vcc_lo, s5, v4, vcc_lo
	global_load_u16 v1, v[1:2], off
	global_load_u16 v2, v[3:4], off
	s_waitcnt vmcnt(0)
	v_mul_f16_e32 v1, v1, v2
	s_delay_alu instid0(VALU_DEP_1) | instskip(NEXT) | instid1(VALU_DEP_1)
	v_cvt_f32_f16_e32 v1, v1
	v_add_f32_e32 v7, v7, v1
.LBB502_14:
	s_or_b32 exec_lo, exec_lo, s0
	v_and_b32_e32 v6, 31, v0
	v_cmp_gt_u32_e32 vcc_lo, 32, v0
	s_delay_alu instid0(VALU_DEP_2)
	v_lshlrev_b32_e32 v1, 2, v6
	s_and_saveexec_b32 s0, vcc_lo
	s_cbranch_execz .LBB502_16
; %bb.15:
	v_mov_b32_e32 v2, 0
	ds_store_b32 v1, v2
.LBB502_16:
	s_or_b32 exec_lo, exec_lo, s0
	v_mbcnt_lo_u32_b32 v8, -1, 0
	s_mov_b32 s1, exec_lo
	s_waitcnt lgkmcnt(0)
	s_barrier
	buffer_gl0_inv
	v_cmp_gt_u32_e64 s0, 16, v8
	s_delay_alu instid0(VALU_DEP_1) | instskip(SKIP_1) | instid1(VALU_DEP_2)
	v_cndmask_b32_e64 v2, 0, 1, s0
	v_cmp_gt_u32_e64 s0, 24, v8
	v_lshlrev_b32_e32 v2, 4, v2
	s_delay_alu instid0(VALU_DEP_2) | instskip(SKIP_1) | instid1(VALU_DEP_3)
	v_cndmask_b32_e64 v3, 0, 1, s0
	v_cmp_gt_u32_e64 s0, 28, v8
	v_add_lshl_u32 v2, v2, v8, 2
	s_delay_alu instid0(VALU_DEP_3)
	v_lshlrev_b32_e32 v3, 3, v3
	ds_bpermute_b32 v4, v2, v7
	v_add_lshl_u32 v3, v3, v8, 2
	s_waitcnt lgkmcnt(0)
	v_add_f32_e32 v5, v7, v4
	v_cndmask_b32_e64 v4, 0, 1, s0
	v_cmp_gt_u32_e64 s0, 30, v8
	ds_bpermute_b32 v7, v3, v5
	s_waitcnt lgkmcnt(0)
	v_dual_add_f32 v7, v5, v7 :: v_dual_lshlrev_b32 v4, 2, v4
	s_delay_alu instid0(VALU_DEP_1)
	v_add_lshl_u32 v4, v4, v8, 2
	v_cndmask_b32_e64 v5, 0, 1, s0
	v_cmp_ne_u32_e64 s0, 31, v8
	ds_bpermute_b32 v9, v4, v7
	v_lshlrev_b32_e32 v5, 1, v5
	v_add_co_ci_u32_e64 v10, s0, 0, v8, s0
	s_delay_alu instid0(VALU_DEP_2)
	v_add_lshl_u32 v5, v5, v8, 2
	s_waitcnt lgkmcnt(0)
	v_add_f32_e32 v7, v7, v9
	ds_bpermute_b32 v9, v5, v7
	s_waitcnt lgkmcnt(0)
	v_dual_add_f32 v8, v7, v9 :: v_dual_lshlrev_b32 v7, 2, v10
	ds_bpermute_b32 v9, v7, v8
	v_cmpx_eq_u32_e32 0, v6
	s_cbranch_execz .LBB502_18
; %bb.17:
	v_lshrrev_b32_e32 v6, 3, v0
	s_waitcnt lgkmcnt(0)
	v_add_f32_e32 v8, v8, v9
	s_delay_alu instid0(VALU_DEP_2)
	v_and_b32_e32 v6, 0x7c, v6
	ds_store_b32 v6, v8
.LBB502_18:
	s_or_b32 exec_lo, exec_lo, s1
	v_mov_b32_e32 v6, 0
	s_waitcnt lgkmcnt(0)
	s_barrier
	buffer_gl0_inv
	s_and_saveexec_b32 s0, vcc_lo
	s_cbranch_execz .LBB502_20
; %bb.19:
	ds_load_b32 v6, v1
.LBB502_20:
	s_or_b32 exec_lo, exec_lo, s0
	s_and_saveexec_b32 s0, vcc_lo
	s_cbranch_execz .LBB502_22
; %bb.21:
	s_waitcnt lgkmcnt(0)
	ds_bpermute_b32 v1, v2, v6
	s_waitcnt lgkmcnt(0)
	v_add_f32_e32 v1, v6, v1
	ds_bpermute_b32 v2, v3, v1
	s_waitcnt lgkmcnt(0)
	v_add_f32_e32 v1, v1, v2
	;; [unrolled: 3-line block ×5, first 2 shown]
.LBB502_22:
	s_or_b32 exec_lo, exec_lo, s0
	s_delay_alu instid0(SALU_CYCLE_1)
	s_mov_b32 s0, exec_lo
                                        ; implicit-def: $vgpr1
                                        ; implicit-def: $sgpr4_sgpr5
	v_cmpx_eq_u32_e32 0, v0
	s_cbranch_execz .LBB502_26
; %bb.23:
	v_cmp_eq_f32_e64 s1, s8, 0
	s_waitcnt lgkmcnt(0)
	v_mul_f32_e32 v1, s10, v6
	s_mul_i32 s4, s14, s11
	s_delay_alu instid0(SALU_CYCLE_1)
	s_ashr_i32 s5, s4, 31
	s_and_b32 vcc_lo, exec_lo, s1
	s_cbranch_vccnz .LBB502_25
; %bb.24:
	s_lshl_b64 s[2:3], s[4:5], 2
	s_delay_alu instid0(SALU_CYCLE_1)
	s_add_u32 s2, s6, s2
	s_addc_u32 s3, s7, s3
	s_load_b32 s1, s[2:3], 0x0
	s_waitcnt lgkmcnt(0)
	v_fmac_f32_e64 v1, s1, s8
.LBB502_25:
	s_or_b32 s9, s9, exec_lo
.LBB502_26:
	s_or_b32 exec_lo, exec_lo, s0
.LBB502_27:
	s_and_saveexec_b32 s0, s9
	s_cbranch_execz .LBB502_29
; %bb.28:
	s_lshl_b64 s[0:1], s[4:5], 2
	v_mov_b32_e32 v0, 0
	s_add_u32 s0, s6, s0
	s_addc_u32 s1, s7, s1
	global_store_b32 v0, v1, s[0:1]
.LBB502_29:
	s_nop 0
	s_sendmsg sendmsg(MSG_DEALLOC_VGPRS)
	s_endpgm
	.section	.rodata,"a",@progbits
	.p2align	6, 0x0
	.amdhsa_kernel _ZL32rocblas_gemvt_warp_reduce_kernelILb1ELi1024EiDF16_ffEviiT3_lPKT2_lT1_lS3_lS4_lS0_lPT4_lS4_li
		.amdhsa_group_segment_fixed_size 128
		.amdhsa_private_segment_fixed_size 0
		.amdhsa_kernarg_size 140
		.amdhsa_user_sgpr_count 14
		.amdhsa_user_sgpr_dispatch_ptr 0
		.amdhsa_user_sgpr_queue_ptr 0
		.amdhsa_user_sgpr_kernarg_segment_ptr 1
		.amdhsa_user_sgpr_dispatch_id 0
		.amdhsa_user_sgpr_private_segment_size 0
		.amdhsa_wavefront_size32 1
		.amdhsa_uses_dynamic_stack 0
		.amdhsa_enable_private_segment 0
		.amdhsa_system_sgpr_workgroup_id_x 1
		.amdhsa_system_sgpr_workgroup_id_y 0
		.amdhsa_system_sgpr_workgroup_id_z 1
		.amdhsa_system_sgpr_workgroup_info 0
		.amdhsa_system_vgpr_workitem_id 0
		.amdhsa_next_free_vgpr 11
		.amdhsa_next_free_sgpr 24
		.amdhsa_reserve_vcc 1
		.amdhsa_float_round_mode_32 0
		.amdhsa_float_round_mode_16_64 0
		.amdhsa_float_denorm_mode_32 3
		.amdhsa_float_denorm_mode_16_64 3
		.amdhsa_dx10_clamp 1
		.amdhsa_ieee_mode 1
		.amdhsa_fp16_overflow 0
		.amdhsa_workgroup_processor_mode 1
		.amdhsa_memory_ordered 1
		.amdhsa_forward_progress 0
		.amdhsa_shared_vgpr_count 0
		.amdhsa_exception_fp_ieee_invalid_op 0
		.amdhsa_exception_fp_denorm_src 0
		.amdhsa_exception_fp_ieee_div_zero 0
		.amdhsa_exception_fp_ieee_overflow 0
		.amdhsa_exception_fp_ieee_underflow 0
		.amdhsa_exception_fp_ieee_inexact 0
		.amdhsa_exception_int_div_zero 0
	.end_amdhsa_kernel
	.section	.text._ZL32rocblas_gemvt_warp_reduce_kernelILb1ELi1024EiDF16_ffEviiT3_lPKT2_lT1_lS3_lS4_lS0_lPT4_lS4_li,"axG",@progbits,_ZL32rocblas_gemvt_warp_reduce_kernelILb1ELi1024EiDF16_ffEviiT3_lPKT2_lT1_lS3_lS4_lS0_lPT4_lS4_li,comdat
.Lfunc_end502:
	.size	_ZL32rocblas_gemvt_warp_reduce_kernelILb1ELi1024EiDF16_ffEviiT3_lPKT2_lT1_lS3_lS4_lS0_lPT4_lS4_li, .Lfunc_end502-_ZL32rocblas_gemvt_warp_reduce_kernelILb1ELi1024EiDF16_ffEviiT3_lPKT2_lT1_lS3_lS4_lS0_lPT4_lS4_li
                                        ; -- End function
	.section	.AMDGPU.csdata,"",@progbits
; Kernel info:
; codeLenInByte = 1428
; NumSgprs: 26
; NumVgprs: 11
; ScratchSize: 0
; MemoryBound: 0
; FloatMode: 240
; IeeeMode: 1
; LDSByteSize: 128 bytes/workgroup (compile time only)
; SGPRBlocks: 3
; VGPRBlocks: 1
; NumSGPRsForWavesPerEU: 26
; NumVGPRsForWavesPerEU: 11
; Occupancy: 16
; WaveLimiterHint : 1
; COMPUTE_PGM_RSRC2:SCRATCH_EN: 0
; COMPUTE_PGM_RSRC2:USER_SGPR: 14
; COMPUTE_PGM_RSRC2:TRAP_HANDLER: 0
; COMPUTE_PGM_RSRC2:TGID_X_EN: 1
; COMPUTE_PGM_RSRC2:TGID_Y_EN: 0
; COMPUTE_PGM_RSRC2:TGID_Z_EN: 1
; COMPUTE_PGM_RSRC2:TIDIG_COMP_CNT: 0
	.section	.text._ZL32rocblas_gemvt_warp_reduce_kernelILb1ELi1024ElDF16_ffEviiT3_lPKT2_lT1_lS3_lS4_lS0_lPT4_lS4_li,"axG",@progbits,_ZL32rocblas_gemvt_warp_reduce_kernelILb1ELi1024ElDF16_ffEviiT3_lPKT2_lT1_lS3_lS4_lS0_lPT4_lS4_li,comdat
	.globl	_ZL32rocblas_gemvt_warp_reduce_kernelILb1ELi1024ElDF16_ffEviiT3_lPKT2_lT1_lS3_lS4_lS0_lPT4_lS4_li ; -- Begin function _ZL32rocblas_gemvt_warp_reduce_kernelILb1ELi1024ElDF16_ffEviiT3_lPKT2_lT1_lS3_lS4_lS0_lPT4_lS4_li
	.p2align	8
	.type	_ZL32rocblas_gemvt_warp_reduce_kernelILb1ELi1024ElDF16_ffEviiT3_lPKT2_lT1_lS3_lS4_lS0_lPT4_lS4_li,@function
_ZL32rocblas_gemvt_warp_reduce_kernelILb1ELi1024ElDF16_ffEviiT3_lPKT2_lT1_lS3_lS4_lS0_lPT4_lS4_li: ; @_ZL32rocblas_gemvt_warp_reduce_kernelILb1ELi1024ElDF16_ffEviiT3_lPKT2_lT1_lS3_lS4_lS0_lPT4_lS4_li
; %bb.0:
	s_clause 0x1
	s_load_b32 s33, s[0:1], 0x8
	s_load_b32 s12, s[0:1], 0x58
	s_mov_b32 s13, 0
	s_waitcnt lgkmcnt(0)
	v_cmp_eq_f32_e64 s2, s33, 0
	v_cmp_eq_f32_e64 s3, s12, 1.0
	s_delay_alu instid0(VALU_DEP_1) | instskip(NEXT) | instid1(SALU_CYCLE_1)
	s_and_b32 s2, s2, s3
	s_and_b32 vcc_lo, exec_lo, s2
	s_cbranch_vccnz .LBB503_29
; %bb.1:
	s_load_b256 s[4:11], s[0:1], 0x68
	v_cmp_neq_f32_e64 s16, s33, 0
	s_waitcnt lgkmcnt(0)
	s_mul_i32 s3, s15, s11
	s_mul_hi_u32 s11, s15, s10
	s_mul_i32 s2, s15, s10
	s_add_i32 s3, s11, s3
	s_delay_alu instid0(SALU_CYCLE_1) | instskip(NEXT) | instid1(SALU_CYCLE_1)
	s_lshl_b64 s[2:3], s[2:3], 2
	s_add_u32 s4, s4, s2
	s_addc_u32 s5, s5, s3
	s_lshl_b64 s[2:3], s[6:7], 2
	s_delay_alu instid0(SALU_CYCLE_1)
	s_add_u32 s10, s4, s2
	v_cmp_eq_u32_e64 s2, 0, v0
	s_addc_u32 s11, s5, s3
	s_and_b32 vcc_lo, exec_lo, s16
	s_cbranch_vccnz .LBB503_6
; %bb.2:
	s_mov_b32 s3, 0
                                        ; implicit-def: $vgpr1
                                        ; implicit-def: $sgpr4_sgpr5
	s_and_saveexec_b32 s6, s2
	s_cbranch_execz .LBB503_7
; %bb.3:
	v_cmp_eq_f32_e64 s2, s12, 0
	s_mul_i32 s4, s14, s9
	s_mul_hi_u32 s5, s14, s8
	s_ashr_i32 s7, s14, 31
	v_mov_b32_e32 v1, 0
	s_add_i32 s4, s5, s4
	s_mul_i32 s7, s7, s8
	s_and_b32 vcc_lo, exec_lo, s2
	s_add_i32 s5, s4, s7
	s_mul_i32 s4, s14, s8
	s_cbranch_vccnz .LBB503_5
; %bb.4:
	s_lshl_b64 s[16:17], s[4:5], 2
	s_delay_alu instid0(SALU_CYCLE_1)
	s_add_u32 s16, s10, s16
	s_addc_u32 s17, s11, s17
	s_load_b32 s2, s[16:17], 0x0
	s_waitcnt lgkmcnt(0)
	v_mul_f32_e64 v1, s2, s12
.LBB503_5:
	s_mov_b32 s13, exec_lo
	s_or_b32 exec_lo, exec_lo, s6
	s_delay_alu instid0(SALU_CYCLE_1)
	s_and_b32 vcc_lo, exec_lo, s3
	s_cbranch_vccnz .LBB503_8
	s_branch .LBB503_27
.LBB503_6:
                                        ; implicit-def: $vgpr1
                                        ; implicit-def: $sgpr4_sgpr5
	s_cbranch_execnz .LBB503_8
	s_branch .LBB503_27
.LBB503_7:
	s_or_b32 exec_lo, exec_lo, s6
	s_delay_alu instid0(SALU_CYCLE_1)
	s_and_b32 vcc_lo, exec_lo, s3
	s_cbranch_vccz .LBB503_27
.LBB503_8:
	s_clause 0x1
	s_load_b512 s[16:31], s[0:1], 0x18
	s_load_b32 s5, s[0:1], 0x0
	v_mov_b32_e32 v7, 0
	s_waitcnt lgkmcnt(0)
	s_mul_i32 s1, s15, s23
	s_mul_hi_u32 s4, s15, s22
	s_mul_i32 s0, s15, s22
	s_add_i32 s1, s4, s1
	s_mul_i32 s2, s15, s31
	s_mul_hi_u32 s3, s15, s30
	s_lshl_b64 s[0:1], s[0:1], 1
	s_add_i32 s3, s3, s2
	v_cmp_gt_i32_e32 vcc_lo, s5, v0
	s_add_u32 s2, s16, s0
	s_addc_u32 s6, s17, s1
	s_lshl_b64 s[0:1], s[18:19], 1
	s_mul_i32 s4, s14, s21
	s_add_u32 s0, s2, s0
	s_mul_hi_u32 s7, s14, s20
	s_addc_u32 s2, s6, s1
	s_ashr_i32 s1, s14, 31
	v_cndmask_b32_e32 v1, 0, v0, vcc_lo
	s_add_i32 s4, s7, s4
	s_mul_i32 s7, s1, s20
	s_mul_i32 s6, s14, s20
	s_add_i32 s7, s4, s7
	v_lshlrev_b32_e32 v1, 1, v1
	s_lshl_b64 s[6:7], s[6:7], 1
	s_mov_b32 s16, 0
	s_add_u32 s0, s6, s0
	s_addc_u32 s2, s7, s2
	s_ashr_i32 s4, s5, 31
	v_add_co_u32 v1, s0, s0, v1
	s_lshr_b32 s4, s4, 22
	v_add_co_ci_u32_e64 v2, null, s2, 0, s0
	s_add_i32 s4, s5, s4
	s_mul_i32 s2, s15, s30
	s_and_b32 s4, s4, 0xfffffc00
	s_mov_b32 s15, exec_lo
	v_cmpx_gt_i32_e64 s4, v0
	s_cbranch_execz .LBB503_12
; %bb.9:
	v_mad_u64_u32 v[5:6], null, s28, v0, 0
	s_lshl_b64 s[18:19], s[26:27], 1
	s_lshl_b64 s[6:7], s[2:3], 1
	s_add_u32 s0, s24, s18
	s_addc_u32 s17, s25, s19
	s_add_u32 s0, s0, s6
	s_addc_u32 s6, s17, s7
	s_delay_alu instid0(VALU_DEP_1) | instskip(NEXT) | instid1(VALU_DEP_1)
	v_dual_mov_b32 v3, v6 :: v_dual_mov_b32 v8, v0
	v_mad_u64_u32 v[6:7], null, s29, v0, v[3:4]
	v_dual_mov_b32 v7, 0 :: v_dual_mov_b32 v4, v2
	v_mov_b32_e32 v3, v1
	s_delay_alu instid0(VALU_DEP_3) | instskip(NEXT) | instid1(VALU_DEP_1)
	v_lshlrev_b64 v[5:6], 1, v[5:6]
	v_add_co_u32 v5, vcc_lo, s0, v5
	s_delay_alu instid0(VALU_DEP_2)
	v_add_co_ci_u32_e32 v6, vcc_lo, s6, v6, vcc_lo
	s_lshl_b64 s[6:7], s[28:29], 11
	.p2align	6
.LBB503_10:                             ; =>This Inner Loop Header: Depth=1
	global_load_u16 v9, v[3:4], off
	global_load_u16 v10, v[5:6], off
	v_add_co_u32 v3, vcc_lo, 0x800, v3
	v_add_co_ci_u32_e32 v4, vcc_lo, 0, v4, vcc_lo
	v_add_co_u32 v5, vcc_lo, v5, s6
	v_add_co_ci_u32_e32 v6, vcc_lo, s7, v6, vcc_lo
	s_waitcnt vmcnt(0)
	v_mul_f16_e32 v9, v9, v10
	s_delay_alu instid0(VALU_DEP_1) | instskip(NEXT) | instid1(VALU_DEP_1)
	v_cvt_f32_f16_e32 v9, v9
	v_dual_add_f32 v7, v7, v9 :: v_dual_add_nc_u32 v8, 0x400, v8
	s_delay_alu instid0(VALU_DEP_1) | instskip(NEXT) | instid1(VALU_DEP_1)
	v_cmp_le_i32_e64 s0, s4, v8
	s_or_b32 s16, s0, s16
	s_delay_alu instid0(SALU_CYCLE_1)
	s_and_not1_b32 exec_lo, exec_lo, s16
	s_cbranch_execnz .LBB503_10
; %bb.11:
	s_or_b32 exec_lo, exec_lo, s16
.LBB503_12:
	s_delay_alu instid0(SALU_CYCLE_1) | instskip(SKIP_2) | instid1(VALU_DEP_1)
	s_or_b32 exec_lo, exec_lo, s15
	v_or_b32_e32 v3, s4, v0
	s_mov_b32 s0, exec_lo
	v_cmpx_gt_i32_e64 s5, v3
	s_cbranch_execz .LBB503_14
; %bb.13:
	v_ashrrev_i32_e32 v6, 31, v3
	v_mul_lo_u32 v8, v3, s29
	v_mad_u64_u32 v[4:5], null, v3, s28, 0
	s_lshl_b64 s[2:3], s[2:3], 1
	s_delay_alu instid0(VALU_DEP_3) | instskip(SKIP_3) | instid1(SALU_CYCLE_1)
	v_mul_lo_u32 v3, v6, s28
	s_add_u32 s5, s24, s2
	s_addc_u32 s6, s25, s3
	s_lshl_b64 s[2:3], s[26:27], 1
	s_add_u32 s7, s5, s2
	s_addc_u32 s6, s6, s3
	s_ashr_i32 s5, s4, 31
	s_delay_alu instid0(VALU_DEP_1) | instskip(SKIP_1) | instid1(SALU_CYCLE_1)
	v_add3_u32 v5, v5, v8, v3
	s_lshl_b64 s[2:3], s[4:5], 1
	v_add_co_u32 v1, vcc_lo, v1, s2
	s_delay_alu instid0(VALU_DEP_2) | instskip(SKIP_1) | instid1(VALU_DEP_2)
	v_lshlrev_b64 v[3:4], 1, v[4:5]
	v_add_co_ci_u32_e32 v2, vcc_lo, s3, v2, vcc_lo
	v_add_co_u32 v3, vcc_lo, s7, v3
	s_delay_alu instid0(VALU_DEP_3) | instskip(SKIP_4) | instid1(VALU_DEP_1)
	v_add_co_ci_u32_e32 v4, vcc_lo, s6, v4, vcc_lo
	global_load_u16 v1, v[1:2], off
	global_load_u16 v2, v[3:4], off
	s_waitcnt vmcnt(0)
	v_mul_f16_e32 v1, v1, v2
	v_cvt_f32_f16_e32 v1, v1
	s_delay_alu instid0(VALU_DEP_1)
	v_add_f32_e32 v7, v7, v1
.LBB503_14:
	s_or_b32 exec_lo, exec_lo, s0
	v_and_b32_e32 v6, 31, v0
	v_cmp_gt_u32_e32 vcc_lo, 32, v0
	s_delay_alu instid0(VALU_DEP_2)
	v_lshlrev_b32_e32 v1, 2, v6
	s_and_saveexec_b32 s0, vcc_lo
	s_cbranch_execz .LBB503_16
; %bb.15:
	v_mov_b32_e32 v2, 0
	ds_store_b32 v1, v2
.LBB503_16:
	s_or_b32 exec_lo, exec_lo, s0
	v_mbcnt_lo_u32_b32 v8, -1, 0
	s_mov_b32 s2, exec_lo
	s_waitcnt lgkmcnt(0)
	s_barrier
	buffer_gl0_inv
	v_cmp_gt_u32_e64 s0, 16, v8
	s_delay_alu instid0(VALU_DEP_1) | instskip(SKIP_1) | instid1(VALU_DEP_2)
	v_cndmask_b32_e64 v2, 0, 1, s0
	v_cmp_gt_u32_e64 s0, 24, v8
	v_lshlrev_b32_e32 v2, 4, v2
	s_delay_alu instid0(VALU_DEP_2) | instskip(SKIP_1) | instid1(VALU_DEP_3)
	v_cndmask_b32_e64 v3, 0, 1, s0
	v_cmp_gt_u32_e64 s0, 28, v8
	v_add_lshl_u32 v2, v2, v8, 2
	s_delay_alu instid0(VALU_DEP_3)
	v_lshlrev_b32_e32 v3, 3, v3
	ds_bpermute_b32 v4, v2, v7
	v_add_lshl_u32 v3, v3, v8, 2
	s_waitcnt lgkmcnt(0)
	v_add_f32_e32 v5, v7, v4
	v_cndmask_b32_e64 v4, 0, 1, s0
	v_cmp_gt_u32_e64 s0, 30, v8
	ds_bpermute_b32 v7, v3, v5
	s_waitcnt lgkmcnt(0)
	v_dual_add_f32 v7, v5, v7 :: v_dual_lshlrev_b32 v4, 2, v4
	s_delay_alu instid0(VALU_DEP_1)
	v_add_lshl_u32 v4, v4, v8, 2
	v_cndmask_b32_e64 v5, 0, 1, s0
	v_cmp_ne_u32_e64 s0, 31, v8
	ds_bpermute_b32 v9, v4, v7
	v_lshlrev_b32_e32 v5, 1, v5
	v_add_co_ci_u32_e64 v10, s0, 0, v8, s0
	s_delay_alu instid0(VALU_DEP_2)
	v_add_lshl_u32 v5, v5, v8, 2
	s_waitcnt lgkmcnt(0)
	v_add_f32_e32 v7, v7, v9
	ds_bpermute_b32 v9, v5, v7
	s_waitcnt lgkmcnt(0)
	v_dual_add_f32 v8, v7, v9 :: v_dual_lshlrev_b32 v7, 2, v10
	ds_bpermute_b32 v9, v7, v8
	v_cmpx_eq_u32_e32 0, v6
	s_cbranch_execz .LBB503_18
; %bb.17:
	v_lshrrev_b32_e32 v6, 3, v0
	s_waitcnt lgkmcnt(0)
	v_add_f32_e32 v8, v8, v9
	s_delay_alu instid0(VALU_DEP_2)
	v_and_b32_e32 v6, 0x7c, v6
	ds_store_b32 v6, v8
.LBB503_18:
	s_or_b32 exec_lo, exec_lo, s2
	v_mov_b32_e32 v6, 0
	s_waitcnt lgkmcnt(0)
	s_barrier
	buffer_gl0_inv
	s_and_saveexec_b32 s0, vcc_lo
	s_cbranch_execz .LBB503_20
; %bb.19:
	ds_load_b32 v6, v1
.LBB503_20:
	s_or_b32 exec_lo, exec_lo, s0
	s_and_saveexec_b32 s0, vcc_lo
	s_cbranch_execz .LBB503_22
; %bb.21:
	s_waitcnt lgkmcnt(0)
	ds_bpermute_b32 v1, v2, v6
	s_waitcnt lgkmcnt(0)
	v_add_f32_e32 v1, v6, v1
	ds_bpermute_b32 v2, v3, v1
	s_waitcnt lgkmcnt(0)
	v_add_f32_e32 v1, v1, v2
	;; [unrolled: 3-line block ×5, first 2 shown]
.LBB503_22:
	s_or_b32 exec_lo, exec_lo, s0
	s_delay_alu instid0(SALU_CYCLE_1)
	s_mov_b32 s0, exec_lo
                                        ; implicit-def: $vgpr1
                                        ; implicit-def: $sgpr4_sgpr5
	v_cmpx_eq_u32_e32 0, v0
	s_cbranch_execz .LBB503_26
; %bb.23:
	v_cmp_eq_f32_e64 s4, s12, 0
	s_mul_i32 s2, s14, s9
	s_mul_hi_u32 s3, s14, s8
	s_waitcnt lgkmcnt(0)
	v_mul_f32_e32 v1, s33, v6
	s_add_i32 s2, s3, s2
	s_mul_i32 s1, s1, s8
	s_and_b32 vcc_lo, exec_lo, s4
	s_add_i32 s5, s2, s1
	s_mul_i32 s4, s14, s8
	s_cbranch_vccnz .LBB503_25
; %bb.24:
	s_lshl_b64 s[2:3], s[4:5], 2
	s_delay_alu instid0(SALU_CYCLE_1)
	s_add_u32 s2, s10, s2
	s_addc_u32 s3, s11, s3
	s_load_b32 s1, s[2:3], 0x0
	s_waitcnt lgkmcnt(0)
	v_fmac_f32_e64 v1, s1, s12
.LBB503_25:
	s_or_b32 s13, s13, exec_lo
.LBB503_26:
	s_or_b32 exec_lo, exec_lo, s0
.LBB503_27:
	s_and_saveexec_b32 s0, s13
	s_cbranch_execz .LBB503_29
; %bb.28:
	s_lshl_b64 s[0:1], s[4:5], 2
	v_mov_b32_e32 v0, 0
	s_add_u32 s0, s10, s0
	s_addc_u32 s1, s11, s1
	global_store_b32 v0, v1, s[0:1]
.LBB503_29:
	s_nop 0
	s_sendmsg sendmsg(MSG_DEALLOC_VGPRS)
	s_endpgm
	.section	.rodata,"a",@progbits
	.p2align	6, 0x0
	.amdhsa_kernel _ZL32rocblas_gemvt_warp_reduce_kernelILb1ELi1024ElDF16_ffEviiT3_lPKT2_lT1_lS3_lS4_lS0_lPT4_lS4_li
		.amdhsa_group_segment_fixed_size 128
		.amdhsa_private_segment_fixed_size 0
		.amdhsa_kernarg_size 140
		.amdhsa_user_sgpr_count 14
		.amdhsa_user_sgpr_dispatch_ptr 0
		.amdhsa_user_sgpr_queue_ptr 0
		.amdhsa_user_sgpr_kernarg_segment_ptr 1
		.amdhsa_user_sgpr_dispatch_id 0
		.amdhsa_user_sgpr_private_segment_size 0
		.amdhsa_wavefront_size32 1
		.amdhsa_uses_dynamic_stack 0
		.amdhsa_enable_private_segment 0
		.amdhsa_system_sgpr_workgroup_id_x 1
		.amdhsa_system_sgpr_workgroup_id_y 0
		.amdhsa_system_sgpr_workgroup_id_z 1
		.amdhsa_system_sgpr_workgroup_info 0
		.amdhsa_system_vgpr_workitem_id 0
		.amdhsa_next_free_vgpr 11
		.amdhsa_next_free_sgpr 34
		.amdhsa_reserve_vcc 1
		.amdhsa_float_round_mode_32 0
		.amdhsa_float_round_mode_16_64 0
		.amdhsa_float_denorm_mode_32 3
		.amdhsa_float_denorm_mode_16_64 3
		.amdhsa_dx10_clamp 1
		.amdhsa_ieee_mode 1
		.amdhsa_fp16_overflow 0
		.amdhsa_workgroup_processor_mode 1
		.amdhsa_memory_ordered 1
		.amdhsa_forward_progress 0
		.amdhsa_shared_vgpr_count 0
		.amdhsa_exception_fp_ieee_invalid_op 0
		.amdhsa_exception_fp_denorm_src 0
		.amdhsa_exception_fp_ieee_div_zero 0
		.amdhsa_exception_fp_ieee_overflow 0
		.amdhsa_exception_fp_ieee_underflow 0
		.amdhsa_exception_fp_ieee_inexact 0
		.amdhsa_exception_int_div_zero 0
	.end_amdhsa_kernel
	.section	.text._ZL32rocblas_gemvt_warp_reduce_kernelILb1ELi1024ElDF16_ffEviiT3_lPKT2_lT1_lS3_lS4_lS0_lPT4_lS4_li,"axG",@progbits,_ZL32rocblas_gemvt_warp_reduce_kernelILb1ELi1024ElDF16_ffEviiT3_lPKT2_lT1_lS3_lS4_lS0_lPT4_lS4_li,comdat
.Lfunc_end503:
	.size	_ZL32rocblas_gemvt_warp_reduce_kernelILb1ELi1024ElDF16_ffEviiT3_lPKT2_lT1_lS3_lS4_lS0_lPT4_lS4_li, .Lfunc_end503-_ZL32rocblas_gemvt_warp_reduce_kernelILb1ELi1024ElDF16_ffEviiT3_lPKT2_lT1_lS3_lS4_lS0_lPT4_lS4_li
                                        ; -- End function
	.section	.AMDGPU.csdata,"",@progbits
; Kernel info:
; codeLenInByte = 1488
; NumSgprs: 36
; NumVgprs: 11
; ScratchSize: 0
; MemoryBound: 0
; FloatMode: 240
; IeeeMode: 1
; LDSByteSize: 128 bytes/workgroup (compile time only)
; SGPRBlocks: 4
; VGPRBlocks: 1
; NumSGPRsForWavesPerEU: 36
; NumVGPRsForWavesPerEU: 11
; Occupancy: 16
; WaveLimiterHint : 1
; COMPUTE_PGM_RSRC2:SCRATCH_EN: 0
; COMPUTE_PGM_RSRC2:USER_SGPR: 14
; COMPUTE_PGM_RSRC2:TRAP_HANDLER: 0
; COMPUTE_PGM_RSRC2:TGID_X_EN: 1
; COMPUTE_PGM_RSRC2:TGID_Y_EN: 0
; COMPUTE_PGM_RSRC2:TGID_Z_EN: 1
; COMPUTE_PGM_RSRC2:TIDIG_COMP_CNT: 0
	.section	.text._ZL34rocblas_gemvn_sm_mn_batched_kernelILi32ELi24EPKDF16_PKfKPfEviiT2_lPKT1_lilS9_lilS6_lPT3_lili,"axG",@progbits,_ZL34rocblas_gemvn_sm_mn_batched_kernelILi32ELi24EPKDF16_PKfKPfEviiT2_lPKT1_lilS9_lilS6_lPT3_lili,comdat
	.globl	_ZL34rocblas_gemvn_sm_mn_batched_kernelILi32ELi24EPKDF16_PKfKPfEviiT2_lPKT1_lilS9_lilS6_lPT3_lili ; -- Begin function _ZL34rocblas_gemvn_sm_mn_batched_kernelILi32ELi24EPKDF16_PKfKPfEviiT2_lPKT1_lilS9_lilS6_lPT3_lili
	.p2align	8
	.type	_ZL34rocblas_gemvn_sm_mn_batched_kernelILi32ELi24EPKDF16_PKfKPfEviiT2_lPKT1_lilS9_lilS6_lPT3_lili,@function
_ZL34rocblas_gemvn_sm_mn_batched_kernelILi32ELi24EPKDF16_PKfKPfEviiT2_lPKT1_lilS9_lilS6_lPT3_lili: ; @_ZL34rocblas_gemvn_sm_mn_batched_kernelILi32ELi24EPKDF16_PKfKPfEviiT2_lPKT1_lilS9_lilS6_lPT3_lili
; %bb.0:
	s_endpgm
	.section	.rodata,"a",@progbits
	.p2align	6, 0x0
	.amdhsa_kernel _ZL34rocblas_gemvn_sm_mn_batched_kernelILi32ELi24EPKDF16_PKfKPfEviiT2_lPKT1_lilS9_lilS6_lPT3_lili
		.amdhsa_group_segment_fixed_size 0
		.amdhsa_private_segment_fixed_size 0
		.amdhsa_kernarg_size 140
		.amdhsa_user_sgpr_count 15
		.amdhsa_user_sgpr_dispatch_ptr 0
		.amdhsa_user_sgpr_queue_ptr 0
		.amdhsa_user_sgpr_kernarg_segment_ptr 1
		.amdhsa_user_sgpr_dispatch_id 0
		.amdhsa_user_sgpr_private_segment_size 0
		.amdhsa_wavefront_size32 1
		.amdhsa_uses_dynamic_stack 0
		.amdhsa_enable_private_segment 0
		.amdhsa_system_sgpr_workgroup_id_x 1
		.amdhsa_system_sgpr_workgroup_id_y 0
		.amdhsa_system_sgpr_workgroup_id_z 0
		.amdhsa_system_sgpr_workgroup_info 0
		.amdhsa_system_vgpr_workitem_id 0
		.amdhsa_next_free_vgpr 1
		.amdhsa_next_free_sgpr 1
		.amdhsa_reserve_vcc 0
		.amdhsa_float_round_mode_32 0
		.amdhsa_float_round_mode_16_64 0
		.amdhsa_float_denorm_mode_32 3
		.amdhsa_float_denorm_mode_16_64 3
		.amdhsa_dx10_clamp 1
		.amdhsa_ieee_mode 1
		.amdhsa_fp16_overflow 0
		.amdhsa_workgroup_processor_mode 1
		.amdhsa_memory_ordered 1
		.amdhsa_forward_progress 0
		.amdhsa_shared_vgpr_count 0
		.amdhsa_exception_fp_ieee_invalid_op 0
		.amdhsa_exception_fp_denorm_src 0
		.amdhsa_exception_fp_ieee_div_zero 0
		.amdhsa_exception_fp_ieee_overflow 0
		.amdhsa_exception_fp_ieee_underflow 0
		.amdhsa_exception_fp_ieee_inexact 0
		.amdhsa_exception_int_div_zero 0
	.end_amdhsa_kernel
	.section	.text._ZL34rocblas_gemvn_sm_mn_batched_kernelILi32ELi24EPKDF16_PKfKPfEviiT2_lPKT1_lilS9_lilS6_lPT3_lili,"axG",@progbits,_ZL34rocblas_gemvn_sm_mn_batched_kernelILi32ELi24EPKDF16_PKfKPfEviiT2_lPKT1_lilS9_lilS6_lPT3_lili,comdat
.Lfunc_end504:
	.size	_ZL34rocblas_gemvn_sm_mn_batched_kernelILi32ELi24EPKDF16_PKfKPfEviiT2_lPKT1_lilS9_lilS6_lPT3_lili, .Lfunc_end504-_ZL34rocblas_gemvn_sm_mn_batched_kernelILi32ELi24EPKDF16_PKfKPfEviiT2_lPKT1_lilS9_lilS6_lPT3_lili
                                        ; -- End function
	.section	.AMDGPU.csdata,"",@progbits
; Kernel info:
; codeLenInByte = 4
; NumSgprs: 0
; NumVgprs: 0
; ScratchSize: 0
; MemoryBound: 0
; FloatMode: 240
; IeeeMode: 1
; LDSByteSize: 0 bytes/workgroup (compile time only)
; SGPRBlocks: 0
; VGPRBlocks: 0
; NumSGPRsForWavesPerEU: 1
; NumVGPRsForWavesPerEU: 1
; Occupancy: 12
; WaveLimiterHint : 0
; COMPUTE_PGM_RSRC2:SCRATCH_EN: 0
; COMPUTE_PGM_RSRC2:USER_SGPR: 15
; COMPUTE_PGM_RSRC2:TRAP_HANDLER: 0
; COMPUTE_PGM_RSRC2:TGID_X_EN: 1
; COMPUTE_PGM_RSRC2:TGID_Y_EN: 0
; COMPUTE_PGM_RSRC2:TGID_Z_EN: 0
; COMPUTE_PGM_RSRC2:TIDIG_COMP_CNT: 0
	.section	.text._ZL34rocblas_gemvn_sm_mn_batched_kernelILi32ELi24EPKDF16_fKPfEviiT2_lPKT1_lilS7_lilS4_lPT3_lili,"axG",@progbits,_ZL34rocblas_gemvn_sm_mn_batched_kernelILi32ELi24EPKDF16_fKPfEviiT2_lPKT1_lilS7_lilS4_lPT3_lili,comdat
	.globl	_ZL34rocblas_gemvn_sm_mn_batched_kernelILi32ELi24EPKDF16_fKPfEviiT2_lPKT1_lilS7_lilS4_lPT3_lili ; -- Begin function _ZL34rocblas_gemvn_sm_mn_batched_kernelILi32ELi24EPKDF16_fKPfEviiT2_lPKT1_lilS7_lilS4_lPT3_lili
	.p2align	8
	.type	_ZL34rocblas_gemvn_sm_mn_batched_kernelILi32ELi24EPKDF16_fKPfEviiT2_lPKT1_lilS7_lilS4_lPT3_lili,@function
_ZL34rocblas_gemvn_sm_mn_batched_kernelILi32ELi24EPKDF16_fKPfEviiT2_lPKT1_lilS7_lilS4_lPT3_lili: ; @_ZL34rocblas_gemvn_sm_mn_batched_kernelILi32ELi24EPKDF16_fKPfEviiT2_lPKT1_lilS7_lilS4_lPT3_lili
; %bb.0:
	s_endpgm
	.section	.rodata,"a",@progbits
	.p2align	6, 0x0
	.amdhsa_kernel _ZL34rocblas_gemvn_sm_mn_batched_kernelILi32ELi24EPKDF16_fKPfEviiT2_lPKT1_lilS7_lilS4_lPT3_lili
		.amdhsa_group_segment_fixed_size 0
		.amdhsa_private_segment_fixed_size 0
		.amdhsa_kernarg_size 140
		.amdhsa_user_sgpr_count 15
		.amdhsa_user_sgpr_dispatch_ptr 0
		.amdhsa_user_sgpr_queue_ptr 0
		.amdhsa_user_sgpr_kernarg_segment_ptr 1
		.amdhsa_user_sgpr_dispatch_id 0
		.amdhsa_user_sgpr_private_segment_size 0
		.amdhsa_wavefront_size32 1
		.amdhsa_uses_dynamic_stack 0
		.amdhsa_enable_private_segment 0
		.amdhsa_system_sgpr_workgroup_id_x 1
		.amdhsa_system_sgpr_workgroup_id_y 0
		.amdhsa_system_sgpr_workgroup_id_z 0
		.amdhsa_system_sgpr_workgroup_info 0
		.amdhsa_system_vgpr_workitem_id 0
		.amdhsa_next_free_vgpr 1
		.amdhsa_next_free_sgpr 1
		.amdhsa_reserve_vcc 0
		.amdhsa_float_round_mode_32 0
		.amdhsa_float_round_mode_16_64 0
		.amdhsa_float_denorm_mode_32 3
		.amdhsa_float_denorm_mode_16_64 3
		.amdhsa_dx10_clamp 1
		.amdhsa_ieee_mode 1
		.amdhsa_fp16_overflow 0
		.amdhsa_workgroup_processor_mode 1
		.amdhsa_memory_ordered 1
		.amdhsa_forward_progress 0
		.amdhsa_shared_vgpr_count 0
		.amdhsa_exception_fp_ieee_invalid_op 0
		.amdhsa_exception_fp_denorm_src 0
		.amdhsa_exception_fp_ieee_div_zero 0
		.amdhsa_exception_fp_ieee_overflow 0
		.amdhsa_exception_fp_ieee_underflow 0
		.amdhsa_exception_fp_ieee_inexact 0
		.amdhsa_exception_int_div_zero 0
	.end_amdhsa_kernel
	.section	.text._ZL34rocblas_gemvn_sm_mn_batched_kernelILi32ELi24EPKDF16_fKPfEviiT2_lPKT1_lilS7_lilS4_lPT3_lili,"axG",@progbits,_ZL34rocblas_gemvn_sm_mn_batched_kernelILi32ELi24EPKDF16_fKPfEviiT2_lPKT1_lilS7_lilS4_lPT3_lili,comdat
.Lfunc_end505:
	.size	_ZL34rocblas_gemvn_sm_mn_batched_kernelILi32ELi24EPKDF16_fKPfEviiT2_lPKT1_lilS7_lilS4_lPT3_lili, .Lfunc_end505-_ZL34rocblas_gemvn_sm_mn_batched_kernelILi32ELi24EPKDF16_fKPfEviiT2_lPKT1_lilS7_lilS4_lPT3_lili
                                        ; -- End function
	.section	.AMDGPU.csdata,"",@progbits
; Kernel info:
; codeLenInByte = 4
; NumSgprs: 0
; NumVgprs: 0
; ScratchSize: 0
; MemoryBound: 0
; FloatMode: 240
; IeeeMode: 1
; LDSByteSize: 0 bytes/workgroup (compile time only)
; SGPRBlocks: 0
; VGPRBlocks: 0
; NumSGPRsForWavesPerEU: 1
; NumVGPRsForWavesPerEU: 1
; Occupancy: 12
; WaveLimiterHint : 0
; COMPUTE_PGM_RSRC2:SCRATCH_EN: 0
; COMPUTE_PGM_RSRC2:USER_SGPR: 15
; COMPUTE_PGM_RSRC2:TRAP_HANDLER: 0
; COMPUTE_PGM_RSRC2:TGID_X_EN: 1
; COMPUTE_PGM_RSRC2:TGID_Y_EN: 0
; COMPUTE_PGM_RSRC2:TGID_Z_EN: 0
; COMPUTE_PGM_RSRC2:TIDIG_COMP_CNT: 0
	.section	.text._ZL20rocblas_gemvn_kernelILi64ELi4EiPKDF16_PKfKPfEviiT3_lPKT2_lT1_lS9_lSA_lS6_lPT4_lSA_li,"axG",@progbits,_ZL20rocblas_gemvn_kernelILi64ELi4EiPKDF16_PKfKPfEviiT3_lPKT2_lT1_lS9_lSA_lS6_lPT4_lSA_li,comdat
	.globl	_ZL20rocblas_gemvn_kernelILi64ELi4EiPKDF16_PKfKPfEviiT3_lPKT2_lT1_lS9_lSA_lS6_lPT4_lSA_li ; -- Begin function _ZL20rocblas_gemvn_kernelILi64ELi4EiPKDF16_PKfKPfEviiT3_lPKT2_lT1_lS9_lSA_lS6_lPT4_lSA_li
	.p2align	8
	.type	_ZL20rocblas_gemvn_kernelILi64ELi4EiPKDF16_PKfKPfEviiT3_lPKT2_lT1_lS9_lSA_lS6_lPT4_lSA_li,@function
_ZL20rocblas_gemvn_kernelILi64ELi4EiPKDF16_PKfKPfEviiT3_lPKT2_lT1_lS9_lSA_lS6_lPT4_lSA_li: ; @_ZL20rocblas_gemvn_kernelILi64ELi4EiPKDF16_PKfKPfEviiT3_lPKT2_lT1_lS9_lSA_lS6_lPT4_lSA_li
; %bb.0:
	s_load_b64 s[4:5], s[0:1], 0x9c
	s_waitcnt lgkmcnt(0)
	s_lshr_b32 s3, s4, 16
	s_and_b32 s4, s4, 0xffff
	s_and_b32 s5, s5, 0xffff
	s_mul_i32 s3, s3, s4
	s_delay_alu instid0(SALU_CYCLE_1) | instskip(NEXT) | instid1(SALU_CYCLE_1)
	s_mul_i32 s3, s3, s5
	s_cmpk_lg_i32 s3, 0x100
	s_cbranch_scc1 .LBB506_54
; %bb.1:
	s_clause 0x1
	s_load_b256 s[16:23], s[0:1], 0x8
	s_load_b256 s[4:11], s[0:1], 0x58
	s_mov_b32 s2, s15
	s_waitcnt lgkmcnt(0)
	s_mul_i32 s3, s15, s19
	s_mul_hi_u32 s13, s15, s18
	s_mul_i32 s12, s15, s18
	s_add_i32 s13, s13, s3
	s_mul_i32 s3, s15, s7
	s_lshl_b64 s[12:13], s[12:13], 2
	s_mul_hi_u32 s7, s15, s6
	s_add_u32 s12, s16, s12
	s_addc_u32 s13, s17, s13
	s_add_i32 s7, s7, s3
	s_mul_i32 s6, s15, s6
	s_delay_alu instid0(SALU_CYCLE_1) | instskip(NEXT) | instid1(SALU_CYCLE_1)
	s_lshl_b64 s[6:7], s[6:7], 2
	s_add_u32 s4, s4, s6
	s_addc_u32 s5, s5, s7
	s_load_b32 s16, s[12:13], 0x0
	s_load_b32 s15, s[4:5], 0x0
	s_waitcnt lgkmcnt(0)
	v_cmp_eq_f32_e64 s18, s16, 0
	v_cmp_eq_f32_e64 s3, s15, 1.0
	s_delay_alu instid0(VALU_DEP_1) | instskip(NEXT) | instid1(SALU_CYCLE_1)
	s_and_b32 s3, s18, s3
	s_and_b32 vcc_lo, exec_lo, s3
	s_mov_b32 s3, 0
	s_cbranch_vccnz .LBB506_54
; %bb.2:
	v_cmp_neq_f32_e64 s4, s16, 0
	s_mov_b64 s[12:13], 0
	s_and_b32 vcc_lo, exec_lo, s18
	s_mov_b64 s[6:7], 0
	s_cbranch_vccnz .LBB506_4
; %bb.3:
	s_lshl_b64 s[6:7], s[2:3], 3
	s_delay_alu instid0(SALU_CYCLE_1)
	s_add_u32 s6, s20, s6
	s_addc_u32 s7, s21, s7
	s_lshl_b64 s[20:21], s[22:23], 1
	s_load_b64 s[6:7], s[6:7], 0x0
	s_waitcnt lgkmcnt(0)
	s_add_u32 s6, s6, s20
	s_addc_u32 s7, s7, s21
.LBB506_4:
	s_and_not1_b32 vcc_lo, exec_lo, s4
	s_cbranch_vccnz .LBB506_6
; %bb.5:
	s_load_b128 s[20:23], s[0:1], 0x38
	s_lshl_b64 s[4:5], s[2:3], 3
	s_waitcnt lgkmcnt(0)
	s_add_u32 s4, s20, s4
	s_addc_u32 s5, s21, s5
	s_lshl_b64 s[12:13], s[22:23], 1
	s_load_b64 s[4:5], s[4:5], 0x0
	s_waitcnt lgkmcnt(0)
	s_add_u32 s12, s4, s12
	s_addc_u32 s13, s5, s13
.LBB506_6:
	s_lshl_b64 s[2:3], s[2:3], 3
	v_and_b32_e32 v1, 0x3ff, v0
	s_add_u32 s2, s8, s2
	s_addc_u32 s3, s9, s3
	v_bfe_u32 v13, v0, 10, 10
	s_load_b64 s[20:21], s[2:3], 0x0
	s_clause 0x1
	s_load_b64 s[4:5], s[0:1], 0x0
	s_load_b32 s17, s[0:1], 0x78
	s_lshl_b64 s[10:11], s[10:11], 2
	v_lshl_add_u32 v0, v13, 6, v1
	s_delay_alu instid0(VALU_DEP_1)
	v_cmp_gt_u32_e64 s2, 0x100, v0
	s_waitcnt lgkmcnt(0)
	s_add_u32 s9, s20, s10
	s_addc_u32 s10, s21, s11
	s_and_not1_b32 vcc_lo, exec_lo, s18
	s_cbranch_vccnz .LBB506_13
; %bb.7:
	s_mov_b32 s3, 0
	s_mov_b32 s11, 0
                                        ; implicit-def: $vgpr3
                                        ; implicit-def: $vgpr4_vgpr5
	s_and_saveexec_b32 s8, s2
	s_cbranch_execz .LBB506_14
; %bb.8:
	v_lshl_or_b32 v2, s14, 8, v0
	v_mov_b32_e32 v3, 0
	s_ashr_i32 s19, s4, 31
	s_mov_b32 s18, s4
	s_mov_b32 s2, exec_lo
                                        ; implicit-def: $vgpr4_vgpr5
	s_delay_alu instid0(VALU_DEP_1)
	v_cmpx_gt_i64_e64 s[18:19], v[2:3]
	s_cbranch_execz .LBB506_12
; %bb.9:
	v_mad_u64_u32 v[4:5], null, s17, v2, 0
	s_ashr_i32 s11, s17, 31
	s_delay_alu instid0(VALU_DEP_1) | instid1(SALU_CYCLE_1)
	v_mad_u64_u32 v[6:7], null, s11, v2, v[5:6]
	v_cmp_eq_f32_e64 s11, s15, 0
	s_delay_alu instid0(VALU_DEP_1) | instskip(NEXT) | instid1(VALU_DEP_2)
	s_and_b32 vcc_lo, exec_lo, s11
	v_mov_b32_e32 v5, v6
	s_cbranch_vccnz .LBB506_11
; %bb.10:
	s_delay_alu instid0(VALU_DEP_1) | instskip(NEXT) | instid1(VALU_DEP_1)
	v_lshlrev_b64 v[2:3], 2, v[4:5]
	v_add_co_u32 v2, vcc_lo, s9, v2
	s_delay_alu instid0(VALU_DEP_2)
	v_add_co_ci_u32_e32 v3, vcc_lo, s10, v3, vcc_lo
	global_load_b32 v2, v[2:3], off
	s_waitcnt vmcnt(0)
	v_mul_f32_e32 v3, s15, v2
.LBB506_11:
	s_mov_b32 s11, exec_lo
.LBB506_12:
	s_or_b32 exec_lo, exec_lo, s2
	s_delay_alu instid0(SALU_CYCLE_1) | instskip(SKIP_1) | instid1(SALU_CYCLE_1)
	s_and_b32 s11, s11, exec_lo
	s_or_b32 exec_lo, exec_lo, s8
	s_and_b32 vcc_lo, exec_lo, s3
	s_cbranch_vccnz .LBB506_15
	s_branch .LBB506_52
.LBB506_13:
	s_mov_b32 s11, 0
                                        ; implicit-def: $vgpr3
                                        ; implicit-def: $vgpr4_vgpr5
	s_cbranch_execnz .LBB506_15
	s_branch .LBB506_52
.LBB506_14:
	s_or_b32 exec_lo, exec_lo, s8
	s_delay_alu instid0(SALU_CYCLE_1)
	s_and_b32 vcc_lo, exec_lo, s3
	s_cbranch_vccz .LBB506_52
.LBB506_15:
	s_clause 0x1
	s_load_b32 s18, s[0:1], 0x28
	s_load_b32 s8, s[0:1], 0x48
	s_ashr_i32 s0, s5, 31
	s_lshl_b32 s14, s14, 8
	s_lshr_b32 s0, s0, 28
	v_dual_mov_b32 v18, 0 :: v_dual_lshlrev_b32 v19, 2, v13
	v_dual_mov_b32 v16, 0 :: v_dual_add_nc_u32 v15, s14, v1
	v_dual_mov_b32 v17, 0 :: v_dual_mov_b32 v14, 0
	s_add_i32 s0, s5, s0
	s_mov_b32 s20, exec_lo
	s_and_b32 s19, s0, -16
	s_delay_alu instid0(SALU_CYCLE_1)
	v_cmpx_gt_i32_e64 s19, v19
	s_cbranch_execz .LBB506_27
; %bb.16:
	s_waitcnt lgkmcnt(0)
	v_mul_lo_u32 v3, s18, v19
	v_dual_mov_b32 v17, 0 :: v_dual_add_nc_u32 v2, 64, v15
	v_add_nc_u32_e32 v6, 2, v19
	v_dual_mov_b32 v18, 0 :: v_dual_add_nc_u32 v5, 0xc0, v15
	s_delay_alu instid0(VALU_DEP_3)
	v_cmp_gt_i32_e64 s0, s4, v2
	v_add_nc_u32_e32 v4, 0x80, v15
	v_add3_u32 v20, v3, s18, v1
	v_mad_u64_u32 v[2:3], null, s18, v6, v[1:2]
	v_cmp_gt_i32_e64 s2, s4, v5
	v_mul_lo_u32 v5, v13, s18
	v_dual_mov_b32 v16, 0 :: v_dual_add_nc_u32 v7, 3, v19
	v_mul_lo_u32 v8, v13, s8
	v_cmp_gt_i32_e64 s1, s4, v4
	v_mul_lo_u32 v22, s8, v6
	s_delay_alu instid0(VALU_DEP_4)
	v_mad_u64_u32 v[3:4], null, s18, v7, v[1:2]
	v_lshl_add_u32 v21, v5, 2, v1
	v_mad_u64_u32 v[4:5], null, s8, v19, s[8:9]
	v_mul_lo_u32 v23, s8, v7
	v_cmp_gt_i32_e32 vcc_lo, s4, v15
	v_lshlrev_b32_e32 v24, 2, v8
	v_mov_b32_e32 v14, 0
	s_lshl_b32 s21, s18, 4
	s_lshl_b32 s23, s8, 4
	s_mov_b32 s22, 0
	s_mov_b32 s24, 0
	s_branch .LBB506_21
.LBB506_17:                             ;   in Loop: Header=BB506_21 Depth=1
	s_or_b32 exec_lo, exec_lo, s27
	s_waitcnt vmcnt(3) lgkmcnt(3)
	v_fma_mix_f32 v5, v37, v41, v16 op_sel_hi:[0,1,0]
	s_waitcnt vmcnt(2) lgkmcnt(2)
	s_delay_alu instid0(VALU_DEP_1) | instskip(SKIP_1) | instid1(VALU_DEP_1)
	v_fma_mix_f32 v5, v38, v42, v5 op_sel_hi:[0,1,0]
	s_waitcnt vmcnt(1) lgkmcnt(1)
	v_fma_mix_f32 v5, v39, v43, v5 op_sel_hi:[0,1,0]
	s_waitcnt vmcnt(0) lgkmcnt(0)
	s_delay_alu instid0(VALU_DEP_1)
	v_fma_mix_f32 v16, v40, v44, v5 op_sel_hi:[0,1,0]
.LBB506_18:                             ;   in Loop: Header=BB506_21 Depth=1
	s_or_b32 exec_lo, exec_lo, s26
	s_waitcnt vmcnt(3) lgkmcnt(3)
	v_fma_mix_f32 v5, v37, v33, v17 op_sel_hi:[0,1,0]
	s_waitcnt vmcnt(2) lgkmcnt(2)
	s_delay_alu instid0(VALU_DEP_1) | instskip(SKIP_1) | instid1(VALU_DEP_1)
	v_fma_mix_f32 v5, v38, v34, v5 op_sel_hi:[0,1,0]
	s_waitcnt vmcnt(1) lgkmcnt(1)
	v_fma_mix_f32 v5, v39, v35, v5 op_sel_hi:[0,1,0]
	s_waitcnt vmcnt(0) lgkmcnt(0)
	s_delay_alu instid0(VALU_DEP_1)
	v_fma_mix_f32 v17, v40, v36, v5 op_sel_hi:[0,1,0]
.LBB506_19:                             ;   in Loop: Header=BB506_21 Depth=1
	s_or_b32 exec_lo, exec_lo, s3
	s_waitcnt vmcnt(3) lgkmcnt(3)
	v_fma_mix_f32 v5, v25, v29, v18 op_sel_hi:[1,1,0]
	s_waitcnt vmcnt(2) lgkmcnt(2)
	s_delay_alu instid0(VALU_DEP_1) | instskip(SKIP_1) | instid1(VALU_DEP_1)
	v_fma_mix_f32 v5, v26, v30, v5 op_sel_hi:[1,1,0]
	s_waitcnt vmcnt(1) lgkmcnt(1)
	v_fma_mix_f32 v5, v27, v31, v5 op_sel_hi:[1,1,0]
	s_waitcnt vmcnt(0) lgkmcnt(0)
	s_delay_alu instid0(VALU_DEP_1)
	v_fma_mix_f32 v18, v28, v32, v5 op_sel_hi:[1,1,0]
.LBB506_20:                             ;   in Loop: Header=BB506_21 Depth=1
	s_or_b32 exec_lo, exec_lo, s25
	v_add_nc_u32_e32 v19, 16, v19
	v_add_nc_u32_e32 v20, s21, v20
	;; [unrolled: 1-line block ×5, first 2 shown]
	v_cmp_le_i32_e64 s3, s19, v19
	s_add_i32 s24, s24, s23
	s_delay_alu instid0(VALU_DEP_1) | instskip(NEXT) | instid1(SALU_CYCLE_1)
	s_or_b32 s22, s3, s22
	s_and_not1_b32 exec_lo, exec_lo, s22
	s_cbranch_execz .LBB506_26
.LBB506_21:                             ; =>This Inner Loop Header: Depth=1
	s_and_saveexec_b32 s25, vcc_lo
	s_cbranch_execz .LBB506_20
; %bb.22:                               ;   in Loop: Header=BB506_21 Depth=1
	v_add_nc_u32_e32 v5, s24, v24
	v_add_nc_u32_e32 v7, s24, v4
	;; [unrolled: 1-line block ×5, first 2 shown]
	v_ashrrev_i32_e32 v6, 31, v5
	v_ashrrev_i32_e32 v8, 31, v7
	;; [unrolled: 1-line block ×5, first 2 shown]
	v_lshlrev_b64 v[5:6], 1, v[5:6]
	v_lshlrev_b64 v[7:8], 1, v[7:8]
	;; [unrolled: 1-line block ×3, first 2 shown]
	s_delay_alu instid0(VALU_DEP_3) | instskip(NEXT) | instid1(VALU_DEP_1)
	v_add_co_u32 v27, s3, s12, v5
	v_add_co_ci_u32_e64 v28, s3, s13, v6, s3
	s_delay_alu instid0(VALU_DEP_4)
	v_add_co_u32 v29, s3, s12, v7
	v_add_nc_u32_e32 v7, s14, v20
	v_add_co_ci_u32_e64 v30, s3, s13, v8, s3
	v_lshlrev_b64 v[5:6], 1, v[11:12]
	v_add_co_u32 v31, s3, s12, v9
	v_add_nc_u32_e32 v11, s14, v2
	v_add_co_ci_u32_e64 v32, s3, s13, v10, s3
	v_lshlrev_b64 v[9:10], 1, v[25:26]
	v_ashrrev_i32_e32 v8, 31, v7
	v_add_nc_u32_e32 v25, s14, v3
	v_add_co_u32 v33, s3, s12, v5
	v_ashrrev_i32_e32 v12, 31, v11
	v_add_co_ci_u32_e64 v34, s3, s13, v6, s3
	v_lshlrev_b64 v[7:8], 1, v[7:8]
	v_add_co_u32 v5, s3, s6, v9
	v_ashrrev_i32_e32 v26, 31, v25
	v_add_co_ci_u32_e64 v6, s3, s7, v10, s3
	v_lshlrev_b64 v[9:10], 1, v[11:12]
	v_add_co_u32 v7, s3, s6, v7
	s_delay_alu instid0(VALU_DEP_4) | instskip(SKIP_1) | instid1(VALU_DEP_4)
	v_lshlrev_b64 v[11:12], 1, v[25:26]
	v_add_co_ci_u32_e64 v8, s3, s7, v8, s3
	v_add_co_u32 v9, s3, s6, v9
	s_delay_alu instid0(VALU_DEP_1) | instskip(NEXT) | instid1(VALU_DEP_4)
	v_add_co_ci_u32_e64 v10, s3, s7, v10, s3
	v_add_co_u32 v11, s3, s6, v11
	s_delay_alu instid0(VALU_DEP_1)
	v_add_co_ci_u32_e64 v12, s3, s7, v12, s3
	s_clause 0x3
	flat_load_u16 v25, v[27:28]
	flat_load_u16 v26, v[29:30]
	;; [unrolled: 1-line block ×4, first 2 shown]
	s_clause 0x3
	flat_load_u16 v29, v[5:6]
	flat_load_u16 v30, v[7:8]
	;; [unrolled: 1-line block ×4, first 2 shown]
	s_and_saveexec_b32 s3, s0
	s_cbranch_execz .LBB506_19
; %bb.23:                               ;   in Loop: Header=BB506_21 Depth=1
	s_clause 0x3
	flat_load_u16 v33, v[5:6] offset:128
	flat_load_u16 v34, v[7:8] offset:128
	flat_load_u16 v35, v[9:10] offset:128
	flat_load_u16 v36, v[11:12] offset:128
	s_waitcnt vmcnt(11) lgkmcnt(11)
	v_cvt_f32_f16_e32 v37, v25
	s_waitcnt vmcnt(10) lgkmcnt(10)
	v_cvt_f32_f16_e32 v38, v26
	;; [unrolled: 2-line block ×4, first 2 shown]
	s_and_saveexec_b32 s26, s1
	s_cbranch_execz .LBB506_18
; %bb.24:                               ;   in Loop: Header=BB506_21 Depth=1
	s_clause 0x3
	flat_load_u16 v41, v[5:6] offset:256
	flat_load_u16 v42, v[7:8] offset:256
	;; [unrolled: 1-line block ×4, first 2 shown]
	s_and_saveexec_b32 s27, s2
	s_cbranch_execz .LBB506_17
; %bb.25:                               ;   in Loop: Header=BB506_21 Depth=1
	s_clause 0x3
	flat_load_u16 v5, v[5:6] offset:384
	flat_load_u16 v6, v[7:8] offset:384
	flat_load_u16 v7, v[9:10] offset:384
	flat_load_u16 v8, v[11:12] offset:384
	s_waitcnt vmcnt(3) lgkmcnt(3)
	v_fma_mix_f32 v5, v37, v5, v14 op_sel_hi:[0,1,0]
	s_waitcnt vmcnt(2) lgkmcnt(2)
	s_delay_alu instid0(VALU_DEP_1) | instskip(SKIP_1) | instid1(VALU_DEP_1)
	v_fma_mix_f32 v5, v38, v6, v5 op_sel_hi:[0,1,0]
	s_waitcnt vmcnt(1) lgkmcnt(1)
	v_fma_mix_f32 v5, v39, v7, v5 op_sel_hi:[0,1,0]
	s_waitcnt vmcnt(0) lgkmcnt(0)
	s_delay_alu instid0(VALU_DEP_1)
	v_fma_mix_f32 v14, v40, v8, v5 op_sel_hi:[0,1,0]
	s_branch .LBB506_17
.LBB506_26:
	s_or_b32 exec_lo, exec_lo, s22
.LBB506_27:
	s_delay_alu instid0(SALU_CYCLE_1) | instskip(SKIP_1) | instid1(SALU_CYCLE_1)
	s_or_b32 exec_lo, exec_lo, s20
	s_sub_i32 s0, s5, s19
	s_cmp_lt_i32 s0, 1
	s_cbranch_scc1 .LBB506_45
; %bb.28:
	v_cmp_gt_i32_e32 vcc_lo, s5, v19
	v_dual_mov_b32 v10, 0 :: v_dual_mov_b32 v11, 0
	v_or_b32_e32 v2, 1, v19
	v_mov_b32_e32 v12, 0
	v_mov_b32_e32 v20, 0
	s_and_saveexec_b32 s1, vcc_lo
	s_cbranch_execz .LBB506_36
; %bb.29:
	s_waitcnt lgkmcnt(0)
	v_mul_lo_u32 v3, v19, s8
	v_dual_mov_b32 v12, 0 :: v_dual_mov_b32 v11, 0
	v_mov_b32_e32 v10, 0
	s_mov_b32 s2, exec_lo
	s_delay_alu instid0(VALU_DEP_3) | instskip(NEXT) | instid1(VALU_DEP_1)
	v_ashrrev_i32_e32 v4, 31, v3
	v_lshlrev_b64 v[3:4], 1, v[3:4]
	s_delay_alu instid0(VALU_DEP_1) | instskip(NEXT) | instid1(VALU_DEP_1)
	v_add_co_u32 v3, s0, s12, v3
	v_add_co_ci_u32_e64 v4, s0, s13, v4, s0
	flat_load_u16 v3, v[3:4]
	v_cmpx_gt_i32_e64 s5, v2
	s_cbranch_execz .LBB506_35
; %bb.30:
	v_mul_lo_u32 v4, v2, s8
	v_dual_mov_b32 v11, 0 :: v_dual_mov_b32 v10, 0
	s_mov_b32 s3, exec_lo
	s_delay_alu instid0(VALU_DEP_2) | instskip(NEXT) | instid1(VALU_DEP_1)
	v_ashrrev_i32_e32 v5, 31, v4
	v_lshlrev_b64 v[4:5], 1, v[4:5]
	s_delay_alu instid0(VALU_DEP_1) | instskip(NEXT) | instid1(VALU_DEP_1)
	v_add_co_u32 v4, s0, s12, v4
	v_add_co_ci_u32_e64 v5, s0, s13, v5, s0
	flat_load_u16 v4, v[4:5]
	v_or_b32_e32 v5, 2, v19
	s_delay_alu instid0(VALU_DEP_1)
	v_cmpx_gt_i32_e64 s5, v5
	s_cbranch_execz .LBB506_34
; %bb.31:
	v_mul_lo_u32 v5, v5, s8
	v_mov_b32_e32 v10, 0
	s_mov_b32 s19, exec_lo
	s_delay_alu instid0(VALU_DEP_2) | instskip(NEXT) | instid1(VALU_DEP_1)
	v_ashrrev_i32_e32 v6, 31, v5
	v_lshlrev_b64 v[5:6], 1, v[5:6]
	s_delay_alu instid0(VALU_DEP_1) | instskip(NEXT) | instid1(VALU_DEP_1)
	v_add_co_u32 v5, s0, s12, v5
	v_add_co_ci_u32_e64 v6, s0, s13, v6, s0
	flat_load_u16 v5, v[5:6]
	v_or_b32_e32 v6, 3, v19
	s_delay_alu instid0(VALU_DEP_1)
	v_cmpx_gt_i32_e64 s5, v6
	s_cbranch_execz .LBB506_33
; %bb.32:
	v_mul_lo_u32 v6, v6, s8
	s_delay_alu instid0(VALU_DEP_1) | instskip(NEXT) | instid1(VALU_DEP_1)
	v_ashrrev_i32_e32 v7, 31, v6
	v_lshlrev_b64 v[6:7], 1, v[6:7]
	s_delay_alu instid0(VALU_DEP_1) | instskip(NEXT) | instid1(VALU_DEP_1)
	v_add_co_u32 v6, s0, s12, v6
	v_add_co_ci_u32_e64 v7, s0, s13, v7, s0
	flat_load_u16 v6, v[6:7]
	s_waitcnt vmcnt(0) lgkmcnt(0)
	v_cvt_f32_f16_e32 v10, v6
.LBB506_33:
	s_or_b32 exec_lo, exec_lo, s19
	s_waitcnt vmcnt(0) lgkmcnt(0)
	v_cvt_f32_f16_e32 v11, v5
.LBB506_34:
	s_or_b32 exec_lo, exec_lo, s3
	s_waitcnt vmcnt(0) lgkmcnt(0)
	v_cvt_f32_f16_e32 v12, v4
.LBB506_35:
	s_or_b32 exec_lo, exec_lo, s2
	s_waitcnt vmcnt(0) lgkmcnt(0)
	v_cvt_f32_f16_e32 v20, v3
.LBB506_36:
	s_or_b32 exec_lo, exec_lo, s1
	s_delay_alu instid0(SALU_CYCLE_1)
	s_mov_b32 s1, exec_lo
	v_cmpx_gt_i32_e64 s4, v15
	s_cbranch_execz .LBB506_44
; %bb.37:
	s_waitcnt lgkmcnt(0)
	v_mul_lo_u32 v3, v19, s18
	v_or_b32_e32 v6, 3, v19
	v_or_b32_e32 v4, 2, v19
	v_mul_lo_u32 v5, v2, s18
	s_mov_b32 s0, exec_lo
	s_delay_alu instid0(VALU_DEP_3) | instskip(NEXT) | instid1(VALU_DEP_3)
	v_mul_lo_u32 v8, v6, s18
	v_mul_lo_u32 v7, v4, s18
	v_cndmask_b32_e32 v3, 0, v3, vcc_lo
	v_cmp_gt_i32_e32 vcc_lo, s5, v2
	v_cndmask_b32_e32 v5, 0, v5, vcc_lo
	v_cmp_gt_i32_e32 vcc_lo, s5, v4
	;; [unrolled: 2-line block ×3, first 2 shown]
	s_delay_alu instid0(VALU_DEP_2) | instskip(SKIP_3) | instid1(VALU_DEP_4)
	v_add_nc_u32_e32 v6, v7, v15
	v_cndmask_b32_e32 v8, 0, v8, vcc_lo
	v_add_nc_u32_e32 v2, v3, v15
	v_add_nc_u32_e32 v4, v5, v15
	v_ashrrev_i32_e32 v7, 31, v6
	s_delay_alu instid0(VALU_DEP_4) | instskip(NEXT) | instid1(VALU_DEP_4)
	v_add_nc_u32_e32 v8, v8, v15
	v_ashrrev_i32_e32 v3, 31, v2
	s_delay_alu instid0(VALU_DEP_4) | instskip(NEXT) | instid1(VALU_DEP_4)
	v_ashrrev_i32_e32 v5, 31, v4
	v_lshlrev_b64 v[6:7], 1, v[6:7]
	s_delay_alu instid0(VALU_DEP_4) | instskip(NEXT) | instid1(VALU_DEP_4)
	v_ashrrev_i32_e32 v9, 31, v8
	v_lshlrev_b64 v[2:3], 1, v[2:3]
	s_delay_alu instid0(VALU_DEP_4) | instskip(NEXT) | instid1(VALU_DEP_3)
	v_lshlrev_b64 v[4:5], 1, v[4:5]
	v_lshlrev_b64 v[8:9], 1, v[8:9]
	s_delay_alu instid0(VALU_DEP_3) | instskip(NEXT) | instid1(VALU_DEP_4)
	v_add_co_u32 v2, vcc_lo, s6, v2
	v_add_co_ci_u32_e32 v3, vcc_lo, s7, v3, vcc_lo
	s_delay_alu instid0(VALU_DEP_4)
	v_add_co_u32 v4, vcc_lo, s6, v4
	v_add_co_ci_u32_e32 v5, vcc_lo, s7, v5, vcc_lo
	flat_load_u16 v21, v[2:3]
	v_add_co_u32 v6, vcc_lo, s6, v6
	v_add_co_ci_u32_e32 v7, vcc_lo, s7, v7, vcc_lo
	s_clause 0x1
	flat_load_u16 v22, v[4:5]
	flat_load_u16 v23, v[6:7]
	v_add_co_u32 v8, vcc_lo, s6, v8
	v_add_co_ci_u32_e32 v9, vcc_lo, s7, v9, vcc_lo
	flat_load_u16 v19, v[8:9]
	s_waitcnt vmcnt(3) lgkmcnt(3)
	v_fma_mix_f32 v18, v20, v21, v18 op_sel_hi:[0,1,0]
	v_add_nc_u32_e32 v21, 64, v15
	s_waitcnt vmcnt(2) lgkmcnt(2)
	s_delay_alu instid0(VALU_DEP_2) | instskip(SKIP_1) | instid1(VALU_DEP_1)
	v_fma_mix_f32 v18, v12, v22, v18 op_sel_hi:[0,1,0]
	s_waitcnt vmcnt(1) lgkmcnt(1)
	v_fma_mix_f32 v18, v11, v23, v18 op_sel_hi:[0,1,0]
	v_cmpx_gt_i32_e64 s4, v21
	s_cbranch_execz .LBB506_43
; %bb.38:
	s_clause 0x3
	flat_load_u16 v22, v[2:3] offset:128
	flat_load_u16 v23, v[4:5] offset:128
	;; [unrolled: 1-line block ×4, first 2 shown]
	s_mov_b32 s2, exec_lo
	s_waitcnt vmcnt(3) lgkmcnt(3)
	v_fma_mix_f32 v17, v20, v22, v17 op_sel_hi:[0,1,0]
	v_add_nc_u32_e32 v22, 0x80, v15
	s_waitcnt vmcnt(2) lgkmcnt(2)
	s_delay_alu instid0(VALU_DEP_2) | instskip(SKIP_1) | instid1(VALU_DEP_1)
	v_fma_mix_f32 v17, v12, v23, v17 op_sel_hi:[0,1,0]
	s_waitcnt vmcnt(1) lgkmcnt(1)
	v_fma_mix_f32 v17, v11, v24, v17 op_sel_hi:[0,1,0]
	v_cmpx_gt_i32_e64 s4, v22
	s_cbranch_execz .LBB506_42
; %bb.39:
	s_clause 0x3
	flat_load_u16 v23, v[2:3] offset:256
	flat_load_u16 v24, v[4:5] offset:256
	flat_load_u16 v25, v[6:7] offset:256
	flat_load_u16 v22, v[8:9] offset:256
	s_mov_b32 s3, exec_lo
	s_waitcnt vmcnt(3) lgkmcnt(3)
	v_fma_mix_f32 v16, v20, v23, v16 op_sel_hi:[0,1,0]
	v_add_nc_u32_e32 v23, 0xc0, v15
	s_waitcnt vmcnt(2) lgkmcnt(2)
	s_delay_alu instid0(VALU_DEP_2) | instskip(SKIP_1) | instid1(VALU_DEP_1)
	v_fma_mix_f32 v16, v12, v24, v16 op_sel_hi:[0,1,0]
	s_waitcnt vmcnt(1) lgkmcnt(1)
	v_fma_mix_f32 v15, v11, v25, v16 op_sel_hi:[0,1,0]
	v_cmpx_gt_i32_e64 s4, v23
	s_cbranch_execz .LBB506_41
; %bb.40:
	s_clause 0x3
	flat_load_u16 v2, v[2:3] offset:384
	flat_load_u16 v3, v[4:5] offset:384
	flat_load_u16 v4, v[6:7] offset:384
	flat_load_u16 v5, v[8:9] offset:384
	s_waitcnt vmcnt(3) lgkmcnt(3)
	v_fma_mix_f32 v2, v20, v2, v14 op_sel_hi:[0,1,0]
	s_waitcnt vmcnt(2) lgkmcnt(2)
	s_delay_alu instid0(VALU_DEP_1) | instskip(SKIP_1) | instid1(VALU_DEP_1)
	v_fma_mix_f32 v2, v12, v3, v2 op_sel_hi:[0,1,0]
	s_waitcnt vmcnt(1) lgkmcnt(1)
	v_fma_mix_f32 v2, v11, v4, v2 op_sel_hi:[0,1,0]
	s_waitcnt vmcnt(0) lgkmcnt(0)
	s_delay_alu instid0(VALU_DEP_1)
	v_fma_mix_f32 v14, v10, v5, v2 op_sel_hi:[0,1,0]
.LBB506_41:
	s_or_b32 exec_lo, exec_lo, s3
	s_waitcnt vmcnt(0) lgkmcnt(0)
	v_fma_mix_f32 v16, v10, v22, v15 op_sel_hi:[0,1,0]
.LBB506_42:
	s_or_b32 exec_lo, exec_lo, s2
	s_waitcnt vmcnt(0) lgkmcnt(0)
	v_fma_mix_f32 v17, v10, v21, v17 op_sel_hi:[0,1,0]
.LBB506_43:
	s_or_b32 exec_lo, exec_lo, s0
	s_waitcnt vmcnt(0) lgkmcnt(0)
	v_fma_mix_f32 v18, v10, v19, v18 op_sel_hi:[0,1,0]
.LBB506_44:
	s_or_b32 exec_lo, exec_lo, s1
.LBB506_45:
	v_lshlrev_b32_e32 v2, 8, v13
	s_mov_b32 s0, exec_lo
                                        ; implicit-def: $vgpr3
                                        ; implicit-def: $vgpr4_vgpr5
	s_delay_alu instid0(VALU_DEP_1)
	v_add_lshl_u32 v1, v2, v1, 2
	ds_store_2addr_stride64_b32 v1, v18, v17 offset1:1
	ds_store_2addr_stride64_b32 v1, v16, v14 offset0:2 offset1:3
	s_waitcnt lgkmcnt(0)
	s_barrier
	buffer_gl0_inv
	v_cmpx_gt_u32_e32 0x100, v0
	s_cbranch_execz .LBB506_51
; %bb.46:
	v_lshlrev_b32_e32 v5, 2, v0
	s_mov_b32 s2, s11
	s_mov_b32 s1, exec_lo
	ds_load_2addr_stride64_b32 v[1:2], v5 offset1:4
	ds_load_2addr_stride64_b32 v[3:4], v5 offset0:8 offset1:12
	s_waitcnt lgkmcnt(1)
	v_add_f32_e32 v1, v1, v2
	s_waitcnt lgkmcnt(0)
	s_delay_alu instid0(VALU_DEP_1) | instskip(SKIP_1) | instid1(VALU_DEP_2)
	v_add_f32_e32 v2, v3, v1
	v_or_b32_e32 v1, s14, v0
                                        ; implicit-def: $vgpr3
	v_add_f32_e32 v0, v4, v2
	ds_store_b32 v5, v0
                                        ; implicit-def: $vgpr4_vgpr5
	v_cmpx_gt_i32_e64 s4, v1
	s_cbranch_execz .LBB506_50
; %bb.47:
	v_mul_lo_u32 v4, v1, s17
	v_cmp_eq_f32_e64 s2, s15, 0
	v_mul_f32_e32 v3, s16, v0
	s_delay_alu instid0(VALU_DEP_2) | instskip(NEXT) | instid1(VALU_DEP_3)
	s_and_b32 vcc_lo, exec_lo, s2
	v_ashrrev_i32_e32 v5, 31, v4
	s_cbranch_vccnz .LBB506_49
; %bb.48:
	s_delay_alu instid0(VALU_DEP_1) | instskip(NEXT) | instid1(VALU_DEP_1)
	v_lshlrev_b64 v[0:1], 2, v[4:5]
	v_add_co_u32 v0, vcc_lo, s9, v0
	s_delay_alu instid0(VALU_DEP_2)
	v_add_co_ci_u32_e32 v1, vcc_lo, s10, v1, vcc_lo
	global_load_b32 v0, v[0:1], off
	s_waitcnt vmcnt(0)
	v_fmac_f32_e32 v3, s15, v0
.LBB506_49:
	s_or_b32 s2, s11, exec_lo
.LBB506_50:
	s_or_b32 exec_lo, exec_lo, s1
	s_delay_alu instid0(SALU_CYCLE_1) | instskip(SKIP_1) | instid1(SALU_CYCLE_1)
	s_and_not1_b32 s1, s11, exec_lo
	s_and_b32 s2, s2, exec_lo
	s_or_b32 s11, s1, s2
.LBB506_51:
	s_or_b32 exec_lo, exec_lo, s0
.LBB506_52:
	s_and_saveexec_b32 s0, s11
	s_cbranch_execz .LBB506_54
; %bb.53:
	v_lshlrev_b64 v[0:1], 2, v[4:5]
	s_delay_alu instid0(VALU_DEP_1) | instskip(NEXT) | instid1(VALU_DEP_2)
	v_add_co_u32 v0, vcc_lo, s9, v0
	v_add_co_ci_u32_e32 v1, vcc_lo, s10, v1, vcc_lo
	global_store_b32 v[0:1], v3, off
.LBB506_54:
	s_nop 0
	s_sendmsg sendmsg(MSG_DEALLOC_VGPRS)
	s_endpgm
	.section	.rodata,"a",@progbits
	.p2align	6, 0x0
	.amdhsa_kernel _ZL20rocblas_gemvn_kernelILi64ELi4EiPKDF16_PKfKPfEviiT3_lPKT2_lT1_lS9_lSA_lS6_lPT4_lSA_li
		.amdhsa_group_segment_fixed_size 4096
		.amdhsa_private_segment_fixed_size 0
		.amdhsa_kernarg_size 400
		.amdhsa_user_sgpr_count 14
		.amdhsa_user_sgpr_dispatch_ptr 0
		.amdhsa_user_sgpr_queue_ptr 0
		.amdhsa_user_sgpr_kernarg_segment_ptr 1
		.amdhsa_user_sgpr_dispatch_id 0
		.amdhsa_user_sgpr_private_segment_size 0
		.amdhsa_wavefront_size32 1
		.amdhsa_uses_dynamic_stack 0
		.amdhsa_enable_private_segment 0
		.amdhsa_system_sgpr_workgroup_id_x 1
		.amdhsa_system_sgpr_workgroup_id_y 0
		.amdhsa_system_sgpr_workgroup_id_z 1
		.amdhsa_system_sgpr_workgroup_info 0
		.amdhsa_system_vgpr_workitem_id 1
		.amdhsa_next_free_vgpr 45
		.amdhsa_next_free_sgpr 28
		.amdhsa_reserve_vcc 1
		.amdhsa_float_round_mode_32 0
		.amdhsa_float_round_mode_16_64 0
		.amdhsa_float_denorm_mode_32 3
		.amdhsa_float_denorm_mode_16_64 3
		.amdhsa_dx10_clamp 1
		.amdhsa_ieee_mode 1
		.amdhsa_fp16_overflow 0
		.amdhsa_workgroup_processor_mode 1
		.amdhsa_memory_ordered 1
		.amdhsa_forward_progress 0
		.amdhsa_shared_vgpr_count 0
		.amdhsa_exception_fp_ieee_invalid_op 0
		.amdhsa_exception_fp_denorm_src 0
		.amdhsa_exception_fp_ieee_div_zero 0
		.amdhsa_exception_fp_ieee_overflow 0
		.amdhsa_exception_fp_ieee_underflow 0
		.amdhsa_exception_fp_ieee_inexact 0
		.amdhsa_exception_int_div_zero 0
	.end_amdhsa_kernel
	.section	.text._ZL20rocblas_gemvn_kernelILi64ELi4EiPKDF16_PKfKPfEviiT3_lPKT2_lT1_lS9_lSA_lS6_lPT4_lSA_li,"axG",@progbits,_ZL20rocblas_gemvn_kernelILi64ELi4EiPKDF16_PKfKPfEviiT3_lPKT2_lT1_lS9_lSA_lS6_lPT4_lSA_li,comdat
.Lfunc_end506:
	.size	_ZL20rocblas_gemvn_kernelILi64ELi4EiPKDF16_PKfKPfEviiT3_lPKT2_lT1_lS9_lSA_lS6_lPT4_lSA_li, .Lfunc_end506-_ZL20rocblas_gemvn_kernelILi64ELi4EiPKDF16_PKfKPfEviiT3_lPKT2_lT1_lS9_lSA_lS6_lPT4_lSA_li
                                        ; -- End function
	.section	.AMDGPU.csdata,"",@progbits
; Kernel info:
; codeLenInByte = 3092
; NumSgprs: 30
; NumVgprs: 45
; ScratchSize: 0
; MemoryBound: 0
; FloatMode: 240
; IeeeMode: 1
; LDSByteSize: 4096 bytes/workgroup (compile time only)
; SGPRBlocks: 3
; VGPRBlocks: 5
; NumSGPRsForWavesPerEU: 30
; NumVGPRsForWavesPerEU: 45
; Occupancy: 16
; WaveLimiterHint : 1
; COMPUTE_PGM_RSRC2:SCRATCH_EN: 0
; COMPUTE_PGM_RSRC2:USER_SGPR: 14
; COMPUTE_PGM_RSRC2:TRAP_HANDLER: 0
; COMPUTE_PGM_RSRC2:TGID_X_EN: 1
; COMPUTE_PGM_RSRC2:TGID_Y_EN: 0
; COMPUTE_PGM_RSRC2:TGID_Z_EN: 1
; COMPUTE_PGM_RSRC2:TIDIG_COMP_CNT: 1
	.section	.text._ZL20rocblas_gemvn_kernelILi64ELi4ElPKDF16_PKfKPfEviiT3_lPKT2_lT1_lS9_lSA_lS6_lPT4_lSA_li,"axG",@progbits,_ZL20rocblas_gemvn_kernelILi64ELi4ElPKDF16_PKfKPfEviiT3_lPKT2_lT1_lS9_lSA_lS6_lPT4_lSA_li,comdat
	.globl	_ZL20rocblas_gemvn_kernelILi64ELi4ElPKDF16_PKfKPfEviiT3_lPKT2_lT1_lS9_lSA_lS6_lPT4_lSA_li ; -- Begin function _ZL20rocblas_gemvn_kernelILi64ELi4ElPKDF16_PKfKPfEviiT3_lPKT2_lT1_lS9_lSA_lS6_lPT4_lSA_li
	.p2align	8
	.type	_ZL20rocblas_gemvn_kernelILi64ELi4ElPKDF16_PKfKPfEviiT3_lPKT2_lT1_lS9_lSA_lS6_lPT4_lSA_li,@function
_ZL20rocblas_gemvn_kernelILi64ELi4ElPKDF16_PKfKPfEviiT3_lPKT2_lT1_lS9_lSA_lS6_lPT4_lSA_li: ; @_ZL20rocblas_gemvn_kernelILi64ELi4ElPKDF16_PKfKPfEviiT3_lPKT2_lT1_lS9_lSA_lS6_lPT4_lSA_li
; %bb.0:
	s_load_b64 s[4:5], s[0:1], 0x9c
	s_waitcnt lgkmcnt(0)
	s_lshr_b32 s3, s4, 16
	s_and_b32 s4, s4, 0xffff
	s_and_b32 s5, s5, 0xffff
	s_mul_i32 s3, s3, s4
	s_delay_alu instid0(SALU_CYCLE_1) | instskip(NEXT) | instid1(SALU_CYCLE_1)
	s_mul_i32 s3, s3, s5
	s_cmpk_lg_i32 s3, 0x100
	s_cbranch_scc1 .LBB507_54
; %bb.1:
	s_clause 0x1
	s_load_b256 s[16:23], s[0:1], 0x8
	s_load_b256 s[4:11], s[0:1], 0x58
	s_mov_b32 s2, s15
	s_waitcnt lgkmcnt(0)
	s_mul_i32 s3, s15, s19
	s_mul_hi_u32 s13, s15, s18
	s_mul_i32 s12, s15, s18
	s_add_i32 s13, s13, s3
	s_mul_i32 s3, s15, s7
	s_lshl_b64 s[12:13], s[12:13], 2
	s_mul_hi_u32 s7, s15, s6
	s_add_u32 s12, s16, s12
	s_addc_u32 s13, s17, s13
	s_add_i32 s7, s7, s3
	s_mul_i32 s6, s15, s6
	s_delay_alu instid0(SALU_CYCLE_1) | instskip(NEXT) | instid1(SALU_CYCLE_1)
	s_lshl_b64 s[6:7], s[6:7], 2
	s_add_u32 s4, s4, s6
	s_addc_u32 s5, s5, s7
	s_load_b32 s27, s[12:13], 0x0
	s_load_b32 s26, s[4:5], 0x0
	s_waitcnt lgkmcnt(0)
	v_cmp_eq_f32_e64 s15, s27, 0
	v_cmp_eq_f32_e64 s3, s26, 1.0
	s_delay_alu instid0(VALU_DEP_1) | instskip(NEXT) | instid1(SALU_CYCLE_1)
	s_and_b32 s3, s15, s3
	s_and_b32 vcc_lo, exec_lo, s3
	s_mov_b32 s3, 0
	s_cbranch_vccnz .LBB507_54
; %bb.2:
	s_clause 0x1
	s_load_b64 s[16:17], s[0:1], 0x28
	s_load_b64 s[12:13], s[0:1], 0x78
	v_cmp_neq_f32_e64 s28, s27, 0
	s_mov_b64 s[24:25], 0
	s_and_b32 vcc_lo, exec_lo, s15
	s_mov_b64 s[18:19], 0
	s_cbranch_vccnz .LBB507_4
; %bb.3:
	s_lshl_b64 s[4:5], s[2:3], 3
	s_delay_alu instid0(SALU_CYCLE_1)
	s_add_u32 s4, s20, s4
	s_addc_u32 s5, s21, s5
	s_lshl_b64 s[6:7], s[22:23], 1
	s_load_b64 s[4:5], s[4:5], 0x0
	s_waitcnt lgkmcnt(0)
	s_add_u32 s18, s4, s6
	s_addc_u32 s19, s5, s7
.LBB507_4:
	s_clause 0x1
	s_load_b128 s[4:7], s[0:1], 0x38
	s_load_b64 s[20:21], s[0:1], 0x48
	s_and_not1_b32 vcc_lo, exec_lo, s28
	s_cbranch_vccnz .LBB507_6
; %bb.5:
	s_lshl_b64 s[22:23], s[2:3], 3
	s_waitcnt lgkmcnt(0)
	s_add_u32 s4, s4, s22
	s_addc_u32 s5, s5, s23
	s_lshl_b64 s[6:7], s[6:7], 1
	s_load_b64 s[4:5], s[4:5], 0x0
	s_waitcnt lgkmcnt(0)
	s_add_u32 s24, s4, s6
	s_addc_u32 s25, s5, s7
.LBB507_6:
	s_lshl_b64 s[2:3], s[2:3], 3
	v_and_b32_e32 v20, 0x3ff, v0
	s_add_u32 s2, s8, s2
	s_addc_u32 s3, s9, s3
	v_bfe_u32 v21, v0, 10, 10
	s_load_b64 s[2:3], s[2:3], 0x0
	s_waitcnt lgkmcnt(0)
	s_load_b64 s[6:7], s[0:1], 0x0
	s_lshl_b64 s[8:9], s[10:11], 2
	v_lshl_add_u32 v19, v21, 6, v20
	s_delay_alu instid0(VALU_DEP_1)
	v_cmp_gt_u32_e64 s0, 0x100, v19
	s_add_u32 s5, s2, s8
	s_addc_u32 s22, s3, s9
	s_and_not1_b32 vcc_lo, exec_lo, s15
	s_cbranch_vccnz .LBB507_13
; %bb.7:
	s_mov_b32 s1, 0
	s_mov_b32 s23, 0
                                        ; implicit-def: $vgpr1
                                        ; implicit-def: $vgpr2_vgpr3
	s_and_saveexec_b32 s2, s0
	s_cbranch_execz .LBB507_14
; %bb.8:
	v_lshl_or_b32 v0, s14, 8, v19
	v_mov_b32_e32 v1, 0
	s_waitcnt lgkmcnt(0)
	s_ashr_i32 s9, s6, 31
	s_mov_b32 s8, s6
	s_mov_b32 s3, 0
	s_mov_b32 s0, exec_lo
                                        ; implicit-def: $vgpr2_vgpr3
	v_cmpx_gt_i64_e64 s[8:9], v[0:1]
	s_cbranch_execz .LBB507_12
; %bb.9:
	v_mad_u64_u32 v[2:3], null, v0, s12, 0
	v_cmp_eq_f32_e64 s3, s26, 0
	s_delay_alu instid0(VALU_DEP_1) | instskip(NEXT) | instid1(VALU_DEP_2)
	s_and_b32 vcc_lo, exec_lo, s3
	v_mad_u64_u32 v[4:5], null, v0, s13, v[3:4]
	s_delay_alu instid0(VALU_DEP_1)
	v_mov_b32_e32 v3, v4
	s_cbranch_vccnz .LBB507_11
; %bb.10:
	s_delay_alu instid0(VALU_DEP_1) | instskip(NEXT) | instid1(VALU_DEP_1)
	v_lshlrev_b64 v[0:1], 2, v[2:3]
	v_add_co_u32 v0, vcc_lo, s5, v0
	s_delay_alu instid0(VALU_DEP_2)
	v_add_co_ci_u32_e32 v1, vcc_lo, s22, v1, vcc_lo
	global_load_b32 v0, v[0:1], off
	s_waitcnt vmcnt(0)
	v_mul_f32_e32 v1, s26, v0
.LBB507_11:
	s_mov_b32 s3, exec_lo
.LBB507_12:
	s_or_b32 exec_lo, exec_lo, s0
	s_delay_alu instid0(SALU_CYCLE_1) | instskip(SKIP_1) | instid1(SALU_CYCLE_1)
	s_and_b32 s23, s3, exec_lo
	s_or_b32 exec_lo, exec_lo, s2
	s_and_b32 vcc_lo, exec_lo, s1
	s_cbranch_vccnz .LBB507_15
	s_branch .LBB507_52
.LBB507_13:
	s_mov_b32 s23, 0
                                        ; implicit-def: $vgpr1
                                        ; implicit-def: $vgpr2_vgpr3
	s_cbranch_execnz .LBB507_15
	s_branch .LBB507_52
.LBB507_14:
	s_or_b32 exec_lo, exec_lo, s2
	s_delay_alu instid0(SALU_CYCLE_1)
	s_and_b32 vcc_lo, exec_lo, s1
	s_cbranch_vccz .LBB507_52
.LBB507_15:
	s_waitcnt lgkmcnt(0)
	s_ashr_i32 s0, s7, 31
	s_lshl_b32 s28, s14, 8
	s_lshr_b32 s0, s0, 28
	v_dual_mov_b32 v26, 0 :: v_dual_lshlrev_b32 v23, 2, v21
	v_dual_mov_b32 v25, 0 :: v_dual_add_nc_u32 v0, s28, v20
	v_mov_b32_e32 v24, 0
	v_mov_b32_e32 v22, 0
	s_add_i32 s0, s7, s0
	s_mov_b32 s30, exec_lo
	s_and_b32 s29, s0, -16
	s_delay_alu instid0(SALU_CYCLE_1)
	v_cmpx_gt_i32_e64 s29, v23
	s_cbranch_execz .LBB507_27
; %bb.16:
	v_lshlrev_b32_e32 v22, 2, v21
	v_mad_u64_u32 v[5:6], null, s20, v21, 0
	v_add_nc_u32_e32 v10, 0xc0, v0
	v_mad_u64_u32 v[7:8], null, s16, v21, 0
	s_delay_alu instid0(VALU_DEP_4) | instskip(SKIP_1) | instid1(VALU_DEP_4)
	v_or_b32_e32 v29, 3, v22
	v_or_b32_e32 v31, 2, v22
	v_cmp_gt_i32_e64 s2, s6, v10
	v_ashrrev_i32_e32 v1, 31, v0
	v_cmp_gt_i32_e32 vcc_lo, s6, v0
	v_mad_u64_u32 v[3:4], null, s16, v29, 0
	v_mad_u64_u32 v[16:17], null, s20, v29, 0
	v_add_nc_u32_e32 v2, 64, v0
	v_add_nc_u32_e32 v9, 0x80, v0
	v_mad_u64_u32 v[14:15], null, s16, v31, 0
	v_mad_u64_u32 v[35:36], null, s20, v31, 0
	s_delay_alu instid0(VALU_DEP_4)
	v_cmp_gt_i32_e64 s0, s6, v2
	v_mov_b32_e32 v2, v4
	v_mov_b32_e32 v4, v6
	v_cmp_gt_i32_e64 s1, s6, v9
	v_mov_b32_e32 v6, v8
	s_lshl_b64 s[8:9], s[16:17], 5
	v_mad_u64_u32 v[9:10], null, s17, v29, v[2:3]
	v_mad_u64_u32 v[10:11], null, s21, v21, v[4:5]
	s_delay_alu instid0(VALU_DEP_3) | instskip(SKIP_2) | instid1(VALU_DEP_4)
	v_mad_u64_u32 v[11:12], null, s17, v21, v[6:7]
	v_lshlrev_b64 v[1:2], 1, v[0:1]
	s_lshl_b64 s[10:11], s[20:21], 5
	v_mov_b32_e32 v4, v9
	s_mov_b32 s31, 0
	s_delay_alu instid0(VALU_DEP_4) | instskip(SKIP_1) | instid1(VALU_DEP_4)
	v_mov_b32_e32 v6, v10
	s_mov_b64 s[14:15], s[24:25]
	v_mov_b32_e32 v8, v11
	v_lshlrev_b64 v[9:10], 1, v[3:4]
	s_delay_alu instid0(VALU_DEP_3) | instskip(SKIP_2) | instid1(VALU_DEP_4)
	v_lshlrev_b64 v[3:4], 3, v[5:6]
	v_mov_b32_e32 v5, v15
	v_mad_u64_u32 v[12:13], null, s20, v22, s[20:21]
	v_add_co_u32 v27, s3, s18, v9
	s_delay_alu instid0(VALU_DEP_1) | instskip(SKIP_1) | instid1(VALU_DEP_4)
	v_add_co_ci_u32_e64 v28, s3, s19, v10, s3
	v_mad_u64_u32 v[9:10], null, s16, v22, s[16:17]
	v_mov_b32_e32 v6, v13
	v_lshlrev_b64 v[7:8], 3, v[7:8]
	s_delay_alu instid0(VALU_DEP_2) | instskip(SKIP_1) | instid1(VALU_DEP_3)
	v_mad_u64_u32 v[24:25], null, s17, v31, v[5:6]
	v_mov_b32_e32 v5, v17
	v_mad_u64_u32 v[17:18], null, s21, v22, v[6:7]
	s_delay_alu instid0(VALU_DEP_2) | instskip(SKIP_2) | instid1(VALU_DEP_4)
	v_mad_u64_u32 v[25:26], null, s21, v29, v[5:6]
	v_mov_b32_e32 v5, v10
	v_mov_b32_e32 v15, v24
	;; [unrolled: 1-line block ×3, first 2 shown]
	v_add_co_u32 v29, s3, s18, v7
	s_delay_alu instid0(VALU_DEP_4) | instskip(SKIP_4) | instid1(VALU_DEP_4)
	v_mad_u64_u32 v[10:11], null, s17, v22, v[5:6]
	v_mov_b32_e32 v5, v36
	v_mov_b32_e32 v17, v25
	v_lshlrev_b64 v[14:15], 1, v[14:15]
	v_add_co_ci_u32_e64 v30, s3, s19, v8, s3
	v_mad_u64_u32 v[24:25], null, s21, v31, v[5:6]
	v_mov_b32_e32 v25, 0
	v_lshlrev_b64 v[9:10], 1, v[9:10]
	v_add_co_u32 v31, s3, s18, v14
	s_delay_alu instid0(VALU_DEP_1) | instskip(SKIP_1) | instid1(VALU_DEP_4)
	v_add_co_ci_u32_e64 v32, s3, s19, v15, s3
	v_mov_b32_e32 v36, v24
	v_add_co_u32 v33, s3, s18, v9
	v_lshlrev_b64 v[5:6], 1, v[12:13]
	v_lshlrev_b64 v[7:8], 1, v[16:17]
	v_add_co_ci_u32_e64 v34, s3, s19, v10, s3
	v_lshlrev_b64 v[9:10], 1, v[35:36]
	v_mov_b32_e32 v26, 0
	v_mov_b32_e32 v24, 0
	;; [unrolled: 1-line block ×3, first 2 shown]
	s_branch .LBB507_21
.LBB507_17:                             ;   in Loop: Header=BB507_21 Depth=1
	s_or_b32 exec_lo, exec_lo, s34
	s_waitcnt vmcnt(3) lgkmcnt(3)
	v_fma_mix_f32 v11, v47, v51, v24 op_sel_hi:[0,1,0]
	s_waitcnt vmcnt(2) lgkmcnt(2)
	s_delay_alu instid0(VALU_DEP_1) | instskip(SKIP_1) | instid1(VALU_DEP_1)
	v_fma_mix_f32 v11, v48, v52, v11 op_sel_hi:[0,1,0]
	s_waitcnt vmcnt(1) lgkmcnt(1)
	v_fma_mix_f32 v11, v49, v53, v11 op_sel_hi:[0,1,0]
	s_waitcnt vmcnt(0) lgkmcnt(0)
	s_delay_alu instid0(VALU_DEP_1)
	v_fma_mix_f32 v24, v50, v54, v11 op_sel_hi:[0,1,0]
.LBB507_18:                             ;   in Loop: Header=BB507_21 Depth=1
	s_or_b32 exec_lo, exec_lo, s33
	s_waitcnt vmcnt(3) lgkmcnt(3)
	v_fma_mix_f32 v11, v47, v43, v25 op_sel_hi:[0,1,0]
	s_waitcnt vmcnt(2) lgkmcnt(2)
	s_delay_alu instid0(VALU_DEP_1) | instskip(SKIP_1) | instid1(VALU_DEP_1)
	v_fma_mix_f32 v11, v48, v44, v11 op_sel_hi:[0,1,0]
	s_waitcnt vmcnt(1) lgkmcnt(1)
	v_fma_mix_f32 v11, v49, v45, v11 op_sel_hi:[0,1,0]
	s_waitcnt vmcnt(0) lgkmcnt(0)
	s_delay_alu instid0(VALU_DEP_1)
	v_fma_mix_f32 v25, v50, v46, v11 op_sel_hi:[0,1,0]
.LBB507_19:                             ;   in Loop: Header=BB507_21 Depth=1
	s_or_b32 exec_lo, exec_lo, s3
	s_waitcnt vmcnt(3) lgkmcnt(3)
	v_fma_mix_f32 v11, v35, v39, v26 op_sel_hi:[1,1,0]
	s_waitcnt vmcnt(2) lgkmcnt(2)
	s_delay_alu instid0(VALU_DEP_1) | instskip(SKIP_1) | instid1(VALU_DEP_1)
	v_fma_mix_f32 v11, v36, v40, v11 op_sel_hi:[1,1,0]
	s_waitcnt vmcnt(1) lgkmcnt(1)
	v_fma_mix_f32 v11, v37, v41, v11 op_sel_hi:[1,1,0]
	s_waitcnt vmcnt(0) lgkmcnt(0)
	s_delay_alu instid0(VALU_DEP_1)
	v_fma_mix_f32 v26, v38, v42, v11 op_sel_hi:[1,1,0]
.LBB507_20:                             ;   in Loop: Header=BB507_21 Depth=1
	s_or_b32 exec_lo, exec_lo, s4
	v_add_co_u32 v27, s3, v27, s8
	s_delay_alu instid0(VALU_DEP_1) | instskip(SKIP_4) | instid1(VALU_DEP_1)
	v_add_co_ci_u32_e64 v28, s3, s9, v28, s3
	v_add_co_u32 v29, s3, v29, s8
	v_add_nc_u32_e32 v23, 16, v23
	v_add_co_ci_u32_e64 v30, s3, s9, v30, s3
	v_add_co_u32 v31, s3, v31, s8
	v_add_co_ci_u32_e64 v32, s3, s9, v32, s3
	s_delay_alu instid0(VALU_DEP_4) | instskip(SKIP_1) | instid1(VALU_DEP_1)
	v_cmp_le_i32_e64 s3, s29, v23
	v_add_co_u32 v33, s4, v33, s8
	v_add_co_ci_u32_e64 v34, s4, s9, v34, s4
	s_add_u32 s14, s14, s10
	s_addc_u32 s15, s15, s11
	s_or_b32 s31, s3, s31
	s_delay_alu instid0(SALU_CYCLE_1)
	s_and_not1_b32 exec_lo, exec_lo, s31
	s_cbranch_execz .LBB507_26
.LBB507_21:                             ; =>This Inner Loop Header: Depth=1
	s_and_saveexec_b32 s4, vcc_lo
	s_cbranch_execz .LBB507_20
; %bb.22:                               ;   in Loop: Header=BB507_21 Depth=1
	v_add_co_u32 v35, s3, s14, v3
	s_delay_alu instid0(VALU_DEP_1) | instskip(SKIP_1) | instid1(VALU_DEP_1)
	v_add_co_ci_u32_e64 v36, s3, s15, v4, s3
	v_add_co_u32 v37, s3, s14, v5
	v_add_co_ci_u32_e64 v38, s3, s15, v6, s3
	v_add_co_u32 v39, s3, s14, v9
	s_delay_alu instid0(VALU_DEP_1) | instskip(SKIP_1) | instid1(VALU_DEP_1)
	v_add_co_ci_u32_e64 v40, s3, s15, v10, s3
	v_add_co_u32 v41, s3, s14, v7
	v_add_co_ci_u32_e64 v42, s3, s15, v8, s3
	;; [unrolled: 5-line block ×4, first 2 shown]
	s_clause 0x3
	flat_load_u16 v35, v[35:36]
	flat_load_u16 v36, v[37:38]
	flat_load_u16 v37, v[39:40]
	flat_load_u16 v38, v[41:42]
	flat_load_u16 v39, v[11:12]
	flat_load_u16 v40, v[13:14]
	flat_load_u16 v41, v[15:16]
	flat_load_u16 v42, v[17:18]
	s_and_saveexec_b32 s3, s0
	s_cbranch_execz .LBB507_19
; %bb.23:                               ;   in Loop: Header=BB507_21 Depth=1
	flat_load_u16 v43, v[11:12] offset:128
	flat_load_u16 v44, v[13:14] offset:128
	;; [unrolled: 1-line block ×4, first 2 shown]
	s_waitcnt vmcnt(11) lgkmcnt(11)
	v_cvt_f32_f16_e32 v47, v35
	s_waitcnt vmcnt(10) lgkmcnt(10)
	v_cvt_f32_f16_e32 v48, v36
	;; [unrolled: 2-line block ×4, first 2 shown]
	s_and_saveexec_b32 s33, s1
	s_cbranch_execz .LBB507_18
; %bb.24:                               ;   in Loop: Header=BB507_21 Depth=1
	flat_load_u16 v51, v[11:12] offset:256
	flat_load_u16 v52, v[13:14] offset:256
	;; [unrolled: 1-line block ×4, first 2 shown]
	s_and_saveexec_b32 s34, s2
	s_cbranch_execz .LBB507_17
; %bb.25:                               ;   in Loop: Header=BB507_21 Depth=1
	flat_load_u16 v11, v[11:12] offset:384
	flat_load_u16 v12, v[13:14] offset:384
	;; [unrolled: 1-line block ×4, first 2 shown]
	s_waitcnt vmcnt(3) lgkmcnt(3)
	v_fma_mix_f32 v11, v47, v11, v22 op_sel_hi:[0,1,0]
	s_waitcnt vmcnt(2) lgkmcnt(2)
	s_delay_alu instid0(VALU_DEP_1) | instskip(SKIP_1) | instid1(VALU_DEP_1)
	v_fma_mix_f32 v11, v48, v12, v11 op_sel_hi:[0,1,0]
	s_waitcnt vmcnt(1) lgkmcnt(1)
	v_fma_mix_f32 v11, v49, v13, v11 op_sel_hi:[0,1,0]
	s_waitcnt vmcnt(0) lgkmcnt(0)
	s_delay_alu instid0(VALU_DEP_1)
	v_fma_mix_f32 v22, v50, v14, v11 op_sel_hi:[0,1,0]
	s_branch .LBB507_17
.LBB507_26:
	s_or_b32 exec_lo, exec_lo, s31
.LBB507_27:
	s_delay_alu instid0(SALU_CYCLE_1) | instskip(SKIP_1) | instid1(SALU_CYCLE_1)
	s_or_b32 exec_lo, exec_lo, s30
	s_sub_i32 s0, s7, s29
	s_cmp_lt_i32 s0, 1
	s_cbranch_scc1 .LBB507_45
; %bb.28:
	v_cmp_gt_i32_e32 vcc_lo, s7, v23
	v_dual_mov_b32 v9, 0 :: v_dual_mov_b32 v10, 0
	v_or_b32_e32 v2, 1, v23
	v_dual_mov_b32 v11, 0 :: v_dual_mov_b32 v12, 0
	s_and_saveexec_b32 s1, vcc_lo
	s_cbranch_execz .LBB507_36
; %bb.29:
	v_mad_u64_u32 v[3:4], null, v23, s20, 0
	v_mov_b32_e32 v11, 0
	v_mov_b32_e32 v9, 0
	s_mov_b32 s2, exec_lo
	s_delay_alu instid0(VALU_DEP_3) | instskip(NEXT) | instid1(VALU_DEP_1)
	v_dual_mov_b32 v10, 0 :: v_dual_mov_b32 v1, v4
	v_mad_u64_u32 v[4:5], null, v23, s21, v[1:2]
	s_delay_alu instid0(VALU_DEP_1) | instskip(NEXT) | instid1(VALU_DEP_1)
	v_lshlrev_b64 v[3:4], 1, v[3:4]
	v_add_co_u32 v3, s0, s24, v3
	s_delay_alu instid0(VALU_DEP_1)
	v_add_co_ci_u32_e64 v4, s0, s25, v4, s0
	flat_load_u16 v1, v[3:4]
	v_cmpx_gt_i32_e64 s7, v2
	s_cbranch_execz .LBB507_35
; %bb.30:
	v_mad_u64_u32 v[3:4], null, v2, s20, 0
	v_mov_b32_e32 v10, 0
	s_mov_b32 s3, exec_lo
	v_mov_b32_e32 v9, 0
	s_delay_alu instid0(VALU_DEP_3) | instskip(NEXT) | instid1(VALU_DEP_1)
	v_mad_u64_u32 v[5:6], null, v2, s21, v[4:5]
	v_mov_b32_e32 v4, v5
	s_delay_alu instid0(VALU_DEP_1) | instskip(NEXT) | instid1(VALU_DEP_1)
	v_lshlrev_b64 v[3:4], 1, v[3:4]
	v_add_co_u32 v3, s0, s24, v3
	s_delay_alu instid0(VALU_DEP_1) | instskip(SKIP_2) | instid1(VALU_DEP_1)
	v_add_co_ci_u32_e64 v4, s0, s25, v4, s0
	flat_load_u16 v3, v[3:4]
	v_or_b32_e32 v4, 2, v23
	v_cmpx_gt_i32_e64 s7, v4
	s_cbranch_execz .LBB507_34
; %bb.31:
	v_mad_u64_u32 v[5:6], null, v4, s20, 0
	s_mov_b32 s4, exec_lo
	v_mov_b32_e32 v9, 0
	s_delay_alu instid0(VALU_DEP_2) | instskip(NEXT) | instid1(VALU_DEP_1)
	v_mad_u64_u32 v[7:8], null, v4, s21, v[6:7]
	v_mov_b32_e32 v6, v7
	s_delay_alu instid0(VALU_DEP_1) | instskip(NEXT) | instid1(VALU_DEP_1)
	v_lshlrev_b64 v[4:5], 1, v[5:6]
	v_add_co_u32 v4, s0, s24, v4
	s_delay_alu instid0(VALU_DEP_1) | instskip(SKIP_2) | instid1(VALU_DEP_1)
	v_add_co_ci_u32_e64 v5, s0, s25, v5, s0
	flat_load_u16 v4, v[4:5]
	v_or_b32_e32 v5, 3, v23
	v_cmpx_gt_i32_e64 s7, v5
	s_cbranch_execz .LBB507_33
; %bb.32:
	v_mad_u64_u32 v[6:7], null, v5, s20, 0
	s_delay_alu instid0(VALU_DEP_1) | instskip(NEXT) | instid1(VALU_DEP_1)
	v_mad_u64_u32 v[8:9], null, v5, s21, v[7:8]
	v_mov_b32_e32 v7, v8
	s_delay_alu instid0(VALU_DEP_1) | instskip(NEXT) | instid1(VALU_DEP_1)
	v_lshlrev_b64 v[5:6], 1, v[6:7]
	v_add_co_u32 v5, s0, s24, v5
	s_delay_alu instid0(VALU_DEP_1)
	v_add_co_ci_u32_e64 v6, s0, s25, v6, s0
	flat_load_u16 v5, v[5:6]
	s_waitcnt vmcnt(0) lgkmcnt(0)
	v_cvt_f32_f16_e32 v9, v5
.LBB507_33:
	s_or_b32 exec_lo, exec_lo, s4
	s_waitcnt vmcnt(0) lgkmcnt(0)
	v_cvt_f32_f16_e32 v10, v4
.LBB507_34:
	s_or_b32 exec_lo, exec_lo, s3
	s_waitcnt vmcnt(0) lgkmcnt(0)
	v_cvt_f32_f16_e32 v11, v3
.LBB507_35:
	s_or_b32 exec_lo, exec_lo, s2
	s_waitcnt vmcnt(0) lgkmcnt(0)
	v_cvt_f32_f16_e32 v12, v1
.LBB507_36:
	s_or_b32 exec_lo, exec_lo, s1
	s_delay_alu instid0(SALU_CYCLE_1)
	s_mov_b32 s1, exec_lo
	v_cmpx_gt_i32_e64 s6, v0
	s_cbranch_execz .LBB507_44
; %bb.37:
	v_mad_u64_u32 v[3:4], null, v23, s16, 0
	v_mad_u64_u32 v[5:6], null, v2, s16, 0
	v_or_b32_e32 v29, 2, v23
	v_ashrrev_i32_e32 v1, 31, v0
	v_or_b32_e32 v30, 3, v23
	v_cndmask_b32_e32 v3, 0, v3, vcc_lo
	s_delay_alu instid0(VALU_DEP_4)
	v_cmp_gt_i32_e64 s0, s7, v29
	v_mad_u64_u32 v[13:14], null, v23, s17, v[4:5]
	v_mad_u64_u32 v[14:15], null, v29, s16, 0
	v_lshlrev_b64 v[7:8], 1, v[0:1]
	v_mov_b32_e32 v1, v6
	v_mad_u64_u32 v[16:17], null, v30, s16, 0
	v_cndmask_b32_e32 v4, 0, v13, vcc_lo
	v_cmp_gt_i32_e32 vcc_lo, s7, v2
	s_delay_alu instid0(VALU_DEP_4)
	v_mad_u64_u32 v[27:28], null, v2, s17, v[1:2]
	v_mov_b32_e32 v1, v15
	v_cndmask_b32_e64 v13, 0, v14, s0
	v_mov_b32_e32 v6, v17
	v_cndmask_b32_e32 v2, 0, v5, vcc_lo
	v_lshlrev_b64 v[4:5], 1, v[3:4]
	s_delay_alu instid0(VALU_DEP_2) | instskip(NEXT) | instid1(VALU_DEP_1)
	v_mad_u64_u32 v[17:18], null, v29, s17, v[1:2]
	v_cndmask_b32_e64 v14, 0, v17, s0
	v_mad_u64_u32 v[17:18], null, v30, s17, v[6:7]
	v_cndmask_b32_e32 v3, 0, v27, vcc_lo
	v_add_co_u32 v1, vcc_lo, s18, v4
	v_add_co_ci_u32_e32 v5, vcc_lo, s19, v5, vcc_lo
	s_delay_alu instid0(VALU_DEP_3) | instskip(NEXT) | instid1(VALU_DEP_3)
	v_lshlrev_b64 v[3:4], 1, v[2:3]
	v_add_co_u32 v1, vcc_lo, v1, v7
	s_delay_alu instid0(VALU_DEP_3) | instskip(SKIP_1) | instid1(VALU_DEP_4)
	v_add_co_ci_u32_e32 v2, vcc_lo, v5, v8, vcc_lo
	v_lshlrev_b64 v[5:6], 1, v[13:14]
	v_add_co_u32 v3, vcc_lo, s18, v3
	v_add_co_ci_u32_e32 v4, vcc_lo, s19, v4, vcc_lo
	s_mov_b32 s0, exec_lo
	s_delay_alu instid0(VALU_DEP_2) | instskip(NEXT) | instid1(VALU_DEP_2)
	v_add_co_u32 v3, vcc_lo, v3, v7
	v_add_co_ci_u32_e32 v4, vcc_lo, v4, v8, vcc_lo
	v_cmp_gt_i32_e32 vcc_lo, s7, v30
	s_clause 0x1
	flat_load_u16 v15, v[1:2]
	flat_load_u16 v18, v[3:4]
	v_dual_cndmask_b32 v14, 0, v17 :: v_dual_cndmask_b32 v13, 0, v16
	v_add_co_u32 v5, vcc_lo, s18, v5
	v_add_co_ci_u32_e32 v6, vcc_lo, s19, v6, vcc_lo
	s_delay_alu instid0(VALU_DEP_3) | instskip(NEXT) | instid1(VALU_DEP_3)
	v_lshlrev_b64 v[13:14], 1, v[13:14]
	v_add_co_u32 v5, vcc_lo, v5, v7
	s_delay_alu instid0(VALU_DEP_3) | instskip(NEXT) | instid1(VALU_DEP_3)
	v_add_co_ci_u32_e32 v6, vcc_lo, v6, v8, vcc_lo
	v_add_co_u32 v13, vcc_lo, s18, v13
	s_delay_alu instid0(VALU_DEP_4)
	v_add_co_ci_u32_e32 v14, vcc_lo, s19, v14, vcc_lo
	flat_load_u16 v16, v[5:6]
	v_add_co_u32 v7, vcc_lo, v13, v7
	v_add_co_ci_u32_e32 v8, vcc_lo, v14, v8, vcc_lo
	flat_load_u16 v13, v[7:8]
	s_waitcnt vmcnt(3) lgkmcnt(3)
	v_fma_mix_f32 v14, v12, v15, v26 op_sel_hi:[0,1,0]
	v_add_nc_u32_e32 v15, 64, v0
	s_waitcnt vmcnt(2) lgkmcnt(2)
	s_delay_alu instid0(VALU_DEP_2) | instskip(SKIP_1) | instid1(VALU_DEP_1)
	v_fma_mix_f32 v14, v11, v18, v14 op_sel_hi:[0,1,0]
	s_waitcnt vmcnt(1) lgkmcnt(1)
	v_fma_mix_f32 v14, v10, v16, v14 op_sel_hi:[0,1,0]
	v_cmpx_gt_i32_e64 s6, v15
	s_cbranch_execz .LBB507_43
; %bb.38:
	s_clause 0x3
	flat_load_u16 v16, v[1:2] offset:128
	flat_load_u16 v17, v[3:4] offset:128
	;; [unrolled: 1-line block ×4, first 2 shown]
	s_mov_b32 s2, exec_lo
	s_waitcnt vmcnt(3) lgkmcnt(3)
	v_fma_mix_f32 v16, v12, v16, v25 op_sel_hi:[0,1,0]
	s_waitcnt vmcnt(2) lgkmcnt(2)
	s_delay_alu instid0(VALU_DEP_1) | instskip(SKIP_2) | instid1(VALU_DEP_2)
	v_fma_mix_f32 v16, v11, v17, v16 op_sel_hi:[0,1,0]
	v_add_nc_u32_e32 v17, 0x80, v0
	s_waitcnt vmcnt(1) lgkmcnt(1)
	v_fma_mix_f32 v16, v10, v18, v16 op_sel_hi:[0,1,0]
	s_delay_alu instid0(VALU_DEP_2)
	v_cmpx_gt_i32_e64 s6, v17
	s_cbranch_execz .LBB507_42
; %bb.39:
	s_clause 0x3
	flat_load_u16 v18, v[1:2] offset:256
	flat_load_u16 v23, v[3:4] offset:256
	;; [unrolled: 1-line block ×4, first 2 shown]
	s_mov_b32 s3, exec_lo
	s_waitcnt vmcnt(3) lgkmcnt(3)
	v_fma_mix_f32 v18, v12, v18, v24 op_sel_hi:[0,1,0]
	s_waitcnt vmcnt(2) lgkmcnt(2)
	s_delay_alu instid0(VALU_DEP_1) | instskip(SKIP_2) | instid1(VALU_DEP_2)
	v_fma_mix_f32 v18, v11, v23, v18 op_sel_hi:[0,1,0]
	v_add_nc_u32_e32 v23, 0xc0, v0
	s_waitcnt vmcnt(1) lgkmcnt(1)
	v_fma_mix_f32 v0, v10, v25, v18 op_sel_hi:[0,1,0]
	s_delay_alu instid0(VALU_DEP_2)
	v_cmpx_gt_i32_e64 s6, v23
	s_cbranch_execz .LBB507_41
; %bb.40:
	s_clause 0x3
	flat_load_u16 v1, v[1:2] offset:384
	flat_load_u16 v2, v[3:4] offset:384
	;; [unrolled: 1-line block ×4, first 2 shown]
	s_waitcnt vmcnt(3) lgkmcnt(3)
	v_fma_mix_f32 v1, v12, v1, v22 op_sel_hi:[0,1,0]
	s_waitcnt vmcnt(2) lgkmcnt(2)
	s_delay_alu instid0(VALU_DEP_1) | instskip(SKIP_1) | instid1(VALU_DEP_1)
	v_fma_mix_f32 v1, v11, v2, v1 op_sel_hi:[0,1,0]
	s_waitcnt vmcnt(1) lgkmcnt(1)
	v_fma_mix_f32 v1, v10, v3, v1 op_sel_hi:[0,1,0]
	s_waitcnt vmcnt(0) lgkmcnt(0)
	s_delay_alu instid0(VALU_DEP_1)
	v_fma_mix_f32 v22, v9, v4, v1 op_sel_hi:[0,1,0]
.LBB507_41:
	s_or_b32 exec_lo, exec_lo, s3
	s_waitcnt vmcnt(0) lgkmcnt(0)
	v_fma_mix_f32 v24, v9, v17, v0 op_sel_hi:[0,1,0]
.LBB507_42:
	s_or_b32 exec_lo, exec_lo, s2
	s_waitcnt vmcnt(0) lgkmcnt(0)
	v_fma_mix_f32 v25, v9, v15, v16 op_sel_hi:[0,1,0]
.LBB507_43:
	s_or_b32 exec_lo, exec_lo, s0
	s_waitcnt vmcnt(0) lgkmcnt(0)
	v_fma_mix_f32 v26, v9, v13, v14 op_sel_hi:[0,1,0]
.LBB507_44:
	s_or_b32 exec_lo, exec_lo, s1
.LBB507_45:
	v_lshlrev_b32_e32 v0, 8, v21
	s_mov_b32 s0, exec_lo
                                        ; implicit-def: $vgpr1
                                        ; implicit-def: $vgpr2_vgpr3
	s_delay_alu instid0(VALU_DEP_1)
	v_add_lshl_u32 v0, v0, v20, 2
	ds_store_2addr_stride64_b32 v0, v26, v25 offset1:1
	ds_store_2addr_stride64_b32 v0, v24, v22 offset0:2 offset1:3
	s_waitcnt lgkmcnt(0)
	s_barrier
	buffer_gl0_inv
	v_cmpx_gt_u32_e32 0x100, v19
	s_cbranch_execz .LBB507_51
; %bb.46:
	v_lshlrev_b32_e32 v5, 2, v19
	v_or_b32_e32 v4, s28, v19
	s_mov_b32 s2, s23
	s_mov_b32 s1, exec_lo
	ds_load_2addr_stride64_b32 v[0:1], v5 offset1:4
	ds_load_2addr_stride64_b32 v[2:3], v5 offset0:8 offset1:12
	s_waitcnt lgkmcnt(1)
	v_add_f32_e32 v0, v0, v1
                                        ; implicit-def: $vgpr1
	s_waitcnt lgkmcnt(0)
	s_delay_alu instid0(VALU_DEP_1) | instskip(NEXT) | instid1(VALU_DEP_1)
	v_add_f32_e32 v0, v2, v0
	v_add_f32_e32 v0, v3, v0
                                        ; implicit-def: $vgpr2_vgpr3
	ds_store_b32 v5, v0
	v_cmpx_gt_i32_e64 s6, v4
	s_cbranch_execz .LBB507_50
; %bb.47:
	v_ashrrev_i32_e32 v1, 31, v4
	v_mul_lo_u32 v5, v4, s13
	v_mad_u64_u32 v[2:3], null, v4, s12, 0
	v_cmp_eq_f32_e64 s2, s26, 0
	s_delay_alu instid0(VALU_DEP_4) | instskip(SKIP_1) | instid1(VALU_DEP_3)
	v_mul_lo_u32 v4, v1, s12
	v_mul_f32_e32 v1, s27, v0
	s_and_b32 vcc_lo, exec_lo, s2
	s_delay_alu instid0(VALU_DEP_2)
	v_add3_u32 v3, v3, v5, v4
	s_cbranch_vccnz .LBB507_49
; %bb.48:
	s_delay_alu instid0(VALU_DEP_1) | instskip(NEXT) | instid1(VALU_DEP_1)
	v_lshlrev_b64 v[4:5], 2, v[2:3]
	v_add_co_u32 v4, vcc_lo, s5, v4
	s_delay_alu instid0(VALU_DEP_2)
	v_add_co_ci_u32_e32 v5, vcc_lo, s22, v5, vcc_lo
	global_load_b32 v0, v[4:5], off
	s_waitcnt vmcnt(0)
	v_fmac_f32_e32 v1, s26, v0
.LBB507_49:
	s_or_b32 s2, s23, exec_lo
.LBB507_50:
	s_or_b32 exec_lo, exec_lo, s1
	s_delay_alu instid0(SALU_CYCLE_1) | instskip(SKIP_1) | instid1(SALU_CYCLE_1)
	s_and_not1_b32 s1, s23, exec_lo
	s_and_b32 s2, s2, exec_lo
	s_or_b32 s23, s1, s2
.LBB507_51:
	s_or_b32 exec_lo, exec_lo, s0
.LBB507_52:
	s_and_saveexec_b32 s0, s23
	s_cbranch_execz .LBB507_54
; %bb.53:
	v_lshlrev_b64 v[2:3], 2, v[2:3]
	s_delay_alu instid0(VALU_DEP_1) | instskip(NEXT) | instid1(VALU_DEP_2)
	v_add_co_u32 v2, vcc_lo, s5, v2
	v_add_co_ci_u32_e32 v3, vcc_lo, s22, v3, vcc_lo
	global_store_b32 v[2:3], v1, off
.LBB507_54:
	s_nop 0
	s_sendmsg sendmsg(MSG_DEALLOC_VGPRS)
	s_endpgm
	.section	.rodata,"a",@progbits
	.p2align	6, 0x0
	.amdhsa_kernel _ZL20rocblas_gemvn_kernelILi64ELi4ElPKDF16_PKfKPfEviiT3_lPKT2_lT1_lS9_lSA_lS6_lPT4_lSA_li
		.amdhsa_group_segment_fixed_size 4096
		.amdhsa_private_segment_fixed_size 0
		.amdhsa_kernarg_size 400
		.amdhsa_user_sgpr_count 14
		.amdhsa_user_sgpr_dispatch_ptr 0
		.amdhsa_user_sgpr_queue_ptr 0
		.amdhsa_user_sgpr_kernarg_segment_ptr 1
		.amdhsa_user_sgpr_dispatch_id 0
		.amdhsa_user_sgpr_private_segment_size 0
		.amdhsa_wavefront_size32 1
		.amdhsa_uses_dynamic_stack 0
		.amdhsa_enable_private_segment 0
		.amdhsa_system_sgpr_workgroup_id_x 1
		.amdhsa_system_sgpr_workgroup_id_y 0
		.amdhsa_system_sgpr_workgroup_id_z 1
		.amdhsa_system_sgpr_workgroup_info 0
		.amdhsa_system_vgpr_workitem_id 1
		.amdhsa_next_free_vgpr 55
		.amdhsa_next_free_sgpr 35
		.amdhsa_reserve_vcc 1
		.amdhsa_float_round_mode_32 0
		.amdhsa_float_round_mode_16_64 0
		.amdhsa_float_denorm_mode_32 3
		.amdhsa_float_denorm_mode_16_64 3
		.amdhsa_dx10_clamp 1
		.amdhsa_ieee_mode 1
		.amdhsa_fp16_overflow 0
		.amdhsa_workgroup_processor_mode 1
		.amdhsa_memory_ordered 1
		.amdhsa_forward_progress 0
		.amdhsa_shared_vgpr_count 0
		.amdhsa_exception_fp_ieee_invalid_op 0
		.amdhsa_exception_fp_denorm_src 0
		.amdhsa_exception_fp_ieee_div_zero 0
		.amdhsa_exception_fp_ieee_overflow 0
		.amdhsa_exception_fp_ieee_underflow 0
		.amdhsa_exception_fp_ieee_inexact 0
		.amdhsa_exception_int_div_zero 0
	.end_amdhsa_kernel
	.section	.text._ZL20rocblas_gemvn_kernelILi64ELi4ElPKDF16_PKfKPfEviiT3_lPKT2_lT1_lS9_lSA_lS6_lPT4_lSA_li,"axG",@progbits,_ZL20rocblas_gemvn_kernelILi64ELi4ElPKDF16_PKfKPfEviiT3_lPKT2_lT1_lS9_lSA_lS6_lPT4_lSA_li,comdat
.Lfunc_end507:
	.size	_ZL20rocblas_gemvn_kernelILi64ELi4ElPKDF16_PKfKPfEviiT3_lPKT2_lT1_lS9_lSA_lS6_lPT4_lSA_li, .Lfunc_end507-_ZL20rocblas_gemvn_kernelILi64ELi4ElPKDF16_PKfKPfEviiT3_lPKT2_lT1_lS9_lSA_lS6_lPT4_lSA_li
                                        ; -- End function
	.section	.AMDGPU.csdata,"",@progbits
; Kernel info:
; codeLenInByte = 3456
; NumSgprs: 37
; NumVgprs: 55
; ScratchSize: 0
; MemoryBound: 0
; FloatMode: 240
; IeeeMode: 1
; LDSByteSize: 4096 bytes/workgroup (compile time only)
; SGPRBlocks: 4
; VGPRBlocks: 6
; NumSGPRsForWavesPerEU: 37
; NumVGPRsForWavesPerEU: 55
; Occupancy: 16
; WaveLimiterHint : 1
; COMPUTE_PGM_RSRC2:SCRATCH_EN: 0
; COMPUTE_PGM_RSRC2:USER_SGPR: 14
; COMPUTE_PGM_RSRC2:TRAP_HANDLER: 0
; COMPUTE_PGM_RSRC2:TGID_X_EN: 1
; COMPUTE_PGM_RSRC2:TGID_Y_EN: 0
; COMPUTE_PGM_RSRC2:TGID_Z_EN: 1
; COMPUTE_PGM_RSRC2:TIDIG_COMP_CNT: 1
	.section	.text._ZL20rocblas_gemvn_kernelILi64ELi4EiPKDF16_fKPfEviiT3_lPKT2_lT1_lS7_lS8_lS4_lPT4_lS8_li,"axG",@progbits,_ZL20rocblas_gemvn_kernelILi64ELi4EiPKDF16_fKPfEviiT3_lPKT2_lT1_lS7_lS8_lS4_lPT4_lS8_li,comdat
	.globl	_ZL20rocblas_gemvn_kernelILi64ELi4EiPKDF16_fKPfEviiT3_lPKT2_lT1_lS7_lS8_lS4_lPT4_lS8_li ; -- Begin function _ZL20rocblas_gemvn_kernelILi64ELi4EiPKDF16_fKPfEviiT3_lPKT2_lT1_lS7_lS8_lS4_lPT4_lS8_li
	.p2align	8
	.type	_ZL20rocblas_gemvn_kernelILi64ELi4EiPKDF16_fKPfEviiT3_lPKT2_lT1_lS7_lS8_lS4_lPT4_lS8_li,@function
_ZL20rocblas_gemvn_kernelILi64ELi4EiPKDF16_fKPfEviiT3_lPKT2_lT1_lS7_lS8_lS4_lPT4_lS8_li: ; @_ZL20rocblas_gemvn_kernelILi64ELi4EiPKDF16_fKPfEviiT3_lPKT2_lT1_lS7_lS8_lS4_lPT4_lS8_li
; %bb.0:
	s_load_b64 s[4:5], s[0:1], 0x9c
	s_waitcnt lgkmcnt(0)
	s_lshr_b32 s3, s4, 16
	s_and_b32 s4, s4, 0xffff
	s_and_b32 s5, s5, 0xffff
	s_mul_i32 s3, s3, s4
	s_delay_alu instid0(SALU_CYCLE_1) | instskip(NEXT) | instid1(SALU_CYCLE_1)
	s_mul_i32 s3, s3, s5
	s_cmpk_lg_i32 s3, 0x100
	s_cbranch_scc1 .LBB508_57
; %bb.1:
	s_load_b128 s[4:7], s[0:1], 0x0
	s_waitcnt lgkmcnt(0)
	s_load_b32 s7, s[0:1], 0x58
	v_cmp_eq_f32_e64 s12, s6, 0
	s_waitcnt lgkmcnt(0)
	v_cmp_eq_f32_e64 s3, s7, 1.0
	s_delay_alu instid0(VALU_DEP_1) | instskip(NEXT) | instid1(SALU_CYCLE_1)
	s_and_b32 s3, s12, s3
	s_and_b32 vcc_lo, exec_lo, s3
	s_cbranch_vccnz .LBB508_57
; %bb.2:
	v_cmp_neq_f32_e64 s10, s6, 0
	s_mov_b32 s2, s15
	s_delay_alu instid0(VALU_DEP_1)
	s_and_b32 vcc_lo, exec_lo, s10
	s_cbranch_vccnz .LBB508_4
; %bb.3:
	s_mov_b32 s3, 0
	s_mov_b64 s[8:9], 0
	s_cbranch_execz .LBB508_5
	s_branch .LBB508_6
.LBB508_4:
	s_mov_b32 s3, -1
                                        ; implicit-def: $sgpr8_sgpr9
.LBB508_5:
	s_load_b128 s[16:19], s[0:1], 0x18
	s_mov_b32 s3, 0
	s_delay_alu instid0(SALU_CYCLE_1)
	s_lshl_b64 s[8:9], s[2:3], 3
	s_waitcnt lgkmcnt(0)
	s_add_u32 s8, s16, s8
	s_addc_u32 s9, s17, s9
	s_lshl_b64 s[16:17], s[18:19], 1
	s_load_b64 s[8:9], s[8:9], 0x0
	s_waitcnt lgkmcnt(0)
	s_add_u32 s8, s8, s16
	s_addc_u32 s9, s9, s17
.LBB508_6:
	s_and_not1_b32 vcc_lo, exec_lo, s10
	s_cbranch_vccnz .LBB508_8
; %bb.7:
	s_load_b128 s[16:19], s[0:1], 0x38
	s_lshl_b64 s[10:11], s[2:3], 3
	s_waitcnt lgkmcnt(0)
	s_add_u32 s10, s16, s10
	s_addc_u32 s11, s17, s11
	s_lshl_b64 s[16:17], s[18:19], 1
	s_load_b64 s[10:11], s[10:11], 0x0
	s_waitcnt lgkmcnt(0)
	s_add_u32 s10, s10, s16
	s_addc_u32 s11, s11, s17
	s_branch .LBB508_9
.LBB508_8:
	s_mov_b64 s[10:11], 0
.LBB508_9:
	s_clause 0x1
	s_load_b128 s[20:23], s[0:1], 0x68
	s_load_b32 s16, s[0:1], 0x78
	s_lshl_b64 s[2:3], s[2:3], 3
	v_and_b32_e32 v1, 0x3ff, v0
	v_bfe_u32 v13, v0, 10, 10
	s_delay_alu instid0(VALU_DEP_1)
	v_lshl_add_u32 v0, v13, 6, v1
	s_waitcnt lgkmcnt(0)
	s_add_u32 s2, s20, s2
	s_addc_u32 s3, s21, s3
	s_lshl_b64 s[20:21], s[22:23], 2
	s_load_b64 s[18:19], s[2:3], 0x0
	v_cmp_gt_u32_e64 s2, 0x100, v0
	s_waitcnt lgkmcnt(0)
	s_add_u32 s13, s18, s20
	s_addc_u32 s15, s19, s21
	s_and_not1_b32 vcc_lo, exec_lo, s12
	s_cbranch_vccnz .LBB508_16
; %bb.10:
	s_mov_b32 s3, 0
	s_mov_b32 s17, 0
                                        ; implicit-def: $vgpr3
                                        ; implicit-def: $vgpr4_vgpr5
	s_and_saveexec_b32 s12, s2
	s_cbranch_execz .LBB508_17
; %bb.11:
	v_lshl_or_b32 v2, s14, 8, v0
	v_mov_b32_e32 v3, 0
	s_ashr_i32 s19, s4, 31
	s_mov_b32 s18, s4
	s_mov_b32 s2, exec_lo
                                        ; implicit-def: $vgpr4_vgpr5
	s_delay_alu instid0(VALU_DEP_1)
	v_cmpx_gt_i64_e64 s[18:19], v[2:3]
	s_cbranch_execz .LBB508_15
; %bb.12:
	v_mad_u64_u32 v[4:5], null, s16, v2, 0
	s_ashr_i32 s17, s16, 31
	s_delay_alu instid0(VALU_DEP_1) | instid1(SALU_CYCLE_1)
	v_mad_u64_u32 v[6:7], null, s17, v2, v[5:6]
	v_cmp_eq_f32_e64 s17, s7, 0
	s_delay_alu instid0(VALU_DEP_1) | instskip(NEXT) | instid1(VALU_DEP_2)
	s_and_b32 vcc_lo, exec_lo, s17
	v_mov_b32_e32 v5, v6
	s_cbranch_vccnz .LBB508_14
; %bb.13:
	s_delay_alu instid0(VALU_DEP_1) | instskip(NEXT) | instid1(VALU_DEP_1)
	v_lshlrev_b64 v[2:3], 2, v[4:5]
	v_add_co_u32 v2, vcc_lo, s13, v2
	s_delay_alu instid0(VALU_DEP_2)
	v_add_co_ci_u32_e32 v3, vcc_lo, s15, v3, vcc_lo
	global_load_b32 v2, v[2:3], off
	s_waitcnt vmcnt(0)
	v_mul_f32_e32 v3, s7, v2
.LBB508_14:
	s_mov_b32 s17, exec_lo
.LBB508_15:
	s_or_b32 exec_lo, exec_lo, s2
	s_delay_alu instid0(SALU_CYCLE_1) | instskip(SKIP_1) | instid1(SALU_CYCLE_1)
	s_and_b32 s17, s17, exec_lo
	s_or_b32 exec_lo, exec_lo, s12
	s_and_b32 vcc_lo, exec_lo, s3
	s_cbranch_vccnz .LBB508_18
	s_branch .LBB508_55
.LBB508_16:
	s_mov_b32 s17, 0
                                        ; implicit-def: $vgpr3
                                        ; implicit-def: $vgpr4_vgpr5
	s_cbranch_execnz .LBB508_18
	s_branch .LBB508_55
.LBB508_17:
	s_or_b32 exec_lo, exec_lo, s12
	s_delay_alu instid0(SALU_CYCLE_1)
	s_and_b32 vcc_lo, exec_lo, s3
	s_cbranch_vccz .LBB508_55
.LBB508_18:
	s_clause 0x1
	s_load_b32 s18, s[0:1], 0x28
	s_load_b32 s12, s[0:1], 0x48
	s_ashr_i32 s0, s5, 31
	s_lshl_b32 s14, s14, 8
	s_lshr_b32 s0, s0, 28
	v_dual_mov_b32 v18, 0 :: v_dual_lshlrev_b32 v19, 2, v13
	v_dual_mov_b32 v16, 0 :: v_dual_add_nc_u32 v15, s14, v1
	v_dual_mov_b32 v17, 0 :: v_dual_mov_b32 v14, 0
	s_add_i32 s0, s5, s0
	s_mov_b32 s20, exec_lo
	s_and_b32 s19, s0, -16
	s_delay_alu instid0(SALU_CYCLE_1)
	v_cmpx_gt_i32_e64 s19, v19
	s_cbranch_execz .LBB508_30
; %bb.19:
	s_waitcnt lgkmcnt(0)
	v_mul_lo_u32 v3, s18, v19
	v_dual_mov_b32 v17, 0 :: v_dual_add_nc_u32 v2, 64, v15
	v_add_nc_u32_e32 v6, 2, v19
	v_dual_mov_b32 v18, 0 :: v_dual_add_nc_u32 v5, 0xc0, v15
	s_delay_alu instid0(VALU_DEP_3)
	v_cmp_gt_i32_e64 s0, s4, v2
	v_add_nc_u32_e32 v4, 0x80, v15
	v_add3_u32 v20, v3, s18, v1
	v_mad_u64_u32 v[2:3], null, s18, v6, v[1:2]
	v_cmp_gt_i32_e64 s2, s4, v5
	v_mul_lo_u32 v5, v13, s18
	v_dual_mov_b32 v16, 0 :: v_dual_add_nc_u32 v7, 3, v19
	v_mul_lo_u32 v8, v13, s12
	v_cmp_gt_i32_e64 s1, s4, v4
	v_mul_lo_u32 v22, s12, v6
	s_delay_alu instid0(VALU_DEP_4)
	v_mad_u64_u32 v[3:4], null, s18, v7, v[1:2]
	v_lshl_add_u32 v21, v5, 2, v1
	v_mad_u64_u32 v[4:5], null, s12, v19, s[12:13]
	v_mul_lo_u32 v23, s12, v7
	v_cmp_gt_i32_e32 vcc_lo, s4, v15
	v_lshlrev_b32_e32 v24, 2, v8
	v_mov_b32_e32 v14, 0
	s_lshl_b32 s21, s18, 4
	s_lshl_b32 s23, s12, 4
	s_mov_b32 s22, 0
	s_mov_b32 s24, 0
	s_branch .LBB508_24
.LBB508_20:                             ;   in Loop: Header=BB508_24 Depth=1
	s_or_b32 exec_lo, exec_lo, s27
	s_waitcnt vmcnt(3) lgkmcnt(3)
	v_fma_mix_f32 v5, v37, v41, v16 op_sel_hi:[0,1,0]
	s_waitcnt vmcnt(2) lgkmcnt(2)
	s_delay_alu instid0(VALU_DEP_1) | instskip(SKIP_1) | instid1(VALU_DEP_1)
	v_fma_mix_f32 v5, v38, v42, v5 op_sel_hi:[0,1,0]
	s_waitcnt vmcnt(1) lgkmcnt(1)
	v_fma_mix_f32 v5, v39, v43, v5 op_sel_hi:[0,1,0]
	s_waitcnt vmcnt(0) lgkmcnt(0)
	s_delay_alu instid0(VALU_DEP_1)
	v_fma_mix_f32 v16, v40, v44, v5 op_sel_hi:[0,1,0]
.LBB508_21:                             ;   in Loop: Header=BB508_24 Depth=1
	s_or_b32 exec_lo, exec_lo, s26
	s_waitcnt vmcnt(3) lgkmcnt(3)
	v_fma_mix_f32 v5, v37, v33, v17 op_sel_hi:[0,1,0]
	s_waitcnt vmcnt(2) lgkmcnt(2)
	s_delay_alu instid0(VALU_DEP_1) | instskip(SKIP_1) | instid1(VALU_DEP_1)
	v_fma_mix_f32 v5, v38, v34, v5 op_sel_hi:[0,1,0]
	s_waitcnt vmcnt(1) lgkmcnt(1)
	v_fma_mix_f32 v5, v39, v35, v5 op_sel_hi:[0,1,0]
	s_waitcnt vmcnt(0) lgkmcnt(0)
	s_delay_alu instid0(VALU_DEP_1)
	v_fma_mix_f32 v17, v40, v36, v5 op_sel_hi:[0,1,0]
.LBB508_22:                             ;   in Loop: Header=BB508_24 Depth=1
	s_or_b32 exec_lo, exec_lo, s3
	s_waitcnt vmcnt(3) lgkmcnt(3)
	v_fma_mix_f32 v5, v25, v29, v18 op_sel_hi:[1,1,0]
	s_waitcnt vmcnt(2) lgkmcnt(2)
	s_delay_alu instid0(VALU_DEP_1) | instskip(SKIP_1) | instid1(VALU_DEP_1)
	v_fma_mix_f32 v5, v26, v30, v5 op_sel_hi:[1,1,0]
	s_waitcnt vmcnt(1) lgkmcnt(1)
	v_fma_mix_f32 v5, v27, v31, v5 op_sel_hi:[1,1,0]
	s_waitcnt vmcnt(0) lgkmcnt(0)
	s_delay_alu instid0(VALU_DEP_1)
	v_fma_mix_f32 v18, v28, v32, v5 op_sel_hi:[1,1,0]
.LBB508_23:                             ;   in Loop: Header=BB508_24 Depth=1
	s_or_b32 exec_lo, exec_lo, s25
	v_add_nc_u32_e32 v19, 16, v19
	v_add_nc_u32_e32 v20, s21, v20
	;; [unrolled: 1-line block ×5, first 2 shown]
	v_cmp_le_i32_e64 s3, s19, v19
	s_add_i32 s24, s24, s23
	s_delay_alu instid0(VALU_DEP_1) | instskip(NEXT) | instid1(SALU_CYCLE_1)
	s_or_b32 s22, s3, s22
	s_and_not1_b32 exec_lo, exec_lo, s22
	s_cbranch_execz .LBB508_29
.LBB508_24:                             ; =>This Inner Loop Header: Depth=1
	s_and_saveexec_b32 s25, vcc_lo
	s_cbranch_execz .LBB508_23
; %bb.25:                               ;   in Loop: Header=BB508_24 Depth=1
	v_add_nc_u32_e32 v5, s24, v24
	v_add_nc_u32_e32 v7, s24, v4
	;; [unrolled: 1-line block ×5, first 2 shown]
	v_ashrrev_i32_e32 v6, 31, v5
	v_ashrrev_i32_e32 v8, 31, v7
	;; [unrolled: 1-line block ×5, first 2 shown]
	v_lshlrev_b64 v[5:6], 1, v[5:6]
	v_lshlrev_b64 v[7:8], 1, v[7:8]
	;; [unrolled: 1-line block ×3, first 2 shown]
	s_delay_alu instid0(VALU_DEP_3) | instskip(NEXT) | instid1(VALU_DEP_1)
	v_add_co_u32 v27, s3, s10, v5
	v_add_co_ci_u32_e64 v28, s3, s11, v6, s3
	s_delay_alu instid0(VALU_DEP_4)
	v_add_co_u32 v29, s3, s10, v7
	v_add_nc_u32_e32 v7, s14, v20
	v_add_co_ci_u32_e64 v30, s3, s11, v8, s3
	v_lshlrev_b64 v[5:6], 1, v[11:12]
	v_add_co_u32 v31, s3, s10, v9
	v_add_nc_u32_e32 v11, s14, v2
	v_add_co_ci_u32_e64 v32, s3, s11, v10, s3
	v_lshlrev_b64 v[9:10], 1, v[25:26]
	v_ashrrev_i32_e32 v8, 31, v7
	v_add_nc_u32_e32 v25, s14, v3
	v_add_co_u32 v33, s3, s10, v5
	v_ashrrev_i32_e32 v12, 31, v11
	v_add_co_ci_u32_e64 v34, s3, s11, v6, s3
	v_lshlrev_b64 v[7:8], 1, v[7:8]
	v_add_co_u32 v5, s3, s8, v9
	v_ashrrev_i32_e32 v26, 31, v25
	v_add_co_ci_u32_e64 v6, s3, s9, v10, s3
	v_lshlrev_b64 v[9:10], 1, v[11:12]
	v_add_co_u32 v7, s3, s8, v7
	s_delay_alu instid0(VALU_DEP_4) | instskip(SKIP_1) | instid1(VALU_DEP_4)
	v_lshlrev_b64 v[11:12], 1, v[25:26]
	v_add_co_ci_u32_e64 v8, s3, s9, v8, s3
	v_add_co_u32 v9, s3, s8, v9
	s_delay_alu instid0(VALU_DEP_1) | instskip(NEXT) | instid1(VALU_DEP_4)
	v_add_co_ci_u32_e64 v10, s3, s9, v10, s3
	v_add_co_u32 v11, s3, s8, v11
	s_delay_alu instid0(VALU_DEP_1)
	v_add_co_ci_u32_e64 v12, s3, s9, v12, s3
	s_clause 0x3
	flat_load_u16 v25, v[27:28]
	flat_load_u16 v26, v[29:30]
	;; [unrolled: 1-line block ×4, first 2 shown]
	s_clause 0x3
	flat_load_u16 v29, v[5:6]
	flat_load_u16 v30, v[7:8]
	;; [unrolled: 1-line block ×4, first 2 shown]
	s_and_saveexec_b32 s3, s0
	s_cbranch_execz .LBB508_22
; %bb.26:                               ;   in Loop: Header=BB508_24 Depth=1
	s_clause 0x3
	flat_load_u16 v33, v[5:6] offset:128
	flat_load_u16 v34, v[7:8] offset:128
	;; [unrolled: 1-line block ×4, first 2 shown]
	s_waitcnt vmcnt(11) lgkmcnt(11)
	v_cvt_f32_f16_e32 v37, v25
	s_waitcnt vmcnt(10) lgkmcnt(10)
	v_cvt_f32_f16_e32 v38, v26
	;; [unrolled: 2-line block ×4, first 2 shown]
	s_and_saveexec_b32 s26, s1
	s_cbranch_execz .LBB508_21
; %bb.27:                               ;   in Loop: Header=BB508_24 Depth=1
	s_clause 0x3
	flat_load_u16 v41, v[5:6] offset:256
	flat_load_u16 v42, v[7:8] offset:256
	;; [unrolled: 1-line block ×4, first 2 shown]
	s_and_saveexec_b32 s27, s2
	s_cbranch_execz .LBB508_20
; %bb.28:                               ;   in Loop: Header=BB508_24 Depth=1
	s_clause 0x3
	flat_load_u16 v5, v[5:6] offset:384
	flat_load_u16 v6, v[7:8] offset:384
	;; [unrolled: 1-line block ×4, first 2 shown]
	s_waitcnt vmcnt(3) lgkmcnt(3)
	v_fma_mix_f32 v5, v37, v5, v14 op_sel_hi:[0,1,0]
	s_waitcnt vmcnt(2) lgkmcnt(2)
	s_delay_alu instid0(VALU_DEP_1) | instskip(SKIP_1) | instid1(VALU_DEP_1)
	v_fma_mix_f32 v5, v38, v6, v5 op_sel_hi:[0,1,0]
	s_waitcnt vmcnt(1) lgkmcnt(1)
	v_fma_mix_f32 v5, v39, v7, v5 op_sel_hi:[0,1,0]
	s_waitcnt vmcnt(0) lgkmcnt(0)
	s_delay_alu instid0(VALU_DEP_1)
	v_fma_mix_f32 v14, v40, v8, v5 op_sel_hi:[0,1,0]
	s_branch .LBB508_20
.LBB508_29:
	s_or_b32 exec_lo, exec_lo, s22
.LBB508_30:
	s_delay_alu instid0(SALU_CYCLE_1) | instskip(SKIP_1) | instid1(SALU_CYCLE_1)
	s_or_b32 exec_lo, exec_lo, s20
	s_sub_i32 s0, s5, s19
	s_cmp_lt_i32 s0, 1
	s_cbranch_scc1 .LBB508_48
; %bb.31:
	v_cmp_gt_i32_e32 vcc_lo, s5, v19
	v_dual_mov_b32 v10, 0 :: v_dual_mov_b32 v11, 0
	v_or_b32_e32 v2, 1, v19
	v_mov_b32_e32 v12, 0
	v_mov_b32_e32 v20, 0
	s_and_saveexec_b32 s1, vcc_lo
	s_cbranch_execz .LBB508_39
; %bb.32:
	s_waitcnt lgkmcnt(0)
	v_mul_lo_u32 v3, v19, s12
	v_dual_mov_b32 v12, 0 :: v_dual_mov_b32 v11, 0
	v_mov_b32_e32 v10, 0
	s_mov_b32 s2, exec_lo
	s_delay_alu instid0(VALU_DEP_3) | instskip(NEXT) | instid1(VALU_DEP_1)
	v_ashrrev_i32_e32 v4, 31, v3
	v_lshlrev_b64 v[3:4], 1, v[3:4]
	s_delay_alu instid0(VALU_DEP_1) | instskip(NEXT) | instid1(VALU_DEP_1)
	v_add_co_u32 v3, s0, s10, v3
	v_add_co_ci_u32_e64 v4, s0, s11, v4, s0
	flat_load_u16 v3, v[3:4]
	v_cmpx_gt_i32_e64 s5, v2
	s_cbranch_execz .LBB508_38
; %bb.33:
	v_mul_lo_u32 v4, v2, s12
	v_dual_mov_b32 v11, 0 :: v_dual_mov_b32 v10, 0
	s_mov_b32 s3, exec_lo
	s_delay_alu instid0(VALU_DEP_2) | instskip(NEXT) | instid1(VALU_DEP_1)
	v_ashrrev_i32_e32 v5, 31, v4
	v_lshlrev_b64 v[4:5], 1, v[4:5]
	s_delay_alu instid0(VALU_DEP_1) | instskip(NEXT) | instid1(VALU_DEP_1)
	v_add_co_u32 v4, s0, s10, v4
	v_add_co_ci_u32_e64 v5, s0, s11, v5, s0
	flat_load_u16 v4, v[4:5]
	v_or_b32_e32 v5, 2, v19
	s_delay_alu instid0(VALU_DEP_1)
	v_cmpx_gt_i32_e64 s5, v5
	s_cbranch_execz .LBB508_37
; %bb.34:
	v_mul_lo_u32 v5, v5, s12
	v_mov_b32_e32 v10, 0
	s_mov_b32 s19, exec_lo
	s_delay_alu instid0(VALU_DEP_2) | instskip(NEXT) | instid1(VALU_DEP_1)
	v_ashrrev_i32_e32 v6, 31, v5
	v_lshlrev_b64 v[5:6], 1, v[5:6]
	s_delay_alu instid0(VALU_DEP_1) | instskip(NEXT) | instid1(VALU_DEP_1)
	v_add_co_u32 v5, s0, s10, v5
	v_add_co_ci_u32_e64 v6, s0, s11, v6, s0
	flat_load_u16 v5, v[5:6]
	v_or_b32_e32 v6, 3, v19
	s_delay_alu instid0(VALU_DEP_1)
	v_cmpx_gt_i32_e64 s5, v6
	s_cbranch_execz .LBB508_36
; %bb.35:
	v_mul_lo_u32 v6, v6, s12
	s_delay_alu instid0(VALU_DEP_1) | instskip(NEXT) | instid1(VALU_DEP_1)
	v_ashrrev_i32_e32 v7, 31, v6
	v_lshlrev_b64 v[6:7], 1, v[6:7]
	s_delay_alu instid0(VALU_DEP_1) | instskip(NEXT) | instid1(VALU_DEP_1)
	v_add_co_u32 v6, s0, s10, v6
	v_add_co_ci_u32_e64 v7, s0, s11, v7, s0
	flat_load_u16 v6, v[6:7]
	s_waitcnt vmcnt(0) lgkmcnt(0)
	v_cvt_f32_f16_e32 v10, v6
.LBB508_36:
	s_or_b32 exec_lo, exec_lo, s19
	s_waitcnt vmcnt(0) lgkmcnt(0)
	v_cvt_f32_f16_e32 v11, v5
.LBB508_37:
	s_or_b32 exec_lo, exec_lo, s3
	s_waitcnt vmcnt(0) lgkmcnt(0)
	v_cvt_f32_f16_e32 v12, v4
.LBB508_38:
	s_or_b32 exec_lo, exec_lo, s2
	s_waitcnt vmcnt(0) lgkmcnt(0)
	v_cvt_f32_f16_e32 v20, v3
.LBB508_39:
	s_or_b32 exec_lo, exec_lo, s1
	s_delay_alu instid0(SALU_CYCLE_1)
	s_mov_b32 s1, exec_lo
	v_cmpx_gt_i32_e64 s4, v15
	s_cbranch_execz .LBB508_47
; %bb.40:
	s_waitcnt lgkmcnt(0)
	v_mul_lo_u32 v3, v19, s18
	v_or_b32_e32 v6, 3, v19
	v_or_b32_e32 v4, 2, v19
	v_mul_lo_u32 v5, v2, s18
	s_mov_b32 s0, exec_lo
	s_delay_alu instid0(VALU_DEP_3) | instskip(NEXT) | instid1(VALU_DEP_3)
	v_mul_lo_u32 v8, v6, s18
	v_mul_lo_u32 v7, v4, s18
	v_cndmask_b32_e32 v3, 0, v3, vcc_lo
	v_cmp_gt_i32_e32 vcc_lo, s5, v2
	v_cndmask_b32_e32 v5, 0, v5, vcc_lo
	v_cmp_gt_i32_e32 vcc_lo, s5, v4
	;; [unrolled: 2-line block ×3, first 2 shown]
	s_delay_alu instid0(VALU_DEP_2) | instskip(SKIP_3) | instid1(VALU_DEP_4)
	v_add_nc_u32_e32 v6, v7, v15
	v_cndmask_b32_e32 v8, 0, v8, vcc_lo
	v_add_nc_u32_e32 v2, v3, v15
	v_add_nc_u32_e32 v4, v5, v15
	v_ashrrev_i32_e32 v7, 31, v6
	s_delay_alu instid0(VALU_DEP_4) | instskip(NEXT) | instid1(VALU_DEP_4)
	v_add_nc_u32_e32 v8, v8, v15
	v_ashrrev_i32_e32 v3, 31, v2
	s_delay_alu instid0(VALU_DEP_4) | instskip(NEXT) | instid1(VALU_DEP_4)
	v_ashrrev_i32_e32 v5, 31, v4
	v_lshlrev_b64 v[6:7], 1, v[6:7]
	s_delay_alu instid0(VALU_DEP_4) | instskip(NEXT) | instid1(VALU_DEP_4)
	v_ashrrev_i32_e32 v9, 31, v8
	v_lshlrev_b64 v[2:3], 1, v[2:3]
	s_delay_alu instid0(VALU_DEP_4) | instskip(NEXT) | instid1(VALU_DEP_3)
	v_lshlrev_b64 v[4:5], 1, v[4:5]
	v_lshlrev_b64 v[8:9], 1, v[8:9]
	s_delay_alu instid0(VALU_DEP_3) | instskip(NEXT) | instid1(VALU_DEP_4)
	v_add_co_u32 v2, vcc_lo, s8, v2
	v_add_co_ci_u32_e32 v3, vcc_lo, s9, v3, vcc_lo
	s_delay_alu instid0(VALU_DEP_4)
	v_add_co_u32 v4, vcc_lo, s8, v4
	v_add_co_ci_u32_e32 v5, vcc_lo, s9, v5, vcc_lo
	flat_load_u16 v21, v[2:3]
	v_add_co_u32 v6, vcc_lo, s8, v6
	v_add_co_ci_u32_e32 v7, vcc_lo, s9, v7, vcc_lo
	s_clause 0x1
	flat_load_u16 v22, v[4:5]
	flat_load_u16 v23, v[6:7]
	v_add_co_u32 v8, vcc_lo, s8, v8
	v_add_co_ci_u32_e32 v9, vcc_lo, s9, v9, vcc_lo
	flat_load_u16 v19, v[8:9]
	s_waitcnt vmcnt(3) lgkmcnt(3)
	v_fma_mix_f32 v18, v20, v21, v18 op_sel_hi:[0,1,0]
	v_add_nc_u32_e32 v21, 64, v15
	s_waitcnt vmcnt(2) lgkmcnt(2)
	s_delay_alu instid0(VALU_DEP_2) | instskip(SKIP_1) | instid1(VALU_DEP_1)
	v_fma_mix_f32 v18, v12, v22, v18 op_sel_hi:[0,1,0]
	s_waitcnt vmcnt(1) lgkmcnt(1)
	v_fma_mix_f32 v18, v11, v23, v18 op_sel_hi:[0,1,0]
	v_cmpx_gt_i32_e64 s4, v21
	s_cbranch_execz .LBB508_46
; %bb.41:
	s_clause 0x3
	flat_load_u16 v22, v[2:3] offset:128
	flat_load_u16 v23, v[4:5] offset:128
	;; [unrolled: 1-line block ×4, first 2 shown]
	s_mov_b32 s2, exec_lo
	s_waitcnt vmcnt(3) lgkmcnt(3)
	v_fma_mix_f32 v17, v20, v22, v17 op_sel_hi:[0,1,0]
	v_add_nc_u32_e32 v22, 0x80, v15
	s_waitcnt vmcnt(2) lgkmcnt(2)
	s_delay_alu instid0(VALU_DEP_2) | instskip(SKIP_1) | instid1(VALU_DEP_1)
	v_fma_mix_f32 v17, v12, v23, v17 op_sel_hi:[0,1,0]
	s_waitcnt vmcnt(1) lgkmcnt(1)
	v_fma_mix_f32 v17, v11, v24, v17 op_sel_hi:[0,1,0]
	v_cmpx_gt_i32_e64 s4, v22
	s_cbranch_execz .LBB508_45
; %bb.42:
	s_clause 0x3
	flat_load_u16 v23, v[2:3] offset:256
	flat_load_u16 v24, v[4:5] offset:256
	;; [unrolled: 1-line block ×4, first 2 shown]
	s_mov_b32 s3, exec_lo
	s_waitcnt vmcnt(3) lgkmcnt(3)
	v_fma_mix_f32 v16, v20, v23, v16 op_sel_hi:[0,1,0]
	v_add_nc_u32_e32 v23, 0xc0, v15
	s_waitcnt vmcnt(2) lgkmcnt(2)
	s_delay_alu instid0(VALU_DEP_2) | instskip(SKIP_1) | instid1(VALU_DEP_1)
	v_fma_mix_f32 v16, v12, v24, v16 op_sel_hi:[0,1,0]
	s_waitcnt vmcnt(1) lgkmcnt(1)
	v_fma_mix_f32 v15, v11, v25, v16 op_sel_hi:[0,1,0]
	v_cmpx_gt_i32_e64 s4, v23
	s_cbranch_execz .LBB508_44
; %bb.43:
	s_clause 0x3
	flat_load_u16 v2, v[2:3] offset:384
	flat_load_u16 v3, v[4:5] offset:384
	;; [unrolled: 1-line block ×4, first 2 shown]
	s_waitcnt vmcnt(3) lgkmcnt(3)
	v_fma_mix_f32 v2, v20, v2, v14 op_sel_hi:[0,1,0]
	s_waitcnt vmcnt(2) lgkmcnt(2)
	s_delay_alu instid0(VALU_DEP_1) | instskip(SKIP_1) | instid1(VALU_DEP_1)
	v_fma_mix_f32 v2, v12, v3, v2 op_sel_hi:[0,1,0]
	s_waitcnt vmcnt(1) lgkmcnt(1)
	v_fma_mix_f32 v2, v11, v4, v2 op_sel_hi:[0,1,0]
	s_waitcnt vmcnt(0) lgkmcnt(0)
	s_delay_alu instid0(VALU_DEP_1)
	v_fma_mix_f32 v14, v10, v5, v2 op_sel_hi:[0,1,0]
.LBB508_44:
	s_or_b32 exec_lo, exec_lo, s3
	s_waitcnt vmcnt(0) lgkmcnt(0)
	v_fma_mix_f32 v16, v10, v22, v15 op_sel_hi:[0,1,0]
.LBB508_45:
	s_or_b32 exec_lo, exec_lo, s2
	s_waitcnt vmcnt(0) lgkmcnt(0)
	v_fma_mix_f32 v17, v10, v21, v17 op_sel_hi:[0,1,0]
.LBB508_46:
	s_or_b32 exec_lo, exec_lo, s0
	s_waitcnt vmcnt(0) lgkmcnt(0)
	v_fma_mix_f32 v18, v10, v19, v18 op_sel_hi:[0,1,0]
.LBB508_47:
	s_or_b32 exec_lo, exec_lo, s1
.LBB508_48:
	v_lshlrev_b32_e32 v2, 8, v13
	s_mov_b32 s0, exec_lo
                                        ; implicit-def: $vgpr3
                                        ; implicit-def: $vgpr4_vgpr5
	s_delay_alu instid0(VALU_DEP_1)
	v_add_lshl_u32 v1, v2, v1, 2
	ds_store_2addr_stride64_b32 v1, v18, v17 offset1:1
	ds_store_2addr_stride64_b32 v1, v16, v14 offset0:2 offset1:3
	s_waitcnt lgkmcnt(0)
	s_barrier
	buffer_gl0_inv
	v_cmpx_gt_u32_e32 0x100, v0
	s_cbranch_execz .LBB508_54
; %bb.49:
	v_lshlrev_b32_e32 v5, 2, v0
	s_mov_b32 s2, s17
	s_mov_b32 s1, exec_lo
	ds_load_2addr_stride64_b32 v[1:2], v5 offset1:4
	ds_load_2addr_stride64_b32 v[3:4], v5 offset0:8 offset1:12
	s_waitcnt lgkmcnt(1)
	v_add_f32_e32 v1, v1, v2
	s_waitcnt lgkmcnt(0)
	s_delay_alu instid0(VALU_DEP_1) | instskip(SKIP_1) | instid1(VALU_DEP_2)
	v_add_f32_e32 v2, v3, v1
	v_or_b32_e32 v1, s14, v0
                                        ; implicit-def: $vgpr3
	v_add_f32_e32 v0, v4, v2
	ds_store_b32 v5, v0
                                        ; implicit-def: $vgpr4_vgpr5
	v_cmpx_gt_i32_e64 s4, v1
	s_cbranch_execz .LBB508_53
; %bb.50:
	v_mul_lo_u32 v4, v1, s16
	v_cmp_eq_f32_e64 s2, s7, 0
	v_mul_f32_e32 v3, s6, v0
	s_delay_alu instid0(VALU_DEP_2) | instskip(NEXT) | instid1(VALU_DEP_3)
	s_and_b32 vcc_lo, exec_lo, s2
	v_ashrrev_i32_e32 v5, 31, v4
	s_cbranch_vccnz .LBB508_52
; %bb.51:
	s_delay_alu instid0(VALU_DEP_1) | instskip(NEXT) | instid1(VALU_DEP_1)
	v_lshlrev_b64 v[0:1], 2, v[4:5]
	v_add_co_u32 v0, vcc_lo, s13, v0
	s_delay_alu instid0(VALU_DEP_2)
	v_add_co_ci_u32_e32 v1, vcc_lo, s15, v1, vcc_lo
	global_load_b32 v0, v[0:1], off
	s_waitcnt vmcnt(0)
	v_fmac_f32_e32 v3, s7, v0
.LBB508_52:
	s_or_b32 s2, s17, exec_lo
.LBB508_53:
	s_or_b32 exec_lo, exec_lo, s1
	s_delay_alu instid0(SALU_CYCLE_1) | instskip(SKIP_1) | instid1(SALU_CYCLE_1)
	s_and_not1_b32 s1, s17, exec_lo
	s_and_b32 s2, s2, exec_lo
	s_or_b32 s17, s1, s2
.LBB508_54:
	s_or_b32 exec_lo, exec_lo, s0
.LBB508_55:
	s_and_saveexec_b32 s0, s17
	s_cbranch_execz .LBB508_57
; %bb.56:
	v_lshlrev_b64 v[0:1], 2, v[4:5]
	s_delay_alu instid0(VALU_DEP_1) | instskip(NEXT) | instid1(VALU_DEP_2)
	v_add_co_u32 v0, vcc_lo, s13, v0
	v_add_co_ci_u32_e32 v1, vcc_lo, s15, v1, vcc_lo
	global_store_b32 v[0:1], v3, off
.LBB508_57:
	s_nop 0
	s_sendmsg sendmsg(MSG_DEALLOC_VGPRS)
	s_endpgm
	.section	.rodata,"a",@progbits
	.p2align	6, 0x0
	.amdhsa_kernel _ZL20rocblas_gemvn_kernelILi64ELi4EiPKDF16_fKPfEviiT3_lPKT2_lT1_lS7_lS8_lS4_lPT4_lS8_li
		.amdhsa_group_segment_fixed_size 4096
		.amdhsa_private_segment_fixed_size 0
		.amdhsa_kernarg_size 400
		.amdhsa_user_sgpr_count 14
		.amdhsa_user_sgpr_dispatch_ptr 0
		.amdhsa_user_sgpr_queue_ptr 0
		.amdhsa_user_sgpr_kernarg_segment_ptr 1
		.amdhsa_user_sgpr_dispatch_id 0
		.amdhsa_user_sgpr_private_segment_size 0
		.amdhsa_wavefront_size32 1
		.amdhsa_uses_dynamic_stack 0
		.amdhsa_enable_private_segment 0
		.amdhsa_system_sgpr_workgroup_id_x 1
		.amdhsa_system_sgpr_workgroup_id_y 0
		.amdhsa_system_sgpr_workgroup_id_z 1
		.amdhsa_system_sgpr_workgroup_info 0
		.amdhsa_system_vgpr_workitem_id 1
		.amdhsa_next_free_vgpr 45
		.amdhsa_next_free_sgpr 28
		.amdhsa_reserve_vcc 1
		.amdhsa_float_round_mode_32 0
		.amdhsa_float_round_mode_16_64 0
		.amdhsa_float_denorm_mode_32 3
		.amdhsa_float_denorm_mode_16_64 3
		.amdhsa_dx10_clamp 1
		.amdhsa_ieee_mode 1
		.amdhsa_fp16_overflow 0
		.amdhsa_workgroup_processor_mode 1
		.amdhsa_memory_ordered 1
		.amdhsa_forward_progress 0
		.amdhsa_shared_vgpr_count 0
		.amdhsa_exception_fp_ieee_invalid_op 0
		.amdhsa_exception_fp_denorm_src 0
		.amdhsa_exception_fp_ieee_div_zero 0
		.amdhsa_exception_fp_ieee_overflow 0
		.amdhsa_exception_fp_ieee_underflow 0
		.amdhsa_exception_fp_ieee_inexact 0
		.amdhsa_exception_int_div_zero 0
	.end_amdhsa_kernel
	.section	.text._ZL20rocblas_gemvn_kernelILi64ELi4EiPKDF16_fKPfEviiT3_lPKT2_lT1_lS7_lS8_lS4_lPT4_lS8_li,"axG",@progbits,_ZL20rocblas_gemvn_kernelILi64ELi4EiPKDF16_fKPfEviiT3_lPKT2_lT1_lS7_lS8_lS4_lPT4_lS8_li,comdat
.Lfunc_end508:
	.size	_ZL20rocblas_gemvn_kernelILi64ELi4EiPKDF16_fKPfEviiT3_lPKT2_lT1_lS7_lS8_lS4_lPT4_lS8_li, .Lfunc_end508-_ZL20rocblas_gemvn_kernelILi64ELi4EiPKDF16_fKPfEviiT3_lPKT2_lT1_lS7_lS8_lS4_lPT4_lS8_li
                                        ; -- End function
	.section	.AMDGPU.csdata,"",@progbits
; Kernel info:
; codeLenInByte = 3052
; NumSgprs: 30
; NumVgprs: 45
; ScratchSize: 0
; MemoryBound: 0
; FloatMode: 240
; IeeeMode: 1
; LDSByteSize: 4096 bytes/workgroup (compile time only)
; SGPRBlocks: 3
; VGPRBlocks: 5
; NumSGPRsForWavesPerEU: 30
; NumVGPRsForWavesPerEU: 45
; Occupancy: 16
; WaveLimiterHint : 1
; COMPUTE_PGM_RSRC2:SCRATCH_EN: 0
; COMPUTE_PGM_RSRC2:USER_SGPR: 14
; COMPUTE_PGM_RSRC2:TRAP_HANDLER: 0
; COMPUTE_PGM_RSRC2:TGID_X_EN: 1
; COMPUTE_PGM_RSRC2:TGID_Y_EN: 0
; COMPUTE_PGM_RSRC2:TGID_Z_EN: 1
; COMPUTE_PGM_RSRC2:TIDIG_COMP_CNT: 1
	.section	.text._ZL20rocblas_gemvn_kernelILi64ELi4ElPKDF16_fKPfEviiT3_lPKT2_lT1_lS7_lS8_lS4_lPT4_lS8_li,"axG",@progbits,_ZL20rocblas_gemvn_kernelILi64ELi4ElPKDF16_fKPfEviiT3_lPKT2_lT1_lS7_lS8_lS4_lPT4_lS8_li,comdat
	.globl	_ZL20rocblas_gemvn_kernelILi64ELi4ElPKDF16_fKPfEviiT3_lPKT2_lT1_lS7_lS8_lS4_lPT4_lS8_li ; -- Begin function _ZL20rocblas_gemvn_kernelILi64ELi4ElPKDF16_fKPfEviiT3_lPKT2_lT1_lS7_lS8_lS4_lPT4_lS8_li
	.p2align	8
	.type	_ZL20rocblas_gemvn_kernelILi64ELi4ElPKDF16_fKPfEviiT3_lPKT2_lT1_lS7_lS8_lS4_lPT4_lS8_li,@function
_ZL20rocblas_gemvn_kernelILi64ELi4ElPKDF16_fKPfEviiT3_lPKT2_lT1_lS7_lS8_lS4_lPT4_lS8_li: ; @_ZL20rocblas_gemvn_kernelILi64ELi4ElPKDF16_fKPfEviiT3_lPKT2_lT1_lS7_lS8_lS4_lPT4_lS8_li
; %bb.0:
	s_load_b64 s[4:5], s[0:1], 0x9c
	s_waitcnt lgkmcnt(0)
	s_lshr_b32 s3, s4, 16
	s_and_b32 s4, s4, 0xffff
	s_and_b32 s5, s5, 0xffff
	s_mul_i32 s3, s3, s4
	s_delay_alu instid0(SALU_CYCLE_1) | instskip(NEXT) | instid1(SALU_CYCLE_1)
	s_mul_i32 s3, s3, s5
	s_cmpk_lg_i32 s3, 0x100
	s_cbranch_scc1 .LBB509_57
; %bb.1:
	s_load_b128 s[8:11], s[0:1], 0x0
	s_waitcnt lgkmcnt(0)
	s_load_b32 s11, s[0:1], 0x58
	s_mov_b32 s2, s15
	v_cmp_eq_f32_e64 s15, s10, 0
	s_waitcnt lgkmcnt(0)
	v_cmp_eq_f32_e64 s3, s11, 1.0
	s_delay_alu instid0(VALU_DEP_1) | instskip(NEXT) | instid1(SALU_CYCLE_1)
	s_and_b32 s3, s15, s3
	s_and_b32 vcc_lo, exec_lo, s3
	s_cbranch_vccnz .LBB509_57
; %bb.2:
	s_clause 0x1
	s_load_b128 s[4:7], s[0:1], 0x18
	s_load_b64 s[12:13], s[0:1], 0x28
	v_cmp_neq_f32_e64 s20, s10, 0
	s_delay_alu instid0(VALU_DEP_1)
	s_and_b32 vcc_lo, exec_lo, s20
	s_cbranch_vccnz .LBB509_4
; %bb.3:
	s_mov_b32 s3, 0
	s_mov_b64 s[16:17], 0
	s_cbranch_execz .LBB509_5
	s_branch .LBB509_6
.LBB509_4:
	s_mov_b32 s3, -1
                                        ; implicit-def: $sgpr16_sgpr17
.LBB509_5:
	s_mov_b32 s3, 0
	s_delay_alu instid0(SALU_CYCLE_1)
	s_lshl_b64 s[16:17], s[2:3], 3
	s_waitcnt lgkmcnt(0)
	s_add_u32 s4, s4, s16
	s_addc_u32 s5, s5, s17
	s_lshl_b64 s[6:7], s[6:7], 1
	s_load_b64 s[4:5], s[4:5], 0x0
	s_waitcnt lgkmcnt(0)
	s_add_u32 s16, s4, s6
	s_addc_u32 s17, s5, s7
.LBB509_6:
	s_waitcnt lgkmcnt(0)
	s_clause 0x1
	s_load_b128 s[4:7], s[0:1], 0x38
	s_load_b64 s[18:19], s[0:1], 0x48
	s_and_not1_b32 vcc_lo, exec_lo, s20
	s_cbranch_vccnz .LBB509_8
; %bb.7:
	s_lshl_b64 s[20:21], s[2:3], 3
	s_waitcnt lgkmcnt(0)
	s_add_u32 s4, s4, s20
	s_addc_u32 s5, s5, s21
	s_lshl_b64 s[6:7], s[6:7], 1
	s_load_b64 s[4:5], s[4:5], 0x0
	s_waitcnt lgkmcnt(0)
	s_add_u32 s20, s4, s6
	s_addc_u32 s21, s5, s7
	s_branch .LBB509_9
.LBB509_8:
	s_mov_b64 s[20:21], 0
.LBB509_9:
	s_load_b128 s[24:27], s[0:1], 0x68
	s_waitcnt lgkmcnt(0)
	s_load_b64 s[6:7], s[0:1], 0x78
	s_lshl_b64 s[2:3], s[2:3], 3
	v_and_b32_e32 v20, 0x3ff, v0
	v_bfe_u32 v21, v0, 10, 10
	s_delay_alu instid0(VALU_DEP_1)
	v_lshl_add_u32 v19, v21, 6, v20
	s_add_u32 s0, s24, s2
	s_addc_u32 s1, s25, s3
	s_lshl_b64 s[22:23], s[26:27], 2
	s_load_b64 s[2:3], s[0:1], 0x0
	v_cmp_gt_u32_e64 s0, 0x100, v19
	s_waitcnt lgkmcnt(0)
	s_add_u32 s5, s2, s22
	s_addc_u32 s26, s3, s23
	s_and_not1_b32 vcc_lo, exec_lo, s15
	s_cbranch_vccnz .LBB509_16
; %bb.10:
	s_mov_b32 s1, 0
	s_mov_b32 s27, 0
                                        ; implicit-def: $vgpr1
                                        ; implicit-def: $vgpr2_vgpr3
	s_and_saveexec_b32 s2, s0
	s_cbranch_execz .LBB509_17
; %bb.11:
	v_lshl_or_b32 v0, s14, 8, v19
	v_mov_b32_e32 v1, 0
	s_ashr_i32 s23, s8, 31
	s_mov_b32 s22, s8
	s_mov_b32 s3, 0
	s_mov_b32 s0, exec_lo
                                        ; implicit-def: $vgpr2_vgpr3
	v_cmpx_gt_i64_e64 s[22:23], v[0:1]
	s_cbranch_execz .LBB509_15
; %bb.12:
	v_mad_u64_u32 v[2:3], null, v0, s6, 0
	v_cmp_eq_f32_e64 s3, s11, 0
	s_delay_alu instid0(VALU_DEP_1) | instskip(NEXT) | instid1(VALU_DEP_2)
	s_and_b32 vcc_lo, exec_lo, s3
	v_mad_u64_u32 v[4:5], null, v0, s7, v[3:4]
	s_delay_alu instid0(VALU_DEP_1)
	v_mov_b32_e32 v3, v4
	s_cbranch_vccnz .LBB509_14
; %bb.13:
	s_delay_alu instid0(VALU_DEP_1) | instskip(NEXT) | instid1(VALU_DEP_1)
	v_lshlrev_b64 v[0:1], 2, v[2:3]
	v_add_co_u32 v0, vcc_lo, s5, v0
	s_delay_alu instid0(VALU_DEP_2)
	v_add_co_ci_u32_e32 v1, vcc_lo, s26, v1, vcc_lo
	global_load_b32 v0, v[0:1], off
	s_waitcnt vmcnt(0)
	v_mul_f32_e32 v1, s11, v0
.LBB509_14:
	s_mov_b32 s3, exec_lo
.LBB509_15:
	s_or_b32 exec_lo, exec_lo, s0
	s_delay_alu instid0(SALU_CYCLE_1) | instskip(SKIP_1) | instid1(SALU_CYCLE_1)
	s_and_b32 s27, s3, exec_lo
	s_or_b32 exec_lo, exec_lo, s2
	s_and_b32 vcc_lo, exec_lo, s1
	s_cbranch_vccnz .LBB509_18
	s_branch .LBB509_55
.LBB509_16:
	s_mov_b32 s27, 0
                                        ; implicit-def: $vgpr1
                                        ; implicit-def: $vgpr2_vgpr3
	s_cbranch_execnz .LBB509_18
	s_branch .LBB509_55
.LBB509_17:
	s_or_b32 exec_lo, exec_lo, s2
	s_delay_alu instid0(SALU_CYCLE_1)
	s_and_b32 vcc_lo, exec_lo, s1
	s_cbranch_vccz .LBB509_55
.LBB509_18:
	s_ashr_i32 s0, s9, 31
	s_lshl_b32 s28, s14, 8
	s_lshr_b32 s0, s0, 28
	v_dual_mov_b32 v26, 0 :: v_dual_lshlrev_b32 v23, 2, v21
	v_dual_mov_b32 v25, 0 :: v_dual_add_nc_u32 v0, s28, v20
	v_mov_b32_e32 v24, 0
	v_mov_b32_e32 v22, 0
	s_add_i32 s0, s9, s0
	s_mov_b32 s30, exec_lo
	s_and_b32 s29, s0, -16
	s_delay_alu instid0(SALU_CYCLE_1)
	v_cmpx_gt_i32_e64 s29, v23
	s_cbranch_execz .LBB509_30
; %bb.19:
	v_lshlrev_b32_e32 v22, 2, v21
	v_mad_u64_u32 v[5:6], null, s18, v21, 0
	v_add_nc_u32_e32 v10, 0xc0, v0
	v_mad_u64_u32 v[7:8], null, s12, v21, 0
	s_delay_alu instid0(VALU_DEP_4) | instskip(SKIP_1) | instid1(VALU_DEP_4)
	v_or_b32_e32 v29, 3, v22
	v_or_b32_e32 v31, 2, v22
	v_cmp_gt_i32_e64 s2, s8, v10
	v_ashrrev_i32_e32 v1, 31, v0
	v_cmp_gt_i32_e32 vcc_lo, s8, v0
	v_mad_u64_u32 v[3:4], null, s12, v29, 0
	v_mad_u64_u32 v[16:17], null, s18, v29, 0
	v_add_nc_u32_e32 v2, 64, v0
	v_add_nc_u32_e32 v9, 0x80, v0
	v_mad_u64_u32 v[14:15], null, s12, v31, 0
	v_mad_u64_u32 v[35:36], null, s18, v31, 0
	s_delay_alu instid0(VALU_DEP_4)
	v_cmp_gt_i32_e64 s0, s8, v2
	v_mov_b32_e32 v2, v4
	v_mov_b32_e32 v4, v6
	v_cmp_gt_i32_e64 s1, s8, v9
	v_mov_b32_e32 v6, v8
	s_lshl_b64 s[14:15], s[12:13], 5
	v_mad_u64_u32 v[9:10], null, s13, v29, v[2:3]
	v_mad_u64_u32 v[10:11], null, s19, v21, v[4:5]
	s_delay_alu instid0(VALU_DEP_3) | instskip(SKIP_2) | instid1(VALU_DEP_4)
	v_mad_u64_u32 v[11:12], null, s13, v21, v[6:7]
	v_lshlrev_b64 v[1:2], 1, v[0:1]
	s_lshl_b64 s[22:23], s[18:19], 5
	v_mov_b32_e32 v4, v9
	s_mov_b32 s31, 0
	s_delay_alu instid0(VALU_DEP_4) | instskip(SKIP_1) | instid1(VALU_DEP_4)
	v_mov_b32_e32 v6, v10
	s_mov_b64 s[24:25], s[20:21]
	v_mov_b32_e32 v8, v11
	v_lshlrev_b64 v[9:10], 1, v[3:4]
	s_delay_alu instid0(VALU_DEP_3) | instskip(SKIP_2) | instid1(VALU_DEP_4)
	v_lshlrev_b64 v[3:4], 3, v[5:6]
	v_mov_b32_e32 v5, v15
	v_mad_u64_u32 v[12:13], null, s18, v22, s[18:19]
	v_add_co_u32 v27, s3, s16, v9
	s_delay_alu instid0(VALU_DEP_1) | instskip(SKIP_1) | instid1(VALU_DEP_4)
	v_add_co_ci_u32_e64 v28, s3, s17, v10, s3
	v_mad_u64_u32 v[9:10], null, s12, v22, s[12:13]
	v_mov_b32_e32 v6, v13
	v_lshlrev_b64 v[7:8], 3, v[7:8]
	s_delay_alu instid0(VALU_DEP_2) | instskip(SKIP_1) | instid1(VALU_DEP_3)
	v_mad_u64_u32 v[24:25], null, s13, v31, v[5:6]
	v_mov_b32_e32 v5, v17
	v_mad_u64_u32 v[17:18], null, s19, v22, v[6:7]
	s_delay_alu instid0(VALU_DEP_2) | instskip(SKIP_2) | instid1(VALU_DEP_4)
	v_mad_u64_u32 v[25:26], null, s19, v29, v[5:6]
	v_mov_b32_e32 v5, v10
	v_mov_b32_e32 v15, v24
	v_mov_b32_e32 v13, v17
	v_add_co_u32 v29, s3, s16, v7
	s_delay_alu instid0(VALU_DEP_4) | instskip(SKIP_4) | instid1(VALU_DEP_4)
	v_mad_u64_u32 v[10:11], null, s13, v22, v[5:6]
	v_mov_b32_e32 v5, v36
	v_mov_b32_e32 v17, v25
	v_lshlrev_b64 v[14:15], 1, v[14:15]
	v_add_co_ci_u32_e64 v30, s3, s17, v8, s3
	v_mad_u64_u32 v[24:25], null, s19, v31, v[5:6]
	v_mov_b32_e32 v25, 0
	v_lshlrev_b64 v[9:10], 1, v[9:10]
	v_add_co_u32 v31, s3, s16, v14
	s_delay_alu instid0(VALU_DEP_1) | instskip(SKIP_1) | instid1(VALU_DEP_4)
	v_add_co_ci_u32_e64 v32, s3, s17, v15, s3
	v_mov_b32_e32 v36, v24
	v_add_co_u32 v33, s3, s16, v9
	v_lshlrev_b64 v[5:6], 1, v[12:13]
	v_lshlrev_b64 v[7:8], 1, v[16:17]
	v_add_co_ci_u32_e64 v34, s3, s17, v10, s3
	v_lshlrev_b64 v[9:10], 1, v[35:36]
	v_mov_b32_e32 v26, 0
	v_mov_b32_e32 v24, 0
	;; [unrolled: 1-line block ×3, first 2 shown]
	s_branch .LBB509_24
.LBB509_20:                             ;   in Loop: Header=BB509_24 Depth=1
	s_or_b32 exec_lo, exec_lo, s34
	s_waitcnt vmcnt(3) lgkmcnt(3)
	v_fma_mix_f32 v11, v47, v51, v24 op_sel_hi:[0,1,0]
	s_waitcnt vmcnt(2) lgkmcnt(2)
	s_delay_alu instid0(VALU_DEP_1) | instskip(SKIP_1) | instid1(VALU_DEP_1)
	v_fma_mix_f32 v11, v48, v52, v11 op_sel_hi:[0,1,0]
	s_waitcnt vmcnt(1) lgkmcnt(1)
	v_fma_mix_f32 v11, v49, v53, v11 op_sel_hi:[0,1,0]
	s_waitcnt vmcnt(0) lgkmcnt(0)
	s_delay_alu instid0(VALU_DEP_1)
	v_fma_mix_f32 v24, v50, v54, v11 op_sel_hi:[0,1,0]
.LBB509_21:                             ;   in Loop: Header=BB509_24 Depth=1
	s_or_b32 exec_lo, exec_lo, s33
	s_waitcnt vmcnt(3) lgkmcnt(3)
	v_fma_mix_f32 v11, v47, v43, v25 op_sel_hi:[0,1,0]
	s_waitcnt vmcnt(2) lgkmcnt(2)
	s_delay_alu instid0(VALU_DEP_1) | instskip(SKIP_1) | instid1(VALU_DEP_1)
	v_fma_mix_f32 v11, v48, v44, v11 op_sel_hi:[0,1,0]
	s_waitcnt vmcnt(1) lgkmcnt(1)
	v_fma_mix_f32 v11, v49, v45, v11 op_sel_hi:[0,1,0]
	s_waitcnt vmcnt(0) lgkmcnt(0)
	s_delay_alu instid0(VALU_DEP_1)
	v_fma_mix_f32 v25, v50, v46, v11 op_sel_hi:[0,1,0]
.LBB509_22:                             ;   in Loop: Header=BB509_24 Depth=1
	s_or_b32 exec_lo, exec_lo, s3
	s_waitcnt vmcnt(3) lgkmcnt(3)
	v_fma_mix_f32 v11, v35, v39, v26 op_sel_hi:[1,1,0]
	s_waitcnt vmcnt(2) lgkmcnt(2)
	s_delay_alu instid0(VALU_DEP_1) | instskip(SKIP_1) | instid1(VALU_DEP_1)
	v_fma_mix_f32 v11, v36, v40, v11 op_sel_hi:[1,1,0]
	s_waitcnt vmcnt(1) lgkmcnt(1)
	v_fma_mix_f32 v11, v37, v41, v11 op_sel_hi:[1,1,0]
	s_waitcnt vmcnt(0) lgkmcnt(0)
	s_delay_alu instid0(VALU_DEP_1)
	v_fma_mix_f32 v26, v38, v42, v11 op_sel_hi:[1,1,0]
.LBB509_23:                             ;   in Loop: Header=BB509_24 Depth=1
	s_or_b32 exec_lo, exec_lo, s4
	v_add_co_u32 v27, s3, v27, s14
	s_delay_alu instid0(VALU_DEP_1) | instskip(SKIP_4) | instid1(VALU_DEP_1)
	v_add_co_ci_u32_e64 v28, s3, s15, v28, s3
	v_add_co_u32 v29, s3, v29, s14
	v_add_nc_u32_e32 v23, 16, v23
	v_add_co_ci_u32_e64 v30, s3, s15, v30, s3
	v_add_co_u32 v31, s3, v31, s14
	v_add_co_ci_u32_e64 v32, s3, s15, v32, s3
	s_delay_alu instid0(VALU_DEP_4) | instskip(SKIP_1) | instid1(VALU_DEP_1)
	v_cmp_le_i32_e64 s3, s29, v23
	v_add_co_u32 v33, s4, v33, s14
	v_add_co_ci_u32_e64 v34, s4, s15, v34, s4
	s_add_u32 s24, s24, s22
	s_addc_u32 s25, s25, s23
	s_or_b32 s31, s3, s31
	s_delay_alu instid0(SALU_CYCLE_1)
	s_and_not1_b32 exec_lo, exec_lo, s31
	s_cbranch_execz .LBB509_29
.LBB509_24:                             ; =>This Inner Loop Header: Depth=1
	s_and_saveexec_b32 s4, vcc_lo
	s_cbranch_execz .LBB509_23
; %bb.25:                               ;   in Loop: Header=BB509_24 Depth=1
	v_add_co_u32 v35, s3, s24, v3
	s_delay_alu instid0(VALU_DEP_1) | instskip(SKIP_1) | instid1(VALU_DEP_1)
	v_add_co_ci_u32_e64 v36, s3, s25, v4, s3
	v_add_co_u32 v37, s3, s24, v5
	v_add_co_ci_u32_e64 v38, s3, s25, v6, s3
	v_add_co_u32 v39, s3, s24, v9
	s_delay_alu instid0(VALU_DEP_1) | instskip(SKIP_1) | instid1(VALU_DEP_1)
	v_add_co_ci_u32_e64 v40, s3, s25, v10, s3
	v_add_co_u32 v41, s3, s24, v7
	v_add_co_ci_u32_e64 v42, s3, s25, v8, s3
	;; [unrolled: 5-line block ×4, first 2 shown]
	s_clause 0x3
	flat_load_u16 v35, v[35:36]
	flat_load_u16 v36, v[37:38]
	;; [unrolled: 1-line block ×8, first 2 shown]
	s_and_saveexec_b32 s3, s0
	s_cbranch_execz .LBB509_22
; %bb.26:                               ;   in Loop: Header=BB509_24 Depth=1
	flat_load_u16 v43, v[11:12] offset:128
	flat_load_u16 v44, v[13:14] offset:128
	;; [unrolled: 1-line block ×4, first 2 shown]
	s_waitcnt vmcnt(11) lgkmcnt(11)
	v_cvt_f32_f16_e32 v47, v35
	s_waitcnt vmcnt(10) lgkmcnt(10)
	v_cvt_f32_f16_e32 v48, v36
	;; [unrolled: 2-line block ×4, first 2 shown]
	s_and_saveexec_b32 s33, s1
	s_cbranch_execz .LBB509_21
; %bb.27:                               ;   in Loop: Header=BB509_24 Depth=1
	flat_load_u16 v51, v[11:12] offset:256
	flat_load_u16 v52, v[13:14] offset:256
	;; [unrolled: 1-line block ×4, first 2 shown]
	s_and_saveexec_b32 s34, s2
	s_cbranch_execz .LBB509_20
; %bb.28:                               ;   in Loop: Header=BB509_24 Depth=1
	flat_load_u16 v11, v[11:12] offset:384
	flat_load_u16 v12, v[13:14] offset:384
	;; [unrolled: 1-line block ×4, first 2 shown]
	s_waitcnt vmcnt(3) lgkmcnt(3)
	v_fma_mix_f32 v11, v47, v11, v22 op_sel_hi:[0,1,0]
	s_waitcnt vmcnt(2) lgkmcnt(2)
	s_delay_alu instid0(VALU_DEP_1) | instskip(SKIP_1) | instid1(VALU_DEP_1)
	v_fma_mix_f32 v11, v48, v12, v11 op_sel_hi:[0,1,0]
	s_waitcnt vmcnt(1) lgkmcnt(1)
	v_fma_mix_f32 v11, v49, v13, v11 op_sel_hi:[0,1,0]
	s_waitcnt vmcnt(0) lgkmcnt(0)
	s_delay_alu instid0(VALU_DEP_1)
	v_fma_mix_f32 v22, v50, v14, v11 op_sel_hi:[0,1,0]
	s_branch .LBB509_20
.LBB509_29:
	s_or_b32 exec_lo, exec_lo, s31
.LBB509_30:
	s_delay_alu instid0(SALU_CYCLE_1) | instskip(SKIP_1) | instid1(SALU_CYCLE_1)
	s_or_b32 exec_lo, exec_lo, s30
	s_sub_i32 s0, s9, s29
	s_cmp_lt_i32 s0, 1
	s_cbranch_scc1 .LBB509_48
; %bb.31:
	v_cmp_gt_i32_e32 vcc_lo, s9, v23
	v_dual_mov_b32 v9, 0 :: v_dual_mov_b32 v10, 0
	v_or_b32_e32 v2, 1, v23
	v_dual_mov_b32 v11, 0 :: v_dual_mov_b32 v12, 0
	s_and_saveexec_b32 s1, vcc_lo
	s_cbranch_execz .LBB509_39
; %bb.32:
	v_mad_u64_u32 v[3:4], null, v23, s18, 0
	v_mov_b32_e32 v11, 0
	v_mov_b32_e32 v9, 0
	s_mov_b32 s2, exec_lo
	s_delay_alu instid0(VALU_DEP_3) | instskip(NEXT) | instid1(VALU_DEP_1)
	v_dual_mov_b32 v10, 0 :: v_dual_mov_b32 v1, v4
	v_mad_u64_u32 v[4:5], null, v23, s19, v[1:2]
	s_delay_alu instid0(VALU_DEP_1) | instskip(NEXT) | instid1(VALU_DEP_1)
	v_lshlrev_b64 v[3:4], 1, v[3:4]
	v_add_co_u32 v3, s0, s20, v3
	s_delay_alu instid0(VALU_DEP_1)
	v_add_co_ci_u32_e64 v4, s0, s21, v4, s0
	flat_load_u16 v1, v[3:4]
	v_cmpx_gt_i32_e64 s9, v2
	s_cbranch_execz .LBB509_38
; %bb.33:
	v_mad_u64_u32 v[3:4], null, v2, s18, 0
	v_mov_b32_e32 v10, 0
	s_mov_b32 s3, exec_lo
	v_mov_b32_e32 v9, 0
	s_delay_alu instid0(VALU_DEP_3) | instskip(NEXT) | instid1(VALU_DEP_1)
	v_mad_u64_u32 v[5:6], null, v2, s19, v[4:5]
	v_mov_b32_e32 v4, v5
	s_delay_alu instid0(VALU_DEP_1) | instskip(NEXT) | instid1(VALU_DEP_1)
	v_lshlrev_b64 v[3:4], 1, v[3:4]
	v_add_co_u32 v3, s0, s20, v3
	s_delay_alu instid0(VALU_DEP_1) | instskip(SKIP_2) | instid1(VALU_DEP_1)
	v_add_co_ci_u32_e64 v4, s0, s21, v4, s0
	flat_load_u16 v3, v[3:4]
	v_or_b32_e32 v4, 2, v23
	v_cmpx_gt_i32_e64 s9, v4
	s_cbranch_execz .LBB509_37
; %bb.34:
	v_mad_u64_u32 v[5:6], null, v4, s18, 0
	s_mov_b32 s4, exec_lo
	v_mov_b32_e32 v9, 0
	s_delay_alu instid0(VALU_DEP_2) | instskip(NEXT) | instid1(VALU_DEP_1)
	v_mad_u64_u32 v[7:8], null, v4, s19, v[6:7]
	v_mov_b32_e32 v6, v7
	s_delay_alu instid0(VALU_DEP_1) | instskip(NEXT) | instid1(VALU_DEP_1)
	v_lshlrev_b64 v[4:5], 1, v[5:6]
	v_add_co_u32 v4, s0, s20, v4
	s_delay_alu instid0(VALU_DEP_1) | instskip(SKIP_2) | instid1(VALU_DEP_1)
	v_add_co_ci_u32_e64 v5, s0, s21, v5, s0
	flat_load_u16 v4, v[4:5]
	v_or_b32_e32 v5, 3, v23
	v_cmpx_gt_i32_e64 s9, v5
	s_cbranch_execz .LBB509_36
; %bb.35:
	v_mad_u64_u32 v[6:7], null, v5, s18, 0
	s_delay_alu instid0(VALU_DEP_1) | instskip(NEXT) | instid1(VALU_DEP_1)
	v_mad_u64_u32 v[8:9], null, v5, s19, v[7:8]
	v_mov_b32_e32 v7, v8
	s_delay_alu instid0(VALU_DEP_1) | instskip(NEXT) | instid1(VALU_DEP_1)
	v_lshlrev_b64 v[5:6], 1, v[6:7]
	v_add_co_u32 v5, s0, s20, v5
	s_delay_alu instid0(VALU_DEP_1)
	v_add_co_ci_u32_e64 v6, s0, s21, v6, s0
	flat_load_u16 v5, v[5:6]
	s_waitcnt vmcnt(0) lgkmcnt(0)
	v_cvt_f32_f16_e32 v9, v5
.LBB509_36:
	s_or_b32 exec_lo, exec_lo, s4
	s_waitcnt vmcnt(0) lgkmcnt(0)
	v_cvt_f32_f16_e32 v10, v4
.LBB509_37:
	s_or_b32 exec_lo, exec_lo, s3
	s_waitcnt vmcnt(0) lgkmcnt(0)
	v_cvt_f32_f16_e32 v11, v3
.LBB509_38:
	s_or_b32 exec_lo, exec_lo, s2
	s_waitcnt vmcnt(0) lgkmcnt(0)
	v_cvt_f32_f16_e32 v12, v1
.LBB509_39:
	s_or_b32 exec_lo, exec_lo, s1
	s_delay_alu instid0(SALU_CYCLE_1)
	s_mov_b32 s1, exec_lo
	v_cmpx_gt_i32_e64 s8, v0
	s_cbranch_execz .LBB509_47
; %bb.40:
	v_mad_u64_u32 v[3:4], null, v23, s12, 0
	v_mad_u64_u32 v[5:6], null, v2, s12, 0
	v_or_b32_e32 v29, 2, v23
	v_ashrrev_i32_e32 v1, 31, v0
	v_or_b32_e32 v30, 3, v23
	v_cndmask_b32_e32 v3, 0, v3, vcc_lo
	s_delay_alu instid0(VALU_DEP_4)
	v_cmp_gt_i32_e64 s0, s9, v29
	v_mad_u64_u32 v[13:14], null, v23, s13, v[4:5]
	v_mad_u64_u32 v[14:15], null, v29, s12, 0
	v_lshlrev_b64 v[7:8], 1, v[0:1]
	v_mov_b32_e32 v1, v6
	v_mad_u64_u32 v[16:17], null, v30, s12, 0
	v_cndmask_b32_e32 v4, 0, v13, vcc_lo
	v_cmp_gt_i32_e32 vcc_lo, s9, v2
	s_delay_alu instid0(VALU_DEP_4)
	v_mad_u64_u32 v[27:28], null, v2, s13, v[1:2]
	v_mov_b32_e32 v1, v15
	v_cndmask_b32_e64 v13, 0, v14, s0
	v_mov_b32_e32 v6, v17
	v_cndmask_b32_e32 v2, 0, v5, vcc_lo
	v_lshlrev_b64 v[4:5], 1, v[3:4]
	s_delay_alu instid0(VALU_DEP_2) | instskip(NEXT) | instid1(VALU_DEP_1)
	v_mad_u64_u32 v[17:18], null, v29, s13, v[1:2]
	v_cndmask_b32_e64 v14, 0, v17, s0
	v_mad_u64_u32 v[17:18], null, v30, s13, v[6:7]
	v_cndmask_b32_e32 v3, 0, v27, vcc_lo
	v_add_co_u32 v1, vcc_lo, s16, v4
	v_add_co_ci_u32_e32 v5, vcc_lo, s17, v5, vcc_lo
	s_delay_alu instid0(VALU_DEP_3) | instskip(NEXT) | instid1(VALU_DEP_3)
	v_lshlrev_b64 v[3:4], 1, v[2:3]
	v_add_co_u32 v1, vcc_lo, v1, v7
	s_delay_alu instid0(VALU_DEP_3) | instskip(SKIP_1) | instid1(VALU_DEP_4)
	v_add_co_ci_u32_e32 v2, vcc_lo, v5, v8, vcc_lo
	v_lshlrev_b64 v[5:6], 1, v[13:14]
	v_add_co_u32 v3, vcc_lo, s16, v3
	v_add_co_ci_u32_e32 v4, vcc_lo, s17, v4, vcc_lo
	s_mov_b32 s0, exec_lo
	s_delay_alu instid0(VALU_DEP_2) | instskip(NEXT) | instid1(VALU_DEP_2)
	v_add_co_u32 v3, vcc_lo, v3, v7
	v_add_co_ci_u32_e32 v4, vcc_lo, v4, v8, vcc_lo
	v_cmp_gt_i32_e32 vcc_lo, s9, v30
	s_clause 0x1
	flat_load_u16 v15, v[1:2]
	flat_load_u16 v18, v[3:4]
	v_dual_cndmask_b32 v14, 0, v17 :: v_dual_cndmask_b32 v13, 0, v16
	v_add_co_u32 v5, vcc_lo, s16, v5
	v_add_co_ci_u32_e32 v6, vcc_lo, s17, v6, vcc_lo
	s_delay_alu instid0(VALU_DEP_3) | instskip(NEXT) | instid1(VALU_DEP_3)
	v_lshlrev_b64 v[13:14], 1, v[13:14]
	v_add_co_u32 v5, vcc_lo, v5, v7
	s_delay_alu instid0(VALU_DEP_3) | instskip(NEXT) | instid1(VALU_DEP_3)
	v_add_co_ci_u32_e32 v6, vcc_lo, v6, v8, vcc_lo
	v_add_co_u32 v13, vcc_lo, s16, v13
	s_delay_alu instid0(VALU_DEP_4)
	v_add_co_ci_u32_e32 v14, vcc_lo, s17, v14, vcc_lo
	flat_load_u16 v16, v[5:6]
	v_add_co_u32 v7, vcc_lo, v13, v7
	v_add_co_ci_u32_e32 v8, vcc_lo, v14, v8, vcc_lo
	flat_load_u16 v13, v[7:8]
	s_waitcnt vmcnt(3) lgkmcnt(3)
	v_fma_mix_f32 v14, v12, v15, v26 op_sel_hi:[0,1,0]
	v_add_nc_u32_e32 v15, 64, v0
	s_waitcnt vmcnt(2) lgkmcnt(2)
	s_delay_alu instid0(VALU_DEP_2) | instskip(SKIP_1) | instid1(VALU_DEP_1)
	v_fma_mix_f32 v14, v11, v18, v14 op_sel_hi:[0,1,0]
	s_waitcnt vmcnt(1) lgkmcnt(1)
	v_fma_mix_f32 v14, v10, v16, v14 op_sel_hi:[0,1,0]
	v_cmpx_gt_i32_e64 s8, v15
	s_cbranch_execz .LBB509_46
; %bb.41:
	s_clause 0x3
	flat_load_u16 v16, v[1:2] offset:128
	flat_load_u16 v17, v[3:4] offset:128
	;; [unrolled: 1-line block ×4, first 2 shown]
	s_mov_b32 s2, exec_lo
	s_waitcnt vmcnt(3) lgkmcnt(3)
	v_fma_mix_f32 v16, v12, v16, v25 op_sel_hi:[0,1,0]
	s_waitcnt vmcnt(2) lgkmcnt(2)
	s_delay_alu instid0(VALU_DEP_1) | instskip(SKIP_2) | instid1(VALU_DEP_2)
	v_fma_mix_f32 v16, v11, v17, v16 op_sel_hi:[0,1,0]
	v_add_nc_u32_e32 v17, 0x80, v0
	s_waitcnt vmcnt(1) lgkmcnt(1)
	v_fma_mix_f32 v16, v10, v18, v16 op_sel_hi:[0,1,0]
	s_delay_alu instid0(VALU_DEP_2)
	v_cmpx_gt_i32_e64 s8, v17
	s_cbranch_execz .LBB509_45
; %bb.42:
	s_clause 0x3
	flat_load_u16 v18, v[1:2] offset:256
	flat_load_u16 v23, v[3:4] offset:256
	;; [unrolled: 1-line block ×4, first 2 shown]
	s_mov_b32 s3, exec_lo
	s_waitcnt vmcnt(3) lgkmcnt(3)
	v_fma_mix_f32 v18, v12, v18, v24 op_sel_hi:[0,1,0]
	s_waitcnt vmcnt(2) lgkmcnt(2)
	s_delay_alu instid0(VALU_DEP_1) | instskip(SKIP_2) | instid1(VALU_DEP_2)
	v_fma_mix_f32 v18, v11, v23, v18 op_sel_hi:[0,1,0]
	v_add_nc_u32_e32 v23, 0xc0, v0
	s_waitcnt vmcnt(1) lgkmcnt(1)
	v_fma_mix_f32 v0, v10, v25, v18 op_sel_hi:[0,1,0]
	s_delay_alu instid0(VALU_DEP_2)
	v_cmpx_gt_i32_e64 s8, v23
	s_cbranch_execz .LBB509_44
; %bb.43:
	s_clause 0x3
	flat_load_u16 v1, v[1:2] offset:384
	flat_load_u16 v2, v[3:4] offset:384
	;; [unrolled: 1-line block ×4, first 2 shown]
	s_waitcnt vmcnt(3) lgkmcnt(3)
	v_fma_mix_f32 v1, v12, v1, v22 op_sel_hi:[0,1,0]
	s_waitcnt vmcnt(2) lgkmcnt(2)
	s_delay_alu instid0(VALU_DEP_1) | instskip(SKIP_1) | instid1(VALU_DEP_1)
	v_fma_mix_f32 v1, v11, v2, v1 op_sel_hi:[0,1,0]
	s_waitcnt vmcnt(1) lgkmcnt(1)
	v_fma_mix_f32 v1, v10, v3, v1 op_sel_hi:[0,1,0]
	s_waitcnt vmcnt(0) lgkmcnt(0)
	s_delay_alu instid0(VALU_DEP_1)
	v_fma_mix_f32 v22, v9, v4, v1 op_sel_hi:[0,1,0]
.LBB509_44:
	s_or_b32 exec_lo, exec_lo, s3
	s_waitcnt vmcnt(0) lgkmcnt(0)
	v_fma_mix_f32 v24, v9, v17, v0 op_sel_hi:[0,1,0]
.LBB509_45:
	s_or_b32 exec_lo, exec_lo, s2
	s_waitcnt vmcnt(0) lgkmcnt(0)
	v_fma_mix_f32 v25, v9, v15, v16 op_sel_hi:[0,1,0]
.LBB509_46:
	s_or_b32 exec_lo, exec_lo, s0
	s_waitcnt vmcnt(0) lgkmcnt(0)
	v_fma_mix_f32 v26, v9, v13, v14 op_sel_hi:[0,1,0]
.LBB509_47:
	s_or_b32 exec_lo, exec_lo, s1
.LBB509_48:
	v_lshlrev_b32_e32 v0, 8, v21
	s_mov_b32 s0, exec_lo
                                        ; implicit-def: $vgpr1
                                        ; implicit-def: $vgpr2_vgpr3
	s_delay_alu instid0(VALU_DEP_1)
	v_add_lshl_u32 v0, v0, v20, 2
	ds_store_2addr_stride64_b32 v0, v26, v25 offset1:1
	ds_store_2addr_stride64_b32 v0, v24, v22 offset0:2 offset1:3
	s_waitcnt lgkmcnt(0)
	s_barrier
	buffer_gl0_inv
	v_cmpx_gt_u32_e32 0x100, v19
	s_cbranch_execz .LBB509_54
; %bb.49:
	v_lshlrev_b32_e32 v5, 2, v19
	v_or_b32_e32 v4, s28, v19
	s_mov_b32 s2, s27
	s_mov_b32 s1, exec_lo
	ds_load_2addr_stride64_b32 v[0:1], v5 offset1:4
	ds_load_2addr_stride64_b32 v[2:3], v5 offset0:8 offset1:12
	s_waitcnt lgkmcnt(1)
	v_add_f32_e32 v0, v0, v1
                                        ; implicit-def: $vgpr1
	s_waitcnt lgkmcnt(0)
	s_delay_alu instid0(VALU_DEP_1) | instskip(NEXT) | instid1(VALU_DEP_1)
	v_add_f32_e32 v0, v2, v0
	v_add_f32_e32 v0, v3, v0
                                        ; implicit-def: $vgpr2_vgpr3
	ds_store_b32 v5, v0
	v_cmpx_gt_i32_e64 s8, v4
	s_cbranch_execz .LBB509_53
; %bb.50:
	v_ashrrev_i32_e32 v1, 31, v4
	v_mul_lo_u32 v5, v4, s7
	v_mad_u64_u32 v[2:3], null, v4, s6, 0
	v_cmp_eq_f32_e64 s2, s11, 0
	s_delay_alu instid0(VALU_DEP_4) | instskip(SKIP_1) | instid1(VALU_DEP_3)
	v_mul_lo_u32 v4, v1, s6
	v_mul_f32_e32 v1, s10, v0
	s_and_b32 vcc_lo, exec_lo, s2
	s_delay_alu instid0(VALU_DEP_2)
	v_add3_u32 v3, v3, v5, v4
	s_cbranch_vccnz .LBB509_52
; %bb.51:
	s_delay_alu instid0(VALU_DEP_1) | instskip(NEXT) | instid1(VALU_DEP_1)
	v_lshlrev_b64 v[4:5], 2, v[2:3]
	v_add_co_u32 v4, vcc_lo, s5, v4
	s_delay_alu instid0(VALU_DEP_2)
	v_add_co_ci_u32_e32 v5, vcc_lo, s26, v5, vcc_lo
	global_load_b32 v0, v[4:5], off
	s_waitcnt vmcnt(0)
	v_fmac_f32_e32 v1, s11, v0
.LBB509_52:
	s_or_b32 s2, s27, exec_lo
.LBB509_53:
	s_or_b32 exec_lo, exec_lo, s1
	s_delay_alu instid0(SALU_CYCLE_1) | instskip(SKIP_1) | instid1(SALU_CYCLE_1)
	s_and_not1_b32 s1, s27, exec_lo
	s_and_b32 s2, s2, exec_lo
	s_or_b32 s27, s1, s2
.LBB509_54:
	s_or_b32 exec_lo, exec_lo, s0
.LBB509_55:
	s_and_saveexec_b32 s0, s27
	s_cbranch_execz .LBB509_57
; %bb.56:
	v_lshlrev_b64 v[2:3], 2, v[2:3]
	s_delay_alu instid0(VALU_DEP_1) | instskip(NEXT) | instid1(VALU_DEP_2)
	v_add_co_u32 v2, vcc_lo, s5, v2
	v_add_co_ci_u32_e32 v3, vcc_lo, s26, v3, vcc_lo
	global_store_b32 v[2:3], v1, off
.LBB509_57:
	s_nop 0
	s_sendmsg sendmsg(MSG_DEALLOC_VGPRS)
	s_endpgm
	.section	.rodata,"a",@progbits
	.p2align	6, 0x0
	.amdhsa_kernel _ZL20rocblas_gemvn_kernelILi64ELi4ElPKDF16_fKPfEviiT3_lPKT2_lT1_lS7_lS8_lS4_lPT4_lS8_li
		.amdhsa_group_segment_fixed_size 4096
		.amdhsa_private_segment_fixed_size 0
		.amdhsa_kernarg_size 400
		.amdhsa_user_sgpr_count 14
		.amdhsa_user_sgpr_dispatch_ptr 0
		.amdhsa_user_sgpr_queue_ptr 0
		.amdhsa_user_sgpr_kernarg_segment_ptr 1
		.amdhsa_user_sgpr_dispatch_id 0
		.amdhsa_user_sgpr_private_segment_size 0
		.amdhsa_wavefront_size32 1
		.amdhsa_uses_dynamic_stack 0
		.amdhsa_enable_private_segment 0
		.amdhsa_system_sgpr_workgroup_id_x 1
		.amdhsa_system_sgpr_workgroup_id_y 0
		.amdhsa_system_sgpr_workgroup_id_z 1
		.amdhsa_system_sgpr_workgroup_info 0
		.amdhsa_system_vgpr_workitem_id 1
		.amdhsa_next_free_vgpr 55
		.amdhsa_next_free_sgpr 35
		.amdhsa_reserve_vcc 1
		.amdhsa_float_round_mode_32 0
		.amdhsa_float_round_mode_16_64 0
		.amdhsa_float_denorm_mode_32 3
		.amdhsa_float_denorm_mode_16_64 3
		.amdhsa_dx10_clamp 1
		.amdhsa_ieee_mode 1
		.amdhsa_fp16_overflow 0
		.amdhsa_workgroup_processor_mode 1
		.amdhsa_memory_ordered 1
		.amdhsa_forward_progress 0
		.amdhsa_shared_vgpr_count 0
		.amdhsa_exception_fp_ieee_invalid_op 0
		.amdhsa_exception_fp_denorm_src 0
		.amdhsa_exception_fp_ieee_div_zero 0
		.amdhsa_exception_fp_ieee_overflow 0
		.amdhsa_exception_fp_ieee_underflow 0
		.amdhsa_exception_fp_ieee_inexact 0
		.amdhsa_exception_int_div_zero 0
	.end_amdhsa_kernel
	.section	.text._ZL20rocblas_gemvn_kernelILi64ELi4ElPKDF16_fKPfEviiT3_lPKT2_lT1_lS7_lS8_lS4_lPT4_lS8_li,"axG",@progbits,_ZL20rocblas_gemvn_kernelILi64ELi4ElPKDF16_fKPfEviiT3_lPKT2_lT1_lS7_lS8_lS4_lPT4_lS8_li,comdat
.Lfunc_end509:
	.size	_ZL20rocblas_gemvn_kernelILi64ELi4ElPKDF16_fKPfEviiT3_lPKT2_lT1_lS7_lS8_lS4_lPT4_lS8_li, .Lfunc_end509-_ZL20rocblas_gemvn_kernelILi64ELi4ElPKDF16_fKPfEviiT3_lPKT2_lT1_lS7_lS8_lS4_lPT4_lS8_li
                                        ; -- End function
	.section	.AMDGPU.csdata,"",@progbits
; Kernel info:
; codeLenInByte = 3412
; NumSgprs: 37
; NumVgprs: 55
; ScratchSize: 0
; MemoryBound: 0
; FloatMode: 240
; IeeeMode: 1
; LDSByteSize: 4096 bytes/workgroup (compile time only)
; SGPRBlocks: 4
; VGPRBlocks: 6
; NumSGPRsForWavesPerEU: 37
; NumVGPRsForWavesPerEU: 55
; Occupancy: 16
; WaveLimiterHint : 1
; COMPUTE_PGM_RSRC2:SCRATCH_EN: 0
; COMPUTE_PGM_RSRC2:USER_SGPR: 14
; COMPUTE_PGM_RSRC2:TRAP_HANDLER: 0
; COMPUTE_PGM_RSRC2:TGID_X_EN: 1
; COMPUTE_PGM_RSRC2:TGID_Y_EN: 0
; COMPUTE_PGM_RSRC2:TGID_Z_EN: 1
; COMPUTE_PGM_RSRC2:TIDIG_COMP_CNT: 1
	.section	.text._ZL20rocblas_gemvn_kernelILi32ELi16EiPKDF16_PKfKPfEviiT3_lPKT2_lT1_lS9_lSA_lS6_lPT4_lSA_li,"axG",@progbits,_ZL20rocblas_gemvn_kernelILi32ELi16EiPKDF16_PKfKPfEviiT3_lPKT2_lT1_lS9_lSA_lS6_lPT4_lSA_li,comdat
	.globl	_ZL20rocblas_gemvn_kernelILi32ELi16EiPKDF16_PKfKPfEviiT3_lPKT2_lT1_lS9_lSA_lS6_lPT4_lSA_li ; -- Begin function _ZL20rocblas_gemvn_kernelILi32ELi16EiPKDF16_PKfKPfEviiT3_lPKT2_lT1_lS9_lSA_lS6_lPT4_lSA_li
	.p2align	8
	.type	_ZL20rocblas_gemvn_kernelILi32ELi16EiPKDF16_PKfKPfEviiT3_lPKT2_lT1_lS9_lSA_lS6_lPT4_lSA_li,@function
_ZL20rocblas_gemvn_kernelILi32ELi16EiPKDF16_PKfKPfEviiT3_lPKT2_lT1_lS9_lSA_lS6_lPT4_lSA_li: ; @_ZL20rocblas_gemvn_kernelILi32ELi16EiPKDF16_PKfKPfEviiT3_lPKT2_lT1_lS9_lSA_lS6_lPT4_lSA_li
; %bb.0:
	s_load_b64 s[4:5], s[0:1], 0x9c
	s_waitcnt lgkmcnt(0)
	s_lshr_b32 s3, s4, 16
	s_and_b32 s4, s4, 0xffff
	s_and_b32 s5, s5, 0xffff
	s_mul_i32 s3, s3, s4
	s_delay_alu instid0(SALU_CYCLE_1) | instskip(NEXT) | instid1(SALU_CYCLE_1)
	s_mul_i32 s3, s3, s5
	s_cmpk_lg_i32 s3, 0x200
	s_cbranch_scc1 .LBB510_54
; %bb.1:
	s_clause 0x1
	s_load_b256 s[16:23], s[0:1], 0x8
	s_load_b256 s[4:11], s[0:1], 0x58
	s_mov_b32 s2, s15
	s_waitcnt lgkmcnt(0)
	s_mul_i32 s3, s15, s19
	s_mul_hi_u32 s13, s15, s18
	s_mul_i32 s12, s15, s18
	s_add_i32 s13, s13, s3
	s_mul_i32 s3, s15, s7
	s_lshl_b64 s[12:13], s[12:13], 2
	s_mul_hi_u32 s7, s15, s6
	s_add_u32 s12, s16, s12
	s_addc_u32 s13, s17, s13
	s_add_i32 s7, s7, s3
	s_mul_i32 s6, s15, s6
	s_delay_alu instid0(SALU_CYCLE_1) | instskip(NEXT) | instid1(SALU_CYCLE_1)
	s_lshl_b64 s[6:7], s[6:7], 2
	s_add_u32 s4, s4, s6
	s_addc_u32 s5, s5, s7
	s_load_b32 s16, s[12:13], 0x0
	s_load_b32 s15, s[4:5], 0x0
	s_waitcnt lgkmcnt(0)
	v_cmp_eq_f32_e64 s18, s16, 0
	v_cmp_eq_f32_e64 s3, s15, 1.0
	s_delay_alu instid0(VALU_DEP_1) | instskip(NEXT) | instid1(SALU_CYCLE_1)
	s_and_b32 s3, s18, s3
	s_and_b32 vcc_lo, exec_lo, s3
	s_mov_b32 s3, 0
	s_cbranch_vccnz .LBB510_54
; %bb.2:
	v_cmp_neq_f32_e64 s4, s16, 0
	s_mov_b64 s[12:13], 0
	s_and_b32 vcc_lo, exec_lo, s18
	s_mov_b64 s[6:7], 0
	s_cbranch_vccnz .LBB510_4
; %bb.3:
	s_lshl_b64 s[6:7], s[2:3], 3
	s_delay_alu instid0(SALU_CYCLE_1)
	s_add_u32 s6, s20, s6
	s_addc_u32 s7, s21, s7
	s_lshl_b64 s[20:21], s[22:23], 1
	s_load_b64 s[6:7], s[6:7], 0x0
	s_waitcnt lgkmcnt(0)
	s_add_u32 s6, s6, s20
	s_addc_u32 s7, s7, s21
.LBB510_4:
	s_and_not1_b32 vcc_lo, exec_lo, s4
	s_cbranch_vccnz .LBB510_6
; %bb.5:
	s_load_b128 s[20:23], s[0:1], 0x38
	s_lshl_b64 s[4:5], s[2:3], 3
	s_waitcnt lgkmcnt(0)
	s_add_u32 s4, s20, s4
	s_addc_u32 s5, s21, s5
	s_lshl_b64 s[12:13], s[22:23], 1
	s_load_b64 s[4:5], s[4:5], 0x0
	s_waitcnt lgkmcnt(0)
	s_add_u32 s12, s4, s12
	s_addc_u32 s13, s5, s13
.LBB510_6:
	s_lshl_b64 s[2:3], s[2:3], 3
	v_and_b32_e32 v1, 0x3ff, v0
	s_add_u32 s2, s8, s2
	s_addc_u32 s3, s9, s3
	v_bfe_u32 v13, v0, 10, 10
	s_load_b64 s[20:21], s[2:3], 0x0
	s_clause 0x1
	s_load_b64 s[4:5], s[0:1], 0x0
	s_load_b32 s17, s[0:1], 0x78
	s_lshl_b64 s[10:11], s[10:11], 2
	v_lshl_add_u32 v0, v13, 5, v1
	s_delay_alu instid0(VALU_DEP_1)
	v_cmp_gt_u32_e64 s2, 0x80, v0
	s_waitcnt lgkmcnt(0)
	s_add_u32 s9, s20, s10
	s_addc_u32 s10, s21, s11
	s_and_not1_b32 vcc_lo, exec_lo, s18
	s_cbranch_vccnz .LBB510_13
; %bb.7:
	s_mov_b32 s3, 0
	s_mov_b32 s11, 0
                                        ; implicit-def: $vgpr3
                                        ; implicit-def: $vgpr4_vgpr5
	s_and_saveexec_b32 s8, s2
	s_cbranch_execz .LBB510_14
; %bb.8:
	v_lshl_or_b32 v2, s14, 7, v0
	v_mov_b32_e32 v3, 0
	s_ashr_i32 s19, s4, 31
	s_mov_b32 s18, s4
	s_mov_b32 s2, exec_lo
                                        ; implicit-def: $vgpr4_vgpr5
	s_delay_alu instid0(VALU_DEP_1)
	v_cmpx_gt_i64_e64 s[18:19], v[2:3]
	s_cbranch_execz .LBB510_12
; %bb.9:
	v_mad_u64_u32 v[4:5], null, s17, v2, 0
	s_ashr_i32 s11, s17, 31
	s_delay_alu instid0(VALU_DEP_1) | instid1(SALU_CYCLE_1)
	v_mad_u64_u32 v[6:7], null, s11, v2, v[5:6]
	v_cmp_eq_f32_e64 s11, s15, 0
	s_delay_alu instid0(VALU_DEP_1) | instskip(NEXT) | instid1(VALU_DEP_2)
	s_and_b32 vcc_lo, exec_lo, s11
	v_mov_b32_e32 v5, v6
	s_cbranch_vccnz .LBB510_11
; %bb.10:
	s_delay_alu instid0(VALU_DEP_1) | instskip(NEXT) | instid1(VALU_DEP_1)
	v_lshlrev_b64 v[2:3], 2, v[4:5]
	v_add_co_u32 v2, vcc_lo, s9, v2
	s_delay_alu instid0(VALU_DEP_2)
	v_add_co_ci_u32_e32 v3, vcc_lo, s10, v3, vcc_lo
	global_load_b32 v2, v[2:3], off
	s_waitcnt vmcnt(0)
	v_mul_f32_e32 v3, s15, v2
.LBB510_11:
	s_mov_b32 s11, exec_lo
.LBB510_12:
	s_or_b32 exec_lo, exec_lo, s2
	s_delay_alu instid0(SALU_CYCLE_1) | instskip(SKIP_1) | instid1(SALU_CYCLE_1)
	s_and_b32 s11, s11, exec_lo
	s_or_b32 exec_lo, exec_lo, s8
	s_and_b32 vcc_lo, exec_lo, s3
	s_cbranch_vccnz .LBB510_15
	s_branch .LBB510_52
.LBB510_13:
	s_mov_b32 s11, 0
                                        ; implicit-def: $vgpr3
                                        ; implicit-def: $vgpr4_vgpr5
	s_cbranch_execnz .LBB510_15
	s_branch .LBB510_52
.LBB510_14:
	s_or_b32 exec_lo, exec_lo, s8
	s_delay_alu instid0(SALU_CYCLE_1)
	s_and_b32 vcc_lo, exec_lo, s3
	s_cbranch_vccz .LBB510_52
.LBB510_15:
	s_clause 0x1
	s_load_b32 s18, s[0:1], 0x28
	s_load_b32 s8, s[0:1], 0x48
	s_ashr_i32 s0, s5, 31
	s_lshl_b32 s14, s14, 7
	s_lshr_b32 s0, s0, 26
	v_dual_mov_b32 v18, 0 :: v_dual_lshlrev_b32 v19, 2, v13
	v_dual_mov_b32 v16, 0 :: v_dual_add_nc_u32 v15, s14, v1
	v_dual_mov_b32 v17, 0 :: v_dual_mov_b32 v14, 0
	s_add_i32 s19, s5, s0
	s_mov_b32 s20, exec_lo
	s_and_not1_b32 s19, s19, 63
	s_delay_alu instid0(SALU_CYCLE_1)
	v_cmpx_gt_i32_e64 s19, v19
	s_cbranch_execz .LBB510_27
; %bb.16:
	s_waitcnt lgkmcnt(0)
	v_mul_lo_u32 v3, s18, v19
	v_dual_mov_b32 v17, 0 :: v_dual_add_nc_u32 v2, 32, v15
	v_add_nc_u32_e32 v6, 2, v19
	v_dual_mov_b32 v18, 0 :: v_dual_add_nc_u32 v5, 0x60, v15
	s_delay_alu instid0(VALU_DEP_3)
	v_cmp_gt_i32_e64 s0, s4, v2
	v_add_nc_u32_e32 v4, 64, v15
	v_add3_u32 v20, v3, s18, v1
	v_mad_u64_u32 v[2:3], null, s18, v6, v[1:2]
	v_cmp_gt_i32_e64 s2, s4, v5
	v_mul_lo_u32 v5, v13, s18
	v_dual_mov_b32 v16, 0 :: v_dual_add_nc_u32 v7, 3, v19
	v_mul_lo_u32 v8, v13, s8
	v_cmp_gt_i32_e64 s1, s4, v4
	v_mul_lo_u32 v22, s8, v6
	s_delay_alu instid0(VALU_DEP_4)
	v_mad_u64_u32 v[3:4], null, s18, v7, v[1:2]
	v_lshl_add_u32 v21, v5, 2, v1
	v_mad_u64_u32 v[4:5], null, s8, v19, s[8:9]
	v_mul_lo_u32 v23, s8, v7
	v_cmp_gt_i32_e32 vcc_lo, s4, v15
	v_lshlrev_b32_e32 v24, 2, v8
	v_mov_b32_e32 v14, 0
	s_lshl_b32 s21, s18, 6
	s_lshl_b32 s23, s8, 6
	s_mov_b32 s22, 0
	s_mov_b32 s24, 0
	s_branch .LBB510_21
.LBB510_17:                             ;   in Loop: Header=BB510_21 Depth=1
	s_or_b32 exec_lo, exec_lo, s27
	s_waitcnt vmcnt(3) lgkmcnt(3)
	v_fma_mix_f32 v5, v37, v41, v16 op_sel_hi:[0,1,0]
	s_waitcnt vmcnt(2) lgkmcnt(2)
	s_delay_alu instid0(VALU_DEP_1) | instskip(SKIP_1) | instid1(VALU_DEP_1)
	v_fma_mix_f32 v5, v38, v42, v5 op_sel_hi:[0,1,0]
	s_waitcnt vmcnt(1) lgkmcnt(1)
	v_fma_mix_f32 v5, v39, v43, v5 op_sel_hi:[0,1,0]
	s_waitcnt vmcnt(0) lgkmcnt(0)
	s_delay_alu instid0(VALU_DEP_1)
	v_fma_mix_f32 v16, v40, v44, v5 op_sel_hi:[0,1,0]
.LBB510_18:                             ;   in Loop: Header=BB510_21 Depth=1
	s_or_b32 exec_lo, exec_lo, s26
	s_waitcnt vmcnt(3) lgkmcnt(3)
	v_fma_mix_f32 v5, v37, v33, v17 op_sel_hi:[0,1,0]
	s_waitcnt vmcnt(2) lgkmcnt(2)
	s_delay_alu instid0(VALU_DEP_1) | instskip(SKIP_1) | instid1(VALU_DEP_1)
	v_fma_mix_f32 v5, v38, v34, v5 op_sel_hi:[0,1,0]
	s_waitcnt vmcnt(1) lgkmcnt(1)
	v_fma_mix_f32 v5, v39, v35, v5 op_sel_hi:[0,1,0]
	s_waitcnt vmcnt(0) lgkmcnt(0)
	s_delay_alu instid0(VALU_DEP_1)
	v_fma_mix_f32 v17, v40, v36, v5 op_sel_hi:[0,1,0]
.LBB510_19:                             ;   in Loop: Header=BB510_21 Depth=1
	s_or_b32 exec_lo, exec_lo, s3
	s_waitcnt vmcnt(3) lgkmcnt(3)
	v_fma_mix_f32 v5, v25, v29, v18 op_sel_hi:[1,1,0]
	s_waitcnt vmcnt(2) lgkmcnt(2)
	s_delay_alu instid0(VALU_DEP_1) | instskip(SKIP_1) | instid1(VALU_DEP_1)
	v_fma_mix_f32 v5, v26, v30, v5 op_sel_hi:[1,1,0]
	s_waitcnt vmcnt(1) lgkmcnt(1)
	v_fma_mix_f32 v5, v27, v31, v5 op_sel_hi:[1,1,0]
	s_waitcnt vmcnt(0) lgkmcnt(0)
	s_delay_alu instid0(VALU_DEP_1)
	v_fma_mix_f32 v18, v28, v32, v5 op_sel_hi:[1,1,0]
.LBB510_20:                             ;   in Loop: Header=BB510_21 Depth=1
	s_or_b32 exec_lo, exec_lo, s25
	v_add_nc_u32_e32 v19, 64, v19
	v_add_nc_u32_e32 v20, s21, v20
	;; [unrolled: 1-line block ×5, first 2 shown]
	v_cmp_le_i32_e64 s3, s19, v19
	s_add_i32 s24, s24, s23
	s_delay_alu instid0(VALU_DEP_1) | instskip(NEXT) | instid1(SALU_CYCLE_1)
	s_or_b32 s22, s3, s22
	s_and_not1_b32 exec_lo, exec_lo, s22
	s_cbranch_execz .LBB510_26
.LBB510_21:                             ; =>This Inner Loop Header: Depth=1
	s_and_saveexec_b32 s25, vcc_lo
	s_cbranch_execz .LBB510_20
; %bb.22:                               ;   in Loop: Header=BB510_21 Depth=1
	v_add_nc_u32_e32 v5, s24, v24
	v_add_nc_u32_e32 v7, s24, v4
	;; [unrolled: 1-line block ×5, first 2 shown]
	v_ashrrev_i32_e32 v6, 31, v5
	v_ashrrev_i32_e32 v8, 31, v7
	;; [unrolled: 1-line block ×5, first 2 shown]
	v_lshlrev_b64 v[5:6], 1, v[5:6]
	v_lshlrev_b64 v[7:8], 1, v[7:8]
	;; [unrolled: 1-line block ×3, first 2 shown]
	s_delay_alu instid0(VALU_DEP_3) | instskip(NEXT) | instid1(VALU_DEP_1)
	v_add_co_u32 v27, s3, s12, v5
	v_add_co_ci_u32_e64 v28, s3, s13, v6, s3
	s_delay_alu instid0(VALU_DEP_4)
	v_add_co_u32 v29, s3, s12, v7
	v_add_nc_u32_e32 v7, s14, v20
	v_add_co_ci_u32_e64 v30, s3, s13, v8, s3
	v_lshlrev_b64 v[5:6], 1, v[11:12]
	v_add_co_u32 v31, s3, s12, v9
	v_add_nc_u32_e32 v11, s14, v2
	v_add_co_ci_u32_e64 v32, s3, s13, v10, s3
	v_lshlrev_b64 v[9:10], 1, v[25:26]
	v_ashrrev_i32_e32 v8, 31, v7
	v_add_nc_u32_e32 v25, s14, v3
	v_add_co_u32 v33, s3, s12, v5
	v_ashrrev_i32_e32 v12, 31, v11
	v_add_co_ci_u32_e64 v34, s3, s13, v6, s3
	v_lshlrev_b64 v[7:8], 1, v[7:8]
	v_add_co_u32 v5, s3, s6, v9
	v_ashrrev_i32_e32 v26, 31, v25
	v_add_co_ci_u32_e64 v6, s3, s7, v10, s3
	v_lshlrev_b64 v[9:10], 1, v[11:12]
	v_add_co_u32 v7, s3, s6, v7
	s_delay_alu instid0(VALU_DEP_4) | instskip(SKIP_1) | instid1(VALU_DEP_4)
	v_lshlrev_b64 v[11:12], 1, v[25:26]
	v_add_co_ci_u32_e64 v8, s3, s7, v8, s3
	v_add_co_u32 v9, s3, s6, v9
	s_delay_alu instid0(VALU_DEP_1) | instskip(NEXT) | instid1(VALU_DEP_4)
	v_add_co_ci_u32_e64 v10, s3, s7, v10, s3
	v_add_co_u32 v11, s3, s6, v11
	s_delay_alu instid0(VALU_DEP_1)
	v_add_co_ci_u32_e64 v12, s3, s7, v12, s3
	s_clause 0x3
	flat_load_u16 v25, v[27:28]
	flat_load_u16 v26, v[29:30]
	;; [unrolled: 1-line block ×4, first 2 shown]
	s_clause 0x3
	flat_load_u16 v29, v[5:6]
	flat_load_u16 v30, v[7:8]
	;; [unrolled: 1-line block ×4, first 2 shown]
	s_and_saveexec_b32 s3, s0
	s_cbranch_execz .LBB510_19
; %bb.23:                               ;   in Loop: Header=BB510_21 Depth=1
	s_clause 0x3
	flat_load_u16 v33, v[5:6] offset:64
	flat_load_u16 v34, v[7:8] offset:64
	;; [unrolled: 1-line block ×4, first 2 shown]
	s_waitcnt vmcnt(11) lgkmcnt(11)
	v_cvt_f32_f16_e32 v37, v25
	s_waitcnt vmcnt(10) lgkmcnt(10)
	v_cvt_f32_f16_e32 v38, v26
	;; [unrolled: 2-line block ×4, first 2 shown]
	s_and_saveexec_b32 s26, s1
	s_cbranch_execz .LBB510_18
; %bb.24:                               ;   in Loop: Header=BB510_21 Depth=1
	s_clause 0x3
	flat_load_u16 v41, v[5:6] offset:128
	flat_load_u16 v42, v[7:8] offset:128
	;; [unrolled: 1-line block ×4, first 2 shown]
	s_and_saveexec_b32 s27, s2
	s_cbranch_execz .LBB510_17
; %bb.25:                               ;   in Loop: Header=BB510_21 Depth=1
	s_clause 0x3
	flat_load_u16 v5, v[5:6] offset:192
	flat_load_u16 v6, v[7:8] offset:192
	;; [unrolled: 1-line block ×4, first 2 shown]
	s_waitcnt vmcnt(3) lgkmcnt(3)
	v_fma_mix_f32 v5, v37, v5, v14 op_sel_hi:[0,1,0]
	s_waitcnt vmcnt(2) lgkmcnt(2)
	s_delay_alu instid0(VALU_DEP_1) | instskip(SKIP_1) | instid1(VALU_DEP_1)
	v_fma_mix_f32 v5, v38, v6, v5 op_sel_hi:[0,1,0]
	s_waitcnt vmcnt(1) lgkmcnt(1)
	v_fma_mix_f32 v5, v39, v7, v5 op_sel_hi:[0,1,0]
	s_waitcnt vmcnt(0) lgkmcnt(0)
	s_delay_alu instid0(VALU_DEP_1)
	v_fma_mix_f32 v14, v40, v8, v5 op_sel_hi:[0,1,0]
	s_branch .LBB510_17
.LBB510_26:
	s_or_b32 exec_lo, exec_lo, s22
.LBB510_27:
	s_delay_alu instid0(SALU_CYCLE_1) | instskip(SKIP_1) | instid1(SALU_CYCLE_1)
	s_or_b32 exec_lo, exec_lo, s20
	s_sub_i32 s0, s5, s19
	s_cmp_lt_i32 s0, 1
	s_cbranch_scc1 .LBB510_45
; %bb.28:
	v_cmp_gt_i32_e32 vcc_lo, s5, v19
	v_dual_mov_b32 v10, 0 :: v_dual_mov_b32 v11, 0
	v_or_b32_e32 v2, 1, v19
	v_mov_b32_e32 v12, 0
	v_mov_b32_e32 v20, 0
	s_and_saveexec_b32 s1, vcc_lo
	s_cbranch_execz .LBB510_36
; %bb.29:
	s_waitcnt lgkmcnt(0)
	v_mul_lo_u32 v3, v19, s8
	v_dual_mov_b32 v12, 0 :: v_dual_mov_b32 v11, 0
	v_mov_b32_e32 v10, 0
	s_mov_b32 s2, exec_lo
	s_delay_alu instid0(VALU_DEP_3) | instskip(NEXT) | instid1(VALU_DEP_1)
	v_ashrrev_i32_e32 v4, 31, v3
	v_lshlrev_b64 v[3:4], 1, v[3:4]
	s_delay_alu instid0(VALU_DEP_1) | instskip(NEXT) | instid1(VALU_DEP_1)
	v_add_co_u32 v3, s0, s12, v3
	v_add_co_ci_u32_e64 v4, s0, s13, v4, s0
	flat_load_u16 v3, v[3:4]
	v_cmpx_gt_i32_e64 s5, v2
	s_cbranch_execz .LBB510_35
; %bb.30:
	v_mul_lo_u32 v4, v2, s8
	v_dual_mov_b32 v11, 0 :: v_dual_mov_b32 v10, 0
	s_mov_b32 s3, exec_lo
	s_delay_alu instid0(VALU_DEP_2) | instskip(NEXT) | instid1(VALU_DEP_1)
	v_ashrrev_i32_e32 v5, 31, v4
	v_lshlrev_b64 v[4:5], 1, v[4:5]
	s_delay_alu instid0(VALU_DEP_1) | instskip(NEXT) | instid1(VALU_DEP_1)
	v_add_co_u32 v4, s0, s12, v4
	v_add_co_ci_u32_e64 v5, s0, s13, v5, s0
	flat_load_u16 v4, v[4:5]
	v_or_b32_e32 v5, 2, v19
	s_delay_alu instid0(VALU_DEP_1)
	v_cmpx_gt_i32_e64 s5, v5
	s_cbranch_execz .LBB510_34
; %bb.31:
	v_mul_lo_u32 v5, v5, s8
	v_mov_b32_e32 v10, 0
	s_mov_b32 s19, exec_lo
	s_delay_alu instid0(VALU_DEP_2) | instskip(NEXT) | instid1(VALU_DEP_1)
	v_ashrrev_i32_e32 v6, 31, v5
	v_lshlrev_b64 v[5:6], 1, v[5:6]
	s_delay_alu instid0(VALU_DEP_1) | instskip(NEXT) | instid1(VALU_DEP_1)
	v_add_co_u32 v5, s0, s12, v5
	v_add_co_ci_u32_e64 v6, s0, s13, v6, s0
	flat_load_u16 v5, v[5:6]
	v_or_b32_e32 v6, 3, v19
	s_delay_alu instid0(VALU_DEP_1)
	v_cmpx_gt_i32_e64 s5, v6
	s_cbranch_execz .LBB510_33
; %bb.32:
	v_mul_lo_u32 v6, v6, s8
	s_delay_alu instid0(VALU_DEP_1) | instskip(NEXT) | instid1(VALU_DEP_1)
	v_ashrrev_i32_e32 v7, 31, v6
	v_lshlrev_b64 v[6:7], 1, v[6:7]
	s_delay_alu instid0(VALU_DEP_1) | instskip(NEXT) | instid1(VALU_DEP_1)
	v_add_co_u32 v6, s0, s12, v6
	v_add_co_ci_u32_e64 v7, s0, s13, v7, s0
	flat_load_u16 v6, v[6:7]
	s_waitcnt vmcnt(0) lgkmcnt(0)
	v_cvt_f32_f16_e32 v10, v6
.LBB510_33:
	s_or_b32 exec_lo, exec_lo, s19
	s_waitcnt vmcnt(0) lgkmcnt(0)
	v_cvt_f32_f16_e32 v11, v5
.LBB510_34:
	s_or_b32 exec_lo, exec_lo, s3
	s_waitcnt vmcnt(0) lgkmcnt(0)
	v_cvt_f32_f16_e32 v12, v4
.LBB510_35:
	s_or_b32 exec_lo, exec_lo, s2
	s_waitcnt vmcnt(0) lgkmcnt(0)
	v_cvt_f32_f16_e32 v20, v3
.LBB510_36:
	s_or_b32 exec_lo, exec_lo, s1
	s_delay_alu instid0(SALU_CYCLE_1)
	s_mov_b32 s1, exec_lo
	v_cmpx_gt_i32_e64 s4, v15
	s_cbranch_execz .LBB510_44
; %bb.37:
	s_waitcnt lgkmcnt(0)
	v_mul_lo_u32 v3, v19, s18
	v_or_b32_e32 v6, 3, v19
	v_or_b32_e32 v4, 2, v19
	v_mul_lo_u32 v5, v2, s18
	s_mov_b32 s0, exec_lo
	s_delay_alu instid0(VALU_DEP_3) | instskip(NEXT) | instid1(VALU_DEP_3)
	v_mul_lo_u32 v8, v6, s18
	v_mul_lo_u32 v7, v4, s18
	v_cndmask_b32_e32 v3, 0, v3, vcc_lo
	v_cmp_gt_i32_e32 vcc_lo, s5, v2
	v_cndmask_b32_e32 v5, 0, v5, vcc_lo
	v_cmp_gt_i32_e32 vcc_lo, s5, v4
	;; [unrolled: 2-line block ×3, first 2 shown]
	s_delay_alu instid0(VALU_DEP_2) | instskip(SKIP_3) | instid1(VALU_DEP_4)
	v_add_nc_u32_e32 v6, v7, v15
	v_cndmask_b32_e32 v8, 0, v8, vcc_lo
	v_add_nc_u32_e32 v2, v3, v15
	v_add_nc_u32_e32 v4, v5, v15
	v_ashrrev_i32_e32 v7, 31, v6
	s_delay_alu instid0(VALU_DEP_4) | instskip(NEXT) | instid1(VALU_DEP_4)
	v_add_nc_u32_e32 v8, v8, v15
	v_ashrrev_i32_e32 v3, 31, v2
	s_delay_alu instid0(VALU_DEP_4) | instskip(NEXT) | instid1(VALU_DEP_4)
	v_ashrrev_i32_e32 v5, 31, v4
	v_lshlrev_b64 v[6:7], 1, v[6:7]
	s_delay_alu instid0(VALU_DEP_4) | instskip(NEXT) | instid1(VALU_DEP_4)
	v_ashrrev_i32_e32 v9, 31, v8
	v_lshlrev_b64 v[2:3], 1, v[2:3]
	s_delay_alu instid0(VALU_DEP_4) | instskip(NEXT) | instid1(VALU_DEP_3)
	v_lshlrev_b64 v[4:5], 1, v[4:5]
	v_lshlrev_b64 v[8:9], 1, v[8:9]
	s_delay_alu instid0(VALU_DEP_3) | instskip(NEXT) | instid1(VALU_DEP_4)
	v_add_co_u32 v2, vcc_lo, s6, v2
	v_add_co_ci_u32_e32 v3, vcc_lo, s7, v3, vcc_lo
	s_delay_alu instid0(VALU_DEP_4)
	v_add_co_u32 v4, vcc_lo, s6, v4
	v_add_co_ci_u32_e32 v5, vcc_lo, s7, v5, vcc_lo
	flat_load_u16 v21, v[2:3]
	v_add_co_u32 v6, vcc_lo, s6, v6
	v_add_co_ci_u32_e32 v7, vcc_lo, s7, v7, vcc_lo
	s_clause 0x1
	flat_load_u16 v22, v[4:5]
	flat_load_u16 v23, v[6:7]
	v_add_co_u32 v8, vcc_lo, s6, v8
	v_add_co_ci_u32_e32 v9, vcc_lo, s7, v9, vcc_lo
	flat_load_u16 v19, v[8:9]
	s_waitcnt vmcnt(3) lgkmcnt(3)
	v_fma_mix_f32 v18, v20, v21, v18 op_sel_hi:[0,1,0]
	v_add_nc_u32_e32 v21, 32, v15
	s_waitcnt vmcnt(2) lgkmcnt(2)
	s_delay_alu instid0(VALU_DEP_2) | instskip(SKIP_1) | instid1(VALU_DEP_1)
	v_fma_mix_f32 v18, v12, v22, v18 op_sel_hi:[0,1,0]
	s_waitcnt vmcnt(1) lgkmcnt(1)
	v_fma_mix_f32 v18, v11, v23, v18 op_sel_hi:[0,1,0]
	v_cmpx_gt_i32_e64 s4, v21
	s_cbranch_execz .LBB510_43
; %bb.38:
	s_clause 0x3
	flat_load_u16 v22, v[2:3] offset:64
	flat_load_u16 v23, v[4:5] offset:64
	;; [unrolled: 1-line block ×4, first 2 shown]
	s_mov_b32 s2, exec_lo
	s_waitcnt vmcnt(3) lgkmcnt(3)
	v_fma_mix_f32 v17, v20, v22, v17 op_sel_hi:[0,1,0]
	v_add_nc_u32_e32 v22, 64, v15
	s_waitcnt vmcnt(2) lgkmcnt(2)
	s_delay_alu instid0(VALU_DEP_2) | instskip(SKIP_1) | instid1(VALU_DEP_1)
	v_fma_mix_f32 v17, v12, v23, v17 op_sel_hi:[0,1,0]
	s_waitcnt vmcnt(1) lgkmcnt(1)
	v_fma_mix_f32 v17, v11, v24, v17 op_sel_hi:[0,1,0]
	v_cmpx_gt_i32_e64 s4, v22
	s_cbranch_execz .LBB510_42
; %bb.39:
	s_clause 0x3
	flat_load_u16 v23, v[2:3] offset:128
	flat_load_u16 v24, v[4:5] offset:128
	;; [unrolled: 1-line block ×4, first 2 shown]
	s_mov_b32 s3, exec_lo
	s_waitcnt vmcnt(3) lgkmcnt(3)
	v_fma_mix_f32 v16, v20, v23, v16 op_sel_hi:[0,1,0]
	v_add_nc_u32_e32 v23, 0x60, v15
	s_waitcnt vmcnt(2) lgkmcnt(2)
	s_delay_alu instid0(VALU_DEP_2) | instskip(SKIP_1) | instid1(VALU_DEP_1)
	v_fma_mix_f32 v16, v12, v24, v16 op_sel_hi:[0,1,0]
	s_waitcnt vmcnt(1) lgkmcnt(1)
	v_fma_mix_f32 v15, v11, v25, v16 op_sel_hi:[0,1,0]
	v_cmpx_gt_i32_e64 s4, v23
	s_cbranch_execz .LBB510_41
; %bb.40:
	s_clause 0x3
	flat_load_u16 v2, v[2:3] offset:192
	flat_load_u16 v3, v[4:5] offset:192
	;; [unrolled: 1-line block ×4, first 2 shown]
	s_waitcnt vmcnt(3) lgkmcnt(3)
	v_fma_mix_f32 v2, v20, v2, v14 op_sel_hi:[0,1,0]
	s_waitcnt vmcnt(2) lgkmcnt(2)
	s_delay_alu instid0(VALU_DEP_1) | instskip(SKIP_1) | instid1(VALU_DEP_1)
	v_fma_mix_f32 v2, v12, v3, v2 op_sel_hi:[0,1,0]
	s_waitcnt vmcnt(1) lgkmcnt(1)
	v_fma_mix_f32 v2, v11, v4, v2 op_sel_hi:[0,1,0]
	s_waitcnt vmcnt(0) lgkmcnt(0)
	s_delay_alu instid0(VALU_DEP_1)
	v_fma_mix_f32 v14, v10, v5, v2 op_sel_hi:[0,1,0]
.LBB510_41:
	s_or_b32 exec_lo, exec_lo, s3
	s_waitcnt vmcnt(0) lgkmcnt(0)
	v_fma_mix_f32 v16, v10, v22, v15 op_sel_hi:[0,1,0]
.LBB510_42:
	s_or_b32 exec_lo, exec_lo, s2
	s_waitcnt vmcnt(0) lgkmcnt(0)
	v_fma_mix_f32 v17, v10, v21, v17 op_sel_hi:[0,1,0]
.LBB510_43:
	s_or_b32 exec_lo, exec_lo, s0
	s_waitcnt vmcnt(0) lgkmcnt(0)
	v_fma_mix_f32 v18, v10, v19, v18 op_sel_hi:[0,1,0]
.LBB510_44:
	s_or_b32 exec_lo, exec_lo, s1
.LBB510_45:
	v_lshlrev_b32_e32 v2, 7, v13
	s_mov_b32 s0, exec_lo
                                        ; implicit-def: $vgpr3
                                        ; implicit-def: $vgpr4_vgpr5
	s_delay_alu instid0(VALU_DEP_1)
	v_add_lshl_u32 v1, v2, v1, 2
	ds_store_2addr_b32 v1, v18, v17 offset1:32
	ds_store_2addr_b32 v1, v16, v14 offset0:64 offset1:96
	s_waitcnt lgkmcnt(0)
	s_barrier
	buffer_gl0_inv
	v_cmpx_gt_u32_e32 0x80, v0
	s_cbranch_execz .LBB510_51
; %bb.46:
	v_lshlrev_b32_e32 v7, 2, v0
	s_mov_b32 s2, s11
	s_mov_b32 s1, exec_lo
	ds_load_2addr_stride64_b32 v[1:2], v7 offset1:2
	ds_load_2addr_stride64_b32 v[3:4], v7 offset0:4 offset1:6
	ds_load_2addr_stride64_b32 v[5:6], v7 offset0:8 offset1:10
	s_waitcnt lgkmcnt(2)
	v_add_f32_e32 v8, v1, v2
	ds_load_2addr_stride64_b32 v[1:2], v7 offset0:12 offset1:14
	s_waitcnt lgkmcnt(2)
	v_add_f32_e32 v3, v3, v8
	s_delay_alu instid0(VALU_DEP_1) | instskip(SKIP_3) | instid1(VALU_DEP_1)
	v_add_f32_e32 v8, v4, v3
	ds_load_2addr_stride64_b32 v[3:4], v7 offset0:16 offset1:18
	s_waitcnt lgkmcnt(2)
	v_add_f32_e32 v5, v5, v8
	v_add_f32_e32 v8, v6, v5
	ds_load_2addr_stride64_b32 v[5:6], v7 offset0:20 offset1:22
	s_waitcnt lgkmcnt(2)
	v_add_f32_e32 v1, v1, v8
	s_delay_alu instid0(VALU_DEP_1) | instskip(SKIP_1) | instid1(VALU_DEP_1)
	v_add_f32_e32 v1, v2, v1
	s_waitcnt lgkmcnt(1)
	v_add_f32_e32 v3, v3, v1
	ds_load_2addr_stride64_b32 v[1:2], v7 offset0:24 offset1:26
	v_add_f32_e32 v3, v4, v3
	s_waitcnt lgkmcnt(1)
	s_delay_alu instid0(VALU_DEP_1) | instskip(SKIP_3) | instid1(VALU_DEP_1)
	v_add_f32_e32 v5, v5, v3
	ds_load_2addr_stride64_b32 v[3:4], v7 offset0:28 offset1:30
	v_add_f32_e32 v5, v6, v5
	s_waitcnt lgkmcnt(1)
	v_add_f32_e32 v1, v1, v5
	s_delay_alu instid0(VALU_DEP_1) | instskip(SKIP_1) | instid1(VALU_DEP_1)
	v_add_f32_e32 v1, v2, v1
	s_waitcnt lgkmcnt(0)
	v_add_f32_e32 v2, v3, v1
	v_or_b32_e32 v1, s14, v0
                                        ; implicit-def: $vgpr3
	s_delay_alu instid0(VALU_DEP_2)
	v_add_f32_e32 v0, v4, v2
                                        ; implicit-def: $vgpr4_vgpr5
	ds_store_b32 v7, v0
	v_cmpx_gt_i32_e64 s4, v1
	s_cbranch_execz .LBB510_50
; %bb.47:
	v_mul_lo_u32 v4, v1, s17
	v_cmp_eq_f32_e64 s2, s15, 0
	v_mul_f32_e32 v3, s16, v0
	s_delay_alu instid0(VALU_DEP_2) | instskip(NEXT) | instid1(VALU_DEP_3)
	s_and_b32 vcc_lo, exec_lo, s2
	v_ashrrev_i32_e32 v5, 31, v4
	s_cbranch_vccnz .LBB510_49
; %bb.48:
	s_delay_alu instid0(VALU_DEP_1) | instskip(NEXT) | instid1(VALU_DEP_1)
	v_lshlrev_b64 v[0:1], 2, v[4:5]
	v_add_co_u32 v0, vcc_lo, s9, v0
	s_delay_alu instid0(VALU_DEP_2)
	v_add_co_ci_u32_e32 v1, vcc_lo, s10, v1, vcc_lo
	global_load_b32 v0, v[0:1], off
	s_waitcnt vmcnt(0)
	v_fmac_f32_e32 v3, s15, v0
.LBB510_49:
	s_or_b32 s2, s11, exec_lo
.LBB510_50:
	s_or_b32 exec_lo, exec_lo, s1
	s_delay_alu instid0(SALU_CYCLE_1) | instskip(SKIP_1) | instid1(SALU_CYCLE_1)
	s_and_not1_b32 s1, s11, exec_lo
	s_and_b32 s2, s2, exec_lo
	s_or_b32 s11, s1, s2
.LBB510_51:
	s_or_b32 exec_lo, exec_lo, s0
.LBB510_52:
	s_and_saveexec_b32 s0, s11
	s_cbranch_execz .LBB510_54
; %bb.53:
	v_lshlrev_b64 v[0:1], 2, v[4:5]
	s_delay_alu instid0(VALU_DEP_1) | instskip(NEXT) | instid1(VALU_DEP_2)
	v_add_co_u32 v0, vcc_lo, s9, v0
	v_add_co_ci_u32_e32 v1, vcc_lo, s10, v1, vcc_lo
	global_store_b32 v[0:1], v3, off
.LBB510_54:
	s_nop 0
	s_sendmsg sendmsg(MSG_DEALLOC_VGPRS)
	s_endpgm
	.section	.rodata,"a",@progbits
	.p2align	6, 0x0
	.amdhsa_kernel _ZL20rocblas_gemvn_kernelILi32ELi16EiPKDF16_PKfKPfEviiT3_lPKT2_lT1_lS9_lSA_lS6_lPT4_lSA_li
		.amdhsa_group_segment_fixed_size 8192
		.amdhsa_private_segment_fixed_size 0
		.amdhsa_kernarg_size 400
		.amdhsa_user_sgpr_count 14
		.amdhsa_user_sgpr_dispatch_ptr 0
		.amdhsa_user_sgpr_queue_ptr 0
		.amdhsa_user_sgpr_kernarg_segment_ptr 1
		.amdhsa_user_sgpr_dispatch_id 0
		.amdhsa_user_sgpr_private_segment_size 0
		.amdhsa_wavefront_size32 1
		.amdhsa_uses_dynamic_stack 0
		.amdhsa_enable_private_segment 0
		.amdhsa_system_sgpr_workgroup_id_x 1
		.amdhsa_system_sgpr_workgroup_id_y 0
		.amdhsa_system_sgpr_workgroup_id_z 1
		.amdhsa_system_sgpr_workgroup_info 0
		.amdhsa_system_vgpr_workitem_id 1
		.amdhsa_next_free_vgpr 45
		.amdhsa_next_free_sgpr 28
		.amdhsa_reserve_vcc 1
		.amdhsa_float_round_mode_32 0
		.amdhsa_float_round_mode_16_64 0
		.amdhsa_float_denorm_mode_32 3
		.amdhsa_float_denorm_mode_16_64 3
		.amdhsa_dx10_clamp 1
		.amdhsa_ieee_mode 1
		.amdhsa_fp16_overflow 0
		.amdhsa_workgroup_processor_mode 1
		.amdhsa_memory_ordered 1
		.amdhsa_forward_progress 0
		.amdhsa_shared_vgpr_count 0
		.amdhsa_exception_fp_ieee_invalid_op 0
		.amdhsa_exception_fp_denorm_src 0
		.amdhsa_exception_fp_ieee_div_zero 0
		.amdhsa_exception_fp_ieee_overflow 0
		.amdhsa_exception_fp_ieee_underflow 0
		.amdhsa_exception_fp_ieee_inexact 0
		.amdhsa_exception_int_div_zero 0
	.end_amdhsa_kernel
	.section	.text._ZL20rocblas_gemvn_kernelILi32ELi16EiPKDF16_PKfKPfEviiT3_lPKT2_lT1_lS9_lSA_lS6_lPT4_lSA_li,"axG",@progbits,_ZL20rocblas_gemvn_kernelILi32ELi16EiPKDF16_PKfKPfEviiT3_lPKT2_lT1_lS9_lSA_lS6_lPT4_lSA_li,comdat
.Lfunc_end510:
	.size	_ZL20rocblas_gemvn_kernelILi32ELi16EiPKDF16_PKfKPfEviiT3_lPKT2_lT1_lS9_lSA_lS6_lPT4_lSA_li, .Lfunc_end510-_ZL20rocblas_gemvn_kernelILi32ELi16EiPKDF16_PKfKPfEviiT3_lPKT2_lT1_lS9_lSA_lS6_lPT4_lSA_li
                                        ; -- End function
	.section	.AMDGPU.csdata,"",@progbits
; Kernel info:
; codeLenInByte = 3220
; NumSgprs: 30
; NumVgprs: 45
; ScratchSize: 0
; MemoryBound: 0
; FloatMode: 240
; IeeeMode: 1
; LDSByteSize: 8192 bytes/workgroup (compile time only)
; SGPRBlocks: 3
; VGPRBlocks: 5
; NumSGPRsForWavesPerEU: 30
; NumVGPRsForWavesPerEU: 45
; Occupancy: 16
; WaveLimiterHint : 1
; COMPUTE_PGM_RSRC2:SCRATCH_EN: 0
; COMPUTE_PGM_RSRC2:USER_SGPR: 14
; COMPUTE_PGM_RSRC2:TRAP_HANDLER: 0
; COMPUTE_PGM_RSRC2:TGID_X_EN: 1
; COMPUTE_PGM_RSRC2:TGID_Y_EN: 0
; COMPUTE_PGM_RSRC2:TGID_Z_EN: 1
; COMPUTE_PGM_RSRC2:TIDIG_COMP_CNT: 1
	.section	.text._ZL20rocblas_gemvn_kernelILi32ELi16ElPKDF16_PKfKPfEviiT3_lPKT2_lT1_lS9_lSA_lS6_lPT4_lSA_li,"axG",@progbits,_ZL20rocblas_gemvn_kernelILi32ELi16ElPKDF16_PKfKPfEviiT3_lPKT2_lT1_lS9_lSA_lS6_lPT4_lSA_li,comdat
	.globl	_ZL20rocblas_gemvn_kernelILi32ELi16ElPKDF16_PKfKPfEviiT3_lPKT2_lT1_lS9_lSA_lS6_lPT4_lSA_li ; -- Begin function _ZL20rocblas_gemvn_kernelILi32ELi16ElPKDF16_PKfKPfEviiT3_lPKT2_lT1_lS9_lSA_lS6_lPT4_lSA_li
	.p2align	8
	.type	_ZL20rocblas_gemvn_kernelILi32ELi16ElPKDF16_PKfKPfEviiT3_lPKT2_lT1_lS9_lSA_lS6_lPT4_lSA_li,@function
_ZL20rocblas_gemvn_kernelILi32ELi16ElPKDF16_PKfKPfEviiT3_lPKT2_lT1_lS9_lSA_lS6_lPT4_lSA_li: ; @_ZL20rocblas_gemvn_kernelILi32ELi16ElPKDF16_PKfKPfEviiT3_lPKT2_lT1_lS9_lSA_lS6_lPT4_lSA_li
; %bb.0:
	s_load_b64 s[4:5], s[0:1], 0x9c
	s_waitcnt lgkmcnt(0)
	s_lshr_b32 s3, s4, 16
	s_and_b32 s4, s4, 0xffff
	s_and_b32 s5, s5, 0xffff
	s_mul_i32 s3, s3, s4
	s_delay_alu instid0(SALU_CYCLE_1) | instskip(NEXT) | instid1(SALU_CYCLE_1)
	s_mul_i32 s3, s3, s5
	s_cmpk_lg_i32 s3, 0x200
	s_cbranch_scc1 .LBB511_54
; %bb.1:
	s_clause 0x1
	s_load_b256 s[16:23], s[0:1], 0x8
	s_load_b256 s[4:11], s[0:1], 0x58
	s_mov_b32 s2, s15
	s_waitcnt lgkmcnt(0)
	s_mul_i32 s3, s15, s19
	s_mul_hi_u32 s13, s15, s18
	s_mul_i32 s12, s15, s18
	s_add_i32 s13, s13, s3
	s_mul_i32 s3, s15, s7
	s_lshl_b64 s[12:13], s[12:13], 2
	s_mul_hi_u32 s7, s15, s6
	s_add_u32 s12, s16, s12
	s_addc_u32 s13, s17, s13
	s_add_i32 s7, s7, s3
	s_mul_i32 s6, s15, s6
	s_delay_alu instid0(SALU_CYCLE_1) | instskip(NEXT) | instid1(SALU_CYCLE_1)
	s_lshl_b64 s[6:7], s[6:7], 2
	s_add_u32 s4, s4, s6
	s_addc_u32 s5, s5, s7
	s_load_b32 s27, s[12:13], 0x0
	s_load_b32 s26, s[4:5], 0x0
	s_waitcnt lgkmcnt(0)
	v_cmp_eq_f32_e64 s15, s27, 0
	v_cmp_eq_f32_e64 s3, s26, 1.0
	s_delay_alu instid0(VALU_DEP_1) | instskip(NEXT) | instid1(SALU_CYCLE_1)
	s_and_b32 s3, s15, s3
	s_and_b32 vcc_lo, exec_lo, s3
	s_mov_b32 s3, 0
	s_cbranch_vccnz .LBB511_54
; %bb.2:
	s_clause 0x1
	s_load_b64 s[16:17], s[0:1], 0x28
	s_load_b64 s[12:13], s[0:1], 0x78
	v_cmp_neq_f32_e64 s28, s27, 0
	s_mov_b64 s[24:25], 0
	s_and_b32 vcc_lo, exec_lo, s15
	s_mov_b64 s[18:19], 0
	s_cbranch_vccnz .LBB511_4
; %bb.3:
	s_lshl_b64 s[4:5], s[2:3], 3
	s_delay_alu instid0(SALU_CYCLE_1)
	s_add_u32 s4, s20, s4
	s_addc_u32 s5, s21, s5
	s_lshl_b64 s[6:7], s[22:23], 1
	s_load_b64 s[4:5], s[4:5], 0x0
	s_waitcnt lgkmcnt(0)
	s_add_u32 s18, s4, s6
	s_addc_u32 s19, s5, s7
.LBB511_4:
	s_clause 0x1
	s_load_b128 s[4:7], s[0:1], 0x38
	s_load_b64 s[20:21], s[0:1], 0x48
	s_and_not1_b32 vcc_lo, exec_lo, s28
	s_cbranch_vccnz .LBB511_6
; %bb.5:
	s_lshl_b64 s[22:23], s[2:3], 3
	s_waitcnt lgkmcnt(0)
	s_add_u32 s4, s4, s22
	s_addc_u32 s5, s5, s23
	s_lshl_b64 s[6:7], s[6:7], 1
	s_load_b64 s[4:5], s[4:5], 0x0
	s_waitcnt lgkmcnt(0)
	s_add_u32 s24, s4, s6
	s_addc_u32 s25, s5, s7
.LBB511_6:
	s_lshl_b64 s[2:3], s[2:3], 3
	v_and_b32_e32 v20, 0x3ff, v0
	s_add_u32 s2, s8, s2
	s_addc_u32 s3, s9, s3
	v_bfe_u32 v21, v0, 10, 10
	s_load_b64 s[2:3], s[2:3], 0x0
	s_waitcnt lgkmcnt(0)
	s_load_b64 s[6:7], s[0:1], 0x0
	s_lshl_b64 s[8:9], s[10:11], 2
	v_lshl_add_u32 v19, v21, 5, v20
	s_delay_alu instid0(VALU_DEP_1)
	v_cmp_gt_u32_e64 s0, 0x80, v19
	s_add_u32 s5, s2, s8
	s_addc_u32 s22, s3, s9
	s_and_not1_b32 vcc_lo, exec_lo, s15
	s_cbranch_vccnz .LBB511_13
; %bb.7:
	s_mov_b32 s1, 0
	s_mov_b32 s23, 0
                                        ; implicit-def: $vgpr1
                                        ; implicit-def: $vgpr2_vgpr3
	s_and_saveexec_b32 s2, s0
	s_cbranch_execz .LBB511_14
; %bb.8:
	v_lshl_or_b32 v0, s14, 7, v19
	v_mov_b32_e32 v1, 0
	s_waitcnt lgkmcnt(0)
	s_ashr_i32 s9, s6, 31
	s_mov_b32 s8, s6
	s_mov_b32 s3, 0
	s_mov_b32 s0, exec_lo
                                        ; implicit-def: $vgpr2_vgpr3
	v_cmpx_gt_i64_e64 s[8:9], v[0:1]
	s_cbranch_execz .LBB511_12
; %bb.9:
	v_mad_u64_u32 v[2:3], null, v0, s12, 0
	v_cmp_eq_f32_e64 s3, s26, 0
	s_delay_alu instid0(VALU_DEP_1) | instskip(NEXT) | instid1(VALU_DEP_2)
	s_and_b32 vcc_lo, exec_lo, s3
	v_mad_u64_u32 v[4:5], null, v0, s13, v[3:4]
	s_delay_alu instid0(VALU_DEP_1)
	v_mov_b32_e32 v3, v4
	s_cbranch_vccnz .LBB511_11
; %bb.10:
	s_delay_alu instid0(VALU_DEP_1) | instskip(NEXT) | instid1(VALU_DEP_1)
	v_lshlrev_b64 v[0:1], 2, v[2:3]
	v_add_co_u32 v0, vcc_lo, s5, v0
	s_delay_alu instid0(VALU_DEP_2)
	v_add_co_ci_u32_e32 v1, vcc_lo, s22, v1, vcc_lo
	global_load_b32 v0, v[0:1], off
	s_waitcnt vmcnt(0)
	v_mul_f32_e32 v1, s26, v0
.LBB511_11:
	s_mov_b32 s3, exec_lo
.LBB511_12:
	s_or_b32 exec_lo, exec_lo, s0
	s_delay_alu instid0(SALU_CYCLE_1) | instskip(SKIP_1) | instid1(SALU_CYCLE_1)
	s_and_b32 s23, s3, exec_lo
	s_or_b32 exec_lo, exec_lo, s2
	s_and_b32 vcc_lo, exec_lo, s1
	s_cbranch_vccnz .LBB511_15
	s_branch .LBB511_52
.LBB511_13:
	s_mov_b32 s23, 0
                                        ; implicit-def: $vgpr1
                                        ; implicit-def: $vgpr2_vgpr3
	s_cbranch_execnz .LBB511_15
	s_branch .LBB511_52
.LBB511_14:
	s_or_b32 exec_lo, exec_lo, s2
	s_delay_alu instid0(SALU_CYCLE_1)
	s_and_b32 vcc_lo, exec_lo, s1
	s_cbranch_vccz .LBB511_52
.LBB511_15:
	s_waitcnt lgkmcnt(0)
	s_ashr_i32 s0, s7, 31
	s_lshl_b32 s28, s14, 7
	s_lshr_b32 s0, s0, 26
	v_dual_mov_b32 v26, 0 :: v_dual_lshlrev_b32 v23, 2, v21
	v_dual_mov_b32 v25, 0 :: v_dual_add_nc_u32 v0, s28, v20
	v_mov_b32_e32 v24, 0
	v_mov_b32_e32 v22, 0
	s_add_i32 s29, s7, s0
	s_mov_b32 s30, exec_lo
	s_and_not1_b32 s29, s29, 63
	s_delay_alu instid0(SALU_CYCLE_1)
	v_cmpx_gt_i32_e64 s29, v23
	s_cbranch_execz .LBB511_27
; %bb.16:
	v_lshlrev_b32_e32 v22, 2, v21
	v_mad_u64_u32 v[5:6], null, s20, v21, 0
	v_add_nc_u32_e32 v10, 0x60, v0
	v_mad_u64_u32 v[7:8], null, s16, v21, 0
	s_delay_alu instid0(VALU_DEP_4) | instskip(SKIP_1) | instid1(VALU_DEP_4)
	v_or_b32_e32 v29, 3, v22
	v_or_b32_e32 v31, 2, v22
	v_cmp_gt_i32_e64 s2, s6, v10
	v_ashrrev_i32_e32 v1, 31, v0
	v_cmp_gt_i32_e32 vcc_lo, s6, v0
	v_mad_u64_u32 v[3:4], null, s16, v29, 0
	v_mad_u64_u32 v[16:17], null, s20, v29, 0
	v_add_nc_u32_e32 v2, 32, v0
	v_add_nc_u32_e32 v9, 64, v0
	v_mad_u64_u32 v[14:15], null, s16, v31, 0
	v_mad_u64_u32 v[35:36], null, s20, v31, 0
	s_delay_alu instid0(VALU_DEP_4)
	v_cmp_gt_i32_e64 s0, s6, v2
	v_mov_b32_e32 v2, v4
	v_mov_b32_e32 v4, v6
	v_cmp_gt_i32_e64 s1, s6, v9
	v_mov_b32_e32 v6, v8
	s_lshl_b64 s[8:9], s[16:17], 7
	v_mad_u64_u32 v[9:10], null, s17, v29, v[2:3]
	v_mad_u64_u32 v[10:11], null, s21, v21, v[4:5]
	s_delay_alu instid0(VALU_DEP_3) | instskip(SKIP_2) | instid1(VALU_DEP_4)
	v_mad_u64_u32 v[11:12], null, s17, v21, v[6:7]
	v_lshlrev_b64 v[1:2], 1, v[0:1]
	s_lshl_b64 s[10:11], s[20:21], 7
	v_mov_b32_e32 v4, v9
	s_mov_b32 s31, 0
	s_delay_alu instid0(VALU_DEP_4) | instskip(SKIP_1) | instid1(VALU_DEP_4)
	v_mov_b32_e32 v6, v10
	s_mov_b64 s[14:15], s[24:25]
	v_mov_b32_e32 v8, v11
	v_lshlrev_b64 v[9:10], 1, v[3:4]
	s_delay_alu instid0(VALU_DEP_3) | instskip(SKIP_2) | instid1(VALU_DEP_4)
	v_lshlrev_b64 v[3:4], 3, v[5:6]
	v_mov_b32_e32 v5, v15
	v_mad_u64_u32 v[12:13], null, s20, v22, s[20:21]
	v_add_co_u32 v27, s3, s18, v9
	s_delay_alu instid0(VALU_DEP_1) | instskip(SKIP_1) | instid1(VALU_DEP_4)
	v_add_co_ci_u32_e64 v28, s3, s19, v10, s3
	v_mad_u64_u32 v[9:10], null, s16, v22, s[16:17]
	v_mov_b32_e32 v6, v13
	v_lshlrev_b64 v[7:8], 3, v[7:8]
	s_delay_alu instid0(VALU_DEP_2) | instskip(SKIP_1) | instid1(VALU_DEP_3)
	v_mad_u64_u32 v[24:25], null, s17, v31, v[5:6]
	v_mov_b32_e32 v5, v17
	v_mad_u64_u32 v[17:18], null, s21, v22, v[6:7]
	s_delay_alu instid0(VALU_DEP_2) | instskip(SKIP_2) | instid1(VALU_DEP_4)
	v_mad_u64_u32 v[25:26], null, s21, v29, v[5:6]
	v_mov_b32_e32 v5, v10
	v_mov_b32_e32 v15, v24
	;; [unrolled: 1-line block ×3, first 2 shown]
	v_add_co_u32 v29, s3, s18, v7
	s_delay_alu instid0(VALU_DEP_4) | instskip(SKIP_4) | instid1(VALU_DEP_4)
	v_mad_u64_u32 v[10:11], null, s17, v22, v[5:6]
	v_mov_b32_e32 v5, v36
	v_mov_b32_e32 v17, v25
	v_lshlrev_b64 v[14:15], 1, v[14:15]
	v_add_co_ci_u32_e64 v30, s3, s19, v8, s3
	v_mad_u64_u32 v[24:25], null, s21, v31, v[5:6]
	v_mov_b32_e32 v25, 0
	v_lshlrev_b64 v[9:10], 1, v[9:10]
	v_add_co_u32 v31, s3, s18, v14
	s_delay_alu instid0(VALU_DEP_1) | instskip(SKIP_1) | instid1(VALU_DEP_4)
	v_add_co_ci_u32_e64 v32, s3, s19, v15, s3
	v_mov_b32_e32 v36, v24
	v_add_co_u32 v33, s3, s18, v9
	v_lshlrev_b64 v[5:6], 1, v[12:13]
	v_lshlrev_b64 v[7:8], 1, v[16:17]
	v_add_co_ci_u32_e64 v34, s3, s19, v10, s3
	v_lshlrev_b64 v[9:10], 1, v[35:36]
	v_mov_b32_e32 v26, 0
	v_mov_b32_e32 v24, 0
	;; [unrolled: 1-line block ×3, first 2 shown]
	s_branch .LBB511_21
.LBB511_17:                             ;   in Loop: Header=BB511_21 Depth=1
	s_or_b32 exec_lo, exec_lo, s34
	s_waitcnt vmcnt(3) lgkmcnt(3)
	v_fma_mix_f32 v11, v47, v51, v24 op_sel_hi:[0,1,0]
	s_waitcnt vmcnt(2) lgkmcnt(2)
	s_delay_alu instid0(VALU_DEP_1) | instskip(SKIP_1) | instid1(VALU_DEP_1)
	v_fma_mix_f32 v11, v48, v52, v11 op_sel_hi:[0,1,0]
	s_waitcnt vmcnt(1) lgkmcnt(1)
	v_fma_mix_f32 v11, v49, v53, v11 op_sel_hi:[0,1,0]
	s_waitcnt vmcnt(0) lgkmcnt(0)
	s_delay_alu instid0(VALU_DEP_1)
	v_fma_mix_f32 v24, v50, v54, v11 op_sel_hi:[0,1,0]
.LBB511_18:                             ;   in Loop: Header=BB511_21 Depth=1
	s_or_b32 exec_lo, exec_lo, s33
	s_waitcnt vmcnt(3) lgkmcnt(3)
	v_fma_mix_f32 v11, v47, v43, v25 op_sel_hi:[0,1,0]
	s_waitcnt vmcnt(2) lgkmcnt(2)
	s_delay_alu instid0(VALU_DEP_1) | instskip(SKIP_1) | instid1(VALU_DEP_1)
	v_fma_mix_f32 v11, v48, v44, v11 op_sel_hi:[0,1,0]
	s_waitcnt vmcnt(1) lgkmcnt(1)
	v_fma_mix_f32 v11, v49, v45, v11 op_sel_hi:[0,1,0]
	s_waitcnt vmcnt(0) lgkmcnt(0)
	s_delay_alu instid0(VALU_DEP_1)
	v_fma_mix_f32 v25, v50, v46, v11 op_sel_hi:[0,1,0]
.LBB511_19:                             ;   in Loop: Header=BB511_21 Depth=1
	s_or_b32 exec_lo, exec_lo, s3
	s_waitcnt vmcnt(3) lgkmcnt(3)
	v_fma_mix_f32 v11, v35, v39, v26 op_sel_hi:[1,1,0]
	s_waitcnt vmcnt(2) lgkmcnt(2)
	s_delay_alu instid0(VALU_DEP_1) | instskip(SKIP_1) | instid1(VALU_DEP_1)
	v_fma_mix_f32 v11, v36, v40, v11 op_sel_hi:[1,1,0]
	s_waitcnt vmcnt(1) lgkmcnt(1)
	v_fma_mix_f32 v11, v37, v41, v11 op_sel_hi:[1,1,0]
	s_waitcnt vmcnt(0) lgkmcnt(0)
	s_delay_alu instid0(VALU_DEP_1)
	v_fma_mix_f32 v26, v38, v42, v11 op_sel_hi:[1,1,0]
.LBB511_20:                             ;   in Loop: Header=BB511_21 Depth=1
	s_or_b32 exec_lo, exec_lo, s4
	v_add_co_u32 v27, s3, v27, s8
	s_delay_alu instid0(VALU_DEP_1) | instskip(SKIP_4) | instid1(VALU_DEP_1)
	v_add_co_ci_u32_e64 v28, s3, s9, v28, s3
	v_add_co_u32 v29, s3, v29, s8
	v_add_nc_u32_e32 v23, 64, v23
	v_add_co_ci_u32_e64 v30, s3, s9, v30, s3
	v_add_co_u32 v31, s3, v31, s8
	v_add_co_ci_u32_e64 v32, s3, s9, v32, s3
	s_delay_alu instid0(VALU_DEP_4) | instskip(SKIP_1) | instid1(VALU_DEP_1)
	v_cmp_le_i32_e64 s3, s29, v23
	v_add_co_u32 v33, s4, v33, s8
	v_add_co_ci_u32_e64 v34, s4, s9, v34, s4
	s_add_u32 s14, s14, s10
	s_addc_u32 s15, s15, s11
	s_or_b32 s31, s3, s31
	s_delay_alu instid0(SALU_CYCLE_1)
	s_and_not1_b32 exec_lo, exec_lo, s31
	s_cbranch_execz .LBB511_26
.LBB511_21:                             ; =>This Inner Loop Header: Depth=1
	s_and_saveexec_b32 s4, vcc_lo
	s_cbranch_execz .LBB511_20
; %bb.22:                               ;   in Loop: Header=BB511_21 Depth=1
	v_add_co_u32 v35, s3, s14, v3
	s_delay_alu instid0(VALU_DEP_1) | instskip(SKIP_1) | instid1(VALU_DEP_1)
	v_add_co_ci_u32_e64 v36, s3, s15, v4, s3
	v_add_co_u32 v37, s3, s14, v5
	v_add_co_ci_u32_e64 v38, s3, s15, v6, s3
	v_add_co_u32 v39, s3, s14, v9
	s_delay_alu instid0(VALU_DEP_1) | instskip(SKIP_1) | instid1(VALU_DEP_1)
	v_add_co_ci_u32_e64 v40, s3, s15, v10, s3
	v_add_co_u32 v41, s3, s14, v7
	v_add_co_ci_u32_e64 v42, s3, s15, v8, s3
	;; [unrolled: 5-line block ×4, first 2 shown]
	s_clause 0x3
	flat_load_u16 v35, v[35:36]
	flat_load_u16 v36, v[37:38]
	;; [unrolled: 1-line block ×8, first 2 shown]
	s_and_saveexec_b32 s3, s0
	s_cbranch_execz .LBB511_19
; %bb.23:                               ;   in Loop: Header=BB511_21 Depth=1
	flat_load_u16 v43, v[11:12] offset:64
	flat_load_u16 v44, v[13:14] offset:64
	;; [unrolled: 1-line block ×4, first 2 shown]
	s_waitcnt vmcnt(11) lgkmcnt(11)
	v_cvt_f32_f16_e32 v47, v35
	s_waitcnt vmcnt(10) lgkmcnt(10)
	v_cvt_f32_f16_e32 v48, v36
	;; [unrolled: 2-line block ×4, first 2 shown]
	s_and_saveexec_b32 s33, s1
	s_cbranch_execz .LBB511_18
; %bb.24:                               ;   in Loop: Header=BB511_21 Depth=1
	flat_load_u16 v51, v[11:12] offset:128
	flat_load_u16 v52, v[13:14] offset:128
	;; [unrolled: 1-line block ×4, first 2 shown]
	s_and_saveexec_b32 s34, s2
	s_cbranch_execz .LBB511_17
; %bb.25:                               ;   in Loop: Header=BB511_21 Depth=1
	flat_load_u16 v11, v[11:12] offset:192
	flat_load_u16 v12, v[13:14] offset:192
	;; [unrolled: 1-line block ×4, first 2 shown]
	s_waitcnt vmcnt(3) lgkmcnt(3)
	v_fma_mix_f32 v11, v47, v11, v22 op_sel_hi:[0,1,0]
	s_waitcnt vmcnt(2) lgkmcnt(2)
	s_delay_alu instid0(VALU_DEP_1) | instskip(SKIP_1) | instid1(VALU_DEP_1)
	v_fma_mix_f32 v11, v48, v12, v11 op_sel_hi:[0,1,0]
	s_waitcnt vmcnt(1) lgkmcnt(1)
	v_fma_mix_f32 v11, v49, v13, v11 op_sel_hi:[0,1,0]
	s_waitcnt vmcnt(0) lgkmcnt(0)
	s_delay_alu instid0(VALU_DEP_1)
	v_fma_mix_f32 v22, v50, v14, v11 op_sel_hi:[0,1,0]
	s_branch .LBB511_17
.LBB511_26:
	s_or_b32 exec_lo, exec_lo, s31
.LBB511_27:
	s_delay_alu instid0(SALU_CYCLE_1) | instskip(SKIP_1) | instid1(SALU_CYCLE_1)
	s_or_b32 exec_lo, exec_lo, s30
	s_sub_i32 s0, s7, s29
	s_cmp_lt_i32 s0, 1
	s_cbranch_scc1 .LBB511_45
; %bb.28:
	v_cmp_gt_i32_e32 vcc_lo, s7, v23
	v_dual_mov_b32 v9, 0 :: v_dual_mov_b32 v10, 0
	v_or_b32_e32 v2, 1, v23
	v_dual_mov_b32 v11, 0 :: v_dual_mov_b32 v12, 0
	s_and_saveexec_b32 s1, vcc_lo
	s_cbranch_execz .LBB511_36
; %bb.29:
	v_mad_u64_u32 v[3:4], null, v23, s20, 0
	v_mov_b32_e32 v11, 0
	v_mov_b32_e32 v9, 0
	s_mov_b32 s2, exec_lo
	s_delay_alu instid0(VALU_DEP_3) | instskip(NEXT) | instid1(VALU_DEP_1)
	v_dual_mov_b32 v10, 0 :: v_dual_mov_b32 v1, v4
	v_mad_u64_u32 v[4:5], null, v23, s21, v[1:2]
	s_delay_alu instid0(VALU_DEP_1) | instskip(NEXT) | instid1(VALU_DEP_1)
	v_lshlrev_b64 v[3:4], 1, v[3:4]
	v_add_co_u32 v3, s0, s24, v3
	s_delay_alu instid0(VALU_DEP_1)
	v_add_co_ci_u32_e64 v4, s0, s25, v4, s0
	flat_load_u16 v1, v[3:4]
	v_cmpx_gt_i32_e64 s7, v2
	s_cbranch_execz .LBB511_35
; %bb.30:
	v_mad_u64_u32 v[3:4], null, v2, s20, 0
	v_mov_b32_e32 v10, 0
	s_mov_b32 s3, exec_lo
	v_mov_b32_e32 v9, 0
	s_delay_alu instid0(VALU_DEP_3) | instskip(NEXT) | instid1(VALU_DEP_1)
	v_mad_u64_u32 v[5:6], null, v2, s21, v[4:5]
	v_mov_b32_e32 v4, v5
	s_delay_alu instid0(VALU_DEP_1) | instskip(NEXT) | instid1(VALU_DEP_1)
	v_lshlrev_b64 v[3:4], 1, v[3:4]
	v_add_co_u32 v3, s0, s24, v3
	s_delay_alu instid0(VALU_DEP_1) | instskip(SKIP_2) | instid1(VALU_DEP_1)
	v_add_co_ci_u32_e64 v4, s0, s25, v4, s0
	flat_load_u16 v3, v[3:4]
	v_or_b32_e32 v4, 2, v23
	v_cmpx_gt_i32_e64 s7, v4
	s_cbranch_execz .LBB511_34
; %bb.31:
	v_mad_u64_u32 v[5:6], null, v4, s20, 0
	s_mov_b32 s4, exec_lo
	v_mov_b32_e32 v9, 0
	s_delay_alu instid0(VALU_DEP_2) | instskip(NEXT) | instid1(VALU_DEP_1)
	v_mad_u64_u32 v[7:8], null, v4, s21, v[6:7]
	v_mov_b32_e32 v6, v7
	s_delay_alu instid0(VALU_DEP_1) | instskip(NEXT) | instid1(VALU_DEP_1)
	v_lshlrev_b64 v[4:5], 1, v[5:6]
	v_add_co_u32 v4, s0, s24, v4
	s_delay_alu instid0(VALU_DEP_1) | instskip(SKIP_2) | instid1(VALU_DEP_1)
	v_add_co_ci_u32_e64 v5, s0, s25, v5, s0
	flat_load_u16 v4, v[4:5]
	v_or_b32_e32 v5, 3, v23
	v_cmpx_gt_i32_e64 s7, v5
	s_cbranch_execz .LBB511_33
; %bb.32:
	v_mad_u64_u32 v[6:7], null, v5, s20, 0
	s_delay_alu instid0(VALU_DEP_1) | instskip(NEXT) | instid1(VALU_DEP_1)
	v_mad_u64_u32 v[8:9], null, v5, s21, v[7:8]
	v_mov_b32_e32 v7, v8
	s_delay_alu instid0(VALU_DEP_1) | instskip(NEXT) | instid1(VALU_DEP_1)
	v_lshlrev_b64 v[5:6], 1, v[6:7]
	v_add_co_u32 v5, s0, s24, v5
	s_delay_alu instid0(VALU_DEP_1)
	v_add_co_ci_u32_e64 v6, s0, s25, v6, s0
	flat_load_u16 v5, v[5:6]
	s_waitcnt vmcnt(0) lgkmcnt(0)
	v_cvt_f32_f16_e32 v9, v5
.LBB511_33:
	s_or_b32 exec_lo, exec_lo, s4
	s_waitcnt vmcnt(0) lgkmcnt(0)
	v_cvt_f32_f16_e32 v10, v4
.LBB511_34:
	s_or_b32 exec_lo, exec_lo, s3
	s_waitcnt vmcnt(0) lgkmcnt(0)
	v_cvt_f32_f16_e32 v11, v3
.LBB511_35:
	s_or_b32 exec_lo, exec_lo, s2
	s_waitcnt vmcnt(0) lgkmcnt(0)
	v_cvt_f32_f16_e32 v12, v1
.LBB511_36:
	s_or_b32 exec_lo, exec_lo, s1
	s_delay_alu instid0(SALU_CYCLE_1)
	s_mov_b32 s1, exec_lo
	v_cmpx_gt_i32_e64 s6, v0
	s_cbranch_execz .LBB511_44
; %bb.37:
	v_mad_u64_u32 v[3:4], null, v23, s16, 0
	v_mad_u64_u32 v[5:6], null, v2, s16, 0
	v_or_b32_e32 v29, 2, v23
	v_ashrrev_i32_e32 v1, 31, v0
	v_or_b32_e32 v30, 3, v23
	v_cndmask_b32_e32 v3, 0, v3, vcc_lo
	s_delay_alu instid0(VALU_DEP_4)
	v_cmp_gt_i32_e64 s0, s7, v29
	v_mad_u64_u32 v[13:14], null, v23, s17, v[4:5]
	v_mad_u64_u32 v[14:15], null, v29, s16, 0
	v_lshlrev_b64 v[7:8], 1, v[0:1]
	v_mov_b32_e32 v1, v6
	v_mad_u64_u32 v[16:17], null, v30, s16, 0
	v_cndmask_b32_e32 v4, 0, v13, vcc_lo
	v_cmp_gt_i32_e32 vcc_lo, s7, v2
	s_delay_alu instid0(VALU_DEP_4)
	v_mad_u64_u32 v[27:28], null, v2, s17, v[1:2]
	v_mov_b32_e32 v1, v15
	v_cndmask_b32_e64 v13, 0, v14, s0
	v_mov_b32_e32 v6, v17
	v_cndmask_b32_e32 v2, 0, v5, vcc_lo
	v_lshlrev_b64 v[4:5], 1, v[3:4]
	s_delay_alu instid0(VALU_DEP_2) | instskip(NEXT) | instid1(VALU_DEP_1)
	v_mad_u64_u32 v[17:18], null, v29, s17, v[1:2]
	v_cndmask_b32_e64 v14, 0, v17, s0
	v_mad_u64_u32 v[17:18], null, v30, s17, v[6:7]
	v_cndmask_b32_e32 v3, 0, v27, vcc_lo
	v_add_co_u32 v1, vcc_lo, s18, v4
	v_add_co_ci_u32_e32 v5, vcc_lo, s19, v5, vcc_lo
	s_delay_alu instid0(VALU_DEP_3) | instskip(NEXT) | instid1(VALU_DEP_3)
	v_lshlrev_b64 v[3:4], 1, v[2:3]
	v_add_co_u32 v1, vcc_lo, v1, v7
	s_delay_alu instid0(VALU_DEP_3) | instskip(SKIP_1) | instid1(VALU_DEP_4)
	v_add_co_ci_u32_e32 v2, vcc_lo, v5, v8, vcc_lo
	v_lshlrev_b64 v[5:6], 1, v[13:14]
	v_add_co_u32 v3, vcc_lo, s18, v3
	v_add_co_ci_u32_e32 v4, vcc_lo, s19, v4, vcc_lo
	s_mov_b32 s0, exec_lo
	s_delay_alu instid0(VALU_DEP_2) | instskip(NEXT) | instid1(VALU_DEP_2)
	v_add_co_u32 v3, vcc_lo, v3, v7
	v_add_co_ci_u32_e32 v4, vcc_lo, v4, v8, vcc_lo
	v_cmp_gt_i32_e32 vcc_lo, s7, v30
	s_clause 0x1
	flat_load_u16 v15, v[1:2]
	flat_load_u16 v18, v[3:4]
	v_dual_cndmask_b32 v14, 0, v17 :: v_dual_cndmask_b32 v13, 0, v16
	v_add_co_u32 v5, vcc_lo, s18, v5
	v_add_co_ci_u32_e32 v6, vcc_lo, s19, v6, vcc_lo
	s_delay_alu instid0(VALU_DEP_3) | instskip(NEXT) | instid1(VALU_DEP_3)
	v_lshlrev_b64 v[13:14], 1, v[13:14]
	v_add_co_u32 v5, vcc_lo, v5, v7
	s_delay_alu instid0(VALU_DEP_3) | instskip(NEXT) | instid1(VALU_DEP_3)
	v_add_co_ci_u32_e32 v6, vcc_lo, v6, v8, vcc_lo
	v_add_co_u32 v13, vcc_lo, s18, v13
	s_delay_alu instid0(VALU_DEP_4)
	v_add_co_ci_u32_e32 v14, vcc_lo, s19, v14, vcc_lo
	flat_load_u16 v16, v[5:6]
	v_add_co_u32 v7, vcc_lo, v13, v7
	v_add_co_ci_u32_e32 v8, vcc_lo, v14, v8, vcc_lo
	flat_load_u16 v13, v[7:8]
	s_waitcnt vmcnt(3) lgkmcnt(3)
	v_fma_mix_f32 v14, v12, v15, v26 op_sel_hi:[0,1,0]
	v_add_nc_u32_e32 v15, 32, v0
	s_waitcnt vmcnt(2) lgkmcnt(2)
	s_delay_alu instid0(VALU_DEP_2) | instskip(SKIP_1) | instid1(VALU_DEP_1)
	v_fma_mix_f32 v14, v11, v18, v14 op_sel_hi:[0,1,0]
	s_waitcnt vmcnt(1) lgkmcnt(1)
	v_fma_mix_f32 v14, v10, v16, v14 op_sel_hi:[0,1,0]
	v_cmpx_gt_i32_e64 s6, v15
	s_cbranch_execz .LBB511_43
; %bb.38:
	s_clause 0x3
	flat_load_u16 v16, v[1:2] offset:64
	flat_load_u16 v17, v[3:4] offset:64
	;; [unrolled: 1-line block ×4, first 2 shown]
	s_mov_b32 s2, exec_lo
	s_waitcnt vmcnt(3) lgkmcnt(3)
	v_fma_mix_f32 v16, v12, v16, v25 op_sel_hi:[0,1,0]
	s_waitcnt vmcnt(2) lgkmcnt(2)
	s_delay_alu instid0(VALU_DEP_1) | instskip(SKIP_2) | instid1(VALU_DEP_2)
	v_fma_mix_f32 v16, v11, v17, v16 op_sel_hi:[0,1,0]
	v_add_nc_u32_e32 v17, 64, v0
	s_waitcnt vmcnt(1) lgkmcnt(1)
	v_fma_mix_f32 v16, v10, v18, v16 op_sel_hi:[0,1,0]
	s_delay_alu instid0(VALU_DEP_2)
	v_cmpx_gt_i32_e64 s6, v17
	s_cbranch_execz .LBB511_42
; %bb.39:
	s_clause 0x3
	flat_load_u16 v18, v[1:2] offset:128
	flat_load_u16 v23, v[3:4] offset:128
	;; [unrolled: 1-line block ×4, first 2 shown]
	s_mov_b32 s3, exec_lo
	s_waitcnt vmcnt(3) lgkmcnt(3)
	v_fma_mix_f32 v18, v12, v18, v24 op_sel_hi:[0,1,0]
	s_waitcnt vmcnt(2) lgkmcnt(2)
	s_delay_alu instid0(VALU_DEP_1) | instskip(SKIP_2) | instid1(VALU_DEP_2)
	v_fma_mix_f32 v18, v11, v23, v18 op_sel_hi:[0,1,0]
	v_add_nc_u32_e32 v23, 0x60, v0
	s_waitcnt vmcnt(1) lgkmcnt(1)
	v_fma_mix_f32 v0, v10, v25, v18 op_sel_hi:[0,1,0]
	s_delay_alu instid0(VALU_DEP_2)
	v_cmpx_gt_i32_e64 s6, v23
	s_cbranch_execz .LBB511_41
; %bb.40:
	s_clause 0x3
	flat_load_u16 v1, v[1:2] offset:192
	flat_load_u16 v2, v[3:4] offset:192
	;; [unrolled: 1-line block ×4, first 2 shown]
	s_waitcnt vmcnt(3) lgkmcnt(3)
	v_fma_mix_f32 v1, v12, v1, v22 op_sel_hi:[0,1,0]
	s_waitcnt vmcnt(2) lgkmcnt(2)
	s_delay_alu instid0(VALU_DEP_1) | instskip(SKIP_1) | instid1(VALU_DEP_1)
	v_fma_mix_f32 v1, v11, v2, v1 op_sel_hi:[0,1,0]
	s_waitcnt vmcnt(1) lgkmcnt(1)
	v_fma_mix_f32 v1, v10, v3, v1 op_sel_hi:[0,1,0]
	s_waitcnt vmcnt(0) lgkmcnt(0)
	s_delay_alu instid0(VALU_DEP_1)
	v_fma_mix_f32 v22, v9, v4, v1 op_sel_hi:[0,1,0]
.LBB511_41:
	s_or_b32 exec_lo, exec_lo, s3
	s_waitcnt vmcnt(0) lgkmcnt(0)
	v_fma_mix_f32 v24, v9, v17, v0 op_sel_hi:[0,1,0]
.LBB511_42:
	s_or_b32 exec_lo, exec_lo, s2
	s_waitcnt vmcnt(0) lgkmcnt(0)
	v_fma_mix_f32 v25, v9, v15, v16 op_sel_hi:[0,1,0]
.LBB511_43:
	s_or_b32 exec_lo, exec_lo, s0
	s_waitcnt vmcnt(0) lgkmcnt(0)
	v_fma_mix_f32 v26, v9, v13, v14 op_sel_hi:[0,1,0]
.LBB511_44:
	s_or_b32 exec_lo, exec_lo, s1
.LBB511_45:
	v_lshlrev_b32_e32 v0, 7, v21
	s_mov_b32 s0, exec_lo
                                        ; implicit-def: $vgpr1
                                        ; implicit-def: $vgpr2_vgpr3
	s_delay_alu instid0(VALU_DEP_1)
	v_add_lshl_u32 v0, v0, v20, 2
	ds_store_2addr_b32 v0, v26, v25 offset1:32
	ds_store_2addr_b32 v0, v24, v22 offset0:64 offset1:96
	s_waitcnt lgkmcnt(0)
	s_barrier
	buffer_gl0_inv
	v_cmpx_gt_u32_e32 0x80, v19
	s_cbranch_execz .LBB511_51
; %bb.46:
	v_lshlrev_b32_e32 v6, 2, v19
	s_mov_b32 s2, s23
	s_mov_b32 s1, exec_lo
	ds_load_2addr_stride64_b32 v[0:1], v6 offset1:2
	ds_load_2addr_stride64_b32 v[2:3], v6 offset0:4 offset1:6
	ds_load_2addr_stride64_b32 v[4:5], v6 offset0:8 offset1:10
	s_waitcnt lgkmcnt(2)
	v_add_f32_e32 v7, v0, v1
	ds_load_2addr_stride64_b32 v[0:1], v6 offset0:12 offset1:14
	s_waitcnt lgkmcnt(2)
	v_add_f32_e32 v2, v2, v7
	s_delay_alu instid0(VALU_DEP_1) | instskip(SKIP_3) | instid1(VALU_DEP_1)
	v_add_f32_e32 v7, v3, v2
	ds_load_2addr_stride64_b32 v[2:3], v6 offset0:16 offset1:18
	s_waitcnt lgkmcnt(2)
	v_add_f32_e32 v4, v4, v7
	v_add_f32_e32 v7, v5, v4
	ds_load_2addr_stride64_b32 v[4:5], v6 offset0:20 offset1:22
	s_waitcnt lgkmcnt(2)
	v_add_f32_e32 v0, v0, v7
	s_delay_alu instid0(VALU_DEP_1) | instskip(SKIP_1) | instid1(VALU_DEP_1)
	v_add_f32_e32 v0, v1, v0
	s_waitcnt lgkmcnt(1)
	v_add_f32_e32 v2, v2, v0
	ds_load_2addr_stride64_b32 v[0:1], v6 offset0:24 offset1:26
	v_add_f32_e32 v2, v3, v2
	s_waitcnt lgkmcnt(1)
	s_delay_alu instid0(VALU_DEP_1) | instskip(SKIP_3) | instid1(VALU_DEP_1)
	v_add_f32_e32 v4, v4, v2
	ds_load_2addr_stride64_b32 v[2:3], v6 offset0:28 offset1:30
	v_add_f32_e32 v4, v5, v4
	s_waitcnt lgkmcnt(1)
	v_add_f32_e32 v0, v0, v4
	v_or_b32_e32 v4, s28, v19
	s_delay_alu instid0(VALU_DEP_2) | instskip(SKIP_1) | instid1(VALU_DEP_1)
	v_add_f32_e32 v0, v1, v0
                                        ; implicit-def: $vgpr1
	s_waitcnt lgkmcnt(0)
	v_add_f32_e32 v0, v2, v0
	s_delay_alu instid0(VALU_DEP_1)
	v_add_f32_e32 v0, v3, v0
                                        ; implicit-def: $vgpr2_vgpr3
	ds_store_b32 v6, v0
	v_cmpx_gt_i32_e64 s6, v4
	s_cbranch_execz .LBB511_50
; %bb.47:
	v_ashrrev_i32_e32 v1, 31, v4
	v_mul_lo_u32 v5, v4, s13
	v_mad_u64_u32 v[2:3], null, v4, s12, 0
	v_cmp_eq_f32_e64 s2, s26, 0
	s_delay_alu instid0(VALU_DEP_4) | instskip(SKIP_1) | instid1(VALU_DEP_3)
	v_mul_lo_u32 v4, v1, s12
	v_mul_f32_e32 v1, s27, v0
	s_and_b32 vcc_lo, exec_lo, s2
	s_delay_alu instid0(VALU_DEP_2)
	v_add3_u32 v3, v3, v5, v4
	s_cbranch_vccnz .LBB511_49
; %bb.48:
	s_delay_alu instid0(VALU_DEP_1) | instskip(NEXT) | instid1(VALU_DEP_1)
	v_lshlrev_b64 v[4:5], 2, v[2:3]
	v_add_co_u32 v4, vcc_lo, s5, v4
	s_delay_alu instid0(VALU_DEP_2)
	v_add_co_ci_u32_e32 v5, vcc_lo, s22, v5, vcc_lo
	global_load_b32 v0, v[4:5], off
	s_waitcnt vmcnt(0)
	v_fmac_f32_e32 v1, s26, v0
.LBB511_49:
	s_or_b32 s2, s23, exec_lo
.LBB511_50:
	s_or_b32 exec_lo, exec_lo, s1
	s_delay_alu instid0(SALU_CYCLE_1) | instskip(SKIP_1) | instid1(SALU_CYCLE_1)
	s_and_not1_b32 s1, s23, exec_lo
	s_and_b32 s2, s2, exec_lo
	s_or_b32 s23, s1, s2
.LBB511_51:
	s_or_b32 exec_lo, exec_lo, s0
.LBB511_52:
	s_and_saveexec_b32 s0, s23
	s_cbranch_execz .LBB511_54
; %bb.53:
	v_lshlrev_b64 v[2:3], 2, v[2:3]
	s_delay_alu instid0(VALU_DEP_1) | instskip(NEXT) | instid1(VALU_DEP_2)
	v_add_co_u32 v2, vcc_lo, s5, v2
	v_add_co_ci_u32_e32 v3, vcc_lo, s22, v3, vcc_lo
	global_store_b32 v[2:3], v1, off
.LBB511_54:
	s_nop 0
	s_sendmsg sendmsg(MSG_DEALLOC_VGPRS)
	s_endpgm
	.section	.rodata,"a",@progbits
	.p2align	6, 0x0
	.amdhsa_kernel _ZL20rocblas_gemvn_kernelILi32ELi16ElPKDF16_PKfKPfEviiT3_lPKT2_lT1_lS9_lSA_lS6_lPT4_lSA_li
		.amdhsa_group_segment_fixed_size 8192
		.amdhsa_private_segment_fixed_size 0
		.amdhsa_kernarg_size 400
		.amdhsa_user_sgpr_count 14
		.amdhsa_user_sgpr_dispatch_ptr 0
		.amdhsa_user_sgpr_queue_ptr 0
		.amdhsa_user_sgpr_kernarg_segment_ptr 1
		.amdhsa_user_sgpr_dispatch_id 0
		.amdhsa_user_sgpr_private_segment_size 0
		.amdhsa_wavefront_size32 1
		.amdhsa_uses_dynamic_stack 0
		.amdhsa_enable_private_segment 0
		.amdhsa_system_sgpr_workgroup_id_x 1
		.amdhsa_system_sgpr_workgroup_id_y 0
		.amdhsa_system_sgpr_workgroup_id_z 1
		.amdhsa_system_sgpr_workgroup_info 0
		.amdhsa_system_vgpr_workitem_id 1
		.amdhsa_next_free_vgpr 55
		.amdhsa_next_free_sgpr 35
		.amdhsa_reserve_vcc 1
		.amdhsa_float_round_mode_32 0
		.amdhsa_float_round_mode_16_64 0
		.amdhsa_float_denorm_mode_32 3
		.amdhsa_float_denorm_mode_16_64 3
		.amdhsa_dx10_clamp 1
		.amdhsa_ieee_mode 1
		.amdhsa_fp16_overflow 0
		.amdhsa_workgroup_processor_mode 1
		.amdhsa_memory_ordered 1
		.amdhsa_forward_progress 0
		.amdhsa_shared_vgpr_count 0
		.amdhsa_exception_fp_ieee_invalid_op 0
		.amdhsa_exception_fp_denorm_src 0
		.amdhsa_exception_fp_ieee_div_zero 0
		.amdhsa_exception_fp_ieee_overflow 0
		.amdhsa_exception_fp_ieee_underflow 0
		.amdhsa_exception_fp_ieee_inexact 0
		.amdhsa_exception_int_div_zero 0
	.end_amdhsa_kernel
	.section	.text._ZL20rocblas_gemvn_kernelILi32ELi16ElPKDF16_PKfKPfEviiT3_lPKT2_lT1_lS9_lSA_lS6_lPT4_lSA_li,"axG",@progbits,_ZL20rocblas_gemvn_kernelILi32ELi16ElPKDF16_PKfKPfEviiT3_lPKT2_lT1_lS9_lSA_lS6_lPT4_lSA_li,comdat
.Lfunc_end511:
	.size	_ZL20rocblas_gemvn_kernelILi32ELi16ElPKDF16_PKfKPfEviiT3_lPKT2_lT1_lS9_lSA_lS6_lPT4_lSA_li, .Lfunc_end511-_ZL20rocblas_gemvn_kernelILi32ELi16ElPKDF16_PKfKPfEviiT3_lPKT2_lT1_lS9_lSA_lS6_lPT4_lSA_li
                                        ; -- End function
	.section	.AMDGPU.csdata,"",@progbits
; Kernel info:
; codeLenInByte = 3584
; NumSgprs: 37
; NumVgprs: 55
; ScratchSize: 0
; MemoryBound: 0
; FloatMode: 240
; IeeeMode: 1
; LDSByteSize: 8192 bytes/workgroup (compile time only)
; SGPRBlocks: 4
; VGPRBlocks: 6
; NumSGPRsForWavesPerEU: 37
; NumVGPRsForWavesPerEU: 55
; Occupancy: 16
; WaveLimiterHint : 1
; COMPUTE_PGM_RSRC2:SCRATCH_EN: 0
; COMPUTE_PGM_RSRC2:USER_SGPR: 14
; COMPUTE_PGM_RSRC2:TRAP_HANDLER: 0
; COMPUTE_PGM_RSRC2:TGID_X_EN: 1
; COMPUTE_PGM_RSRC2:TGID_Y_EN: 0
; COMPUTE_PGM_RSRC2:TGID_Z_EN: 1
; COMPUTE_PGM_RSRC2:TIDIG_COMP_CNT: 1
	.section	.text._ZL20rocblas_gemvn_kernelILi32ELi16EiPKDF16_fKPfEviiT3_lPKT2_lT1_lS7_lS8_lS4_lPT4_lS8_li,"axG",@progbits,_ZL20rocblas_gemvn_kernelILi32ELi16EiPKDF16_fKPfEviiT3_lPKT2_lT1_lS7_lS8_lS4_lPT4_lS8_li,comdat
	.globl	_ZL20rocblas_gemvn_kernelILi32ELi16EiPKDF16_fKPfEviiT3_lPKT2_lT1_lS7_lS8_lS4_lPT4_lS8_li ; -- Begin function _ZL20rocblas_gemvn_kernelILi32ELi16EiPKDF16_fKPfEviiT3_lPKT2_lT1_lS7_lS8_lS4_lPT4_lS8_li
	.p2align	8
	.type	_ZL20rocblas_gemvn_kernelILi32ELi16EiPKDF16_fKPfEviiT3_lPKT2_lT1_lS7_lS8_lS4_lPT4_lS8_li,@function
_ZL20rocblas_gemvn_kernelILi32ELi16EiPKDF16_fKPfEviiT3_lPKT2_lT1_lS7_lS8_lS4_lPT4_lS8_li: ; @_ZL20rocblas_gemvn_kernelILi32ELi16EiPKDF16_fKPfEviiT3_lPKT2_lT1_lS7_lS8_lS4_lPT4_lS8_li
; %bb.0:
	s_load_b64 s[4:5], s[0:1], 0x9c
	s_waitcnt lgkmcnt(0)
	s_lshr_b32 s3, s4, 16
	s_and_b32 s4, s4, 0xffff
	s_and_b32 s5, s5, 0xffff
	s_mul_i32 s3, s3, s4
	s_delay_alu instid0(SALU_CYCLE_1) | instskip(NEXT) | instid1(SALU_CYCLE_1)
	s_mul_i32 s3, s3, s5
	s_cmpk_lg_i32 s3, 0x200
	s_cbranch_scc1 .LBB512_57
; %bb.1:
	s_load_b128 s[4:7], s[0:1], 0x0
	s_waitcnt lgkmcnt(0)
	s_load_b32 s7, s[0:1], 0x58
	v_cmp_eq_f32_e64 s12, s6, 0
	s_waitcnt lgkmcnt(0)
	v_cmp_eq_f32_e64 s3, s7, 1.0
	s_delay_alu instid0(VALU_DEP_1) | instskip(NEXT) | instid1(SALU_CYCLE_1)
	s_and_b32 s3, s12, s3
	s_and_b32 vcc_lo, exec_lo, s3
	s_cbranch_vccnz .LBB512_57
; %bb.2:
	v_cmp_neq_f32_e64 s10, s6, 0
	s_mov_b32 s2, s15
	s_delay_alu instid0(VALU_DEP_1)
	s_and_b32 vcc_lo, exec_lo, s10
	s_cbranch_vccnz .LBB512_4
; %bb.3:
	s_mov_b32 s3, 0
	s_mov_b64 s[8:9], 0
	s_cbranch_execz .LBB512_5
	s_branch .LBB512_6
.LBB512_4:
	s_mov_b32 s3, -1
                                        ; implicit-def: $sgpr8_sgpr9
.LBB512_5:
	s_load_b128 s[16:19], s[0:1], 0x18
	s_mov_b32 s3, 0
	s_delay_alu instid0(SALU_CYCLE_1)
	s_lshl_b64 s[8:9], s[2:3], 3
	s_waitcnt lgkmcnt(0)
	s_add_u32 s8, s16, s8
	s_addc_u32 s9, s17, s9
	s_lshl_b64 s[16:17], s[18:19], 1
	s_load_b64 s[8:9], s[8:9], 0x0
	s_waitcnt lgkmcnt(0)
	s_add_u32 s8, s8, s16
	s_addc_u32 s9, s9, s17
.LBB512_6:
	s_and_not1_b32 vcc_lo, exec_lo, s10
	s_cbranch_vccnz .LBB512_8
; %bb.7:
	s_load_b128 s[16:19], s[0:1], 0x38
	s_lshl_b64 s[10:11], s[2:3], 3
	s_waitcnt lgkmcnt(0)
	s_add_u32 s10, s16, s10
	s_addc_u32 s11, s17, s11
	s_lshl_b64 s[16:17], s[18:19], 1
	s_load_b64 s[10:11], s[10:11], 0x0
	s_waitcnt lgkmcnt(0)
	s_add_u32 s10, s10, s16
	s_addc_u32 s11, s11, s17
	s_branch .LBB512_9
.LBB512_8:
	s_mov_b64 s[10:11], 0
.LBB512_9:
	s_clause 0x1
	s_load_b128 s[20:23], s[0:1], 0x68
	s_load_b32 s16, s[0:1], 0x78
	s_lshl_b64 s[2:3], s[2:3], 3
	v_and_b32_e32 v1, 0x3ff, v0
	v_bfe_u32 v13, v0, 10, 10
	s_delay_alu instid0(VALU_DEP_1)
	v_lshl_add_u32 v0, v13, 5, v1
	s_waitcnt lgkmcnt(0)
	s_add_u32 s2, s20, s2
	s_addc_u32 s3, s21, s3
	s_lshl_b64 s[20:21], s[22:23], 2
	s_load_b64 s[18:19], s[2:3], 0x0
	v_cmp_gt_u32_e64 s2, 0x80, v0
	s_waitcnt lgkmcnt(0)
	s_add_u32 s13, s18, s20
	s_addc_u32 s15, s19, s21
	s_and_not1_b32 vcc_lo, exec_lo, s12
	s_cbranch_vccnz .LBB512_16
; %bb.10:
	s_mov_b32 s3, 0
	s_mov_b32 s17, 0
                                        ; implicit-def: $vgpr3
                                        ; implicit-def: $vgpr4_vgpr5
	s_and_saveexec_b32 s12, s2
	s_cbranch_execz .LBB512_17
; %bb.11:
	v_lshl_or_b32 v2, s14, 7, v0
	v_mov_b32_e32 v3, 0
	s_ashr_i32 s19, s4, 31
	s_mov_b32 s18, s4
	s_mov_b32 s2, exec_lo
                                        ; implicit-def: $vgpr4_vgpr5
	s_delay_alu instid0(VALU_DEP_1)
	v_cmpx_gt_i64_e64 s[18:19], v[2:3]
	s_cbranch_execz .LBB512_15
; %bb.12:
	v_mad_u64_u32 v[4:5], null, s16, v2, 0
	s_ashr_i32 s17, s16, 31
	s_delay_alu instid0(VALU_DEP_1) | instid1(SALU_CYCLE_1)
	v_mad_u64_u32 v[6:7], null, s17, v2, v[5:6]
	v_cmp_eq_f32_e64 s17, s7, 0
	s_delay_alu instid0(VALU_DEP_1) | instskip(NEXT) | instid1(VALU_DEP_2)
	s_and_b32 vcc_lo, exec_lo, s17
	v_mov_b32_e32 v5, v6
	s_cbranch_vccnz .LBB512_14
; %bb.13:
	s_delay_alu instid0(VALU_DEP_1) | instskip(NEXT) | instid1(VALU_DEP_1)
	v_lshlrev_b64 v[2:3], 2, v[4:5]
	v_add_co_u32 v2, vcc_lo, s13, v2
	s_delay_alu instid0(VALU_DEP_2)
	v_add_co_ci_u32_e32 v3, vcc_lo, s15, v3, vcc_lo
	global_load_b32 v2, v[2:3], off
	s_waitcnt vmcnt(0)
	v_mul_f32_e32 v3, s7, v2
.LBB512_14:
	s_mov_b32 s17, exec_lo
.LBB512_15:
	s_or_b32 exec_lo, exec_lo, s2
	s_delay_alu instid0(SALU_CYCLE_1) | instskip(SKIP_1) | instid1(SALU_CYCLE_1)
	s_and_b32 s17, s17, exec_lo
	s_or_b32 exec_lo, exec_lo, s12
	s_and_b32 vcc_lo, exec_lo, s3
	s_cbranch_vccnz .LBB512_18
	s_branch .LBB512_55
.LBB512_16:
	s_mov_b32 s17, 0
                                        ; implicit-def: $vgpr3
                                        ; implicit-def: $vgpr4_vgpr5
	s_cbranch_execnz .LBB512_18
	s_branch .LBB512_55
.LBB512_17:
	s_or_b32 exec_lo, exec_lo, s12
	s_delay_alu instid0(SALU_CYCLE_1)
	s_and_b32 vcc_lo, exec_lo, s3
	s_cbranch_vccz .LBB512_55
.LBB512_18:
	s_clause 0x1
	s_load_b32 s18, s[0:1], 0x28
	s_load_b32 s12, s[0:1], 0x48
	s_ashr_i32 s0, s5, 31
	s_lshl_b32 s14, s14, 7
	s_lshr_b32 s0, s0, 26
	v_dual_mov_b32 v18, 0 :: v_dual_lshlrev_b32 v19, 2, v13
	v_dual_mov_b32 v16, 0 :: v_dual_add_nc_u32 v15, s14, v1
	v_dual_mov_b32 v17, 0 :: v_dual_mov_b32 v14, 0
	s_add_i32 s19, s5, s0
	s_mov_b32 s20, exec_lo
	s_and_not1_b32 s19, s19, 63
	s_delay_alu instid0(SALU_CYCLE_1)
	v_cmpx_gt_i32_e64 s19, v19
	s_cbranch_execz .LBB512_30
; %bb.19:
	s_waitcnt lgkmcnt(0)
	v_mul_lo_u32 v3, s18, v19
	v_dual_mov_b32 v17, 0 :: v_dual_add_nc_u32 v2, 32, v15
	v_add_nc_u32_e32 v6, 2, v19
	v_dual_mov_b32 v18, 0 :: v_dual_add_nc_u32 v5, 0x60, v15
	s_delay_alu instid0(VALU_DEP_3)
	v_cmp_gt_i32_e64 s0, s4, v2
	v_add_nc_u32_e32 v4, 64, v15
	v_add3_u32 v20, v3, s18, v1
	v_mad_u64_u32 v[2:3], null, s18, v6, v[1:2]
	v_cmp_gt_i32_e64 s2, s4, v5
	v_mul_lo_u32 v5, v13, s18
	v_dual_mov_b32 v16, 0 :: v_dual_add_nc_u32 v7, 3, v19
	v_mul_lo_u32 v8, v13, s12
	v_cmp_gt_i32_e64 s1, s4, v4
	v_mul_lo_u32 v22, s12, v6
	s_delay_alu instid0(VALU_DEP_4)
	v_mad_u64_u32 v[3:4], null, s18, v7, v[1:2]
	v_lshl_add_u32 v21, v5, 2, v1
	v_mad_u64_u32 v[4:5], null, s12, v19, s[12:13]
	v_mul_lo_u32 v23, s12, v7
	v_cmp_gt_i32_e32 vcc_lo, s4, v15
	v_lshlrev_b32_e32 v24, 2, v8
	v_mov_b32_e32 v14, 0
	s_lshl_b32 s21, s18, 6
	s_lshl_b32 s23, s12, 6
	s_mov_b32 s22, 0
	s_mov_b32 s24, 0
	s_branch .LBB512_24
.LBB512_20:                             ;   in Loop: Header=BB512_24 Depth=1
	s_or_b32 exec_lo, exec_lo, s27
	s_waitcnt vmcnt(3) lgkmcnt(3)
	v_fma_mix_f32 v5, v37, v41, v16 op_sel_hi:[0,1,0]
	s_waitcnt vmcnt(2) lgkmcnt(2)
	s_delay_alu instid0(VALU_DEP_1) | instskip(SKIP_1) | instid1(VALU_DEP_1)
	v_fma_mix_f32 v5, v38, v42, v5 op_sel_hi:[0,1,0]
	s_waitcnt vmcnt(1) lgkmcnt(1)
	v_fma_mix_f32 v5, v39, v43, v5 op_sel_hi:[0,1,0]
	s_waitcnt vmcnt(0) lgkmcnt(0)
	s_delay_alu instid0(VALU_DEP_1)
	v_fma_mix_f32 v16, v40, v44, v5 op_sel_hi:[0,1,0]
.LBB512_21:                             ;   in Loop: Header=BB512_24 Depth=1
	s_or_b32 exec_lo, exec_lo, s26
	s_waitcnt vmcnt(3) lgkmcnt(3)
	v_fma_mix_f32 v5, v37, v33, v17 op_sel_hi:[0,1,0]
	s_waitcnt vmcnt(2) lgkmcnt(2)
	s_delay_alu instid0(VALU_DEP_1) | instskip(SKIP_1) | instid1(VALU_DEP_1)
	v_fma_mix_f32 v5, v38, v34, v5 op_sel_hi:[0,1,0]
	s_waitcnt vmcnt(1) lgkmcnt(1)
	v_fma_mix_f32 v5, v39, v35, v5 op_sel_hi:[0,1,0]
	s_waitcnt vmcnt(0) lgkmcnt(0)
	s_delay_alu instid0(VALU_DEP_1)
	v_fma_mix_f32 v17, v40, v36, v5 op_sel_hi:[0,1,0]
.LBB512_22:                             ;   in Loop: Header=BB512_24 Depth=1
	s_or_b32 exec_lo, exec_lo, s3
	s_waitcnt vmcnt(3) lgkmcnt(3)
	v_fma_mix_f32 v5, v25, v29, v18 op_sel_hi:[1,1,0]
	s_waitcnt vmcnt(2) lgkmcnt(2)
	s_delay_alu instid0(VALU_DEP_1) | instskip(SKIP_1) | instid1(VALU_DEP_1)
	v_fma_mix_f32 v5, v26, v30, v5 op_sel_hi:[1,1,0]
	s_waitcnt vmcnt(1) lgkmcnt(1)
	v_fma_mix_f32 v5, v27, v31, v5 op_sel_hi:[1,1,0]
	s_waitcnt vmcnt(0) lgkmcnt(0)
	s_delay_alu instid0(VALU_DEP_1)
	v_fma_mix_f32 v18, v28, v32, v5 op_sel_hi:[1,1,0]
.LBB512_23:                             ;   in Loop: Header=BB512_24 Depth=1
	s_or_b32 exec_lo, exec_lo, s25
	v_add_nc_u32_e32 v19, 64, v19
	v_add_nc_u32_e32 v20, s21, v20
	;; [unrolled: 1-line block ×5, first 2 shown]
	v_cmp_le_i32_e64 s3, s19, v19
	s_add_i32 s24, s24, s23
	s_delay_alu instid0(VALU_DEP_1) | instskip(NEXT) | instid1(SALU_CYCLE_1)
	s_or_b32 s22, s3, s22
	s_and_not1_b32 exec_lo, exec_lo, s22
	s_cbranch_execz .LBB512_29
.LBB512_24:                             ; =>This Inner Loop Header: Depth=1
	s_and_saveexec_b32 s25, vcc_lo
	s_cbranch_execz .LBB512_23
; %bb.25:                               ;   in Loop: Header=BB512_24 Depth=1
	v_add_nc_u32_e32 v5, s24, v24
	v_add_nc_u32_e32 v7, s24, v4
	;; [unrolled: 1-line block ×5, first 2 shown]
	v_ashrrev_i32_e32 v6, 31, v5
	v_ashrrev_i32_e32 v8, 31, v7
	;; [unrolled: 1-line block ×5, first 2 shown]
	v_lshlrev_b64 v[5:6], 1, v[5:6]
	v_lshlrev_b64 v[7:8], 1, v[7:8]
	;; [unrolled: 1-line block ×3, first 2 shown]
	s_delay_alu instid0(VALU_DEP_3) | instskip(NEXT) | instid1(VALU_DEP_1)
	v_add_co_u32 v27, s3, s10, v5
	v_add_co_ci_u32_e64 v28, s3, s11, v6, s3
	s_delay_alu instid0(VALU_DEP_4)
	v_add_co_u32 v29, s3, s10, v7
	v_add_nc_u32_e32 v7, s14, v20
	v_add_co_ci_u32_e64 v30, s3, s11, v8, s3
	v_lshlrev_b64 v[5:6], 1, v[11:12]
	v_add_co_u32 v31, s3, s10, v9
	v_add_nc_u32_e32 v11, s14, v2
	v_add_co_ci_u32_e64 v32, s3, s11, v10, s3
	v_lshlrev_b64 v[9:10], 1, v[25:26]
	v_ashrrev_i32_e32 v8, 31, v7
	v_add_nc_u32_e32 v25, s14, v3
	v_add_co_u32 v33, s3, s10, v5
	v_ashrrev_i32_e32 v12, 31, v11
	v_add_co_ci_u32_e64 v34, s3, s11, v6, s3
	v_lshlrev_b64 v[7:8], 1, v[7:8]
	v_add_co_u32 v5, s3, s8, v9
	v_ashrrev_i32_e32 v26, 31, v25
	v_add_co_ci_u32_e64 v6, s3, s9, v10, s3
	v_lshlrev_b64 v[9:10], 1, v[11:12]
	v_add_co_u32 v7, s3, s8, v7
	s_delay_alu instid0(VALU_DEP_4) | instskip(SKIP_1) | instid1(VALU_DEP_4)
	v_lshlrev_b64 v[11:12], 1, v[25:26]
	v_add_co_ci_u32_e64 v8, s3, s9, v8, s3
	v_add_co_u32 v9, s3, s8, v9
	s_delay_alu instid0(VALU_DEP_1) | instskip(NEXT) | instid1(VALU_DEP_4)
	v_add_co_ci_u32_e64 v10, s3, s9, v10, s3
	v_add_co_u32 v11, s3, s8, v11
	s_delay_alu instid0(VALU_DEP_1)
	v_add_co_ci_u32_e64 v12, s3, s9, v12, s3
	s_clause 0x3
	flat_load_u16 v25, v[27:28]
	flat_load_u16 v26, v[29:30]
	;; [unrolled: 1-line block ×4, first 2 shown]
	s_clause 0x3
	flat_load_u16 v29, v[5:6]
	flat_load_u16 v30, v[7:8]
	;; [unrolled: 1-line block ×4, first 2 shown]
	s_and_saveexec_b32 s3, s0
	s_cbranch_execz .LBB512_22
; %bb.26:                               ;   in Loop: Header=BB512_24 Depth=1
	s_clause 0x3
	flat_load_u16 v33, v[5:6] offset:64
	flat_load_u16 v34, v[7:8] offset:64
	flat_load_u16 v35, v[9:10] offset:64
	flat_load_u16 v36, v[11:12] offset:64
	s_waitcnt vmcnt(11) lgkmcnt(11)
	v_cvt_f32_f16_e32 v37, v25
	s_waitcnt vmcnt(10) lgkmcnt(10)
	v_cvt_f32_f16_e32 v38, v26
	;; [unrolled: 2-line block ×4, first 2 shown]
	s_and_saveexec_b32 s26, s1
	s_cbranch_execz .LBB512_21
; %bb.27:                               ;   in Loop: Header=BB512_24 Depth=1
	s_clause 0x3
	flat_load_u16 v41, v[5:6] offset:128
	flat_load_u16 v42, v[7:8] offset:128
	;; [unrolled: 1-line block ×4, first 2 shown]
	s_and_saveexec_b32 s27, s2
	s_cbranch_execz .LBB512_20
; %bb.28:                               ;   in Loop: Header=BB512_24 Depth=1
	s_clause 0x3
	flat_load_u16 v5, v[5:6] offset:192
	flat_load_u16 v6, v[7:8] offset:192
	;; [unrolled: 1-line block ×4, first 2 shown]
	s_waitcnt vmcnt(3) lgkmcnt(3)
	v_fma_mix_f32 v5, v37, v5, v14 op_sel_hi:[0,1,0]
	s_waitcnt vmcnt(2) lgkmcnt(2)
	s_delay_alu instid0(VALU_DEP_1) | instskip(SKIP_1) | instid1(VALU_DEP_1)
	v_fma_mix_f32 v5, v38, v6, v5 op_sel_hi:[0,1,0]
	s_waitcnt vmcnt(1) lgkmcnt(1)
	v_fma_mix_f32 v5, v39, v7, v5 op_sel_hi:[0,1,0]
	s_waitcnt vmcnt(0) lgkmcnt(0)
	s_delay_alu instid0(VALU_DEP_1)
	v_fma_mix_f32 v14, v40, v8, v5 op_sel_hi:[0,1,0]
	s_branch .LBB512_20
.LBB512_29:
	s_or_b32 exec_lo, exec_lo, s22
.LBB512_30:
	s_delay_alu instid0(SALU_CYCLE_1) | instskip(SKIP_1) | instid1(SALU_CYCLE_1)
	s_or_b32 exec_lo, exec_lo, s20
	s_sub_i32 s0, s5, s19
	s_cmp_lt_i32 s0, 1
	s_cbranch_scc1 .LBB512_48
; %bb.31:
	v_cmp_gt_i32_e32 vcc_lo, s5, v19
	v_dual_mov_b32 v10, 0 :: v_dual_mov_b32 v11, 0
	v_or_b32_e32 v2, 1, v19
	v_mov_b32_e32 v12, 0
	v_mov_b32_e32 v20, 0
	s_and_saveexec_b32 s1, vcc_lo
	s_cbranch_execz .LBB512_39
; %bb.32:
	s_waitcnt lgkmcnt(0)
	v_mul_lo_u32 v3, v19, s12
	v_dual_mov_b32 v12, 0 :: v_dual_mov_b32 v11, 0
	v_mov_b32_e32 v10, 0
	s_mov_b32 s2, exec_lo
	s_delay_alu instid0(VALU_DEP_3) | instskip(NEXT) | instid1(VALU_DEP_1)
	v_ashrrev_i32_e32 v4, 31, v3
	v_lshlrev_b64 v[3:4], 1, v[3:4]
	s_delay_alu instid0(VALU_DEP_1) | instskip(NEXT) | instid1(VALU_DEP_1)
	v_add_co_u32 v3, s0, s10, v3
	v_add_co_ci_u32_e64 v4, s0, s11, v4, s0
	flat_load_u16 v3, v[3:4]
	v_cmpx_gt_i32_e64 s5, v2
	s_cbranch_execz .LBB512_38
; %bb.33:
	v_mul_lo_u32 v4, v2, s12
	v_dual_mov_b32 v11, 0 :: v_dual_mov_b32 v10, 0
	s_mov_b32 s3, exec_lo
	s_delay_alu instid0(VALU_DEP_2) | instskip(NEXT) | instid1(VALU_DEP_1)
	v_ashrrev_i32_e32 v5, 31, v4
	v_lshlrev_b64 v[4:5], 1, v[4:5]
	s_delay_alu instid0(VALU_DEP_1) | instskip(NEXT) | instid1(VALU_DEP_1)
	v_add_co_u32 v4, s0, s10, v4
	v_add_co_ci_u32_e64 v5, s0, s11, v5, s0
	flat_load_u16 v4, v[4:5]
	v_or_b32_e32 v5, 2, v19
	s_delay_alu instid0(VALU_DEP_1)
	v_cmpx_gt_i32_e64 s5, v5
	s_cbranch_execz .LBB512_37
; %bb.34:
	v_mul_lo_u32 v5, v5, s12
	v_mov_b32_e32 v10, 0
	s_mov_b32 s19, exec_lo
	s_delay_alu instid0(VALU_DEP_2) | instskip(NEXT) | instid1(VALU_DEP_1)
	v_ashrrev_i32_e32 v6, 31, v5
	v_lshlrev_b64 v[5:6], 1, v[5:6]
	s_delay_alu instid0(VALU_DEP_1) | instskip(NEXT) | instid1(VALU_DEP_1)
	v_add_co_u32 v5, s0, s10, v5
	v_add_co_ci_u32_e64 v6, s0, s11, v6, s0
	flat_load_u16 v5, v[5:6]
	v_or_b32_e32 v6, 3, v19
	s_delay_alu instid0(VALU_DEP_1)
	v_cmpx_gt_i32_e64 s5, v6
	s_cbranch_execz .LBB512_36
; %bb.35:
	v_mul_lo_u32 v6, v6, s12
	s_delay_alu instid0(VALU_DEP_1) | instskip(NEXT) | instid1(VALU_DEP_1)
	v_ashrrev_i32_e32 v7, 31, v6
	v_lshlrev_b64 v[6:7], 1, v[6:7]
	s_delay_alu instid0(VALU_DEP_1) | instskip(NEXT) | instid1(VALU_DEP_1)
	v_add_co_u32 v6, s0, s10, v6
	v_add_co_ci_u32_e64 v7, s0, s11, v7, s0
	flat_load_u16 v6, v[6:7]
	s_waitcnt vmcnt(0) lgkmcnt(0)
	v_cvt_f32_f16_e32 v10, v6
.LBB512_36:
	s_or_b32 exec_lo, exec_lo, s19
	s_waitcnt vmcnt(0) lgkmcnt(0)
	v_cvt_f32_f16_e32 v11, v5
.LBB512_37:
	s_or_b32 exec_lo, exec_lo, s3
	s_waitcnt vmcnt(0) lgkmcnt(0)
	v_cvt_f32_f16_e32 v12, v4
.LBB512_38:
	s_or_b32 exec_lo, exec_lo, s2
	s_waitcnt vmcnt(0) lgkmcnt(0)
	v_cvt_f32_f16_e32 v20, v3
.LBB512_39:
	s_or_b32 exec_lo, exec_lo, s1
	s_delay_alu instid0(SALU_CYCLE_1)
	s_mov_b32 s1, exec_lo
	v_cmpx_gt_i32_e64 s4, v15
	s_cbranch_execz .LBB512_47
; %bb.40:
	s_waitcnt lgkmcnt(0)
	v_mul_lo_u32 v3, v19, s18
	v_or_b32_e32 v6, 3, v19
	v_or_b32_e32 v4, 2, v19
	v_mul_lo_u32 v5, v2, s18
	s_mov_b32 s0, exec_lo
	s_delay_alu instid0(VALU_DEP_3) | instskip(NEXT) | instid1(VALU_DEP_3)
	v_mul_lo_u32 v8, v6, s18
	v_mul_lo_u32 v7, v4, s18
	v_cndmask_b32_e32 v3, 0, v3, vcc_lo
	v_cmp_gt_i32_e32 vcc_lo, s5, v2
	v_cndmask_b32_e32 v5, 0, v5, vcc_lo
	v_cmp_gt_i32_e32 vcc_lo, s5, v4
	;; [unrolled: 2-line block ×3, first 2 shown]
	s_delay_alu instid0(VALU_DEP_2) | instskip(SKIP_3) | instid1(VALU_DEP_4)
	v_add_nc_u32_e32 v6, v7, v15
	v_cndmask_b32_e32 v8, 0, v8, vcc_lo
	v_add_nc_u32_e32 v2, v3, v15
	v_add_nc_u32_e32 v4, v5, v15
	v_ashrrev_i32_e32 v7, 31, v6
	s_delay_alu instid0(VALU_DEP_4) | instskip(NEXT) | instid1(VALU_DEP_4)
	v_add_nc_u32_e32 v8, v8, v15
	v_ashrrev_i32_e32 v3, 31, v2
	s_delay_alu instid0(VALU_DEP_4) | instskip(NEXT) | instid1(VALU_DEP_4)
	v_ashrrev_i32_e32 v5, 31, v4
	v_lshlrev_b64 v[6:7], 1, v[6:7]
	s_delay_alu instid0(VALU_DEP_4) | instskip(NEXT) | instid1(VALU_DEP_4)
	v_ashrrev_i32_e32 v9, 31, v8
	v_lshlrev_b64 v[2:3], 1, v[2:3]
	s_delay_alu instid0(VALU_DEP_4) | instskip(NEXT) | instid1(VALU_DEP_3)
	v_lshlrev_b64 v[4:5], 1, v[4:5]
	v_lshlrev_b64 v[8:9], 1, v[8:9]
	s_delay_alu instid0(VALU_DEP_3) | instskip(NEXT) | instid1(VALU_DEP_4)
	v_add_co_u32 v2, vcc_lo, s8, v2
	v_add_co_ci_u32_e32 v3, vcc_lo, s9, v3, vcc_lo
	s_delay_alu instid0(VALU_DEP_4)
	v_add_co_u32 v4, vcc_lo, s8, v4
	v_add_co_ci_u32_e32 v5, vcc_lo, s9, v5, vcc_lo
	flat_load_u16 v21, v[2:3]
	v_add_co_u32 v6, vcc_lo, s8, v6
	v_add_co_ci_u32_e32 v7, vcc_lo, s9, v7, vcc_lo
	s_clause 0x1
	flat_load_u16 v22, v[4:5]
	flat_load_u16 v23, v[6:7]
	v_add_co_u32 v8, vcc_lo, s8, v8
	v_add_co_ci_u32_e32 v9, vcc_lo, s9, v9, vcc_lo
	flat_load_u16 v19, v[8:9]
	s_waitcnt vmcnt(3) lgkmcnt(3)
	v_fma_mix_f32 v18, v20, v21, v18 op_sel_hi:[0,1,0]
	v_add_nc_u32_e32 v21, 32, v15
	s_waitcnt vmcnt(2) lgkmcnt(2)
	s_delay_alu instid0(VALU_DEP_2) | instskip(SKIP_1) | instid1(VALU_DEP_1)
	v_fma_mix_f32 v18, v12, v22, v18 op_sel_hi:[0,1,0]
	s_waitcnt vmcnt(1) lgkmcnt(1)
	v_fma_mix_f32 v18, v11, v23, v18 op_sel_hi:[0,1,0]
	v_cmpx_gt_i32_e64 s4, v21
	s_cbranch_execz .LBB512_46
; %bb.41:
	s_clause 0x3
	flat_load_u16 v22, v[2:3] offset:64
	flat_load_u16 v23, v[4:5] offset:64
	;; [unrolled: 1-line block ×4, first 2 shown]
	s_mov_b32 s2, exec_lo
	s_waitcnt vmcnt(3) lgkmcnt(3)
	v_fma_mix_f32 v17, v20, v22, v17 op_sel_hi:[0,1,0]
	v_add_nc_u32_e32 v22, 64, v15
	s_waitcnt vmcnt(2) lgkmcnt(2)
	s_delay_alu instid0(VALU_DEP_2) | instskip(SKIP_1) | instid1(VALU_DEP_1)
	v_fma_mix_f32 v17, v12, v23, v17 op_sel_hi:[0,1,0]
	s_waitcnt vmcnt(1) lgkmcnt(1)
	v_fma_mix_f32 v17, v11, v24, v17 op_sel_hi:[0,1,0]
	v_cmpx_gt_i32_e64 s4, v22
	s_cbranch_execz .LBB512_45
; %bb.42:
	s_clause 0x3
	flat_load_u16 v23, v[2:3] offset:128
	flat_load_u16 v24, v[4:5] offset:128
	;; [unrolled: 1-line block ×4, first 2 shown]
	s_mov_b32 s3, exec_lo
	s_waitcnt vmcnt(3) lgkmcnt(3)
	v_fma_mix_f32 v16, v20, v23, v16 op_sel_hi:[0,1,0]
	v_add_nc_u32_e32 v23, 0x60, v15
	s_waitcnt vmcnt(2) lgkmcnt(2)
	s_delay_alu instid0(VALU_DEP_2) | instskip(SKIP_1) | instid1(VALU_DEP_1)
	v_fma_mix_f32 v16, v12, v24, v16 op_sel_hi:[0,1,0]
	s_waitcnt vmcnt(1) lgkmcnt(1)
	v_fma_mix_f32 v15, v11, v25, v16 op_sel_hi:[0,1,0]
	v_cmpx_gt_i32_e64 s4, v23
	s_cbranch_execz .LBB512_44
; %bb.43:
	s_clause 0x3
	flat_load_u16 v2, v[2:3] offset:192
	flat_load_u16 v3, v[4:5] offset:192
	;; [unrolled: 1-line block ×4, first 2 shown]
	s_waitcnt vmcnt(3) lgkmcnt(3)
	v_fma_mix_f32 v2, v20, v2, v14 op_sel_hi:[0,1,0]
	s_waitcnt vmcnt(2) lgkmcnt(2)
	s_delay_alu instid0(VALU_DEP_1) | instskip(SKIP_1) | instid1(VALU_DEP_1)
	v_fma_mix_f32 v2, v12, v3, v2 op_sel_hi:[0,1,0]
	s_waitcnt vmcnt(1) lgkmcnt(1)
	v_fma_mix_f32 v2, v11, v4, v2 op_sel_hi:[0,1,0]
	s_waitcnt vmcnt(0) lgkmcnt(0)
	s_delay_alu instid0(VALU_DEP_1)
	v_fma_mix_f32 v14, v10, v5, v2 op_sel_hi:[0,1,0]
.LBB512_44:
	s_or_b32 exec_lo, exec_lo, s3
	s_waitcnt vmcnt(0) lgkmcnt(0)
	v_fma_mix_f32 v16, v10, v22, v15 op_sel_hi:[0,1,0]
.LBB512_45:
	s_or_b32 exec_lo, exec_lo, s2
	s_waitcnt vmcnt(0) lgkmcnt(0)
	v_fma_mix_f32 v17, v10, v21, v17 op_sel_hi:[0,1,0]
.LBB512_46:
	s_or_b32 exec_lo, exec_lo, s0
	s_waitcnt vmcnt(0) lgkmcnt(0)
	v_fma_mix_f32 v18, v10, v19, v18 op_sel_hi:[0,1,0]
.LBB512_47:
	s_or_b32 exec_lo, exec_lo, s1
.LBB512_48:
	v_lshlrev_b32_e32 v2, 7, v13
	s_mov_b32 s0, exec_lo
                                        ; implicit-def: $vgpr3
                                        ; implicit-def: $vgpr4_vgpr5
	s_delay_alu instid0(VALU_DEP_1)
	v_add_lshl_u32 v1, v2, v1, 2
	ds_store_2addr_b32 v1, v18, v17 offset1:32
	ds_store_2addr_b32 v1, v16, v14 offset0:64 offset1:96
	s_waitcnt lgkmcnt(0)
	s_barrier
	buffer_gl0_inv
	v_cmpx_gt_u32_e32 0x80, v0
	s_cbranch_execz .LBB512_54
; %bb.49:
	v_lshlrev_b32_e32 v7, 2, v0
	s_mov_b32 s2, s17
	s_mov_b32 s1, exec_lo
	ds_load_2addr_stride64_b32 v[1:2], v7 offset1:2
	ds_load_2addr_stride64_b32 v[3:4], v7 offset0:4 offset1:6
	ds_load_2addr_stride64_b32 v[5:6], v7 offset0:8 offset1:10
	s_waitcnt lgkmcnt(2)
	v_add_f32_e32 v8, v1, v2
	ds_load_2addr_stride64_b32 v[1:2], v7 offset0:12 offset1:14
	s_waitcnt lgkmcnt(2)
	v_add_f32_e32 v3, v3, v8
	s_delay_alu instid0(VALU_DEP_1) | instskip(SKIP_3) | instid1(VALU_DEP_1)
	v_add_f32_e32 v8, v4, v3
	ds_load_2addr_stride64_b32 v[3:4], v7 offset0:16 offset1:18
	s_waitcnt lgkmcnt(2)
	v_add_f32_e32 v5, v5, v8
	v_add_f32_e32 v8, v6, v5
	ds_load_2addr_stride64_b32 v[5:6], v7 offset0:20 offset1:22
	s_waitcnt lgkmcnt(2)
	v_add_f32_e32 v1, v1, v8
	s_delay_alu instid0(VALU_DEP_1) | instskip(SKIP_1) | instid1(VALU_DEP_1)
	v_add_f32_e32 v1, v2, v1
	s_waitcnt lgkmcnt(1)
	v_add_f32_e32 v3, v3, v1
	ds_load_2addr_stride64_b32 v[1:2], v7 offset0:24 offset1:26
	v_add_f32_e32 v3, v4, v3
	s_waitcnt lgkmcnt(1)
	s_delay_alu instid0(VALU_DEP_1) | instskip(SKIP_3) | instid1(VALU_DEP_1)
	v_add_f32_e32 v5, v5, v3
	ds_load_2addr_stride64_b32 v[3:4], v7 offset0:28 offset1:30
	v_add_f32_e32 v5, v6, v5
	s_waitcnt lgkmcnt(1)
	v_add_f32_e32 v1, v1, v5
	s_delay_alu instid0(VALU_DEP_1) | instskip(SKIP_1) | instid1(VALU_DEP_1)
	v_add_f32_e32 v1, v2, v1
	s_waitcnt lgkmcnt(0)
	v_add_f32_e32 v2, v3, v1
	v_or_b32_e32 v1, s14, v0
                                        ; implicit-def: $vgpr3
	s_delay_alu instid0(VALU_DEP_2)
	v_add_f32_e32 v0, v4, v2
                                        ; implicit-def: $vgpr4_vgpr5
	ds_store_b32 v7, v0
	v_cmpx_gt_i32_e64 s4, v1
	s_cbranch_execz .LBB512_53
; %bb.50:
	v_mul_lo_u32 v4, v1, s16
	v_cmp_eq_f32_e64 s2, s7, 0
	v_mul_f32_e32 v3, s6, v0
	s_delay_alu instid0(VALU_DEP_2) | instskip(NEXT) | instid1(VALU_DEP_3)
	s_and_b32 vcc_lo, exec_lo, s2
	v_ashrrev_i32_e32 v5, 31, v4
	s_cbranch_vccnz .LBB512_52
; %bb.51:
	s_delay_alu instid0(VALU_DEP_1) | instskip(NEXT) | instid1(VALU_DEP_1)
	v_lshlrev_b64 v[0:1], 2, v[4:5]
	v_add_co_u32 v0, vcc_lo, s13, v0
	s_delay_alu instid0(VALU_DEP_2)
	v_add_co_ci_u32_e32 v1, vcc_lo, s15, v1, vcc_lo
	global_load_b32 v0, v[0:1], off
	s_waitcnt vmcnt(0)
	v_fmac_f32_e32 v3, s7, v0
.LBB512_52:
	s_or_b32 s2, s17, exec_lo
.LBB512_53:
	s_or_b32 exec_lo, exec_lo, s1
	s_delay_alu instid0(SALU_CYCLE_1) | instskip(SKIP_1) | instid1(SALU_CYCLE_1)
	s_and_not1_b32 s1, s17, exec_lo
	s_and_b32 s2, s2, exec_lo
	s_or_b32 s17, s1, s2
.LBB512_54:
	s_or_b32 exec_lo, exec_lo, s0
.LBB512_55:
	s_and_saveexec_b32 s0, s17
	s_cbranch_execz .LBB512_57
; %bb.56:
	v_lshlrev_b64 v[0:1], 2, v[4:5]
	s_delay_alu instid0(VALU_DEP_1) | instskip(NEXT) | instid1(VALU_DEP_2)
	v_add_co_u32 v0, vcc_lo, s13, v0
	v_add_co_ci_u32_e32 v1, vcc_lo, s15, v1, vcc_lo
	global_store_b32 v[0:1], v3, off
.LBB512_57:
	s_nop 0
	s_sendmsg sendmsg(MSG_DEALLOC_VGPRS)
	s_endpgm
	.section	.rodata,"a",@progbits
	.p2align	6, 0x0
	.amdhsa_kernel _ZL20rocblas_gemvn_kernelILi32ELi16EiPKDF16_fKPfEviiT3_lPKT2_lT1_lS7_lS8_lS4_lPT4_lS8_li
		.amdhsa_group_segment_fixed_size 8192
		.amdhsa_private_segment_fixed_size 0
		.amdhsa_kernarg_size 400
		.amdhsa_user_sgpr_count 14
		.amdhsa_user_sgpr_dispatch_ptr 0
		.amdhsa_user_sgpr_queue_ptr 0
		.amdhsa_user_sgpr_kernarg_segment_ptr 1
		.amdhsa_user_sgpr_dispatch_id 0
		.amdhsa_user_sgpr_private_segment_size 0
		.amdhsa_wavefront_size32 1
		.amdhsa_uses_dynamic_stack 0
		.amdhsa_enable_private_segment 0
		.amdhsa_system_sgpr_workgroup_id_x 1
		.amdhsa_system_sgpr_workgroup_id_y 0
		.amdhsa_system_sgpr_workgroup_id_z 1
		.amdhsa_system_sgpr_workgroup_info 0
		.amdhsa_system_vgpr_workitem_id 1
		.amdhsa_next_free_vgpr 45
		.amdhsa_next_free_sgpr 28
		.amdhsa_reserve_vcc 1
		.amdhsa_float_round_mode_32 0
		.amdhsa_float_round_mode_16_64 0
		.amdhsa_float_denorm_mode_32 3
		.amdhsa_float_denorm_mode_16_64 3
		.amdhsa_dx10_clamp 1
		.amdhsa_ieee_mode 1
		.amdhsa_fp16_overflow 0
		.amdhsa_workgroup_processor_mode 1
		.amdhsa_memory_ordered 1
		.amdhsa_forward_progress 0
		.amdhsa_shared_vgpr_count 0
		.amdhsa_exception_fp_ieee_invalid_op 0
		.amdhsa_exception_fp_denorm_src 0
		.amdhsa_exception_fp_ieee_div_zero 0
		.amdhsa_exception_fp_ieee_overflow 0
		.amdhsa_exception_fp_ieee_underflow 0
		.amdhsa_exception_fp_ieee_inexact 0
		.amdhsa_exception_int_div_zero 0
	.end_amdhsa_kernel
	.section	.text._ZL20rocblas_gemvn_kernelILi32ELi16EiPKDF16_fKPfEviiT3_lPKT2_lT1_lS7_lS8_lS4_lPT4_lS8_li,"axG",@progbits,_ZL20rocblas_gemvn_kernelILi32ELi16EiPKDF16_fKPfEviiT3_lPKT2_lT1_lS7_lS8_lS4_lPT4_lS8_li,comdat
.Lfunc_end512:
	.size	_ZL20rocblas_gemvn_kernelILi32ELi16EiPKDF16_fKPfEviiT3_lPKT2_lT1_lS7_lS8_lS4_lPT4_lS8_li, .Lfunc_end512-_ZL20rocblas_gemvn_kernelILi32ELi16EiPKDF16_fKPfEviiT3_lPKT2_lT1_lS7_lS8_lS4_lPT4_lS8_li
                                        ; -- End function
	.section	.AMDGPU.csdata,"",@progbits
; Kernel info:
; codeLenInByte = 3180
; NumSgprs: 30
; NumVgprs: 45
; ScratchSize: 0
; MemoryBound: 0
; FloatMode: 240
; IeeeMode: 1
; LDSByteSize: 8192 bytes/workgroup (compile time only)
; SGPRBlocks: 3
; VGPRBlocks: 5
; NumSGPRsForWavesPerEU: 30
; NumVGPRsForWavesPerEU: 45
; Occupancy: 16
; WaveLimiterHint : 1
; COMPUTE_PGM_RSRC2:SCRATCH_EN: 0
; COMPUTE_PGM_RSRC2:USER_SGPR: 14
; COMPUTE_PGM_RSRC2:TRAP_HANDLER: 0
; COMPUTE_PGM_RSRC2:TGID_X_EN: 1
; COMPUTE_PGM_RSRC2:TGID_Y_EN: 0
; COMPUTE_PGM_RSRC2:TGID_Z_EN: 1
; COMPUTE_PGM_RSRC2:TIDIG_COMP_CNT: 1
	.section	.text._ZL20rocblas_gemvn_kernelILi32ELi16ElPKDF16_fKPfEviiT3_lPKT2_lT1_lS7_lS8_lS4_lPT4_lS8_li,"axG",@progbits,_ZL20rocblas_gemvn_kernelILi32ELi16ElPKDF16_fKPfEviiT3_lPKT2_lT1_lS7_lS8_lS4_lPT4_lS8_li,comdat
	.globl	_ZL20rocblas_gemvn_kernelILi32ELi16ElPKDF16_fKPfEviiT3_lPKT2_lT1_lS7_lS8_lS4_lPT4_lS8_li ; -- Begin function _ZL20rocblas_gemvn_kernelILi32ELi16ElPKDF16_fKPfEviiT3_lPKT2_lT1_lS7_lS8_lS4_lPT4_lS8_li
	.p2align	8
	.type	_ZL20rocblas_gemvn_kernelILi32ELi16ElPKDF16_fKPfEviiT3_lPKT2_lT1_lS7_lS8_lS4_lPT4_lS8_li,@function
_ZL20rocblas_gemvn_kernelILi32ELi16ElPKDF16_fKPfEviiT3_lPKT2_lT1_lS7_lS8_lS4_lPT4_lS8_li: ; @_ZL20rocblas_gemvn_kernelILi32ELi16ElPKDF16_fKPfEviiT3_lPKT2_lT1_lS7_lS8_lS4_lPT4_lS8_li
; %bb.0:
	s_load_b64 s[4:5], s[0:1], 0x9c
	s_waitcnt lgkmcnt(0)
	s_lshr_b32 s3, s4, 16
	s_and_b32 s4, s4, 0xffff
	s_and_b32 s5, s5, 0xffff
	s_mul_i32 s3, s3, s4
	s_delay_alu instid0(SALU_CYCLE_1) | instskip(NEXT) | instid1(SALU_CYCLE_1)
	s_mul_i32 s3, s3, s5
	s_cmpk_lg_i32 s3, 0x200
	s_cbranch_scc1 .LBB513_57
; %bb.1:
	s_load_b128 s[8:11], s[0:1], 0x0
	s_waitcnt lgkmcnt(0)
	s_load_b32 s11, s[0:1], 0x58
	s_mov_b32 s2, s15
	v_cmp_eq_f32_e64 s15, s10, 0
	s_waitcnt lgkmcnt(0)
	v_cmp_eq_f32_e64 s3, s11, 1.0
	s_delay_alu instid0(VALU_DEP_1) | instskip(NEXT) | instid1(SALU_CYCLE_1)
	s_and_b32 s3, s15, s3
	s_and_b32 vcc_lo, exec_lo, s3
	s_cbranch_vccnz .LBB513_57
; %bb.2:
	s_clause 0x1
	s_load_b128 s[4:7], s[0:1], 0x18
	s_load_b64 s[12:13], s[0:1], 0x28
	v_cmp_neq_f32_e64 s20, s10, 0
	s_delay_alu instid0(VALU_DEP_1)
	s_and_b32 vcc_lo, exec_lo, s20
	s_cbranch_vccnz .LBB513_4
; %bb.3:
	s_mov_b32 s3, 0
	s_mov_b64 s[16:17], 0
	s_cbranch_execz .LBB513_5
	s_branch .LBB513_6
.LBB513_4:
	s_mov_b32 s3, -1
                                        ; implicit-def: $sgpr16_sgpr17
.LBB513_5:
	s_mov_b32 s3, 0
	s_delay_alu instid0(SALU_CYCLE_1)
	s_lshl_b64 s[16:17], s[2:3], 3
	s_waitcnt lgkmcnt(0)
	s_add_u32 s4, s4, s16
	s_addc_u32 s5, s5, s17
	s_lshl_b64 s[6:7], s[6:7], 1
	s_load_b64 s[4:5], s[4:5], 0x0
	s_waitcnt lgkmcnt(0)
	s_add_u32 s16, s4, s6
	s_addc_u32 s17, s5, s7
.LBB513_6:
	s_waitcnt lgkmcnt(0)
	s_clause 0x1
	s_load_b128 s[4:7], s[0:1], 0x38
	s_load_b64 s[18:19], s[0:1], 0x48
	s_and_not1_b32 vcc_lo, exec_lo, s20
	s_cbranch_vccnz .LBB513_8
; %bb.7:
	s_lshl_b64 s[20:21], s[2:3], 3
	s_waitcnt lgkmcnt(0)
	s_add_u32 s4, s4, s20
	s_addc_u32 s5, s5, s21
	s_lshl_b64 s[6:7], s[6:7], 1
	s_load_b64 s[4:5], s[4:5], 0x0
	s_waitcnt lgkmcnt(0)
	s_add_u32 s20, s4, s6
	s_addc_u32 s21, s5, s7
	s_branch .LBB513_9
.LBB513_8:
	s_mov_b64 s[20:21], 0
.LBB513_9:
	s_load_b128 s[24:27], s[0:1], 0x68
	s_waitcnt lgkmcnt(0)
	s_load_b64 s[6:7], s[0:1], 0x78
	s_lshl_b64 s[2:3], s[2:3], 3
	v_and_b32_e32 v20, 0x3ff, v0
	v_bfe_u32 v21, v0, 10, 10
	s_delay_alu instid0(VALU_DEP_1)
	v_lshl_add_u32 v19, v21, 5, v20
	s_add_u32 s0, s24, s2
	s_addc_u32 s1, s25, s3
	s_lshl_b64 s[22:23], s[26:27], 2
	s_load_b64 s[2:3], s[0:1], 0x0
	v_cmp_gt_u32_e64 s0, 0x80, v19
	s_waitcnt lgkmcnt(0)
	s_add_u32 s5, s2, s22
	s_addc_u32 s26, s3, s23
	s_and_not1_b32 vcc_lo, exec_lo, s15
	s_cbranch_vccnz .LBB513_16
; %bb.10:
	s_mov_b32 s1, 0
	s_mov_b32 s27, 0
                                        ; implicit-def: $vgpr1
                                        ; implicit-def: $vgpr2_vgpr3
	s_and_saveexec_b32 s2, s0
	s_cbranch_execz .LBB513_17
; %bb.11:
	v_lshl_or_b32 v0, s14, 7, v19
	v_mov_b32_e32 v1, 0
	s_ashr_i32 s23, s8, 31
	s_mov_b32 s22, s8
	s_mov_b32 s3, 0
	s_mov_b32 s0, exec_lo
                                        ; implicit-def: $vgpr2_vgpr3
	v_cmpx_gt_i64_e64 s[22:23], v[0:1]
	s_cbranch_execz .LBB513_15
; %bb.12:
	v_mad_u64_u32 v[2:3], null, v0, s6, 0
	v_cmp_eq_f32_e64 s3, s11, 0
	s_delay_alu instid0(VALU_DEP_1) | instskip(NEXT) | instid1(VALU_DEP_2)
	s_and_b32 vcc_lo, exec_lo, s3
	v_mad_u64_u32 v[4:5], null, v0, s7, v[3:4]
	s_delay_alu instid0(VALU_DEP_1)
	v_mov_b32_e32 v3, v4
	s_cbranch_vccnz .LBB513_14
; %bb.13:
	s_delay_alu instid0(VALU_DEP_1) | instskip(NEXT) | instid1(VALU_DEP_1)
	v_lshlrev_b64 v[0:1], 2, v[2:3]
	v_add_co_u32 v0, vcc_lo, s5, v0
	s_delay_alu instid0(VALU_DEP_2)
	v_add_co_ci_u32_e32 v1, vcc_lo, s26, v1, vcc_lo
	global_load_b32 v0, v[0:1], off
	s_waitcnt vmcnt(0)
	v_mul_f32_e32 v1, s11, v0
.LBB513_14:
	s_mov_b32 s3, exec_lo
.LBB513_15:
	s_or_b32 exec_lo, exec_lo, s0
	s_delay_alu instid0(SALU_CYCLE_1) | instskip(SKIP_1) | instid1(SALU_CYCLE_1)
	s_and_b32 s27, s3, exec_lo
	s_or_b32 exec_lo, exec_lo, s2
	s_and_b32 vcc_lo, exec_lo, s1
	s_cbranch_vccnz .LBB513_18
	s_branch .LBB513_55
.LBB513_16:
	s_mov_b32 s27, 0
                                        ; implicit-def: $vgpr1
                                        ; implicit-def: $vgpr2_vgpr3
	s_cbranch_execnz .LBB513_18
	s_branch .LBB513_55
.LBB513_17:
	s_or_b32 exec_lo, exec_lo, s2
	s_delay_alu instid0(SALU_CYCLE_1)
	s_and_b32 vcc_lo, exec_lo, s1
	s_cbranch_vccz .LBB513_55
.LBB513_18:
	s_ashr_i32 s0, s9, 31
	s_lshl_b32 s28, s14, 7
	s_lshr_b32 s0, s0, 26
	v_dual_mov_b32 v26, 0 :: v_dual_lshlrev_b32 v23, 2, v21
	v_dual_mov_b32 v25, 0 :: v_dual_add_nc_u32 v0, s28, v20
	v_mov_b32_e32 v24, 0
	v_mov_b32_e32 v22, 0
	s_add_i32 s29, s9, s0
	s_mov_b32 s30, exec_lo
	s_and_not1_b32 s29, s29, 63
	s_delay_alu instid0(SALU_CYCLE_1)
	v_cmpx_gt_i32_e64 s29, v23
	s_cbranch_execz .LBB513_30
; %bb.19:
	v_lshlrev_b32_e32 v22, 2, v21
	v_mad_u64_u32 v[5:6], null, s18, v21, 0
	v_add_nc_u32_e32 v10, 0x60, v0
	v_mad_u64_u32 v[7:8], null, s12, v21, 0
	s_delay_alu instid0(VALU_DEP_4) | instskip(SKIP_1) | instid1(VALU_DEP_4)
	v_or_b32_e32 v29, 3, v22
	v_or_b32_e32 v31, 2, v22
	v_cmp_gt_i32_e64 s2, s8, v10
	v_ashrrev_i32_e32 v1, 31, v0
	v_cmp_gt_i32_e32 vcc_lo, s8, v0
	v_mad_u64_u32 v[3:4], null, s12, v29, 0
	v_mad_u64_u32 v[16:17], null, s18, v29, 0
	v_add_nc_u32_e32 v2, 32, v0
	v_add_nc_u32_e32 v9, 64, v0
	v_mad_u64_u32 v[14:15], null, s12, v31, 0
	v_mad_u64_u32 v[35:36], null, s18, v31, 0
	s_delay_alu instid0(VALU_DEP_4)
	v_cmp_gt_i32_e64 s0, s8, v2
	v_mov_b32_e32 v2, v4
	v_mov_b32_e32 v4, v6
	v_cmp_gt_i32_e64 s1, s8, v9
	v_mov_b32_e32 v6, v8
	s_lshl_b64 s[14:15], s[12:13], 7
	v_mad_u64_u32 v[9:10], null, s13, v29, v[2:3]
	v_mad_u64_u32 v[10:11], null, s19, v21, v[4:5]
	s_delay_alu instid0(VALU_DEP_3) | instskip(SKIP_2) | instid1(VALU_DEP_4)
	v_mad_u64_u32 v[11:12], null, s13, v21, v[6:7]
	v_lshlrev_b64 v[1:2], 1, v[0:1]
	s_lshl_b64 s[22:23], s[18:19], 7
	v_mov_b32_e32 v4, v9
	s_mov_b32 s31, 0
	s_delay_alu instid0(VALU_DEP_4) | instskip(SKIP_1) | instid1(VALU_DEP_4)
	v_mov_b32_e32 v6, v10
	s_mov_b64 s[24:25], s[20:21]
	v_mov_b32_e32 v8, v11
	v_lshlrev_b64 v[9:10], 1, v[3:4]
	s_delay_alu instid0(VALU_DEP_3) | instskip(SKIP_2) | instid1(VALU_DEP_4)
	v_lshlrev_b64 v[3:4], 3, v[5:6]
	v_mov_b32_e32 v5, v15
	v_mad_u64_u32 v[12:13], null, s18, v22, s[18:19]
	v_add_co_u32 v27, s3, s16, v9
	s_delay_alu instid0(VALU_DEP_1) | instskip(SKIP_1) | instid1(VALU_DEP_4)
	v_add_co_ci_u32_e64 v28, s3, s17, v10, s3
	v_mad_u64_u32 v[9:10], null, s12, v22, s[12:13]
	v_mov_b32_e32 v6, v13
	v_lshlrev_b64 v[7:8], 3, v[7:8]
	s_delay_alu instid0(VALU_DEP_2) | instskip(SKIP_1) | instid1(VALU_DEP_3)
	v_mad_u64_u32 v[24:25], null, s13, v31, v[5:6]
	v_mov_b32_e32 v5, v17
	v_mad_u64_u32 v[17:18], null, s19, v22, v[6:7]
	s_delay_alu instid0(VALU_DEP_2) | instskip(SKIP_2) | instid1(VALU_DEP_4)
	v_mad_u64_u32 v[25:26], null, s19, v29, v[5:6]
	v_mov_b32_e32 v5, v10
	v_mov_b32_e32 v15, v24
	;; [unrolled: 1-line block ×3, first 2 shown]
	v_add_co_u32 v29, s3, s16, v7
	s_delay_alu instid0(VALU_DEP_4) | instskip(SKIP_4) | instid1(VALU_DEP_4)
	v_mad_u64_u32 v[10:11], null, s13, v22, v[5:6]
	v_mov_b32_e32 v5, v36
	v_mov_b32_e32 v17, v25
	v_lshlrev_b64 v[14:15], 1, v[14:15]
	v_add_co_ci_u32_e64 v30, s3, s17, v8, s3
	v_mad_u64_u32 v[24:25], null, s19, v31, v[5:6]
	v_mov_b32_e32 v25, 0
	v_lshlrev_b64 v[9:10], 1, v[9:10]
	v_add_co_u32 v31, s3, s16, v14
	s_delay_alu instid0(VALU_DEP_1) | instskip(SKIP_1) | instid1(VALU_DEP_4)
	v_add_co_ci_u32_e64 v32, s3, s17, v15, s3
	v_mov_b32_e32 v36, v24
	v_add_co_u32 v33, s3, s16, v9
	v_lshlrev_b64 v[5:6], 1, v[12:13]
	v_lshlrev_b64 v[7:8], 1, v[16:17]
	v_add_co_ci_u32_e64 v34, s3, s17, v10, s3
	v_lshlrev_b64 v[9:10], 1, v[35:36]
	v_mov_b32_e32 v26, 0
	v_mov_b32_e32 v24, 0
	v_mov_b32_e32 v22, 0
	s_branch .LBB513_24
.LBB513_20:                             ;   in Loop: Header=BB513_24 Depth=1
	s_or_b32 exec_lo, exec_lo, s34
	s_waitcnt vmcnt(3) lgkmcnt(3)
	v_fma_mix_f32 v11, v47, v51, v24 op_sel_hi:[0,1,0]
	s_waitcnt vmcnt(2) lgkmcnt(2)
	s_delay_alu instid0(VALU_DEP_1) | instskip(SKIP_1) | instid1(VALU_DEP_1)
	v_fma_mix_f32 v11, v48, v52, v11 op_sel_hi:[0,1,0]
	s_waitcnt vmcnt(1) lgkmcnt(1)
	v_fma_mix_f32 v11, v49, v53, v11 op_sel_hi:[0,1,0]
	s_waitcnt vmcnt(0) lgkmcnt(0)
	s_delay_alu instid0(VALU_DEP_1)
	v_fma_mix_f32 v24, v50, v54, v11 op_sel_hi:[0,1,0]
.LBB513_21:                             ;   in Loop: Header=BB513_24 Depth=1
	s_or_b32 exec_lo, exec_lo, s33
	s_waitcnt vmcnt(3) lgkmcnt(3)
	v_fma_mix_f32 v11, v47, v43, v25 op_sel_hi:[0,1,0]
	s_waitcnt vmcnt(2) lgkmcnt(2)
	s_delay_alu instid0(VALU_DEP_1) | instskip(SKIP_1) | instid1(VALU_DEP_1)
	v_fma_mix_f32 v11, v48, v44, v11 op_sel_hi:[0,1,0]
	s_waitcnt vmcnt(1) lgkmcnt(1)
	v_fma_mix_f32 v11, v49, v45, v11 op_sel_hi:[0,1,0]
	s_waitcnt vmcnt(0) lgkmcnt(0)
	s_delay_alu instid0(VALU_DEP_1)
	v_fma_mix_f32 v25, v50, v46, v11 op_sel_hi:[0,1,0]
.LBB513_22:                             ;   in Loop: Header=BB513_24 Depth=1
	s_or_b32 exec_lo, exec_lo, s3
	s_waitcnt vmcnt(3) lgkmcnt(3)
	v_fma_mix_f32 v11, v35, v39, v26 op_sel_hi:[1,1,0]
	s_waitcnt vmcnt(2) lgkmcnt(2)
	s_delay_alu instid0(VALU_DEP_1) | instskip(SKIP_1) | instid1(VALU_DEP_1)
	v_fma_mix_f32 v11, v36, v40, v11 op_sel_hi:[1,1,0]
	s_waitcnt vmcnt(1) lgkmcnt(1)
	v_fma_mix_f32 v11, v37, v41, v11 op_sel_hi:[1,1,0]
	s_waitcnt vmcnt(0) lgkmcnt(0)
	s_delay_alu instid0(VALU_DEP_1)
	v_fma_mix_f32 v26, v38, v42, v11 op_sel_hi:[1,1,0]
.LBB513_23:                             ;   in Loop: Header=BB513_24 Depth=1
	s_or_b32 exec_lo, exec_lo, s4
	v_add_co_u32 v27, s3, v27, s14
	s_delay_alu instid0(VALU_DEP_1) | instskip(SKIP_4) | instid1(VALU_DEP_1)
	v_add_co_ci_u32_e64 v28, s3, s15, v28, s3
	v_add_co_u32 v29, s3, v29, s14
	v_add_nc_u32_e32 v23, 64, v23
	v_add_co_ci_u32_e64 v30, s3, s15, v30, s3
	v_add_co_u32 v31, s3, v31, s14
	v_add_co_ci_u32_e64 v32, s3, s15, v32, s3
	s_delay_alu instid0(VALU_DEP_4) | instskip(SKIP_1) | instid1(VALU_DEP_1)
	v_cmp_le_i32_e64 s3, s29, v23
	v_add_co_u32 v33, s4, v33, s14
	v_add_co_ci_u32_e64 v34, s4, s15, v34, s4
	s_add_u32 s24, s24, s22
	s_addc_u32 s25, s25, s23
	s_or_b32 s31, s3, s31
	s_delay_alu instid0(SALU_CYCLE_1)
	s_and_not1_b32 exec_lo, exec_lo, s31
	s_cbranch_execz .LBB513_29
.LBB513_24:                             ; =>This Inner Loop Header: Depth=1
	s_and_saveexec_b32 s4, vcc_lo
	s_cbranch_execz .LBB513_23
; %bb.25:                               ;   in Loop: Header=BB513_24 Depth=1
	v_add_co_u32 v35, s3, s24, v3
	s_delay_alu instid0(VALU_DEP_1) | instskip(SKIP_1) | instid1(VALU_DEP_1)
	v_add_co_ci_u32_e64 v36, s3, s25, v4, s3
	v_add_co_u32 v37, s3, s24, v5
	v_add_co_ci_u32_e64 v38, s3, s25, v6, s3
	v_add_co_u32 v39, s3, s24, v9
	s_delay_alu instid0(VALU_DEP_1) | instskip(SKIP_1) | instid1(VALU_DEP_1)
	v_add_co_ci_u32_e64 v40, s3, s25, v10, s3
	v_add_co_u32 v41, s3, s24, v7
	v_add_co_ci_u32_e64 v42, s3, s25, v8, s3
	;; [unrolled: 5-line block ×4, first 2 shown]
	s_clause 0x3
	flat_load_u16 v35, v[35:36]
	flat_load_u16 v36, v[37:38]
	flat_load_u16 v37, v[39:40]
	flat_load_u16 v38, v[41:42]
	flat_load_u16 v39, v[11:12]
	flat_load_u16 v40, v[13:14]
	flat_load_u16 v41, v[15:16]
	flat_load_u16 v42, v[17:18]
	s_and_saveexec_b32 s3, s0
	s_cbranch_execz .LBB513_22
; %bb.26:                               ;   in Loop: Header=BB513_24 Depth=1
	flat_load_u16 v43, v[11:12] offset:64
	flat_load_u16 v44, v[13:14] offset:64
	;; [unrolled: 1-line block ×4, first 2 shown]
	s_waitcnt vmcnt(11) lgkmcnt(11)
	v_cvt_f32_f16_e32 v47, v35
	s_waitcnt vmcnt(10) lgkmcnt(10)
	v_cvt_f32_f16_e32 v48, v36
	;; [unrolled: 2-line block ×4, first 2 shown]
	s_and_saveexec_b32 s33, s1
	s_cbranch_execz .LBB513_21
; %bb.27:                               ;   in Loop: Header=BB513_24 Depth=1
	flat_load_u16 v51, v[11:12] offset:128
	flat_load_u16 v52, v[13:14] offset:128
	;; [unrolled: 1-line block ×4, first 2 shown]
	s_and_saveexec_b32 s34, s2
	s_cbranch_execz .LBB513_20
; %bb.28:                               ;   in Loop: Header=BB513_24 Depth=1
	flat_load_u16 v11, v[11:12] offset:192
	flat_load_u16 v12, v[13:14] offset:192
	flat_load_u16 v13, v[15:16] offset:192
	flat_load_u16 v14, v[17:18] offset:192
	s_waitcnt vmcnt(3) lgkmcnt(3)
	v_fma_mix_f32 v11, v47, v11, v22 op_sel_hi:[0,1,0]
	s_waitcnt vmcnt(2) lgkmcnt(2)
	s_delay_alu instid0(VALU_DEP_1) | instskip(SKIP_1) | instid1(VALU_DEP_1)
	v_fma_mix_f32 v11, v48, v12, v11 op_sel_hi:[0,1,0]
	s_waitcnt vmcnt(1) lgkmcnt(1)
	v_fma_mix_f32 v11, v49, v13, v11 op_sel_hi:[0,1,0]
	s_waitcnt vmcnt(0) lgkmcnt(0)
	s_delay_alu instid0(VALU_DEP_1)
	v_fma_mix_f32 v22, v50, v14, v11 op_sel_hi:[0,1,0]
	s_branch .LBB513_20
.LBB513_29:
	s_or_b32 exec_lo, exec_lo, s31
.LBB513_30:
	s_delay_alu instid0(SALU_CYCLE_1) | instskip(SKIP_1) | instid1(SALU_CYCLE_1)
	s_or_b32 exec_lo, exec_lo, s30
	s_sub_i32 s0, s9, s29
	s_cmp_lt_i32 s0, 1
	s_cbranch_scc1 .LBB513_48
; %bb.31:
	v_cmp_gt_i32_e32 vcc_lo, s9, v23
	v_dual_mov_b32 v9, 0 :: v_dual_mov_b32 v10, 0
	v_or_b32_e32 v2, 1, v23
	v_dual_mov_b32 v11, 0 :: v_dual_mov_b32 v12, 0
	s_and_saveexec_b32 s1, vcc_lo
	s_cbranch_execz .LBB513_39
; %bb.32:
	v_mad_u64_u32 v[3:4], null, v23, s18, 0
	v_mov_b32_e32 v11, 0
	v_mov_b32_e32 v9, 0
	s_mov_b32 s2, exec_lo
	s_delay_alu instid0(VALU_DEP_3) | instskip(NEXT) | instid1(VALU_DEP_1)
	v_dual_mov_b32 v10, 0 :: v_dual_mov_b32 v1, v4
	v_mad_u64_u32 v[4:5], null, v23, s19, v[1:2]
	s_delay_alu instid0(VALU_DEP_1) | instskip(NEXT) | instid1(VALU_DEP_1)
	v_lshlrev_b64 v[3:4], 1, v[3:4]
	v_add_co_u32 v3, s0, s20, v3
	s_delay_alu instid0(VALU_DEP_1)
	v_add_co_ci_u32_e64 v4, s0, s21, v4, s0
	flat_load_u16 v1, v[3:4]
	v_cmpx_gt_i32_e64 s9, v2
	s_cbranch_execz .LBB513_38
; %bb.33:
	v_mad_u64_u32 v[3:4], null, v2, s18, 0
	v_mov_b32_e32 v10, 0
	s_mov_b32 s3, exec_lo
	v_mov_b32_e32 v9, 0
	s_delay_alu instid0(VALU_DEP_3) | instskip(NEXT) | instid1(VALU_DEP_1)
	v_mad_u64_u32 v[5:6], null, v2, s19, v[4:5]
	v_mov_b32_e32 v4, v5
	s_delay_alu instid0(VALU_DEP_1) | instskip(NEXT) | instid1(VALU_DEP_1)
	v_lshlrev_b64 v[3:4], 1, v[3:4]
	v_add_co_u32 v3, s0, s20, v3
	s_delay_alu instid0(VALU_DEP_1) | instskip(SKIP_2) | instid1(VALU_DEP_1)
	v_add_co_ci_u32_e64 v4, s0, s21, v4, s0
	flat_load_u16 v3, v[3:4]
	v_or_b32_e32 v4, 2, v23
	v_cmpx_gt_i32_e64 s9, v4
	s_cbranch_execz .LBB513_37
; %bb.34:
	v_mad_u64_u32 v[5:6], null, v4, s18, 0
	s_mov_b32 s4, exec_lo
	v_mov_b32_e32 v9, 0
	s_delay_alu instid0(VALU_DEP_2) | instskip(NEXT) | instid1(VALU_DEP_1)
	v_mad_u64_u32 v[7:8], null, v4, s19, v[6:7]
	v_mov_b32_e32 v6, v7
	s_delay_alu instid0(VALU_DEP_1) | instskip(NEXT) | instid1(VALU_DEP_1)
	v_lshlrev_b64 v[4:5], 1, v[5:6]
	v_add_co_u32 v4, s0, s20, v4
	s_delay_alu instid0(VALU_DEP_1) | instskip(SKIP_2) | instid1(VALU_DEP_1)
	v_add_co_ci_u32_e64 v5, s0, s21, v5, s0
	flat_load_u16 v4, v[4:5]
	v_or_b32_e32 v5, 3, v23
	v_cmpx_gt_i32_e64 s9, v5
	s_cbranch_execz .LBB513_36
; %bb.35:
	v_mad_u64_u32 v[6:7], null, v5, s18, 0
	s_delay_alu instid0(VALU_DEP_1) | instskip(NEXT) | instid1(VALU_DEP_1)
	v_mad_u64_u32 v[8:9], null, v5, s19, v[7:8]
	v_mov_b32_e32 v7, v8
	s_delay_alu instid0(VALU_DEP_1) | instskip(NEXT) | instid1(VALU_DEP_1)
	v_lshlrev_b64 v[5:6], 1, v[6:7]
	v_add_co_u32 v5, s0, s20, v5
	s_delay_alu instid0(VALU_DEP_1)
	v_add_co_ci_u32_e64 v6, s0, s21, v6, s0
	flat_load_u16 v5, v[5:6]
	s_waitcnt vmcnt(0) lgkmcnt(0)
	v_cvt_f32_f16_e32 v9, v5
.LBB513_36:
	s_or_b32 exec_lo, exec_lo, s4
	s_waitcnt vmcnt(0) lgkmcnt(0)
	v_cvt_f32_f16_e32 v10, v4
.LBB513_37:
	s_or_b32 exec_lo, exec_lo, s3
	s_waitcnt vmcnt(0) lgkmcnt(0)
	v_cvt_f32_f16_e32 v11, v3
.LBB513_38:
	s_or_b32 exec_lo, exec_lo, s2
	s_waitcnt vmcnt(0) lgkmcnt(0)
	v_cvt_f32_f16_e32 v12, v1
.LBB513_39:
	s_or_b32 exec_lo, exec_lo, s1
	s_delay_alu instid0(SALU_CYCLE_1)
	s_mov_b32 s1, exec_lo
	v_cmpx_gt_i32_e64 s8, v0
	s_cbranch_execz .LBB513_47
; %bb.40:
	v_mad_u64_u32 v[3:4], null, v23, s12, 0
	v_mad_u64_u32 v[5:6], null, v2, s12, 0
	v_or_b32_e32 v29, 2, v23
	v_ashrrev_i32_e32 v1, 31, v0
	v_or_b32_e32 v30, 3, v23
	v_cndmask_b32_e32 v3, 0, v3, vcc_lo
	s_delay_alu instid0(VALU_DEP_4)
	v_cmp_gt_i32_e64 s0, s9, v29
	v_mad_u64_u32 v[13:14], null, v23, s13, v[4:5]
	v_mad_u64_u32 v[14:15], null, v29, s12, 0
	v_lshlrev_b64 v[7:8], 1, v[0:1]
	v_mov_b32_e32 v1, v6
	v_mad_u64_u32 v[16:17], null, v30, s12, 0
	v_cndmask_b32_e32 v4, 0, v13, vcc_lo
	v_cmp_gt_i32_e32 vcc_lo, s9, v2
	s_delay_alu instid0(VALU_DEP_4)
	v_mad_u64_u32 v[27:28], null, v2, s13, v[1:2]
	v_mov_b32_e32 v1, v15
	v_cndmask_b32_e64 v13, 0, v14, s0
	v_mov_b32_e32 v6, v17
	v_cndmask_b32_e32 v2, 0, v5, vcc_lo
	v_lshlrev_b64 v[4:5], 1, v[3:4]
	s_delay_alu instid0(VALU_DEP_2) | instskip(NEXT) | instid1(VALU_DEP_1)
	v_mad_u64_u32 v[17:18], null, v29, s13, v[1:2]
	v_cndmask_b32_e64 v14, 0, v17, s0
	v_mad_u64_u32 v[17:18], null, v30, s13, v[6:7]
	v_cndmask_b32_e32 v3, 0, v27, vcc_lo
	v_add_co_u32 v1, vcc_lo, s16, v4
	v_add_co_ci_u32_e32 v5, vcc_lo, s17, v5, vcc_lo
	s_delay_alu instid0(VALU_DEP_3) | instskip(NEXT) | instid1(VALU_DEP_3)
	v_lshlrev_b64 v[3:4], 1, v[2:3]
	v_add_co_u32 v1, vcc_lo, v1, v7
	s_delay_alu instid0(VALU_DEP_3) | instskip(SKIP_1) | instid1(VALU_DEP_4)
	v_add_co_ci_u32_e32 v2, vcc_lo, v5, v8, vcc_lo
	v_lshlrev_b64 v[5:6], 1, v[13:14]
	v_add_co_u32 v3, vcc_lo, s16, v3
	v_add_co_ci_u32_e32 v4, vcc_lo, s17, v4, vcc_lo
	s_mov_b32 s0, exec_lo
	s_delay_alu instid0(VALU_DEP_2) | instskip(NEXT) | instid1(VALU_DEP_2)
	v_add_co_u32 v3, vcc_lo, v3, v7
	v_add_co_ci_u32_e32 v4, vcc_lo, v4, v8, vcc_lo
	v_cmp_gt_i32_e32 vcc_lo, s9, v30
	s_clause 0x1
	flat_load_u16 v15, v[1:2]
	flat_load_u16 v18, v[3:4]
	v_dual_cndmask_b32 v14, 0, v17 :: v_dual_cndmask_b32 v13, 0, v16
	v_add_co_u32 v5, vcc_lo, s16, v5
	v_add_co_ci_u32_e32 v6, vcc_lo, s17, v6, vcc_lo
	s_delay_alu instid0(VALU_DEP_3) | instskip(NEXT) | instid1(VALU_DEP_3)
	v_lshlrev_b64 v[13:14], 1, v[13:14]
	v_add_co_u32 v5, vcc_lo, v5, v7
	s_delay_alu instid0(VALU_DEP_3) | instskip(NEXT) | instid1(VALU_DEP_3)
	v_add_co_ci_u32_e32 v6, vcc_lo, v6, v8, vcc_lo
	v_add_co_u32 v13, vcc_lo, s16, v13
	s_delay_alu instid0(VALU_DEP_4)
	v_add_co_ci_u32_e32 v14, vcc_lo, s17, v14, vcc_lo
	flat_load_u16 v16, v[5:6]
	v_add_co_u32 v7, vcc_lo, v13, v7
	v_add_co_ci_u32_e32 v8, vcc_lo, v14, v8, vcc_lo
	flat_load_u16 v13, v[7:8]
	s_waitcnt vmcnt(3) lgkmcnt(3)
	v_fma_mix_f32 v14, v12, v15, v26 op_sel_hi:[0,1,0]
	v_add_nc_u32_e32 v15, 32, v0
	s_waitcnt vmcnt(2) lgkmcnt(2)
	s_delay_alu instid0(VALU_DEP_2) | instskip(SKIP_1) | instid1(VALU_DEP_1)
	v_fma_mix_f32 v14, v11, v18, v14 op_sel_hi:[0,1,0]
	s_waitcnt vmcnt(1) lgkmcnt(1)
	v_fma_mix_f32 v14, v10, v16, v14 op_sel_hi:[0,1,0]
	v_cmpx_gt_i32_e64 s8, v15
	s_cbranch_execz .LBB513_46
; %bb.41:
	s_clause 0x3
	flat_load_u16 v16, v[1:2] offset:64
	flat_load_u16 v17, v[3:4] offset:64
	;; [unrolled: 1-line block ×4, first 2 shown]
	s_mov_b32 s2, exec_lo
	s_waitcnt vmcnt(3) lgkmcnt(3)
	v_fma_mix_f32 v16, v12, v16, v25 op_sel_hi:[0,1,0]
	s_waitcnt vmcnt(2) lgkmcnt(2)
	s_delay_alu instid0(VALU_DEP_1) | instskip(SKIP_2) | instid1(VALU_DEP_2)
	v_fma_mix_f32 v16, v11, v17, v16 op_sel_hi:[0,1,0]
	v_add_nc_u32_e32 v17, 64, v0
	s_waitcnt vmcnt(1) lgkmcnt(1)
	v_fma_mix_f32 v16, v10, v18, v16 op_sel_hi:[0,1,0]
	s_delay_alu instid0(VALU_DEP_2)
	v_cmpx_gt_i32_e64 s8, v17
	s_cbranch_execz .LBB513_45
; %bb.42:
	s_clause 0x3
	flat_load_u16 v18, v[1:2] offset:128
	flat_load_u16 v23, v[3:4] offset:128
	;; [unrolled: 1-line block ×4, first 2 shown]
	s_mov_b32 s3, exec_lo
	s_waitcnt vmcnt(3) lgkmcnt(3)
	v_fma_mix_f32 v18, v12, v18, v24 op_sel_hi:[0,1,0]
	s_waitcnt vmcnt(2) lgkmcnt(2)
	s_delay_alu instid0(VALU_DEP_1) | instskip(SKIP_2) | instid1(VALU_DEP_2)
	v_fma_mix_f32 v18, v11, v23, v18 op_sel_hi:[0,1,0]
	v_add_nc_u32_e32 v23, 0x60, v0
	s_waitcnt vmcnt(1) lgkmcnt(1)
	v_fma_mix_f32 v0, v10, v25, v18 op_sel_hi:[0,1,0]
	s_delay_alu instid0(VALU_DEP_2)
	v_cmpx_gt_i32_e64 s8, v23
	s_cbranch_execz .LBB513_44
; %bb.43:
	s_clause 0x3
	flat_load_u16 v1, v[1:2] offset:192
	flat_load_u16 v2, v[3:4] offset:192
	;; [unrolled: 1-line block ×4, first 2 shown]
	s_waitcnt vmcnt(3) lgkmcnt(3)
	v_fma_mix_f32 v1, v12, v1, v22 op_sel_hi:[0,1,0]
	s_waitcnt vmcnt(2) lgkmcnt(2)
	s_delay_alu instid0(VALU_DEP_1) | instskip(SKIP_1) | instid1(VALU_DEP_1)
	v_fma_mix_f32 v1, v11, v2, v1 op_sel_hi:[0,1,0]
	s_waitcnt vmcnt(1) lgkmcnt(1)
	v_fma_mix_f32 v1, v10, v3, v1 op_sel_hi:[0,1,0]
	s_waitcnt vmcnt(0) lgkmcnt(0)
	s_delay_alu instid0(VALU_DEP_1)
	v_fma_mix_f32 v22, v9, v4, v1 op_sel_hi:[0,1,0]
.LBB513_44:
	s_or_b32 exec_lo, exec_lo, s3
	s_waitcnt vmcnt(0) lgkmcnt(0)
	v_fma_mix_f32 v24, v9, v17, v0 op_sel_hi:[0,1,0]
.LBB513_45:
	s_or_b32 exec_lo, exec_lo, s2
	s_waitcnt vmcnt(0) lgkmcnt(0)
	v_fma_mix_f32 v25, v9, v15, v16 op_sel_hi:[0,1,0]
.LBB513_46:
	s_or_b32 exec_lo, exec_lo, s0
	s_waitcnt vmcnt(0) lgkmcnt(0)
	v_fma_mix_f32 v26, v9, v13, v14 op_sel_hi:[0,1,0]
.LBB513_47:
	s_or_b32 exec_lo, exec_lo, s1
.LBB513_48:
	v_lshlrev_b32_e32 v0, 7, v21
	s_mov_b32 s0, exec_lo
                                        ; implicit-def: $vgpr1
                                        ; implicit-def: $vgpr2_vgpr3
	s_delay_alu instid0(VALU_DEP_1)
	v_add_lshl_u32 v0, v0, v20, 2
	ds_store_2addr_b32 v0, v26, v25 offset1:32
	ds_store_2addr_b32 v0, v24, v22 offset0:64 offset1:96
	s_waitcnt lgkmcnt(0)
	s_barrier
	buffer_gl0_inv
	v_cmpx_gt_u32_e32 0x80, v19
	s_cbranch_execz .LBB513_54
; %bb.49:
	v_lshlrev_b32_e32 v6, 2, v19
	s_mov_b32 s2, s27
	s_mov_b32 s1, exec_lo
	ds_load_2addr_stride64_b32 v[0:1], v6 offset1:2
	ds_load_2addr_stride64_b32 v[2:3], v6 offset0:4 offset1:6
	ds_load_2addr_stride64_b32 v[4:5], v6 offset0:8 offset1:10
	s_waitcnt lgkmcnt(2)
	v_add_f32_e32 v7, v0, v1
	ds_load_2addr_stride64_b32 v[0:1], v6 offset0:12 offset1:14
	s_waitcnt lgkmcnt(2)
	v_add_f32_e32 v2, v2, v7
	s_delay_alu instid0(VALU_DEP_1) | instskip(SKIP_3) | instid1(VALU_DEP_1)
	v_add_f32_e32 v7, v3, v2
	ds_load_2addr_stride64_b32 v[2:3], v6 offset0:16 offset1:18
	s_waitcnt lgkmcnt(2)
	v_add_f32_e32 v4, v4, v7
	v_add_f32_e32 v7, v5, v4
	ds_load_2addr_stride64_b32 v[4:5], v6 offset0:20 offset1:22
	s_waitcnt lgkmcnt(2)
	v_add_f32_e32 v0, v0, v7
	s_delay_alu instid0(VALU_DEP_1) | instskip(SKIP_1) | instid1(VALU_DEP_1)
	v_add_f32_e32 v0, v1, v0
	s_waitcnt lgkmcnt(1)
	v_add_f32_e32 v2, v2, v0
	ds_load_2addr_stride64_b32 v[0:1], v6 offset0:24 offset1:26
	v_add_f32_e32 v2, v3, v2
	s_waitcnt lgkmcnt(1)
	s_delay_alu instid0(VALU_DEP_1) | instskip(SKIP_3) | instid1(VALU_DEP_1)
	v_add_f32_e32 v4, v4, v2
	ds_load_2addr_stride64_b32 v[2:3], v6 offset0:28 offset1:30
	v_add_f32_e32 v4, v5, v4
	s_waitcnt lgkmcnt(1)
	v_add_f32_e32 v0, v0, v4
	v_or_b32_e32 v4, s28, v19
	s_delay_alu instid0(VALU_DEP_2) | instskip(SKIP_1) | instid1(VALU_DEP_1)
	v_add_f32_e32 v0, v1, v0
                                        ; implicit-def: $vgpr1
	s_waitcnt lgkmcnt(0)
	v_add_f32_e32 v0, v2, v0
	s_delay_alu instid0(VALU_DEP_1)
	v_add_f32_e32 v0, v3, v0
                                        ; implicit-def: $vgpr2_vgpr3
	ds_store_b32 v6, v0
	v_cmpx_gt_i32_e64 s8, v4
	s_cbranch_execz .LBB513_53
; %bb.50:
	v_ashrrev_i32_e32 v1, 31, v4
	v_mul_lo_u32 v5, v4, s7
	v_mad_u64_u32 v[2:3], null, v4, s6, 0
	v_cmp_eq_f32_e64 s2, s11, 0
	s_delay_alu instid0(VALU_DEP_4) | instskip(SKIP_1) | instid1(VALU_DEP_3)
	v_mul_lo_u32 v4, v1, s6
	v_mul_f32_e32 v1, s10, v0
	s_and_b32 vcc_lo, exec_lo, s2
	s_delay_alu instid0(VALU_DEP_2)
	v_add3_u32 v3, v3, v5, v4
	s_cbranch_vccnz .LBB513_52
; %bb.51:
	s_delay_alu instid0(VALU_DEP_1) | instskip(NEXT) | instid1(VALU_DEP_1)
	v_lshlrev_b64 v[4:5], 2, v[2:3]
	v_add_co_u32 v4, vcc_lo, s5, v4
	s_delay_alu instid0(VALU_DEP_2)
	v_add_co_ci_u32_e32 v5, vcc_lo, s26, v5, vcc_lo
	global_load_b32 v0, v[4:5], off
	s_waitcnt vmcnt(0)
	v_fmac_f32_e32 v1, s11, v0
.LBB513_52:
	s_or_b32 s2, s27, exec_lo
.LBB513_53:
	s_or_b32 exec_lo, exec_lo, s1
	s_delay_alu instid0(SALU_CYCLE_1) | instskip(SKIP_1) | instid1(SALU_CYCLE_1)
	s_and_not1_b32 s1, s27, exec_lo
	s_and_b32 s2, s2, exec_lo
	s_or_b32 s27, s1, s2
.LBB513_54:
	s_or_b32 exec_lo, exec_lo, s0
.LBB513_55:
	s_and_saveexec_b32 s0, s27
	s_cbranch_execz .LBB513_57
; %bb.56:
	v_lshlrev_b64 v[2:3], 2, v[2:3]
	s_delay_alu instid0(VALU_DEP_1) | instskip(NEXT) | instid1(VALU_DEP_2)
	v_add_co_u32 v2, vcc_lo, s5, v2
	v_add_co_ci_u32_e32 v3, vcc_lo, s26, v3, vcc_lo
	global_store_b32 v[2:3], v1, off
.LBB513_57:
	s_nop 0
	s_sendmsg sendmsg(MSG_DEALLOC_VGPRS)
	s_endpgm
	.section	.rodata,"a",@progbits
	.p2align	6, 0x0
	.amdhsa_kernel _ZL20rocblas_gemvn_kernelILi32ELi16ElPKDF16_fKPfEviiT3_lPKT2_lT1_lS7_lS8_lS4_lPT4_lS8_li
		.amdhsa_group_segment_fixed_size 8192
		.amdhsa_private_segment_fixed_size 0
		.amdhsa_kernarg_size 400
		.amdhsa_user_sgpr_count 14
		.amdhsa_user_sgpr_dispatch_ptr 0
		.amdhsa_user_sgpr_queue_ptr 0
		.amdhsa_user_sgpr_kernarg_segment_ptr 1
		.amdhsa_user_sgpr_dispatch_id 0
		.amdhsa_user_sgpr_private_segment_size 0
		.amdhsa_wavefront_size32 1
		.amdhsa_uses_dynamic_stack 0
		.amdhsa_enable_private_segment 0
		.amdhsa_system_sgpr_workgroup_id_x 1
		.amdhsa_system_sgpr_workgroup_id_y 0
		.amdhsa_system_sgpr_workgroup_id_z 1
		.amdhsa_system_sgpr_workgroup_info 0
		.amdhsa_system_vgpr_workitem_id 1
		.amdhsa_next_free_vgpr 55
		.amdhsa_next_free_sgpr 35
		.amdhsa_reserve_vcc 1
		.amdhsa_float_round_mode_32 0
		.amdhsa_float_round_mode_16_64 0
		.amdhsa_float_denorm_mode_32 3
		.amdhsa_float_denorm_mode_16_64 3
		.amdhsa_dx10_clamp 1
		.amdhsa_ieee_mode 1
		.amdhsa_fp16_overflow 0
		.amdhsa_workgroup_processor_mode 1
		.amdhsa_memory_ordered 1
		.amdhsa_forward_progress 0
		.amdhsa_shared_vgpr_count 0
		.amdhsa_exception_fp_ieee_invalid_op 0
		.amdhsa_exception_fp_denorm_src 0
		.amdhsa_exception_fp_ieee_div_zero 0
		.amdhsa_exception_fp_ieee_overflow 0
		.amdhsa_exception_fp_ieee_underflow 0
		.amdhsa_exception_fp_ieee_inexact 0
		.amdhsa_exception_int_div_zero 0
	.end_amdhsa_kernel
	.section	.text._ZL20rocblas_gemvn_kernelILi32ELi16ElPKDF16_fKPfEviiT3_lPKT2_lT1_lS7_lS8_lS4_lPT4_lS8_li,"axG",@progbits,_ZL20rocblas_gemvn_kernelILi32ELi16ElPKDF16_fKPfEviiT3_lPKT2_lT1_lS7_lS8_lS4_lPT4_lS8_li,comdat
.Lfunc_end513:
	.size	_ZL20rocblas_gemvn_kernelILi32ELi16ElPKDF16_fKPfEviiT3_lPKT2_lT1_lS7_lS8_lS4_lPT4_lS8_li, .Lfunc_end513-_ZL20rocblas_gemvn_kernelILi32ELi16ElPKDF16_fKPfEviiT3_lPKT2_lT1_lS7_lS8_lS4_lPT4_lS8_li
                                        ; -- End function
	.section	.AMDGPU.csdata,"",@progbits
; Kernel info:
; codeLenInByte = 3540
; NumSgprs: 37
; NumVgprs: 55
; ScratchSize: 0
; MemoryBound: 0
; FloatMode: 240
; IeeeMode: 1
; LDSByteSize: 8192 bytes/workgroup (compile time only)
; SGPRBlocks: 4
; VGPRBlocks: 6
; NumSGPRsForWavesPerEU: 37
; NumVGPRsForWavesPerEU: 55
; Occupancy: 16
; WaveLimiterHint : 1
; COMPUTE_PGM_RSRC2:SCRATCH_EN: 0
; COMPUTE_PGM_RSRC2:USER_SGPR: 14
; COMPUTE_PGM_RSRC2:TRAP_HANDLER: 0
; COMPUTE_PGM_RSRC2:TGID_X_EN: 1
; COMPUTE_PGM_RSRC2:TGID_Y_EN: 0
; COMPUTE_PGM_RSRC2:TGID_Z_EN: 1
; COMPUTE_PGM_RSRC2:TIDIG_COMP_CNT: 1
	.section	.text._ZL20rocblas_gemvn_kernelILi64ELi16EiPKDF16_PKfKPfEviiT3_lPKT2_lT1_lS9_lSA_lS6_lPT4_lSA_li,"axG",@progbits,_ZL20rocblas_gemvn_kernelILi64ELi16EiPKDF16_PKfKPfEviiT3_lPKT2_lT1_lS9_lSA_lS6_lPT4_lSA_li,comdat
	.globl	_ZL20rocblas_gemvn_kernelILi64ELi16EiPKDF16_PKfKPfEviiT3_lPKT2_lT1_lS9_lSA_lS6_lPT4_lSA_li ; -- Begin function _ZL20rocblas_gemvn_kernelILi64ELi16EiPKDF16_PKfKPfEviiT3_lPKT2_lT1_lS9_lSA_lS6_lPT4_lSA_li
	.p2align	8
	.type	_ZL20rocblas_gemvn_kernelILi64ELi16EiPKDF16_PKfKPfEviiT3_lPKT2_lT1_lS9_lSA_lS6_lPT4_lSA_li,@function
_ZL20rocblas_gemvn_kernelILi64ELi16EiPKDF16_PKfKPfEviiT3_lPKT2_lT1_lS9_lSA_lS6_lPT4_lSA_li: ; @_ZL20rocblas_gemvn_kernelILi64ELi16EiPKDF16_PKfKPfEviiT3_lPKT2_lT1_lS9_lSA_lS6_lPT4_lSA_li
; %bb.0:
	s_load_b64 s[4:5], s[0:1], 0x9c
	s_waitcnt lgkmcnt(0)
	s_lshr_b32 s3, s4, 16
	s_and_b32 s4, s4, 0xffff
	s_and_b32 s5, s5, 0xffff
	s_mul_i32 s3, s3, s4
	s_delay_alu instid0(SALU_CYCLE_1) | instskip(NEXT) | instid1(SALU_CYCLE_1)
	s_mul_i32 s3, s3, s5
	s_cmpk_lg_i32 s3, 0x400
	s_cbranch_scc1 .LBB514_54
; %bb.1:
	s_clause 0x1
	s_load_b256 s[16:23], s[0:1], 0x8
	s_load_b256 s[4:11], s[0:1], 0x58
	s_mov_b32 s2, s15
	s_waitcnt lgkmcnt(0)
	s_mul_i32 s3, s15, s19
	s_mul_hi_u32 s13, s15, s18
	s_mul_i32 s12, s15, s18
	s_add_i32 s13, s13, s3
	s_mul_i32 s3, s15, s7
	s_lshl_b64 s[12:13], s[12:13], 2
	s_mul_hi_u32 s7, s15, s6
	s_add_u32 s12, s16, s12
	s_addc_u32 s13, s17, s13
	s_add_i32 s7, s7, s3
	s_mul_i32 s6, s15, s6
	s_delay_alu instid0(SALU_CYCLE_1) | instskip(NEXT) | instid1(SALU_CYCLE_1)
	s_lshl_b64 s[6:7], s[6:7], 2
	s_add_u32 s4, s4, s6
	s_addc_u32 s5, s5, s7
	s_load_b32 s16, s[12:13], 0x0
	s_load_b32 s15, s[4:5], 0x0
	s_waitcnt lgkmcnt(0)
	v_cmp_eq_f32_e64 s18, s16, 0
	v_cmp_eq_f32_e64 s3, s15, 1.0
	s_delay_alu instid0(VALU_DEP_1) | instskip(NEXT) | instid1(SALU_CYCLE_1)
	s_and_b32 s3, s18, s3
	s_and_b32 vcc_lo, exec_lo, s3
	s_mov_b32 s3, 0
	s_cbranch_vccnz .LBB514_54
; %bb.2:
	v_cmp_neq_f32_e64 s4, s16, 0
	s_mov_b64 s[12:13], 0
	s_and_b32 vcc_lo, exec_lo, s18
	s_mov_b64 s[6:7], 0
	s_cbranch_vccnz .LBB514_4
; %bb.3:
	s_lshl_b64 s[6:7], s[2:3], 3
	s_delay_alu instid0(SALU_CYCLE_1)
	s_add_u32 s6, s20, s6
	s_addc_u32 s7, s21, s7
	s_lshl_b64 s[20:21], s[22:23], 1
	s_load_b64 s[6:7], s[6:7], 0x0
	s_waitcnt lgkmcnt(0)
	s_add_u32 s6, s6, s20
	s_addc_u32 s7, s7, s21
.LBB514_4:
	s_and_not1_b32 vcc_lo, exec_lo, s4
	s_cbranch_vccnz .LBB514_6
; %bb.5:
	s_load_b128 s[20:23], s[0:1], 0x38
	s_lshl_b64 s[4:5], s[2:3], 3
	s_waitcnt lgkmcnt(0)
	s_add_u32 s4, s20, s4
	s_addc_u32 s5, s21, s5
	s_lshl_b64 s[12:13], s[22:23], 1
	s_load_b64 s[4:5], s[4:5], 0x0
	s_waitcnt lgkmcnt(0)
	s_add_u32 s12, s4, s12
	s_addc_u32 s13, s5, s13
.LBB514_6:
	s_lshl_b64 s[2:3], s[2:3], 3
	v_and_b32_e32 v1, 0x3ff, v0
	s_add_u32 s2, s8, s2
	s_addc_u32 s3, s9, s3
	v_bfe_u32 v13, v0, 10, 10
	s_load_b64 s[20:21], s[2:3], 0x0
	s_clause 0x1
	s_load_b64 s[4:5], s[0:1], 0x0
	s_load_b32 s17, s[0:1], 0x78
	s_lshl_b64 s[10:11], s[10:11], 2
	v_lshl_add_u32 v0, v13, 6, v1
	s_delay_alu instid0(VALU_DEP_1)
	v_cmp_gt_u32_e64 s2, 0x100, v0
	s_waitcnt lgkmcnt(0)
	s_add_u32 s9, s20, s10
	s_addc_u32 s10, s21, s11
	s_and_not1_b32 vcc_lo, exec_lo, s18
	s_cbranch_vccnz .LBB514_13
; %bb.7:
	s_mov_b32 s3, 0
	s_mov_b32 s11, 0
                                        ; implicit-def: $vgpr3
                                        ; implicit-def: $vgpr4_vgpr5
	s_and_saveexec_b32 s8, s2
	s_cbranch_execz .LBB514_14
; %bb.8:
	v_lshl_or_b32 v2, s14, 8, v0
	v_mov_b32_e32 v3, 0
	s_ashr_i32 s19, s4, 31
	s_mov_b32 s18, s4
	s_mov_b32 s2, exec_lo
                                        ; implicit-def: $vgpr4_vgpr5
	s_delay_alu instid0(VALU_DEP_1)
	v_cmpx_gt_i64_e64 s[18:19], v[2:3]
	s_cbranch_execz .LBB514_12
; %bb.9:
	v_mad_u64_u32 v[4:5], null, s17, v2, 0
	s_ashr_i32 s11, s17, 31
	s_delay_alu instid0(VALU_DEP_1) | instid1(SALU_CYCLE_1)
	v_mad_u64_u32 v[6:7], null, s11, v2, v[5:6]
	v_cmp_eq_f32_e64 s11, s15, 0
	s_delay_alu instid0(VALU_DEP_1) | instskip(NEXT) | instid1(VALU_DEP_2)
	s_and_b32 vcc_lo, exec_lo, s11
	v_mov_b32_e32 v5, v6
	s_cbranch_vccnz .LBB514_11
; %bb.10:
	s_delay_alu instid0(VALU_DEP_1) | instskip(NEXT) | instid1(VALU_DEP_1)
	v_lshlrev_b64 v[2:3], 2, v[4:5]
	v_add_co_u32 v2, vcc_lo, s9, v2
	s_delay_alu instid0(VALU_DEP_2)
	v_add_co_ci_u32_e32 v3, vcc_lo, s10, v3, vcc_lo
	global_load_b32 v2, v[2:3], off
	s_waitcnt vmcnt(0)
	v_mul_f32_e32 v3, s15, v2
.LBB514_11:
	s_mov_b32 s11, exec_lo
.LBB514_12:
	s_or_b32 exec_lo, exec_lo, s2
	s_delay_alu instid0(SALU_CYCLE_1) | instskip(SKIP_1) | instid1(SALU_CYCLE_1)
	s_and_b32 s11, s11, exec_lo
	s_or_b32 exec_lo, exec_lo, s8
	s_and_b32 vcc_lo, exec_lo, s3
	s_cbranch_vccnz .LBB514_15
	s_branch .LBB514_52
.LBB514_13:
	s_mov_b32 s11, 0
                                        ; implicit-def: $vgpr3
                                        ; implicit-def: $vgpr4_vgpr5
	s_cbranch_execnz .LBB514_15
	s_branch .LBB514_52
.LBB514_14:
	s_or_b32 exec_lo, exec_lo, s8
	s_delay_alu instid0(SALU_CYCLE_1)
	s_and_b32 vcc_lo, exec_lo, s3
	s_cbranch_vccz .LBB514_52
.LBB514_15:
	s_clause 0x1
	s_load_b32 s18, s[0:1], 0x28
	s_load_b32 s8, s[0:1], 0x48
	s_ashr_i32 s0, s5, 31
	s_lshl_b32 s14, s14, 8
	s_lshr_b32 s0, s0, 26
	v_dual_mov_b32 v18, 0 :: v_dual_lshlrev_b32 v19, 2, v13
	v_dual_mov_b32 v16, 0 :: v_dual_add_nc_u32 v15, s14, v1
	v_dual_mov_b32 v17, 0 :: v_dual_mov_b32 v14, 0
	s_add_i32 s19, s5, s0
	s_mov_b32 s20, exec_lo
	s_and_not1_b32 s19, s19, 63
	s_delay_alu instid0(SALU_CYCLE_1)
	v_cmpx_gt_i32_e64 s19, v19
	s_cbranch_execz .LBB514_27
; %bb.16:
	s_waitcnt lgkmcnt(0)
	v_mul_lo_u32 v3, s18, v19
	v_dual_mov_b32 v17, 0 :: v_dual_add_nc_u32 v2, 64, v15
	v_add_nc_u32_e32 v6, 2, v19
	v_dual_mov_b32 v18, 0 :: v_dual_add_nc_u32 v5, 0xc0, v15
	s_delay_alu instid0(VALU_DEP_3)
	v_cmp_gt_i32_e64 s0, s4, v2
	v_add_nc_u32_e32 v4, 0x80, v15
	v_add3_u32 v20, v3, s18, v1
	v_mad_u64_u32 v[2:3], null, s18, v6, v[1:2]
	v_cmp_gt_i32_e64 s2, s4, v5
	v_mul_lo_u32 v5, v13, s18
	v_dual_mov_b32 v16, 0 :: v_dual_add_nc_u32 v7, 3, v19
	v_mul_lo_u32 v8, v13, s8
	v_cmp_gt_i32_e64 s1, s4, v4
	v_mul_lo_u32 v22, s8, v6
	s_delay_alu instid0(VALU_DEP_4)
	v_mad_u64_u32 v[3:4], null, s18, v7, v[1:2]
	v_lshl_add_u32 v21, v5, 2, v1
	v_mad_u64_u32 v[4:5], null, s8, v19, s[8:9]
	v_mul_lo_u32 v23, s8, v7
	v_cmp_gt_i32_e32 vcc_lo, s4, v15
	v_lshlrev_b32_e32 v24, 2, v8
	v_mov_b32_e32 v14, 0
	s_lshl_b32 s21, s18, 6
	s_lshl_b32 s23, s8, 6
	s_mov_b32 s22, 0
	s_mov_b32 s24, 0
	s_branch .LBB514_21
.LBB514_17:                             ;   in Loop: Header=BB514_21 Depth=1
	s_or_b32 exec_lo, exec_lo, s27
	s_waitcnt vmcnt(3) lgkmcnt(3)
	v_fma_mix_f32 v5, v37, v41, v16 op_sel_hi:[0,1,0]
	s_waitcnt vmcnt(2) lgkmcnt(2)
	s_delay_alu instid0(VALU_DEP_1) | instskip(SKIP_1) | instid1(VALU_DEP_1)
	v_fma_mix_f32 v5, v38, v42, v5 op_sel_hi:[0,1,0]
	s_waitcnt vmcnt(1) lgkmcnt(1)
	v_fma_mix_f32 v5, v39, v43, v5 op_sel_hi:[0,1,0]
	s_waitcnt vmcnt(0) lgkmcnt(0)
	s_delay_alu instid0(VALU_DEP_1)
	v_fma_mix_f32 v16, v40, v44, v5 op_sel_hi:[0,1,0]
.LBB514_18:                             ;   in Loop: Header=BB514_21 Depth=1
	s_or_b32 exec_lo, exec_lo, s26
	s_waitcnt vmcnt(3) lgkmcnt(3)
	v_fma_mix_f32 v5, v37, v33, v17 op_sel_hi:[0,1,0]
	s_waitcnt vmcnt(2) lgkmcnt(2)
	s_delay_alu instid0(VALU_DEP_1) | instskip(SKIP_1) | instid1(VALU_DEP_1)
	v_fma_mix_f32 v5, v38, v34, v5 op_sel_hi:[0,1,0]
	s_waitcnt vmcnt(1) lgkmcnt(1)
	v_fma_mix_f32 v5, v39, v35, v5 op_sel_hi:[0,1,0]
	s_waitcnt vmcnt(0) lgkmcnt(0)
	s_delay_alu instid0(VALU_DEP_1)
	v_fma_mix_f32 v17, v40, v36, v5 op_sel_hi:[0,1,0]
.LBB514_19:                             ;   in Loop: Header=BB514_21 Depth=1
	s_or_b32 exec_lo, exec_lo, s3
	s_waitcnt vmcnt(3) lgkmcnt(3)
	v_fma_mix_f32 v5, v25, v29, v18 op_sel_hi:[1,1,0]
	s_waitcnt vmcnt(2) lgkmcnt(2)
	s_delay_alu instid0(VALU_DEP_1) | instskip(SKIP_1) | instid1(VALU_DEP_1)
	v_fma_mix_f32 v5, v26, v30, v5 op_sel_hi:[1,1,0]
	s_waitcnt vmcnt(1) lgkmcnt(1)
	v_fma_mix_f32 v5, v27, v31, v5 op_sel_hi:[1,1,0]
	s_waitcnt vmcnt(0) lgkmcnt(0)
	s_delay_alu instid0(VALU_DEP_1)
	v_fma_mix_f32 v18, v28, v32, v5 op_sel_hi:[1,1,0]
.LBB514_20:                             ;   in Loop: Header=BB514_21 Depth=1
	s_or_b32 exec_lo, exec_lo, s25
	v_add_nc_u32_e32 v19, 64, v19
	v_add_nc_u32_e32 v20, s21, v20
	;; [unrolled: 1-line block ×5, first 2 shown]
	v_cmp_le_i32_e64 s3, s19, v19
	s_add_i32 s24, s24, s23
	s_delay_alu instid0(VALU_DEP_1) | instskip(NEXT) | instid1(SALU_CYCLE_1)
	s_or_b32 s22, s3, s22
	s_and_not1_b32 exec_lo, exec_lo, s22
	s_cbranch_execz .LBB514_26
.LBB514_21:                             ; =>This Inner Loop Header: Depth=1
	s_and_saveexec_b32 s25, vcc_lo
	s_cbranch_execz .LBB514_20
; %bb.22:                               ;   in Loop: Header=BB514_21 Depth=1
	v_add_nc_u32_e32 v5, s24, v24
	v_add_nc_u32_e32 v7, s24, v4
	v_add_nc_u32_e32 v9, s24, v22
	v_add_nc_u32_e32 v11, s24, v23
	v_add_nc_u32_e32 v25, s14, v21
	v_ashrrev_i32_e32 v6, 31, v5
	v_ashrrev_i32_e32 v8, 31, v7
	;; [unrolled: 1-line block ×5, first 2 shown]
	v_lshlrev_b64 v[5:6], 1, v[5:6]
	v_lshlrev_b64 v[7:8], 1, v[7:8]
	;; [unrolled: 1-line block ×3, first 2 shown]
	s_delay_alu instid0(VALU_DEP_3) | instskip(NEXT) | instid1(VALU_DEP_1)
	v_add_co_u32 v27, s3, s12, v5
	v_add_co_ci_u32_e64 v28, s3, s13, v6, s3
	s_delay_alu instid0(VALU_DEP_4)
	v_add_co_u32 v29, s3, s12, v7
	v_add_nc_u32_e32 v7, s14, v20
	v_add_co_ci_u32_e64 v30, s3, s13, v8, s3
	v_lshlrev_b64 v[5:6], 1, v[11:12]
	v_add_co_u32 v31, s3, s12, v9
	v_add_nc_u32_e32 v11, s14, v2
	v_add_co_ci_u32_e64 v32, s3, s13, v10, s3
	v_lshlrev_b64 v[9:10], 1, v[25:26]
	v_ashrrev_i32_e32 v8, 31, v7
	v_add_nc_u32_e32 v25, s14, v3
	v_add_co_u32 v33, s3, s12, v5
	v_ashrrev_i32_e32 v12, 31, v11
	v_add_co_ci_u32_e64 v34, s3, s13, v6, s3
	v_lshlrev_b64 v[7:8], 1, v[7:8]
	v_add_co_u32 v5, s3, s6, v9
	v_ashrrev_i32_e32 v26, 31, v25
	v_add_co_ci_u32_e64 v6, s3, s7, v10, s3
	v_lshlrev_b64 v[9:10], 1, v[11:12]
	v_add_co_u32 v7, s3, s6, v7
	s_delay_alu instid0(VALU_DEP_4) | instskip(SKIP_1) | instid1(VALU_DEP_4)
	v_lshlrev_b64 v[11:12], 1, v[25:26]
	v_add_co_ci_u32_e64 v8, s3, s7, v8, s3
	v_add_co_u32 v9, s3, s6, v9
	s_delay_alu instid0(VALU_DEP_1) | instskip(NEXT) | instid1(VALU_DEP_4)
	v_add_co_ci_u32_e64 v10, s3, s7, v10, s3
	v_add_co_u32 v11, s3, s6, v11
	s_delay_alu instid0(VALU_DEP_1)
	v_add_co_ci_u32_e64 v12, s3, s7, v12, s3
	s_clause 0x3
	flat_load_u16 v25, v[27:28]
	flat_load_u16 v26, v[29:30]
	;; [unrolled: 1-line block ×4, first 2 shown]
	s_clause 0x3
	flat_load_u16 v29, v[5:6]
	flat_load_u16 v30, v[7:8]
	flat_load_u16 v31, v[9:10]
	flat_load_u16 v32, v[11:12]
	s_and_saveexec_b32 s3, s0
	s_cbranch_execz .LBB514_19
; %bb.23:                               ;   in Loop: Header=BB514_21 Depth=1
	s_clause 0x3
	flat_load_u16 v33, v[5:6] offset:128
	flat_load_u16 v34, v[7:8] offset:128
	flat_load_u16 v35, v[9:10] offset:128
	flat_load_u16 v36, v[11:12] offset:128
	s_waitcnt vmcnt(11) lgkmcnt(11)
	v_cvt_f32_f16_e32 v37, v25
	s_waitcnt vmcnt(10) lgkmcnt(10)
	v_cvt_f32_f16_e32 v38, v26
	s_waitcnt vmcnt(9) lgkmcnt(9)
	v_cvt_f32_f16_e32 v39, v27
	s_waitcnt vmcnt(8) lgkmcnt(8)
	v_cvt_f32_f16_e32 v40, v28
	s_and_saveexec_b32 s26, s1
	s_cbranch_execz .LBB514_18
; %bb.24:                               ;   in Loop: Header=BB514_21 Depth=1
	s_clause 0x3
	flat_load_u16 v41, v[5:6] offset:256
	flat_load_u16 v42, v[7:8] offset:256
	;; [unrolled: 1-line block ×4, first 2 shown]
	s_and_saveexec_b32 s27, s2
	s_cbranch_execz .LBB514_17
; %bb.25:                               ;   in Loop: Header=BB514_21 Depth=1
	s_clause 0x3
	flat_load_u16 v5, v[5:6] offset:384
	flat_load_u16 v6, v[7:8] offset:384
	;; [unrolled: 1-line block ×4, first 2 shown]
	s_waitcnt vmcnt(3) lgkmcnt(3)
	v_fma_mix_f32 v5, v37, v5, v14 op_sel_hi:[0,1,0]
	s_waitcnt vmcnt(2) lgkmcnt(2)
	s_delay_alu instid0(VALU_DEP_1) | instskip(SKIP_1) | instid1(VALU_DEP_1)
	v_fma_mix_f32 v5, v38, v6, v5 op_sel_hi:[0,1,0]
	s_waitcnt vmcnt(1) lgkmcnt(1)
	v_fma_mix_f32 v5, v39, v7, v5 op_sel_hi:[0,1,0]
	s_waitcnt vmcnt(0) lgkmcnt(0)
	s_delay_alu instid0(VALU_DEP_1)
	v_fma_mix_f32 v14, v40, v8, v5 op_sel_hi:[0,1,0]
	s_branch .LBB514_17
.LBB514_26:
	s_or_b32 exec_lo, exec_lo, s22
.LBB514_27:
	s_delay_alu instid0(SALU_CYCLE_1) | instskip(SKIP_1) | instid1(SALU_CYCLE_1)
	s_or_b32 exec_lo, exec_lo, s20
	s_sub_i32 s0, s5, s19
	s_cmp_lt_i32 s0, 1
	s_cbranch_scc1 .LBB514_45
; %bb.28:
	v_cmp_gt_i32_e32 vcc_lo, s5, v19
	v_dual_mov_b32 v10, 0 :: v_dual_mov_b32 v11, 0
	v_or_b32_e32 v2, 1, v19
	v_mov_b32_e32 v12, 0
	v_mov_b32_e32 v20, 0
	s_and_saveexec_b32 s1, vcc_lo
	s_cbranch_execz .LBB514_36
; %bb.29:
	s_waitcnt lgkmcnt(0)
	v_mul_lo_u32 v3, v19, s8
	v_dual_mov_b32 v12, 0 :: v_dual_mov_b32 v11, 0
	v_mov_b32_e32 v10, 0
	s_mov_b32 s2, exec_lo
	s_delay_alu instid0(VALU_DEP_3) | instskip(NEXT) | instid1(VALU_DEP_1)
	v_ashrrev_i32_e32 v4, 31, v3
	v_lshlrev_b64 v[3:4], 1, v[3:4]
	s_delay_alu instid0(VALU_DEP_1) | instskip(NEXT) | instid1(VALU_DEP_1)
	v_add_co_u32 v3, s0, s12, v3
	v_add_co_ci_u32_e64 v4, s0, s13, v4, s0
	flat_load_u16 v3, v[3:4]
	v_cmpx_gt_i32_e64 s5, v2
	s_cbranch_execz .LBB514_35
; %bb.30:
	v_mul_lo_u32 v4, v2, s8
	v_dual_mov_b32 v11, 0 :: v_dual_mov_b32 v10, 0
	s_mov_b32 s3, exec_lo
	s_delay_alu instid0(VALU_DEP_2) | instskip(NEXT) | instid1(VALU_DEP_1)
	v_ashrrev_i32_e32 v5, 31, v4
	v_lshlrev_b64 v[4:5], 1, v[4:5]
	s_delay_alu instid0(VALU_DEP_1) | instskip(NEXT) | instid1(VALU_DEP_1)
	v_add_co_u32 v4, s0, s12, v4
	v_add_co_ci_u32_e64 v5, s0, s13, v5, s0
	flat_load_u16 v4, v[4:5]
	v_or_b32_e32 v5, 2, v19
	s_delay_alu instid0(VALU_DEP_1)
	v_cmpx_gt_i32_e64 s5, v5
	s_cbranch_execz .LBB514_34
; %bb.31:
	v_mul_lo_u32 v5, v5, s8
	v_mov_b32_e32 v10, 0
	s_mov_b32 s19, exec_lo
	s_delay_alu instid0(VALU_DEP_2) | instskip(NEXT) | instid1(VALU_DEP_1)
	v_ashrrev_i32_e32 v6, 31, v5
	v_lshlrev_b64 v[5:6], 1, v[5:6]
	s_delay_alu instid0(VALU_DEP_1) | instskip(NEXT) | instid1(VALU_DEP_1)
	v_add_co_u32 v5, s0, s12, v5
	v_add_co_ci_u32_e64 v6, s0, s13, v6, s0
	flat_load_u16 v5, v[5:6]
	v_or_b32_e32 v6, 3, v19
	s_delay_alu instid0(VALU_DEP_1)
	v_cmpx_gt_i32_e64 s5, v6
	s_cbranch_execz .LBB514_33
; %bb.32:
	v_mul_lo_u32 v6, v6, s8
	s_delay_alu instid0(VALU_DEP_1) | instskip(NEXT) | instid1(VALU_DEP_1)
	v_ashrrev_i32_e32 v7, 31, v6
	v_lshlrev_b64 v[6:7], 1, v[6:7]
	s_delay_alu instid0(VALU_DEP_1) | instskip(NEXT) | instid1(VALU_DEP_1)
	v_add_co_u32 v6, s0, s12, v6
	v_add_co_ci_u32_e64 v7, s0, s13, v7, s0
	flat_load_u16 v6, v[6:7]
	s_waitcnt vmcnt(0) lgkmcnt(0)
	v_cvt_f32_f16_e32 v10, v6
.LBB514_33:
	s_or_b32 exec_lo, exec_lo, s19
	s_waitcnt vmcnt(0) lgkmcnt(0)
	v_cvt_f32_f16_e32 v11, v5
.LBB514_34:
	s_or_b32 exec_lo, exec_lo, s3
	s_waitcnt vmcnt(0) lgkmcnt(0)
	v_cvt_f32_f16_e32 v12, v4
.LBB514_35:
	s_or_b32 exec_lo, exec_lo, s2
	s_waitcnt vmcnt(0) lgkmcnt(0)
	v_cvt_f32_f16_e32 v20, v3
.LBB514_36:
	s_or_b32 exec_lo, exec_lo, s1
	s_delay_alu instid0(SALU_CYCLE_1)
	s_mov_b32 s1, exec_lo
	v_cmpx_gt_i32_e64 s4, v15
	s_cbranch_execz .LBB514_44
; %bb.37:
	s_waitcnt lgkmcnt(0)
	v_mul_lo_u32 v3, v19, s18
	v_or_b32_e32 v6, 3, v19
	v_or_b32_e32 v4, 2, v19
	v_mul_lo_u32 v5, v2, s18
	s_mov_b32 s0, exec_lo
	s_delay_alu instid0(VALU_DEP_3) | instskip(NEXT) | instid1(VALU_DEP_3)
	v_mul_lo_u32 v8, v6, s18
	v_mul_lo_u32 v7, v4, s18
	v_cndmask_b32_e32 v3, 0, v3, vcc_lo
	v_cmp_gt_i32_e32 vcc_lo, s5, v2
	v_cndmask_b32_e32 v5, 0, v5, vcc_lo
	v_cmp_gt_i32_e32 vcc_lo, s5, v4
	;; [unrolled: 2-line block ×3, first 2 shown]
	s_delay_alu instid0(VALU_DEP_2) | instskip(SKIP_3) | instid1(VALU_DEP_4)
	v_add_nc_u32_e32 v6, v7, v15
	v_cndmask_b32_e32 v8, 0, v8, vcc_lo
	v_add_nc_u32_e32 v2, v3, v15
	v_add_nc_u32_e32 v4, v5, v15
	v_ashrrev_i32_e32 v7, 31, v6
	s_delay_alu instid0(VALU_DEP_4) | instskip(NEXT) | instid1(VALU_DEP_4)
	v_add_nc_u32_e32 v8, v8, v15
	v_ashrrev_i32_e32 v3, 31, v2
	s_delay_alu instid0(VALU_DEP_4) | instskip(NEXT) | instid1(VALU_DEP_4)
	v_ashrrev_i32_e32 v5, 31, v4
	v_lshlrev_b64 v[6:7], 1, v[6:7]
	s_delay_alu instid0(VALU_DEP_4) | instskip(NEXT) | instid1(VALU_DEP_4)
	v_ashrrev_i32_e32 v9, 31, v8
	v_lshlrev_b64 v[2:3], 1, v[2:3]
	s_delay_alu instid0(VALU_DEP_4) | instskip(NEXT) | instid1(VALU_DEP_3)
	v_lshlrev_b64 v[4:5], 1, v[4:5]
	v_lshlrev_b64 v[8:9], 1, v[8:9]
	s_delay_alu instid0(VALU_DEP_3) | instskip(NEXT) | instid1(VALU_DEP_4)
	v_add_co_u32 v2, vcc_lo, s6, v2
	v_add_co_ci_u32_e32 v3, vcc_lo, s7, v3, vcc_lo
	s_delay_alu instid0(VALU_DEP_4)
	v_add_co_u32 v4, vcc_lo, s6, v4
	v_add_co_ci_u32_e32 v5, vcc_lo, s7, v5, vcc_lo
	flat_load_u16 v21, v[2:3]
	v_add_co_u32 v6, vcc_lo, s6, v6
	v_add_co_ci_u32_e32 v7, vcc_lo, s7, v7, vcc_lo
	s_clause 0x1
	flat_load_u16 v22, v[4:5]
	flat_load_u16 v23, v[6:7]
	v_add_co_u32 v8, vcc_lo, s6, v8
	v_add_co_ci_u32_e32 v9, vcc_lo, s7, v9, vcc_lo
	flat_load_u16 v19, v[8:9]
	s_waitcnt vmcnt(3) lgkmcnt(3)
	v_fma_mix_f32 v18, v20, v21, v18 op_sel_hi:[0,1,0]
	v_add_nc_u32_e32 v21, 64, v15
	s_waitcnt vmcnt(2) lgkmcnt(2)
	s_delay_alu instid0(VALU_DEP_2) | instskip(SKIP_1) | instid1(VALU_DEP_1)
	v_fma_mix_f32 v18, v12, v22, v18 op_sel_hi:[0,1,0]
	s_waitcnt vmcnt(1) lgkmcnt(1)
	v_fma_mix_f32 v18, v11, v23, v18 op_sel_hi:[0,1,0]
	v_cmpx_gt_i32_e64 s4, v21
	s_cbranch_execz .LBB514_43
; %bb.38:
	s_clause 0x3
	flat_load_u16 v22, v[2:3] offset:128
	flat_load_u16 v23, v[4:5] offset:128
	;; [unrolled: 1-line block ×4, first 2 shown]
	s_mov_b32 s2, exec_lo
	s_waitcnt vmcnt(3) lgkmcnt(3)
	v_fma_mix_f32 v17, v20, v22, v17 op_sel_hi:[0,1,0]
	v_add_nc_u32_e32 v22, 0x80, v15
	s_waitcnt vmcnt(2) lgkmcnt(2)
	s_delay_alu instid0(VALU_DEP_2) | instskip(SKIP_1) | instid1(VALU_DEP_1)
	v_fma_mix_f32 v17, v12, v23, v17 op_sel_hi:[0,1,0]
	s_waitcnt vmcnt(1) lgkmcnt(1)
	v_fma_mix_f32 v17, v11, v24, v17 op_sel_hi:[0,1,0]
	v_cmpx_gt_i32_e64 s4, v22
	s_cbranch_execz .LBB514_42
; %bb.39:
	s_clause 0x3
	flat_load_u16 v23, v[2:3] offset:256
	flat_load_u16 v24, v[4:5] offset:256
	;; [unrolled: 1-line block ×4, first 2 shown]
	s_mov_b32 s3, exec_lo
	s_waitcnt vmcnt(3) lgkmcnt(3)
	v_fma_mix_f32 v16, v20, v23, v16 op_sel_hi:[0,1,0]
	v_add_nc_u32_e32 v23, 0xc0, v15
	s_waitcnt vmcnt(2) lgkmcnt(2)
	s_delay_alu instid0(VALU_DEP_2) | instskip(SKIP_1) | instid1(VALU_DEP_1)
	v_fma_mix_f32 v16, v12, v24, v16 op_sel_hi:[0,1,0]
	s_waitcnt vmcnt(1) lgkmcnt(1)
	v_fma_mix_f32 v15, v11, v25, v16 op_sel_hi:[0,1,0]
	v_cmpx_gt_i32_e64 s4, v23
	s_cbranch_execz .LBB514_41
; %bb.40:
	s_clause 0x3
	flat_load_u16 v2, v[2:3] offset:384
	flat_load_u16 v3, v[4:5] offset:384
	;; [unrolled: 1-line block ×4, first 2 shown]
	s_waitcnt vmcnt(3) lgkmcnt(3)
	v_fma_mix_f32 v2, v20, v2, v14 op_sel_hi:[0,1,0]
	s_waitcnt vmcnt(2) lgkmcnt(2)
	s_delay_alu instid0(VALU_DEP_1) | instskip(SKIP_1) | instid1(VALU_DEP_1)
	v_fma_mix_f32 v2, v12, v3, v2 op_sel_hi:[0,1,0]
	s_waitcnt vmcnt(1) lgkmcnt(1)
	v_fma_mix_f32 v2, v11, v4, v2 op_sel_hi:[0,1,0]
	s_waitcnt vmcnt(0) lgkmcnt(0)
	s_delay_alu instid0(VALU_DEP_1)
	v_fma_mix_f32 v14, v10, v5, v2 op_sel_hi:[0,1,0]
.LBB514_41:
	s_or_b32 exec_lo, exec_lo, s3
	s_waitcnt vmcnt(0) lgkmcnt(0)
	v_fma_mix_f32 v16, v10, v22, v15 op_sel_hi:[0,1,0]
.LBB514_42:
	s_or_b32 exec_lo, exec_lo, s2
	s_waitcnt vmcnt(0) lgkmcnt(0)
	v_fma_mix_f32 v17, v10, v21, v17 op_sel_hi:[0,1,0]
.LBB514_43:
	s_or_b32 exec_lo, exec_lo, s0
	s_waitcnt vmcnt(0) lgkmcnt(0)
	v_fma_mix_f32 v18, v10, v19, v18 op_sel_hi:[0,1,0]
.LBB514_44:
	s_or_b32 exec_lo, exec_lo, s1
.LBB514_45:
	v_lshlrev_b32_e32 v2, 8, v13
	s_mov_b32 s0, exec_lo
                                        ; implicit-def: $vgpr3
                                        ; implicit-def: $vgpr4_vgpr5
	s_delay_alu instid0(VALU_DEP_1)
	v_add_lshl_u32 v1, v2, v1, 2
	ds_store_2addr_stride64_b32 v1, v18, v17 offset1:1
	ds_store_2addr_stride64_b32 v1, v16, v14 offset0:2 offset1:3
	s_waitcnt lgkmcnt(0)
	s_barrier
	buffer_gl0_inv
	v_cmpx_gt_u32_e32 0x100, v0
	s_cbranch_execz .LBB514_51
; %bb.46:
	v_lshlrev_b32_e32 v7, 2, v0
	s_mov_b32 s2, s11
	s_mov_b32 s1, exec_lo
	ds_load_2addr_stride64_b32 v[1:2], v7 offset1:4
	ds_load_2addr_stride64_b32 v[3:4], v7 offset0:8 offset1:12
	ds_load_2addr_stride64_b32 v[5:6], v7 offset0:16 offset1:20
	s_waitcnt lgkmcnt(2)
	v_add_f32_e32 v8, v1, v2
	ds_load_2addr_stride64_b32 v[1:2], v7 offset0:24 offset1:28
	s_waitcnt lgkmcnt(2)
	v_add_f32_e32 v3, v3, v8
	s_delay_alu instid0(VALU_DEP_1) | instskip(SKIP_3) | instid1(VALU_DEP_1)
	v_add_f32_e32 v8, v4, v3
	ds_load_2addr_stride64_b32 v[3:4], v7 offset0:32 offset1:36
	s_waitcnt lgkmcnt(2)
	v_add_f32_e32 v5, v5, v8
	v_add_f32_e32 v8, v6, v5
	ds_load_2addr_stride64_b32 v[5:6], v7 offset0:40 offset1:44
	s_waitcnt lgkmcnt(2)
	v_add_f32_e32 v1, v1, v8
	s_delay_alu instid0(VALU_DEP_1) | instskip(SKIP_1) | instid1(VALU_DEP_1)
	v_add_f32_e32 v1, v2, v1
	s_waitcnt lgkmcnt(1)
	v_add_f32_e32 v3, v3, v1
	ds_load_2addr_stride64_b32 v[1:2], v7 offset0:48 offset1:52
	v_add_f32_e32 v3, v4, v3
	s_waitcnt lgkmcnt(1)
	s_delay_alu instid0(VALU_DEP_1) | instskip(SKIP_3) | instid1(VALU_DEP_1)
	v_add_f32_e32 v5, v5, v3
	ds_load_2addr_stride64_b32 v[3:4], v7 offset0:56 offset1:60
	v_add_f32_e32 v5, v6, v5
	s_waitcnt lgkmcnt(1)
	v_add_f32_e32 v1, v1, v5
	s_delay_alu instid0(VALU_DEP_1) | instskip(SKIP_1) | instid1(VALU_DEP_1)
	v_add_f32_e32 v1, v2, v1
	s_waitcnt lgkmcnt(0)
	v_add_f32_e32 v2, v3, v1
	v_or_b32_e32 v1, s14, v0
                                        ; implicit-def: $vgpr3
	s_delay_alu instid0(VALU_DEP_2)
	v_add_f32_e32 v0, v4, v2
                                        ; implicit-def: $vgpr4_vgpr5
	ds_store_b32 v7, v0
	v_cmpx_gt_i32_e64 s4, v1
	s_cbranch_execz .LBB514_50
; %bb.47:
	v_mul_lo_u32 v4, v1, s17
	v_cmp_eq_f32_e64 s2, s15, 0
	v_mul_f32_e32 v3, s16, v0
	s_delay_alu instid0(VALU_DEP_2) | instskip(NEXT) | instid1(VALU_DEP_3)
	s_and_b32 vcc_lo, exec_lo, s2
	v_ashrrev_i32_e32 v5, 31, v4
	s_cbranch_vccnz .LBB514_49
; %bb.48:
	s_delay_alu instid0(VALU_DEP_1) | instskip(NEXT) | instid1(VALU_DEP_1)
	v_lshlrev_b64 v[0:1], 2, v[4:5]
	v_add_co_u32 v0, vcc_lo, s9, v0
	s_delay_alu instid0(VALU_DEP_2)
	v_add_co_ci_u32_e32 v1, vcc_lo, s10, v1, vcc_lo
	global_load_b32 v0, v[0:1], off
	s_waitcnt vmcnt(0)
	v_fmac_f32_e32 v3, s15, v0
.LBB514_49:
	s_or_b32 s2, s11, exec_lo
.LBB514_50:
	s_or_b32 exec_lo, exec_lo, s1
	s_delay_alu instid0(SALU_CYCLE_1) | instskip(SKIP_1) | instid1(SALU_CYCLE_1)
	s_and_not1_b32 s1, s11, exec_lo
	s_and_b32 s2, s2, exec_lo
	s_or_b32 s11, s1, s2
.LBB514_51:
	s_or_b32 exec_lo, exec_lo, s0
.LBB514_52:
	s_and_saveexec_b32 s0, s11
	s_cbranch_execz .LBB514_54
; %bb.53:
	v_lshlrev_b64 v[0:1], 2, v[4:5]
	s_delay_alu instid0(VALU_DEP_1) | instskip(NEXT) | instid1(VALU_DEP_2)
	v_add_co_u32 v0, vcc_lo, s9, v0
	v_add_co_ci_u32_e32 v1, vcc_lo, s10, v1, vcc_lo
	global_store_b32 v[0:1], v3, off
.LBB514_54:
	s_nop 0
	s_sendmsg sendmsg(MSG_DEALLOC_VGPRS)
	s_endpgm
	.section	.rodata,"a",@progbits
	.p2align	6, 0x0
	.amdhsa_kernel _ZL20rocblas_gemvn_kernelILi64ELi16EiPKDF16_PKfKPfEviiT3_lPKT2_lT1_lS9_lSA_lS6_lPT4_lSA_li
		.amdhsa_group_segment_fixed_size 16384
		.amdhsa_private_segment_fixed_size 0
		.amdhsa_kernarg_size 400
		.amdhsa_user_sgpr_count 14
		.amdhsa_user_sgpr_dispatch_ptr 0
		.amdhsa_user_sgpr_queue_ptr 0
		.amdhsa_user_sgpr_kernarg_segment_ptr 1
		.amdhsa_user_sgpr_dispatch_id 0
		.amdhsa_user_sgpr_private_segment_size 0
		.amdhsa_wavefront_size32 1
		.amdhsa_uses_dynamic_stack 0
		.amdhsa_enable_private_segment 0
		.amdhsa_system_sgpr_workgroup_id_x 1
		.amdhsa_system_sgpr_workgroup_id_y 0
		.amdhsa_system_sgpr_workgroup_id_z 1
		.amdhsa_system_sgpr_workgroup_info 0
		.amdhsa_system_vgpr_workitem_id 1
		.amdhsa_next_free_vgpr 45
		.amdhsa_next_free_sgpr 28
		.amdhsa_reserve_vcc 1
		.amdhsa_float_round_mode_32 0
		.amdhsa_float_round_mode_16_64 0
		.amdhsa_float_denorm_mode_32 3
		.amdhsa_float_denorm_mode_16_64 3
		.amdhsa_dx10_clamp 1
		.amdhsa_ieee_mode 1
		.amdhsa_fp16_overflow 0
		.amdhsa_workgroup_processor_mode 1
		.amdhsa_memory_ordered 1
		.amdhsa_forward_progress 0
		.amdhsa_shared_vgpr_count 0
		.amdhsa_exception_fp_ieee_invalid_op 0
		.amdhsa_exception_fp_denorm_src 0
		.amdhsa_exception_fp_ieee_div_zero 0
		.amdhsa_exception_fp_ieee_overflow 0
		.amdhsa_exception_fp_ieee_underflow 0
		.amdhsa_exception_fp_ieee_inexact 0
		.amdhsa_exception_int_div_zero 0
	.end_amdhsa_kernel
	.section	.text._ZL20rocblas_gemvn_kernelILi64ELi16EiPKDF16_PKfKPfEviiT3_lPKT2_lT1_lS9_lSA_lS6_lPT4_lSA_li,"axG",@progbits,_ZL20rocblas_gemvn_kernelILi64ELi16EiPKDF16_PKfKPfEviiT3_lPKT2_lT1_lS9_lSA_lS6_lPT4_lSA_li,comdat
.Lfunc_end514:
	.size	_ZL20rocblas_gemvn_kernelILi64ELi16EiPKDF16_PKfKPfEviiT3_lPKT2_lT1_lS9_lSA_lS6_lPT4_lSA_li, .Lfunc_end514-_ZL20rocblas_gemvn_kernelILi64ELi16EiPKDF16_PKfKPfEviiT3_lPKT2_lT1_lS9_lSA_lS6_lPT4_lSA_li
                                        ; -- End function
	.section	.AMDGPU.csdata,"",@progbits
; Kernel info:
; codeLenInByte = 3228
; NumSgprs: 30
; NumVgprs: 45
; ScratchSize: 0
; MemoryBound: 0
; FloatMode: 240
; IeeeMode: 1
; LDSByteSize: 16384 bytes/workgroup (compile time only)
; SGPRBlocks: 3
; VGPRBlocks: 5
; NumSGPRsForWavesPerEU: 30
; NumVGPRsForWavesPerEU: 45
; Occupancy: 16
; WaveLimiterHint : 1
; COMPUTE_PGM_RSRC2:SCRATCH_EN: 0
; COMPUTE_PGM_RSRC2:USER_SGPR: 14
; COMPUTE_PGM_RSRC2:TRAP_HANDLER: 0
; COMPUTE_PGM_RSRC2:TGID_X_EN: 1
; COMPUTE_PGM_RSRC2:TGID_Y_EN: 0
; COMPUTE_PGM_RSRC2:TGID_Z_EN: 1
; COMPUTE_PGM_RSRC2:TIDIG_COMP_CNT: 1
	.section	.text._ZL20rocblas_gemvn_kernelILi64ELi16ElPKDF16_PKfKPfEviiT3_lPKT2_lT1_lS9_lSA_lS6_lPT4_lSA_li,"axG",@progbits,_ZL20rocblas_gemvn_kernelILi64ELi16ElPKDF16_PKfKPfEviiT3_lPKT2_lT1_lS9_lSA_lS6_lPT4_lSA_li,comdat
	.globl	_ZL20rocblas_gemvn_kernelILi64ELi16ElPKDF16_PKfKPfEviiT3_lPKT2_lT1_lS9_lSA_lS6_lPT4_lSA_li ; -- Begin function _ZL20rocblas_gemvn_kernelILi64ELi16ElPKDF16_PKfKPfEviiT3_lPKT2_lT1_lS9_lSA_lS6_lPT4_lSA_li
	.p2align	8
	.type	_ZL20rocblas_gemvn_kernelILi64ELi16ElPKDF16_PKfKPfEviiT3_lPKT2_lT1_lS9_lSA_lS6_lPT4_lSA_li,@function
_ZL20rocblas_gemvn_kernelILi64ELi16ElPKDF16_PKfKPfEviiT3_lPKT2_lT1_lS9_lSA_lS6_lPT4_lSA_li: ; @_ZL20rocblas_gemvn_kernelILi64ELi16ElPKDF16_PKfKPfEviiT3_lPKT2_lT1_lS9_lSA_lS6_lPT4_lSA_li
; %bb.0:
	s_load_b64 s[4:5], s[0:1], 0x9c
	s_waitcnt lgkmcnt(0)
	s_lshr_b32 s3, s4, 16
	s_and_b32 s4, s4, 0xffff
	s_and_b32 s5, s5, 0xffff
	s_mul_i32 s3, s3, s4
	s_delay_alu instid0(SALU_CYCLE_1) | instskip(NEXT) | instid1(SALU_CYCLE_1)
	s_mul_i32 s3, s3, s5
	s_cmpk_lg_i32 s3, 0x400
	s_cbranch_scc1 .LBB515_54
; %bb.1:
	s_clause 0x1
	s_load_b256 s[16:23], s[0:1], 0x8
	s_load_b256 s[4:11], s[0:1], 0x58
	s_mov_b32 s2, s15
	s_waitcnt lgkmcnt(0)
	s_mul_i32 s3, s15, s19
	s_mul_hi_u32 s13, s15, s18
	s_mul_i32 s12, s15, s18
	s_add_i32 s13, s13, s3
	s_mul_i32 s3, s15, s7
	s_lshl_b64 s[12:13], s[12:13], 2
	s_mul_hi_u32 s7, s15, s6
	s_add_u32 s12, s16, s12
	s_addc_u32 s13, s17, s13
	s_add_i32 s7, s7, s3
	s_mul_i32 s6, s15, s6
	s_delay_alu instid0(SALU_CYCLE_1) | instskip(NEXT) | instid1(SALU_CYCLE_1)
	s_lshl_b64 s[6:7], s[6:7], 2
	s_add_u32 s4, s4, s6
	s_addc_u32 s5, s5, s7
	s_load_b32 s27, s[12:13], 0x0
	s_load_b32 s26, s[4:5], 0x0
	s_waitcnt lgkmcnt(0)
	v_cmp_eq_f32_e64 s15, s27, 0
	v_cmp_eq_f32_e64 s3, s26, 1.0
	s_delay_alu instid0(VALU_DEP_1) | instskip(NEXT) | instid1(SALU_CYCLE_1)
	s_and_b32 s3, s15, s3
	s_and_b32 vcc_lo, exec_lo, s3
	s_mov_b32 s3, 0
	s_cbranch_vccnz .LBB515_54
; %bb.2:
	s_clause 0x1
	s_load_b64 s[16:17], s[0:1], 0x28
	s_load_b64 s[12:13], s[0:1], 0x78
	v_cmp_neq_f32_e64 s28, s27, 0
	s_mov_b64 s[24:25], 0
	s_and_b32 vcc_lo, exec_lo, s15
	s_mov_b64 s[18:19], 0
	s_cbranch_vccnz .LBB515_4
; %bb.3:
	s_lshl_b64 s[4:5], s[2:3], 3
	s_delay_alu instid0(SALU_CYCLE_1)
	s_add_u32 s4, s20, s4
	s_addc_u32 s5, s21, s5
	s_lshl_b64 s[6:7], s[22:23], 1
	s_load_b64 s[4:5], s[4:5], 0x0
	s_waitcnt lgkmcnt(0)
	s_add_u32 s18, s4, s6
	s_addc_u32 s19, s5, s7
.LBB515_4:
	s_clause 0x1
	s_load_b128 s[4:7], s[0:1], 0x38
	s_load_b64 s[20:21], s[0:1], 0x48
	s_and_not1_b32 vcc_lo, exec_lo, s28
	s_cbranch_vccnz .LBB515_6
; %bb.5:
	s_lshl_b64 s[22:23], s[2:3], 3
	s_waitcnt lgkmcnt(0)
	s_add_u32 s4, s4, s22
	s_addc_u32 s5, s5, s23
	s_lshl_b64 s[6:7], s[6:7], 1
	s_load_b64 s[4:5], s[4:5], 0x0
	s_waitcnt lgkmcnt(0)
	s_add_u32 s24, s4, s6
	s_addc_u32 s25, s5, s7
.LBB515_6:
	s_lshl_b64 s[2:3], s[2:3], 3
	v_and_b32_e32 v20, 0x3ff, v0
	s_add_u32 s2, s8, s2
	s_addc_u32 s3, s9, s3
	v_bfe_u32 v21, v0, 10, 10
	s_load_b64 s[2:3], s[2:3], 0x0
	s_waitcnt lgkmcnt(0)
	s_load_b64 s[6:7], s[0:1], 0x0
	s_lshl_b64 s[8:9], s[10:11], 2
	v_lshl_add_u32 v19, v21, 6, v20
	s_delay_alu instid0(VALU_DEP_1)
	v_cmp_gt_u32_e64 s0, 0x100, v19
	s_add_u32 s5, s2, s8
	s_addc_u32 s22, s3, s9
	s_and_not1_b32 vcc_lo, exec_lo, s15
	s_cbranch_vccnz .LBB515_13
; %bb.7:
	s_mov_b32 s1, 0
	s_mov_b32 s23, 0
                                        ; implicit-def: $vgpr1
                                        ; implicit-def: $vgpr2_vgpr3
	s_and_saveexec_b32 s2, s0
	s_cbranch_execz .LBB515_14
; %bb.8:
	v_lshl_or_b32 v0, s14, 8, v19
	v_mov_b32_e32 v1, 0
	s_waitcnt lgkmcnt(0)
	s_ashr_i32 s9, s6, 31
	s_mov_b32 s8, s6
	s_mov_b32 s3, 0
	s_mov_b32 s0, exec_lo
                                        ; implicit-def: $vgpr2_vgpr3
	v_cmpx_gt_i64_e64 s[8:9], v[0:1]
	s_cbranch_execz .LBB515_12
; %bb.9:
	v_mad_u64_u32 v[2:3], null, v0, s12, 0
	v_cmp_eq_f32_e64 s3, s26, 0
	s_delay_alu instid0(VALU_DEP_1) | instskip(NEXT) | instid1(VALU_DEP_2)
	s_and_b32 vcc_lo, exec_lo, s3
	v_mad_u64_u32 v[4:5], null, v0, s13, v[3:4]
	s_delay_alu instid0(VALU_DEP_1)
	v_mov_b32_e32 v3, v4
	s_cbranch_vccnz .LBB515_11
; %bb.10:
	s_delay_alu instid0(VALU_DEP_1) | instskip(NEXT) | instid1(VALU_DEP_1)
	v_lshlrev_b64 v[0:1], 2, v[2:3]
	v_add_co_u32 v0, vcc_lo, s5, v0
	s_delay_alu instid0(VALU_DEP_2)
	v_add_co_ci_u32_e32 v1, vcc_lo, s22, v1, vcc_lo
	global_load_b32 v0, v[0:1], off
	s_waitcnt vmcnt(0)
	v_mul_f32_e32 v1, s26, v0
.LBB515_11:
	s_mov_b32 s3, exec_lo
.LBB515_12:
	s_or_b32 exec_lo, exec_lo, s0
	s_delay_alu instid0(SALU_CYCLE_1) | instskip(SKIP_1) | instid1(SALU_CYCLE_1)
	s_and_b32 s23, s3, exec_lo
	s_or_b32 exec_lo, exec_lo, s2
	s_and_b32 vcc_lo, exec_lo, s1
	s_cbranch_vccnz .LBB515_15
	s_branch .LBB515_52
.LBB515_13:
	s_mov_b32 s23, 0
                                        ; implicit-def: $vgpr1
                                        ; implicit-def: $vgpr2_vgpr3
	s_cbranch_execnz .LBB515_15
	s_branch .LBB515_52
.LBB515_14:
	s_or_b32 exec_lo, exec_lo, s2
	s_delay_alu instid0(SALU_CYCLE_1)
	s_and_b32 vcc_lo, exec_lo, s1
	s_cbranch_vccz .LBB515_52
.LBB515_15:
	s_waitcnt lgkmcnt(0)
	s_ashr_i32 s0, s7, 31
	s_lshl_b32 s28, s14, 8
	s_lshr_b32 s0, s0, 26
	v_dual_mov_b32 v26, 0 :: v_dual_lshlrev_b32 v23, 2, v21
	v_dual_mov_b32 v25, 0 :: v_dual_add_nc_u32 v0, s28, v20
	v_mov_b32_e32 v24, 0
	v_mov_b32_e32 v22, 0
	s_add_i32 s29, s7, s0
	s_mov_b32 s30, exec_lo
	s_and_not1_b32 s29, s29, 63
	s_delay_alu instid0(SALU_CYCLE_1)
	v_cmpx_gt_i32_e64 s29, v23
	s_cbranch_execz .LBB515_27
; %bb.16:
	v_lshlrev_b32_e32 v22, 2, v21
	v_mad_u64_u32 v[5:6], null, s20, v21, 0
	v_add_nc_u32_e32 v10, 0xc0, v0
	v_mad_u64_u32 v[7:8], null, s16, v21, 0
	s_delay_alu instid0(VALU_DEP_4) | instskip(SKIP_1) | instid1(VALU_DEP_4)
	v_or_b32_e32 v29, 3, v22
	v_or_b32_e32 v31, 2, v22
	v_cmp_gt_i32_e64 s2, s6, v10
	v_ashrrev_i32_e32 v1, 31, v0
	v_cmp_gt_i32_e32 vcc_lo, s6, v0
	v_mad_u64_u32 v[3:4], null, s16, v29, 0
	v_mad_u64_u32 v[16:17], null, s20, v29, 0
	v_add_nc_u32_e32 v2, 64, v0
	v_add_nc_u32_e32 v9, 0x80, v0
	v_mad_u64_u32 v[14:15], null, s16, v31, 0
	v_mad_u64_u32 v[35:36], null, s20, v31, 0
	s_delay_alu instid0(VALU_DEP_4)
	v_cmp_gt_i32_e64 s0, s6, v2
	v_mov_b32_e32 v2, v4
	v_mov_b32_e32 v4, v6
	v_cmp_gt_i32_e64 s1, s6, v9
	v_mov_b32_e32 v6, v8
	s_lshl_b64 s[8:9], s[16:17], 7
	v_mad_u64_u32 v[9:10], null, s17, v29, v[2:3]
	v_mad_u64_u32 v[10:11], null, s21, v21, v[4:5]
	s_delay_alu instid0(VALU_DEP_3) | instskip(SKIP_2) | instid1(VALU_DEP_4)
	v_mad_u64_u32 v[11:12], null, s17, v21, v[6:7]
	v_lshlrev_b64 v[1:2], 1, v[0:1]
	s_lshl_b64 s[10:11], s[20:21], 7
	v_mov_b32_e32 v4, v9
	s_mov_b32 s31, 0
	s_delay_alu instid0(VALU_DEP_4) | instskip(SKIP_1) | instid1(VALU_DEP_4)
	v_mov_b32_e32 v6, v10
	s_mov_b64 s[14:15], s[24:25]
	v_mov_b32_e32 v8, v11
	v_lshlrev_b64 v[9:10], 1, v[3:4]
	s_delay_alu instid0(VALU_DEP_3) | instskip(SKIP_2) | instid1(VALU_DEP_4)
	v_lshlrev_b64 v[3:4], 3, v[5:6]
	v_mov_b32_e32 v5, v15
	v_mad_u64_u32 v[12:13], null, s20, v22, s[20:21]
	v_add_co_u32 v27, s3, s18, v9
	s_delay_alu instid0(VALU_DEP_1) | instskip(SKIP_1) | instid1(VALU_DEP_4)
	v_add_co_ci_u32_e64 v28, s3, s19, v10, s3
	v_mad_u64_u32 v[9:10], null, s16, v22, s[16:17]
	v_mov_b32_e32 v6, v13
	v_lshlrev_b64 v[7:8], 3, v[7:8]
	s_delay_alu instid0(VALU_DEP_2) | instskip(SKIP_1) | instid1(VALU_DEP_3)
	v_mad_u64_u32 v[24:25], null, s17, v31, v[5:6]
	v_mov_b32_e32 v5, v17
	v_mad_u64_u32 v[17:18], null, s21, v22, v[6:7]
	s_delay_alu instid0(VALU_DEP_2) | instskip(SKIP_2) | instid1(VALU_DEP_4)
	v_mad_u64_u32 v[25:26], null, s21, v29, v[5:6]
	v_mov_b32_e32 v5, v10
	v_mov_b32_e32 v15, v24
	;; [unrolled: 1-line block ×3, first 2 shown]
	v_add_co_u32 v29, s3, s18, v7
	s_delay_alu instid0(VALU_DEP_4) | instskip(SKIP_4) | instid1(VALU_DEP_4)
	v_mad_u64_u32 v[10:11], null, s17, v22, v[5:6]
	v_mov_b32_e32 v5, v36
	v_mov_b32_e32 v17, v25
	v_lshlrev_b64 v[14:15], 1, v[14:15]
	v_add_co_ci_u32_e64 v30, s3, s19, v8, s3
	v_mad_u64_u32 v[24:25], null, s21, v31, v[5:6]
	v_mov_b32_e32 v25, 0
	v_lshlrev_b64 v[9:10], 1, v[9:10]
	v_add_co_u32 v31, s3, s18, v14
	s_delay_alu instid0(VALU_DEP_1) | instskip(SKIP_1) | instid1(VALU_DEP_4)
	v_add_co_ci_u32_e64 v32, s3, s19, v15, s3
	v_mov_b32_e32 v36, v24
	v_add_co_u32 v33, s3, s18, v9
	v_lshlrev_b64 v[5:6], 1, v[12:13]
	v_lshlrev_b64 v[7:8], 1, v[16:17]
	v_add_co_ci_u32_e64 v34, s3, s19, v10, s3
	v_lshlrev_b64 v[9:10], 1, v[35:36]
	v_mov_b32_e32 v26, 0
	v_mov_b32_e32 v24, 0
	;; [unrolled: 1-line block ×3, first 2 shown]
	s_branch .LBB515_21
.LBB515_17:                             ;   in Loop: Header=BB515_21 Depth=1
	s_or_b32 exec_lo, exec_lo, s34
	s_waitcnt vmcnt(3) lgkmcnt(3)
	v_fma_mix_f32 v11, v47, v51, v24 op_sel_hi:[0,1,0]
	s_waitcnt vmcnt(2) lgkmcnt(2)
	s_delay_alu instid0(VALU_DEP_1) | instskip(SKIP_1) | instid1(VALU_DEP_1)
	v_fma_mix_f32 v11, v48, v52, v11 op_sel_hi:[0,1,0]
	s_waitcnt vmcnt(1) lgkmcnt(1)
	v_fma_mix_f32 v11, v49, v53, v11 op_sel_hi:[0,1,0]
	s_waitcnt vmcnt(0) lgkmcnt(0)
	s_delay_alu instid0(VALU_DEP_1)
	v_fma_mix_f32 v24, v50, v54, v11 op_sel_hi:[0,1,0]
.LBB515_18:                             ;   in Loop: Header=BB515_21 Depth=1
	s_or_b32 exec_lo, exec_lo, s33
	s_waitcnt vmcnt(3) lgkmcnt(3)
	v_fma_mix_f32 v11, v47, v43, v25 op_sel_hi:[0,1,0]
	s_waitcnt vmcnt(2) lgkmcnt(2)
	s_delay_alu instid0(VALU_DEP_1) | instskip(SKIP_1) | instid1(VALU_DEP_1)
	v_fma_mix_f32 v11, v48, v44, v11 op_sel_hi:[0,1,0]
	s_waitcnt vmcnt(1) lgkmcnt(1)
	v_fma_mix_f32 v11, v49, v45, v11 op_sel_hi:[0,1,0]
	s_waitcnt vmcnt(0) lgkmcnt(0)
	s_delay_alu instid0(VALU_DEP_1)
	v_fma_mix_f32 v25, v50, v46, v11 op_sel_hi:[0,1,0]
.LBB515_19:                             ;   in Loop: Header=BB515_21 Depth=1
	s_or_b32 exec_lo, exec_lo, s3
	s_waitcnt vmcnt(3) lgkmcnt(3)
	v_fma_mix_f32 v11, v35, v39, v26 op_sel_hi:[1,1,0]
	s_waitcnt vmcnt(2) lgkmcnt(2)
	s_delay_alu instid0(VALU_DEP_1) | instskip(SKIP_1) | instid1(VALU_DEP_1)
	v_fma_mix_f32 v11, v36, v40, v11 op_sel_hi:[1,1,0]
	s_waitcnt vmcnt(1) lgkmcnt(1)
	v_fma_mix_f32 v11, v37, v41, v11 op_sel_hi:[1,1,0]
	s_waitcnt vmcnt(0) lgkmcnt(0)
	s_delay_alu instid0(VALU_DEP_1)
	v_fma_mix_f32 v26, v38, v42, v11 op_sel_hi:[1,1,0]
.LBB515_20:                             ;   in Loop: Header=BB515_21 Depth=1
	s_or_b32 exec_lo, exec_lo, s4
	v_add_co_u32 v27, s3, v27, s8
	s_delay_alu instid0(VALU_DEP_1) | instskip(SKIP_4) | instid1(VALU_DEP_1)
	v_add_co_ci_u32_e64 v28, s3, s9, v28, s3
	v_add_co_u32 v29, s3, v29, s8
	v_add_nc_u32_e32 v23, 64, v23
	v_add_co_ci_u32_e64 v30, s3, s9, v30, s3
	v_add_co_u32 v31, s3, v31, s8
	v_add_co_ci_u32_e64 v32, s3, s9, v32, s3
	s_delay_alu instid0(VALU_DEP_4) | instskip(SKIP_1) | instid1(VALU_DEP_1)
	v_cmp_le_i32_e64 s3, s29, v23
	v_add_co_u32 v33, s4, v33, s8
	v_add_co_ci_u32_e64 v34, s4, s9, v34, s4
	s_add_u32 s14, s14, s10
	s_addc_u32 s15, s15, s11
	s_or_b32 s31, s3, s31
	s_delay_alu instid0(SALU_CYCLE_1)
	s_and_not1_b32 exec_lo, exec_lo, s31
	s_cbranch_execz .LBB515_26
.LBB515_21:                             ; =>This Inner Loop Header: Depth=1
	s_and_saveexec_b32 s4, vcc_lo
	s_cbranch_execz .LBB515_20
; %bb.22:                               ;   in Loop: Header=BB515_21 Depth=1
	v_add_co_u32 v35, s3, s14, v3
	s_delay_alu instid0(VALU_DEP_1) | instskip(SKIP_1) | instid1(VALU_DEP_1)
	v_add_co_ci_u32_e64 v36, s3, s15, v4, s3
	v_add_co_u32 v37, s3, s14, v5
	v_add_co_ci_u32_e64 v38, s3, s15, v6, s3
	v_add_co_u32 v39, s3, s14, v9
	s_delay_alu instid0(VALU_DEP_1) | instskip(SKIP_1) | instid1(VALU_DEP_1)
	v_add_co_ci_u32_e64 v40, s3, s15, v10, s3
	v_add_co_u32 v41, s3, s14, v7
	v_add_co_ci_u32_e64 v42, s3, s15, v8, s3
	;; [unrolled: 5-line block ×4, first 2 shown]
	s_clause 0x3
	flat_load_u16 v35, v[35:36]
	flat_load_u16 v36, v[37:38]
	;; [unrolled: 1-line block ×8, first 2 shown]
	s_and_saveexec_b32 s3, s0
	s_cbranch_execz .LBB515_19
; %bb.23:                               ;   in Loop: Header=BB515_21 Depth=1
	flat_load_u16 v43, v[11:12] offset:128
	flat_load_u16 v44, v[13:14] offset:128
	;; [unrolled: 1-line block ×4, first 2 shown]
	s_waitcnt vmcnt(11) lgkmcnt(11)
	v_cvt_f32_f16_e32 v47, v35
	s_waitcnt vmcnt(10) lgkmcnt(10)
	v_cvt_f32_f16_e32 v48, v36
	;; [unrolled: 2-line block ×4, first 2 shown]
	s_and_saveexec_b32 s33, s1
	s_cbranch_execz .LBB515_18
; %bb.24:                               ;   in Loop: Header=BB515_21 Depth=1
	flat_load_u16 v51, v[11:12] offset:256
	flat_load_u16 v52, v[13:14] offset:256
	;; [unrolled: 1-line block ×4, first 2 shown]
	s_and_saveexec_b32 s34, s2
	s_cbranch_execz .LBB515_17
; %bb.25:                               ;   in Loop: Header=BB515_21 Depth=1
	flat_load_u16 v11, v[11:12] offset:384
	flat_load_u16 v12, v[13:14] offset:384
	flat_load_u16 v13, v[15:16] offset:384
	flat_load_u16 v14, v[17:18] offset:384
	s_waitcnt vmcnt(3) lgkmcnt(3)
	v_fma_mix_f32 v11, v47, v11, v22 op_sel_hi:[0,1,0]
	s_waitcnt vmcnt(2) lgkmcnt(2)
	s_delay_alu instid0(VALU_DEP_1) | instskip(SKIP_1) | instid1(VALU_DEP_1)
	v_fma_mix_f32 v11, v48, v12, v11 op_sel_hi:[0,1,0]
	s_waitcnt vmcnt(1) lgkmcnt(1)
	v_fma_mix_f32 v11, v49, v13, v11 op_sel_hi:[0,1,0]
	s_waitcnt vmcnt(0) lgkmcnt(0)
	s_delay_alu instid0(VALU_DEP_1)
	v_fma_mix_f32 v22, v50, v14, v11 op_sel_hi:[0,1,0]
	s_branch .LBB515_17
.LBB515_26:
	s_or_b32 exec_lo, exec_lo, s31
.LBB515_27:
	s_delay_alu instid0(SALU_CYCLE_1) | instskip(SKIP_1) | instid1(SALU_CYCLE_1)
	s_or_b32 exec_lo, exec_lo, s30
	s_sub_i32 s0, s7, s29
	s_cmp_lt_i32 s0, 1
	s_cbranch_scc1 .LBB515_45
; %bb.28:
	v_cmp_gt_i32_e32 vcc_lo, s7, v23
	v_dual_mov_b32 v9, 0 :: v_dual_mov_b32 v10, 0
	v_or_b32_e32 v2, 1, v23
	v_dual_mov_b32 v11, 0 :: v_dual_mov_b32 v12, 0
	s_and_saveexec_b32 s1, vcc_lo
	s_cbranch_execz .LBB515_36
; %bb.29:
	v_mad_u64_u32 v[3:4], null, v23, s20, 0
	v_mov_b32_e32 v11, 0
	v_mov_b32_e32 v9, 0
	s_mov_b32 s2, exec_lo
	s_delay_alu instid0(VALU_DEP_3) | instskip(NEXT) | instid1(VALU_DEP_1)
	v_dual_mov_b32 v10, 0 :: v_dual_mov_b32 v1, v4
	v_mad_u64_u32 v[4:5], null, v23, s21, v[1:2]
	s_delay_alu instid0(VALU_DEP_1) | instskip(NEXT) | instid1(VALU_DEP_1)
	v_lshlrev_b64 v[3:4], 1, v[3:4]
	v_add_co_u32 v3, s0, s24, v3
	s_delay_alu instid0(VALU_DEP_1)
	v_add_co_ci_u32_e64 v4, s0, s25, v4, s0
	flat_load_u16 v1, v[3:4]
	v_cmpx_gt_i32_e64 s7, v2
	s_cbranch_execz .LBB515_35
; %bb.30:
	v_mad_u64_u32 v[3:4], null, v2, s20, 0
	v_mov_b32_e32 v10, 0
	s_mov_b32 s3, exec_lo
	v_mov_b32_e32 v9, 0
	s_delay_alu instid0(VALU_DEP_3) | instskip(NEXT) | instid1(VALU_DEP_1)
	v_mad_u64_u32 v[5:6], null, v2, s21, v[4:5]
	v_mov_b32_e32 v4, v5
	s_delay_alu instid0(VALU_DEP_1) | instskip(NEXT) | instid1(VALU_DEP_1)
	v_lshlrev_b64 v[3:4], 1, v[3:4]
	v_add_co_u32 v3, s0, s24, v3
	s_delay_alu instid0(VALU_DEP_1) | instskip(SKIP_2) | instid1(VALU_DEP_1)
	v_add_co_ci_u32_e64 v4, s0, s25, v4, s0
	flat_load_u16 v3, v[3:4]
	v_or_b32_e32 v4, 2, v23
	v_cmpx_gt_i32_e64 s7, v4
	s_cbranch_execz .LBB515_34
; %bb.31:
	v_mad_u64_u32 v[5:6], null, v4, s20, 0
	s_mov_b32 s4, exec_lo
	v_mov_b32_e32 v9, 0
	s_delay_alu instid0(VALU_DEP_2) | instskip(NEXT) | instid1(VALU_DEP_1)
	v_mad_u64_u32 v[7:8], null, v4, s21, v[6:7]
	v_mov_b32_e32 v6, v7
	s_delay_alu instid0(VALU_DEP_1) | instskip(NEXT) | instid1(VALU_DEP_1)
	v_lshlrev_b64 v[4:5], 1, v[5:6]
	v_add_co_u32 v4, s0, s24, v4
	s_delay_alu instid0(VALU_DEP_1) | instskip(SKIP_2) | instid1(VALU_DEP_1)
	v_add_co_ci_u32_e64 v5, s0, s25, v5, s0
	flat_load_u16 v4, v[4:5]
	v_or_b32_e32 v5, 3, v23
	v_cmpx_gt_i32_e64 s7, v5
	s_cbranch_execz .LBB515_33
; %bb.32:
	v_mad_u64_u32 v[6:7], null, v5, s20, 0
	s_delay_alu instid0(VALU_DEP_1) | instskip(NEXT) | instid1(VALU_DEP_1)
	v_mad_u64_u32 v[8:9], null, v5, s21, v[7:8]
	v_mov_b32_e32 v7, v8
	s_delay_alu instid0(VALU_DEP_1) | instskip(NEXT) | instid1(VALU_DEP_1)
	v_lshlrev_b64 v[5:6], 1, v[6:7]
	v_add_co_u32 v5, s0, s24, v5
	s_delay_alu instid0(VALU_DEP_1)
	v_add_co_ci_u32_e64 v6, s0, s25, v6, s0
	flat_load_u16 v5, v[5:6]
	s_waitcnt vmcnt(0) lgkmcnt(0)
	v_cvt_f32_f16_e32 v9, v5
.LBB515_33:
	s_or_b32 exec_lo, exec_lo, s4
	s_waitcnt vmcnt(0) lgkmcnt(0)
	v_cvt_f32_f16_e32 v10, v4
.LBB515_34:
	s_or_b32 exec_lo, exec_lo, s3
	s_waitcnt vmcnt(0) lgkmcnt(0)
	v_cvt_f32_f16_e32 v11, v3
.LBB515_35:
	s_or_b32 exec_lo, exec_lo, s2
	s_waitcnt vmcnt(0) lgkmcnt(0)
	v_cvt_f32_f16_e32 v12, v1
.LBB515_36:
	s_or_b32 exec_lo, exec_lo, s1
	s_delay_alu instid0(SALU_CYCLE_1)
	s_mov_b32 s1, exec_lo
	v_cmpx_gt_i32_e64 s6, v0
	s_cbranch_execz .LBB515_44
; %bb.37:
	v_mad_u64_u32 v[3:4], null, v23, s16, 0
	v_mad_u64_u32 v[5:6], null, v2, s16, 0
	v_or_b32_e32 v29, 2, v23
	v_ashrrev_i32_e32 v1, 31, v0
	v_or_b32_e32 v30, 3, v23
	v_cndmask_b32_e32 v3, 0, v3, vcc_lo
	s_delay_alu instid0(VALU_DEP_4)
	v_cmp_gt_i32_e64 s0, s7, v29
	v_mad_u64_u32 v[13:14], null, v23, s17, v[4:5]
	v_mad_u64_u32 v[14:15], null, v29, s16, 0
	v_lshlrev_b64 v[7:8], 1, v[0:1]
	v_mov_b32_e32 v1, v6
	v_mad_u64_u32 v[16:17], null, v30, s16, 0
	v_cndmask_b32_e32 v4, 0, v13, vcc_lo
	v_cmp_gt_i32_e32 vcc_lo, s7, v2
	s_delay_alu instid0(VALU_DEP_4)
	v_mad_u64_u32 v[27:28], null, v2, s17, v[1:2]
	v_mov_b32_e32 v1, v15
	v_cndmask_b32_e64 v13, 0, v14, s0
	v_mov_b32_e32 v6, v17
	v_cndmask_b32_e32 v2, 0, v5, vcc_lo
	v_lshlrev_b64 v[4:5], 1, v[3:4]
	s_delay_alu instid0(VALU_DEP_2) | instskip(NEXT) | instid1(VALU_DEP_1)
	v_mad_u64_u32 v[17:18], null, v29, s17, v[1:2]
	v_cndmask_b32_e64 v14, 0, v17, s0
	v_mad_u64_u32 v[17:18], null, v30, s17, v[6:7]
	v_cndmask_b32_e32 v3, 0, v27, vcc_lo
	v_add_co_u32 v1, vcc_lo, s18, v4
	v_add_co_ci_u32_e32 v5, vcc_lo, s19, v5, vcc_lo
	s_delay_alu instid0(VALU_DEP_3) | instskip(NEXT) | instid1(VALU_DEP_3)
	v_lshlrev_b64 v[3:4], 1, v[2:3]
	v_add_co_u32 v1, vcc_lo, v1, v7
	s_delay_alu instid0(VALU_DEP_3) | instskip(SKIP_1) | instid1(VALU_DEP_4)
	v_add_co_ci_u32_e32 v2, vcc_lo, v5, v8, vcc_lo
	v_lshlrev_b64 v[5:6], 1, v[13:14]
	v_add_co_u32 v3, vcc_lo, s18, v3
	v_add_co_ci_u32_e32 v4, vcc_lo, s19, v4, vcc_lo
	s_mov_b32 s0, exec_lo
	s_delay_alu instid0(VALU_DEP_2) | instskip(NEXT) | instid1(VALU_DEP_2)
	v_add_co_u32 v3, vcc_lo, v3, v7
	v_add_co_ci_u32_e32 v4, vcc_lo, v4, v8, vcc_lo
	v_cmp_gt_i32_e32 vcc_lo, s7, v30
	s_clause 0x1
	flat_load_u16 v15, v[1:2]
	flat_load_u16 v18, v[3:4]
	v_dual_cndmask_b32 v14, 0, v17 :: v_dual_cndmask_b32 v13, 0, v16
	v_add_co_u32 v5, vcc_lo, s18, v5
	v_add_co_ci_u32_e32 v6, vcc_lo, s19, v6, vcc_lo
	s_delay_alu instid0(VALU_DEP_3) | instskip(NEXT) | instid1(VALU_DEP_3)
	v_lshlrev_b64 v[13:14], 1, v[13:14]
	v_add_co_u32 v5, vcc_lo, v5, v7
	s_delay_alu instid0(VALU_DEP_3) | instskip(NEXT) | instid1(VALU_DEP_3)
	v_add_co_ci_u32_e32 v6, vcc_lo, v6, v8, vcc_lo
	v_add_co_u32 v13, vcc_lo, s18, v13
	s_delay_alu instid0(VALU_DEP_4)
	v_add_co_ci_u32_e32 v14, vcc_lo, s19, v14, vcc_lo
	flat_load_u16 v16, v[5:6]
	v_add_co_u32 v7, vcc_lo, v13, v7
	v_add_co_ci_u32_e32 v8, vcc_lo, v14, v8, vcc_lo
	flat_load_u16 v13, v[7:8]
	s_waitcnt vmcnt(3) lgkmcnt(3)
	v_fma_mix_f32 v14, v12, v15, v26 op_sel_hi:[0,1,0]
	v_add_nc_u32_e32 v15, 64, v0
	s_waitcnt vmcnt(2) lgkmcnt(2)
	s_delay_alu instid0(VALU_DEP_2) | instskip(SKIP_1) | instid1(VALU_DEP_1)
	v_fma_mix_f32 v14, v11, v18, v14 op_sel_hi:[0,1,0]
	s_waitcnt vmcnt(1) lgkmcnt(1)
	v_fma_mix_f32 v14, v10, v16, v14 op_sel_hi:[0,1,0]
	v_cmpx_gt_i32_e64 s6, v15
	s_cbranch_execz .LBB515_43
; %bb.38:
	s_clause 0x3
	flat_load_u16 v16, v[1:2] offset:128
	flat_load_u16 v17, v[3:4] offset:128
	flat_load_u16 v18, v[5:6] offset:128
	flat_load_u16 v15, v[7:8] offset:128
	s_mov_b32 s2, exec_lo
	s_waitcnt vmcnt(3) lgkmcnt(3)
	v_fma_mix_f32 v16, v12, v16, v25 op_sel_hi:[0,1,0]
	s_waitcnt vmcnt(2) lgkmcnt(2)
	s_delay_alu instid0(VALU_DEP_1) | instskip(SKIP_2) | instid1(VALU_DEP_2)
	v_fma_mix_f32 v16, v11, v17, v16 op_sel_hi:[0,1,0]
	v_add_nc_u32_e32 v17, 0x80, v0
	s_waitcnt vmcnt(1) lgkmcnt(1)
	v_fma_mix_f32 v16, v10, v18, v16 op_sel_hi:[0,1,0]
	s_delay_alu instid0(VALU_DEP_2)
	v_cmpx_gt_i32_e64 s6, v17
	s_cbranch_execz .LBB515_42
; %bb.39:
	s_clause 0x3
	flat_load_u16 v18, v[1:2] offset:256
	flat_load_u16 v23, v[3:4] offset:256
	;; [unrolled: 1-line block ×4, first 2 shown]
	s_mov_b32 s3, exec_lo
	s_waitcnt vmcnt(3) lgkmcnt(3)
	v_fma_mix_f32 v18, v12, v18, v24 op_sel_hi:[0,1,0]
	s_waitcnt vmcnt(2) lgkmcnt(2)
	s_delay_alu instid0(VALU_DEP_1) | instskip(SKIP_2) | instid1(VALU_DEP_2)
	v_fma_mix_f32 v18, v11, v23, v18 op_sel_hi:[0,1,0]
	v_add_nc_u32_e32 v23, 0xc0, v0
	s_waitcnt vmcnt(1) lgkmcnt(1)
	v_fma_mix_f32 v0, v10, v25, v18 op_sel_hi:[0,1,0]
	s_delay_alu instid0(VALU_DEP_2)
	v_cmpx_gt_i32_e64 s6, v23
	s_cbranch_execz .LBB515_41
; %bb.40:
	s_clause 0x3
	flat_load_u16 v1, v[1:2] offset:384
	flat_load_u16 v2, v[3:4] offset:384
	;; [unrolled: 1-line block ×4, first 2 shown]
	s_waitcnt vmcnt(3) lgkmcnt(3)
	v_fma_mix_f32 v1, v12, v1, v22 op_sel_hi:[0,1,0]
	s_waitcnt vmcnt(2) lgkmcnt(2)
	s_delay_alu instid0(VALU_DEP_1) | instskip(SKIP_1) | instid1(VALU_DEP_1)
	v_fma_mix_f32 v1, v11, v2, v1 op_sel_hi:[0,1,0]
	s_waitcnt vmcnt(1) lgkmcnt(1)
	v_fma_mix_f32 v1, v10, v3, v1 op_sel_hi:[0,1,0]
	s_waitcnt vmcnt(0) lgkmcnt(0)
	s_delay_alu instid0(VALU_DEP_1)
	v_fma_mix_f32 v22, v9, v4, v1 op_sel_hi:[0,1,0]
.LBB515_41:
	s_or_b32 exec_lo, exec_lo, s3
	s_waitcnt vmcnt(0) lgkmcnt(0)
	v_fma_mix_f32 v24, v9, v17, v0 op_sel_hi:[0,1,0]
.LBB515_42:
	s_or_b32 exec_lo, exec_lo, s2
	s_waitcnt vmcnt(0) lgkmcnt(0)
	v_fma_mix_f32 v25, v9, v15, v16 op_sel_hi:[0,1,0]
.LBB515_43:
	s_or_b32 exec_lo, exec_lo, s0
	s_waitcnt vmcnt(0) lgkmcnt(0)
	v_fma_mix_f32 v26, v9, v13, v14 op_sel_hi:[0,1,0]
.LBB515_44:
	s_or_b32 exec_lo, exec_lo, s1
.LBB515_45:
	v_lshlrev_b32_e32 v0, 8, v21
	s_mov_b32 s0, exec_lo
                                        ; implicit-def: $vgpr1
                                        ; implicit-def: $vgpr2_vgpr3
	s_delay_alu instid0(VALU_DEP_1)
	v_add_lshl_u32 v0, v0, v20, 2
	ds_store_2addr_stride64_b32 v0, v26, v25 offset1:1
	ds_store_2addr_stride64_b32 v0, v24, v22 offset0:2 offset1:3
	s_waitcnt lgkmcnt(0)
	s_barrier
	buffer_gl0_inv
	v_cmpx_gt_u32_e32 0x100, v19
	s_cbranch_execz .LBB515_51
; %bb.46:
	v_lshlrev_b32_e32 v6, 2, v19
	s_mov_b32 s2, s23
	s_mov_b32 s1, exec_lo
	ds_load_2addr_stride64_b32 v[0:1], v6 offset1:4
	ds_load_2addr_stride64_b32 v[2:3], v6 offset0:8 offset1:12
	ds_load_2addr_stride64_b32 v[4:5], v6 offset0:16 offset1:20
	s_waitcnt lgkmcnt(2)
	v_add_f32_e32 v7, v0, v1
	ds_load_2addr_stride64_b32 v[0:1], v6 offset0:24 offset1:28
	s_waitcnt lgkmcnt(2)
	v_add_f32_e32 v2, v2, v7
	s_delay_alu instid0(VALU_DEP_1) | instskip(SKIP_3) | instid1(VALU_DEP_1)
	v_add_f32_e32 v7, v3, v2
	ds_load_2addr_stride64_b32 v[2:3], v6 offset0:32 offset1:36
	s_waitcnt lgkmcnt(2)
	v_add_f32_e32 v4, v4, v7
	v_add_f32_e32 v7, v5, v4
	ds_load_2addr_stride64_b32 v[4:5], v6 offset0:40 offset1:44
	s_waitcnt lgkmcnt(2)
	v_add_f32_e32 v0, v0, v7
	s_delay_alu instid0(VALU_DEP_1) | instskip(SKIP_1) | instid1(VALU_DEP_1)
	v_add_f32_e32 v0, v1, v0
	s_waitcnt lgkmcnt(1)
	v_add_f32_e32 v2, v2, v0
	ds_load_2addr_stride64_b32 v[0:1], v6 offset0:48 offset1:52
	v_add_f32_e32 v2, v3, v2
	s_waitcnt lgkmcnt(1)
	s_delay_alu instid0(VALU_DEP_1) | instskip(SKIP_3) | instid1(VALU_DEP_1)
	v_add_f32_e32 v4, v4, v2
	ds_load_2addr_stride64_b32 v[2:3], v6 offset0:56 offset1:60
	v_add_f32_e32 v4, v5, v4
	s_waitcnt lgkmcnt(1)
	v_add_f32_e32 v0, v0, v4
	v_or_b32_e32 v4, s28, v19
	s_delay_alu instid0(VALU_DEP_2) | instskip(SKIP_1) | instid1(VALU_DEP_1)
	v_add_f32_e32 v0, v1, v0
                                        ; implicit-def: $vgpr1
	s_waitcnt lgkmcnt(0)
	v_add_f32_e32 v0, v2, v0
	s_delay_alu instid0(VALU_DEP_1)
	v_add_f32_e32 v0, v3, v0
                                        ; implicit-def: $vgpr2_vgpr3
	ds_store_b32 v6, v0
	v_cmpx_gt_i32_e64 s6, v4
	s_cbranch_execz .LBB515_50
; %bb.47:
	v_ashrrev_i32_e32 v1, 31, v4
	v_mul_lo_u32 v5, v4, s13
	v_mad_u64_u32 v[2:3], null, v4, s12, 0
	v_cmp_eq_f32_e64 s2, s26, 0
	s_delay_alu instid0(VALU_DEP_4) | instskip(SKIP_1) | instid1(VALU_DEP_3)
	v_mul_lo_u32 v4, v1, s12
	v_mul_f32_e32 v1, s27, v0
	s_and_b32 vcc_lo, exec_lo, s2
	s_delay_alu instid0(VALU_DEP_2)
	v_add3_u32 v3, v3, v5, v4
	s_cbranch_vccnz .LBB515_49
; %bb.48:
	s_delay_alu instid0(VALU_DEP_1) | instskip(NEXT) | instid1(VALU_DEP_1)
	v_lshlrev_b64 v[4:5], 2, v[2:3]
	v_add_co_u32 v4, vcc_lo, s5, v4
	s_delay_alu instid0(VALU_DEP_2)
	v_add_co_ci_u32_e32 v5, vcc_lo, s22, v5, vcc_lo
	global_load_b32 v0, v[4:5], off
	s_waitcnt vmcnt(0)
	v_fmac_f32_e32 v1, s26, v0
.LBB515_49:
	s_or_b32 s2, s23, exec_lo
.LBB515_50:
	s_or_b32 exec_lo, exec_lo, s1
	s_delay_alu instid0(SALU_CYCLE_1) | instskip(SKIP_1) | instid1(SALU_CYCLE_1)
	s_and_not1_b32 s1, s23, exec_lo
	s_and_b32 s2, s2, exec_lo
	s_or_b32 s23, s1, s2
.LBB515_51:
	s_or_b32 exec_lo, exec_lo, s0
.LBB515_52:
	s_and_saveexec_b32 s0, s23
	s_cbranch_execz .LBB515_54
; %bb.53:
	v_lshlrev_b64 v[2:3], 2, v[2:3]
	s_delay_alu instid0(VALU_DEP_1) | instskip(NEXT) | instid1(VALU_DEP_2)
	v_add_co_u32 v2, vcc_lo, s5, v2
	v_add_co_ci_u32_e32 v3, vcc_lo, s22, v3, vcc_lo
	global_store_b32 v[2:3], v1, off
.LBB515_54:
	s_nop 0
	s_sendmsg sendmsg(MSG_DEALLOC_VGPRS)
	s_endpgm
	.section	.rodata,"a",@progbits
	.p2align	6, 0x0
	.amdhsa_kernel _ZL20rocblas_gemvn_kernelILi64ELi16ElPKDF16_PKfKPfEviiT3_lPKT2_lT1_lS9_lSA_lS6_lPT4_lSA_li
		.amdhsa_group_segment_fixed_size 16384
		.amdhsa_private_segment_fixed_size 0
		.amdhsa_kernarg_size 400
		.amdhsa_user_sgpr_count 14
		.amdhsa_user_sgpr_dispatch_ptr 0
		.amdhsa_user_sgpr_queue_ptr 0
		.amdhsa_user_sgpr_kernarg_segment_ptr 1
		.amdhsa_user_sgpr_dispatch_id 0
		.amdhsa_user_sgpr_private_segment_size 0
		.amdhsa_wavefront_size32 1
		.amdhsa_uses_dynamic_stack 0
		.amdhsa_enable_private_segment 0
		.amdhsa_system_sgpr_workgroup_id_x 1
		.amdhsa_system_sgpr_workgroup_id_y 0
		.amdhsa_system_sgpr_workgroup_id_z 1
		.amdhsa_system_sgpr_workgroup_info 0
		.amdhsa_system_vgpr_workitem_id 1
		.amdhsa_next_free_vgpr 55
		.amdhsa_next_free_sgpr 35
		.amdhsa_reserve_vcc 1
		.amdhsa_float_round_mode_32 0
		.amdhsa_float_round_mode_16_64 0
		.amdhsa_float_denorm_mode_32 3
		.amdhsa_float_denorm_mode_16_64 3
		.amdhsa_dx10_clamp 1
		.amdhsa_ieee_mode 1
		.amdhsa_fp16_overflow 0
		.amdhsa_workgroup_processor_mode 1
		.amdhsa_memory_ordered 1
		.amdhsa_forward_progress 0
		.amdhsa_shared_vgpr_count 0
		.amdhsa_exception_fp_ieee_invalid_op 0
		.amdhsa_exception_fp_denorm_src 0
		.amdhsa_exception_fp_ieee_div_zero 0
		.amdhsa_exception_fp_ieee_overflow 0
		.amdhsa_exception_fp_ieee_underflow 0
		.amdhsa_exception_fp_ieee_inexact 0
		.amdhsa_exception_int_div_zero 0
	.end_amdhsa_kernel
	.section	.text._ZL20rocblas_gemvn_kernelILi64ELi16ElPKDF16_PKfKPfEviiT3_lPKT2_lT1_lS9_lSA_lS6_lPT4_lSA_li,"axG",@progbits,_ZL20rocblas_gemvn_kernelILi64ELi16ElPKDF16_PKfKPfEviiT3_lPKT2_lT1_lS9_lSA_lS6_lPT4_lSA_li,comdat
.Lfunc_end515:
	.size	_ZL20rocblas_gemvn_kernelILi64ELi16ElPKDF16_PKfKPfEviiT3_lPKT2_lT1_lS9_lSA_lS6_lPT4_lSA_li, .Lfunc_end515-_ZL20rocblas_gemvn_kernelILi64ELi16ElPKDF16_PKfKPfEviiT3_lPKT2_lT1_lS9_lSA_lS6_lPT4_lSA_li
                                        ; -- End function
	.section	.AMDGPU.csdata,"",@progbits
; Kernel info:
; codeLenInByte = 3592
; NumSgprs: 37
; NumVgprs: 55
; ScratchSize: 0
; MemoryBound: 0
; FloatMode: 240
; IeeeMode: 1
; LDSByteSize: 16384 bytes/workgroup (compile time only)
; SGPRBlocks: 4
; VGPRBlocks: 6
; NumSGPRsForWavesPerEU: 37
; NumVGPRsForWavesPerEU: 55
; Occupancy: 16
; WaveLimiterHint : 1
; COMPUTE_PGM_RSRC2:SCRATCH_EN: 0
; COMPUTE_PGM_RSRC2:USER_SGPR: 14
; COMPUTE_PGM_RSRC2:TRAP_HANDLER: 0
; COMPUTE_PGM_RSRC2:TGID_X_EN: 1
; COMPUTE_PGM_RSRC2:TGID_Y_EN: 0
; COMPUTE_PGM_RSRC2:TGID_Z_EN: 1
; COMPUTE_PGM_RSRC2:TIDIG_COMP_CNT: 1
	.section	.text._ZL20rocblas_gemvn_kernelILi64ELi16EiPKDF16_fKPfEviiT3_lPKT2_lT1_lS7_lS8_lS4_lPT4_lS8_li,"axG",@progbits,_ZL20rocblas_gemvn_kernelILi64ELi16EiPKDF16_fKPfEviiT3_lPKT2_lT1_lS7_lS8_lS4_lPT4_lS8_li,comdat
	.globl	_ZL20rocblas_gemvn_kernelILi64ELi16EiPKDF16_fKPfEviiT3_lPKT2_lT1_lS7_lS8_lS4_lPT4_lS8_li ; -- Begin function _ZL20rocblas_gemvn_kernelILi64ELi16EiPKDF16_fKPfEviiT3_lPKT2_lT1_lS7_lS8_lS4_lPT4_lS8_li
	.p2align	8
	.type	_ZL20rocblas_gemvn_kernelILi64ELi16EiPKDF16_fKPfEviiT3_lPKT2_lT1_lS7_lS8_lS4_lPT4_lS8_li,@function
_ZL20rocblas_gemvn_kernelILi64ELi16EiPKDF16_fKPfEviiT3_lPKT2_lT1_lS7_lS8_lS4_lPT4_lS8_li: ; @_ZL20rocblas_gemvn_kernelILi64ELi16EiPKDF16_fKPfEviiT3_lPKT2_lT1_lS7_lS8_lS4_lPT4_lS8_li
; %bb.0:
	s_load_b64 s[4:5], s[0:1], 0x9c
	s_waitcnt lgkmcnt(0)
	s_lshr_b32 s3, s4, 16
	s_and_b32 s4, s4, 0xffff
	s_and_b32 s5, s5, 0xffff
	s_mul_i32 s3, s3, s4
	s_delay_alu instid0(SALU_CYCLE_1) | instskip(NEXT) | instid1(SALU_CYCLE_1)
	s_mul_i32 s3, s3, s5
	s_cmpk_lg_i32 s3, 0x400
	s_cbranch_scc1 .LBB516_57
; %bb.1:
	s_load_b128 s[4:7], s[0:1], 0x0
	s_waitcnt lgkmcnt(0)
	s_load_b32 s7, s[0:1], 0x58
	v_cmp_eq_f32_e64 s12, s6, 0
	s_waitcnt lgkmcnt(0)
	v_cmp_eq_f32_e64 s3, s7, 1.0
	s_delay_alu instid0(VALU_DEP_1) | instskip(NEXT) | instid1(SALU_CYCLE_1)
	s_and_b32 s3, s12, s3
	s_and_b32 vcc_lo, exec_lo, s3
	s_cbranch_vccnz .LBB516_57
; %bb.2:
	v_cmp_neq_f32_e64 s10, s6, 0
	s_mov_b32 s2, s15
	s_delay_alu instid0(VALU_DEP_1)
	s_and_b32 vcc_lo, exec_lo, s10
	s_cbranch_vccnz .LBB516_4
; %bb.3:
	s_mov_b32 s3, 0
	s_mov_b64 s[8:9], 0
	s_cbranch_execz .LBB516_5
	s_branch .LBB516_6
.LBB516_4:
	s_mov_b32 s3, -1
                                        ; implicit-def: $sgpr8_sgpr9
.LBB516_5:
	s_load_b128 s[16:19], s[0:1], 0x18
	s_mov_b32 s3, 0
	s_delay_alu instid0(SALU_CYCLE_1)
	s_lshl_b64 s[8:9], s[2:3], 3
	s_waitcnt lgkmcnt(0)
	s_add_u32 s8, s16, s8
	s_addc_u32 s9, s17, s9
	s_lshl_b64 s[16:17], s[18:19], 1
	s_load_b64 s[8:9], s[8:9], 0x0
	s_waitcnt lgkmcnt(0)
	s_add_u32 s8, s8, s16
	s_addc_u32 s9, s9, s17
.LBB516_6:
	s_and_not1_b32 vcc_lo, exec_lo, s10
	s_cbranch_vccnz .LBB516_8
; %bb.7:
	s_load_b128 s[16:19], s[0:1], 0x38
	s_lshl_b64 s[10:11], s[2:3], 3
	s_waitcnt lgkmcnt(0)
	s_add_u32 s10, s16, s10
	s_addc_u32 s11, s17, s11
	s_lshl_b64 s[16:17], s[18:19], 1
	s_load_b64 s[10:11], s[10:11], 0x0
	s_waitcnt lgkmcnt(0)
	s_add_u32 s10, s10, s16
	s_addc_u32 s11, s11, s17
	s_branch .LBB516_9
.LBB516_8:
	s_mov_b64 s[10:11], 0
.LBB516_9:
	s_clause 0x1
	s_load_b128 s[20:23], s[0:1], 0x68
	s_load_b32 s16, s[0:1], 0x78
	s_lshl_b64 s[2:3], s[2:3], 3
	v_and_b32_e32 v1, 0x3ff, v0
	v_bfe_u32 v13, v0, 10, 10
	s_delay_alu instid0(VALU_DEP_1)
	v_lshl_add_u32 v0, v13, 6, v1
	s_waitcnt lgkmcnt(0)
	s_add_u32 s2, s20, s2
	s_addc_u32 s3, s21, s3
	s_lshl_b64 s[20:21], s[22:23], 2
	s_load_b64 s[18:19], s[2:3], 0x0
	v_cmp_gt_u32_e64 s2, 0x100, v0
	s_waitcnt lgkmcnt(0)
	s_add_u32 s13, s18, s20
	s_addc_u32 s15, s19, s21
	s_and_not1_b32 vcc_lo, exec_lo, s12
	s_cbranch_vccnz .LBB516_16
; %bb.10:
	s_mov_b32 s3, 0
	s_mov_b32 s17, 0
                                        ; implicit-def: $vgpr3
                                        ; implicit-def: $vgpr4_vgpr5
	s_and_saveexec_b32 s12, s2
	s_cbranch_execz .LBB516_17
; %bb.11:
	v_lshl_or_b32 v2, s14, 8, v0
	v_mov_b32_e32 v3, 0
	s_ashr_i32 s19, s4, 31
	s_mov_b32 s18, s4
	s_mov_b32 s2, exec_lo
                                        ; implicit-def: $vgpr4_vgpr5
	s_delay_alu instid0(VALU_DEP_1)
	v_cmpx_gt_i64_e64 s[18:19], v[2:3]
	s_cbranch_execz .LBB516_15
; %bb.12:
	v_mad_u64_u32 v[4:5], null, s16, v2, 0
	s_ashr_i32 s17, s16, 31
	s_delay_alu instid0(VALU_DEP_1) | instid1(SALU_CYCLE_1)
	v_mad_u64_u32 v[6:7], null, s17, v2, v[5:6]
	v_cmp_eq_f32_e64 s17, s7, 0
	s_delay_alu instid0(VALU_DEP_1) | instskip(NEXT) | instid1(VALU_DEP_2)
	s_and_b32 vcc_lo, exec_lo, s17
	v_mov_b32_e32 v5, v6
	s_cbranch_vccnz .LBB516_14
; %bb.13:
	s_delay_alu instid0(VALU_DEP_1) | instskip(NEXT) | instid1(VALU_DEP_1)
	v_lshlrev_b64 v[2:3], 2, v[4:5]
	v_add_co_u32 v2, vcc_lo, s13, v2
	s_delay_alu instid0(VALU_DEP_2)
	v_add_co_ci_u32_e32 v3, vcc_lo, s15, v3, vcc_lo
	global_load_b32 v2, v[2:3], off
	s_waitcnt vmcnt(0)
	v_mul_f32_e32 v3, s7, v2
.LBB516_14:
	s_mov_b32 s17, exec_lo
.LBB516_15:
	s_or_b32 exec_lo, exec_lo, s2
	s_delay_alu instid0(SALU_CYCLE_1) | instskip(SKIP_1) | instid1(SALU_CYCLE_1)
	s_and_b32 s17, s17, exec_lo
	s_or_b32 exec_lo, exec_lo, s12
	s_and_b32 vcc_lo, exec_lo, s3
	s_cbranch_vccnz .LBB516_18
	s_branch .LBB516_55
.LBB516_16:
	s_mov_b32 s17, 0
                                        ; implicit-def: $vgpr3
                                        ; implicit-def: $vgpr4_vgpr5
	s_cbranch_execnz .LBB516_18
	s_branch .LBB516_55
.LBB516_17:
	s_or_b32 exec_lo, exec_lo, s12
	s_delay_alu instid0(SALU_CYCLE_1)
	s_and_b32 vcc_lo, exec_lo, s3
	s_cbranch_vccz .LBB516_55
.LBB516_18:
	s_clause 0x1
	s_load_b32 s18, s[0:1], 0x28
	s_load_b32 s12, s[0:1], 0x48
	s_ashr_i32 s0, s5, 31
	s_lshl_b32 s14, s14, 8
	s_lshr_b32 s0, s0, 26
	v_dual_mov_b32 v18, 0 :: v_dual_lshlrev_b32 v19, 2, v13
	v_dual_mov_b32 v16, 0 :: v_dual_add_nc_u32 v15, s14, v1
	v_dual_mov_b32 v17, 0 :: v_dual_mov_b32 v14, 0
	s_add_i32 s19, s5, s0
	s_mov_b32 s20, exec_lo
	s_and_not1_b32 s19, s19, 63
	s_delay_alu instid0(SALU_CYCLE_1)
	v_cmpx_gt_i32_e64 s19, v19
	s_cbranch_execz .LBB516_30
; %bb.19:
	s_waitcnt lgkmcnt(0)
	v_mul_lo_u32 v3, s18, v19
	v_dual_mov_b32 v17, 0 :: v_dual_add_nc_u32 v2, 64, v15
	v_add_nc_u32_e32 v6, 2, v19
	v_dual_mov_b32 v18, 0 :: v_dual_add_nc_u32 v5, 0xc0, v15
	s_delay_alu instid0(VALU_DEP_3)
	v_cmp_gt_i32_e64 s0, s4, v2
	v_add_nc_u32_e32 v4, 0x80, v15
	v_add3_u32 v20, v3, s18, v1
	v_mad_u64_u32 v[2:3], null, s18, v6, v[1:2]
	v_cmp_gt_i32_e64 s2, s4, v5
	v_mul_lo_u32 v5, v13, s18
	v_dual_mov_b32 v16, 0 :: v_dual_add_nc_u32 v7, 3, v19
	v_mul_lo_u32 v8, v13, s12
	v_cmp_gt_i32_e64 s1, s4, v4
	v_mul_lo_u32 v22, s12, v6
	s_delay_alu instid0(VALU_DEP_4)
	v_mad_u64_u32 v[3:4], null, s18, v7, v[1:2]
	v_lshl_add_u32 v21, v5, 2, v1
	v_mad_u64_u32 v[4:5], null, s12, v19, s[12:13]
	v_mul_lo_u32 v23, s12, v7
	v_cmp_gt_i32_e32 vcc_lo, s4, v15
	v_lshlrev_b32_e32 v24, 2, v8
	v_mov_b32_e32 v14, 0
	s_lshl_b32 s21, s18, 6
	s_lshl_b32 s23, s12, 6
	s_mov_b32 s22, 0
	s_mov_b32 s24, 0
	s_branch .LBB516_24
.LBB516_20:                             ;   in Loop: Header=BB516_24 Depth=1
	s_or_b32 exec_lo, exec_lo, s27
	s_waitcnt vmcnt(3) lgkmcnt(3)
	v_fma_mix_f32 v5, v37, v41, v16 op_sel_hi:[0,1,0]
	s_waitcnt vmcnt(2) lgkmcnt(2)
	s_delay_alu instid0(VALU_DEP_1) | instskip(SKIP_1) | instid1(VALU_DEP_1)
	v_fma_mix_f32 v5, v38, v42, v5 op_sel_hi:[0,1,0]
	s_waitcnt vmcnt(1) lgkmcnt(1)
	v_fma_mix_f32 v5, v39, v43, v5 op_sel_hi:[0,1,0]
	s_waitcnt vmcnt(0) lgkmcnt(0)
	s_delay_alu instid0(VALU_DEP_1)
	v_fma_mix_f32 v16, v40, v44, v5 op_sel_hi:[0,1,0]
.LBB516_21:                             ;   in Loop: Header=BB516_24 Depth=1
	s_or_b32 exec_lo, exec_lo, s26
	s_waitcnt vmcnt(3) lgkmcnt(3)
	v_fma_mix_f32 v5, v37, v33, v17 op_sel_hi:[0,1,0]
	s_waitcnt vmcnt(2) lgkmcnt(2)
	s_delay_alu instid0(VALU_DEP_1) | instskip(SKIP_1) | instid1(VALU_DEP_1)
	v_fma_mix_f32 v5, v38, v34, v5 op_sel_hi:[0,1,0]
	s_waitcnt vmcnt(1) lgkmcnt(1)
	v_fma_mix_f32 v5, v39, v35, v5 op_sel_hi:[0,1,0]
	s_waitcnt vmcnt(0) lgkmcnt(0)
	s_delay_alu instid0(VALU_DEP_1)
	v_fma_mix_f32 v17, v40, v36, v5 op_sel_hi:[0,1,0]
.LBB516_22:                             ;   in Loop: Header=BB516_24 Depth=1
	s_or_b32 exec_lo, exec_lo, s3
	s_waitcnt vmcnt(3) lgkmcnt(3)
	v_fma_mix_f32 v5, v25, v29, v18 op_sel_hi:[1,1,0]
	s_waitcnt vmcnt(2) lgkmcnt(2)
	s_delay_alu instid0(VALU_DEP_1) | instskip(SKIP_1) | instid1(VALU_DEP_1)
	v_fma_mix_f32 v5, v26, v30, v5 op_sel_hi:[1,1,0]
	s_waitcnt vmcnt(1) lgkmcnt(1)
	v_fma_mix_f32 v5, v27, v31, v5 op_sel_hi:[1,1,0]
	s_waitcnt vmcnt(0) lgkmcnt(0)
	s_delay_alu instid0(VALU_DEP_1)
	v_fma_mix_f32 v18, v28, v32, v5 op_sel_hi:[1,1,0]
.LBB516_23:                             ;   in Loop: Header=BB516_24 Depth=1
	s_or_b32 exec_lo, exec_lo, s25
	v_add_nc_u32_e32 v19, 64, v19
	v_add_nc_u32_e32 v20, s21, v20
	;; [unrolled: 1-line block ×5, first 2 shown]
	v_cmp_le_i32_e64 s3, s19, v19
	s_add_i32 s24, s24, s23
	s_delay_alu instid0(VALU_DEP_1) | instskip(NEXT) | instid1(SALU_CYCLE_1)
	s_or_b32 s22, s3, s22
	s_and_not1_b32 exec_lo, exec_lo, s22
	s_cbranch_execz .LBB516_29
.LBB516_24:                             ; =>This Inner Loop Header: Depth=1
	s_and_saveexec_b32 s25, vcc_lo
	s_cbranch_execz .LBB516_23
; %bb.25:                               ;   in Loop: Header=BB516_24 Depth=1
	v_add_nc_u32_e32 v5, s24, v24
	v_add_nc_u32_e32 v7, s24, v4
	;; [unrolled: 1-line block ×5, first 2 shown]
	v_ashrrev_i32_e32 v6, 31, v5
	v_ashrrev_i32_e32 v8, 31, v7
	;; [unrolled: 1-line block ×5, first 2 shown]
	v_lshlrev_b64 v[5:6], 1, v[5:6]
	v_lshlrev_b64 v[7:8], 1, v[7:8]
	;; [unrolled: 1-line block ×3, first 2 shown]
	s_delay_alu instid0(VALU_DEP_3) | instskip(NEXT) | instid1(VALU_DEP_1)
	v_add_co_u32 v27, s3, s10, v5
	v_add_co_ci_u32_e64 v28, s3, s11, v6, s3
	s_delay_alu instid0(VALU_DEP_4)
	v_add_co_u32 v29, s3, s10, v7
	v_add_nc_u32_e32 v7, s14, v20
	v_add_co_ci_u32_e64 v30, s3, s11, v8, s3
	v_lshlrev_b64 v[5:6], 1, v[11:12]
	v_add_co_u32 v31, s3, s10, v9
	v_add_nc_u32_e32 v11, s14, v2
	v_add_co_ci_u32_e64 v32, s3, s11, v10, s3
	v_lshlrev_b64 v[9:10], 1, v[25:26]
	v_ashrrev_i32_e32 v8, 31, v7
	v_add_nc_u32_e32 v25, s14, v3
	v_add_co_u32 v33, s3, s10, v5
	v_ashrrev_i32_e32 v12, 31, v11
	v_add_co_ci_u32_e64 v34, s3, s11, v6, s3
	v_lshlrev_b64 v[7:8], 1, v[7:8]
	v_add_co_u32 v5, s3, s8, v9
	v_ashrrev_i32_e32 v26, 31, v25
	v_add_co_ci_u32_e64 v6, s3, s9, v10, s3
	v_lshlrev_b64 v[9:10], 1, v[11:12]
	v_add_co_u32 v7, s3, s8, v7
	s_delay_alu instid0(VALU_DEP_4) | instskip(SKIP_1) | instid1(VALU_DEP_4)
	v_lshlrev_b64 v[11:12], 1, v[25:26]
	v_add_co_ci_u32_e64 v8, s3, s9, v8, s3
	v_add_co_u32 v9, s3, s8, v9
	s_delay_alu instid0(VALU_DEP_1) | instskip(NEXT) | instid1(VALU_DEP_4)
	v_add_co_ci_u32_e64 v10, s3, s9, v10, s3
	v_add_co_u32 v11, s3, s8, v11
	s_delay_alu instid0(VALU_DEP_1)
	v_add_co_ci_u32_e64 v12, s3, s9, v12, s3
	s_clause 0x3
	flat_load_u16 v25, v[27:28]
	flat_load_u16 v26, v[29:30]
	;; [unrolled: 1-line block ×4, first 2 shown]
	s_clause 0x3
	flat_load_u16 v29, v[5:6]
	flat_load_u16 v30, v[7:8]
	;; [unrolled: 1-line block ×4, first 2 shown]
	s_and_saveexec_b32 s3, s0
	s_cbranch_execz .LBB516_22
; %bb.26:                               ;   in Loop: Header=BB516_24 Depth=1
	s_clause 0x3
	flat_load_u16 v33, v[5:6] offset:128
	flat_load_u16 v34, v[7:8] offset:128
	;; [unrolled: 1-line block ×4, first 2 shown]
	s_waitcnt vmcnt(11) lgkmcnt(11)
	v_cvt_f32_f16_e32 v37, v25
	s_waitcnt vmcnt(10) lgkmcnt(10)
	v_cvt_f32_f16_e32 v38, v26
	;; [unrolled: 2-line block ×4, first 2 shown]
	s_and_saveexec_b32 s26, s1
	s_cbranch_execz .LBB516_21
; %bb.27:                               ;   in Loop: Header=BB516_24 Depth=1
	s_clause 0x3
	flat_load_u16 v41, v[5:6] offset:256
	flat_load_u16 v42, v[7:8] offset:256
	;; [unrolled: 1-line block ×4, first 2 shown]
	s_and_saveexec_b32 s27, s2
	s_cbranch_execz .LBB516_20
; %bb.28:                               ;   in Loop: Header=BB516_24 Depth=1
	s_clause 0x3
	flat_load_u16 v5, v[5:6] offset:384
	flat_load_u16 v6, v[7:8] offset:384
	;; [unrolled: 1-line block ×4, first 2 shown]
	s_waitcnt vmcnt(3) lgkmcnt(3)
	v_fma_mix_f32 v5, v37, v5, v14 op_sel_hi:[0,1,0]
	s_waitcnt vmcnt(2) lgkmcnt(2)
	s_delay_alu instid0(VALU_DEP_1) | instskip(SKIP_1) | instid1(VALU_DEP_1)
	v_fma_mix_f32 v5, v38, v6, v5 op_sel_hi:[0,1,0]
	s_waitcnt vmcnt(1) lgkmcnt(1)
	v_fma_mix_f32 v5, v39, v7, v5 op_sel_hi:[0,1,0]
	s_waitcnt vmcnt(0) lgkmcnt(0)
	s_delay_alu instid0(VALU_DEP_1)
	v_fma_mix_f32 v14, v40, v8, v5 op_sel_hi:[0,1,0]
	s_branch .LBB516_20
.LBB516_29:
	s_or_b32 exec_lo, exec_lo, s22
.LBB516_30:
	s_delay_alu instid0(SALU_CYCLE_1) | instskip(SKIP_1) | instid1(SALU_CYCLE_1)
	s_or_b32 exec_lo, exec_lo, s20
	s_sub_i32 s0, s5, s19
	s_cmp_lt_i32 s0, 1
	s_cbranch_scc1 .LBB516_48
; %bb.31:
	v_cmp_gt_i32_e32 vcc_lo, s5, v19
	v_dual_mov_b32 v10, 0 :: v_dual_mov_b32 v11, 0
	v_or_b32_e32 v2, 1, v19
	v_mov_b32_e32 v12, 0
	v_mov_b32_e32 v20, 0
	s_and_saveexec_b32 s1, vcc_lo
	s_cbranch_execz .LBB516_39
; %bb.32:
	s_waitcnt lgkmcnt(0)
	v_mul_lo_u32 v3, v19, s12
	v_dual_mov_b32 v12, 0 :: v_dual_mov_b32 v11, 0
	v_mov_b32_e32 v10, 0
	s_mov_b32 s2, exec_lo
	s_delay_alu instid0(VALU_DEP_3) | instskip(NEXT) | instid1(VALU_DEP_1)
	v_ashrrev_i32_e32 v4, 31, v3
	v_lshlrev_b64 v[3:4], 1, v[3:4]
	s_delay_alu instid0(VALU_DEP_1) | instskip(NEXT) | instid1(VALU_DEP_1)
	v_add_co_u32 v3, s0, s10, v3
	v_add_co_ci_u32_e64 v4, s0, s11, v4, s0
	flat_load_u16 v3, v[3:4]
	v_cmpx_gt_i32_e64 s5, v2
	s_cbranch_execz .LBB516_38
; %bb.33:
	v_mul_lo_u32 v4, v2, s12
	v_dual_mov_b32 v11, 0 :: v_dual_mov_b32 v10, 0
	s_mov_b32 s3, exec_lo
	s_delay_alu instid0(VALU_DEP_2) | instskip(NEXT) | instid1(VALU_DEP_1)
	v_ashrrev_i32_e32 v5, 31, v4
	v_lshlrev_b64 v[4:5], 1, v[4:5]
	s_delay_alu instid0(VALU_DEP_1) | instskip(NEXT) | instid1(VALU_DEP_1)
	v_add_co_u32 v4, s0, s10, v4
	v_add_co_ci_u32_e64 v5, s0, s11, v5, s0
	flat_load_u16 v4, v[4:5]
	v_or_b32_e32 v5, 2, v19
	s_delay_alu instid0(VALU_DEP_1)
	v_cmpx_gt_i32_e64 s5, v5
	s_cbranch_execz .LBB516_37
; %bb.34:
	v_mul_lo_u32 v5, v5, s12
	v_mov_b32_e32 v10, 0
	s_mov_b32 s19, exec_lo
	s_delay_alu instid0(VALU_DEP_2) | instskip(NEXT) | instid1(VALU_DEP_1)
	v_ashrrev_i32_e32 v6, 31, v5
	v_lshlrev_b64 v[5:6], 1, v[5:6]
	s_delay_alu instid0(VALU_DEP_1) | instskip(NEXT) | instid1(VALU_DEP_1)
	v_add_co_u32 v5, s0, s10, v5
	v_add_co_ci_u32_e64 v6, s0, s11, v6, s0
	flat_load_u16 v5, v[5:6]
	v_or_b32_e32 v6, 3, v19
	s_delay_alu instid0(VALU_DEP_1)
	v_cmpx_gt_i32_e64 s5, v6
	s_cbranch_execz .LBB516_36
; %bb.35:
	v_mul_lo_u32 v6, v6, s12
	s_delay_alu instid0(VALU_DEP_1) | instskip(NEXT) | instid1(VALU_DEP_1)
	v_ashrrev_i32_e32 v7, 31, v6
	v_lshlrev_b64 v[6:7], 1, v[6:7]
	s_delay_alu instid0(VALU_DEP_1) | instskip(NEXT) | instid1(VALU_DEP_1)
	v_add_co_u32 v6, s0, s10, v6
	v_add_co_ci_u32_e64 v7, s0, s11, v7, s0
	flat_load_u16 v6, v[6:7]
	s_waitcnt vmcnt(0) lgkmcnt(0)
	v_cvt_f32_f16_e32 v10, v6
.LBB516_36:
	s_or_b32 exec_lo, exec_lo, s19
	s_waitcnt vmcnt(0) lgkmcnt(0)
	v_cvt_f32_f16_e32 v11, v5
.LBB516_37:
	s_or_b32 exec_lo, exec_lo, s3
	s_waitcnt vmcnt(0) lgkmcnt(0)
	v_cvt_f32_f16_e32 v12, v4
.LBB516_38:
	s_or_b32 exec_lo, exec_lo, s2
	s_waitcnt vmcnt(0) lgkmcnt(0)
	v_cvt_f32_f16_e32 v20, v3
.LBB516_39:
	s_or_b32 exec_lo, exec_lo, s1
	s_delay_alu instid0(SALU_CYCLE_1)
	s_mov_b32 s1, exec_lo
	v_cmpx_gt_i32_e64 s4, v15
	s_cbranch_execz .LBB516_47
; %bb.40:
	s_waitcnt lgkmcnt(0)
	v_mul_lo_u32 v3, v19, s18
	v_or_b32_e32 v6, 3, v19
	v_or_b32_e32 v4, 2, v19
	v_mul_lo_u32 v5, v2, s18
	s_mov_b32 s0, exec_lo
	s_delay_alu instid0(VALU_DEP_3) | instskip(NEXT) | instid1(VALU_DEP_3)
	v_mul_lo_u32 v8, v6, s18
	v_mul_lo_u32 v7, v4, s18
	v_cndmask_b32_e32 v3, 0, v3, vcc_lo
	v_cmp_gt_i32_e32 vcc_lo, s5, v2
	v_cndmask_b32_e32 v5, 0, v5, vcc_lo
	v_cmp_gt_i32_e32 vcc_lo, s5, v4
	;; [unrolled: 2-line block ×3, first 2 shown]
	s_delay_alu instid0(VALU_DEP_2) | instskip(SKIP_3) | instid1(VALU_DEP_4)
	v_add_nc_u32_e32 v6, v7, v15
	v_cndmask_b32_e32 v8, 0, v8, vcc_lo
	v_add_nc_u32_e32 v2, v3, v15
	v_add_nc_u32_e32 v4, v5, v15
	v_ashrrev_i32_e32 v7, 31, v6
	s_delay_alu instid0(VALU_DEP_4) | instskip(NEXT) | instid1(VALU_DEP_4)
	v_add_nc_u32_e32 v8, v8, v15
	v_ashrrev_i32_e32 v3, 31, v2
	s_delay_alu instid0(VALU_DEP_4) | instskip(NEXT) | instid1(VALU_DEP_4)
	v_ashrrev_i32_e32 v5, 31, v4
	v_lshlrev_b64 v[6:7], 1, v[6:7]
	s_delay_alu instid0(VALU_DEP_4) | instskip(NEXT) | instid1(VALU_DEP_4)
	v_ashrrev_i32_e32 v9, 31, v8
	v_lshlrev_b64 v[2:3], 1, v[2:3]
	s_delay_alu instid0(VALU_DEP_4) | instskip(NEXT) | instid1(VALU_DEP_3)
	v_lshlrev_b64 v[4:5], 1, v[4:5]
	v_lshlrev_b64 v[8:9], 1, v[8:9]
	s_delay_alu instid0(VALU_DEP_3) | instskip(NEXT) | instid1(VALU_DEP_4)
	v_add_co_u32 v2, vcc_lo, s8, v2
	v_add_co_ci_u32_e32 v3, vcc_lo, s9, v3, vcc_lo
	s_delay_alu instid0(VALU_DEP_4)
	v_add_co_u32 v4, vcc_lo, s8, v4
	v_add_co_ci_u32_e32 v5, vcc_lo, s9, v5, vcc_lo
	flat_load_u16 v21, v[2:3]
	v_add_co_u32 v6, vcc_lo, s8, v6
	v_add_co_ci_u32_e32 v7, vcc_lo, s9, v7, vcc_lo
	s_clause 0x1
	flat_load_u16 v22, v[4:5]
	flat_load_u16 v23, v[6:7]
	v_add_co_u32 v8, vcc_lo, s8, v8
	v_add_co_ci_u32_e32 v9, vcc_lo, s9, v9, vcc_lo
	flat_load_u16 v19, v[8:9]
	s_waitcnt vmcnt(3) lgkmcnt(3)
	v_fma_mix_f32 v18, v20, v21, v18 op_sel_hi:[0,1,0]
	v_add_nc_u32_e32 v21, 64, v15
	s_waitcnt vmcnt(2) lgkmcnt(2)
	s_delay_alu instid0(VALU_DEP_2) | instskip(SKIP_1) | instid1(VALU_DEP_1)
	v_fma_mix_f32 v18, v12, v22, v18 op_sel_hi:[0,1,0]
	s_waitcnt vmcnt(1) lgkmcnt(1)
	v_fma_mix_f32 v18, v11, v23, v18 op_sel_hi:[0,1,0]
	v_cmpx_gt_i32_e64 s4, v21
	s_cbranch_execz .LBB516_46
; %bb.41:
	s_clause 0x3
	flat_load_u16 v22, v[2:3] offset:128
	flat_load_u16 v23, v[4:5] offset:128
	;; [unrolled: 1-line block ×4, first 2 shown]
	s_mov_b32 s2, exec_lo
	s_waitcnt vmcnt(3) lgkmcnt(3)
	v_fma_mix_f32 v17, v20, v22, v17 op_sel_hi:[0,1,0]
	v_add_nc_u32_e32 v22, 0x80, v15
	s_waitcnt vmcnt(2) lgkmcnt(2)
	s_delay_alu instid0(VALU_DEP_2) | instskip(SKIP_1) | instid1(VALU_DEP_1)
	v_fma_mix_f32 v17, v12, v23, v17 op_sel_hi:[0,1,0]
	s_waitcnt vmcnt(1) lgkmcnt(1)
	v_fma_mix_f32 v17, v11, v24, v17 op_sel_hi:[0,1,0]
	v_cmpx_gt_i32_e64 s4, v22
	s_cbranch_execz .LBB516_45
; %bb.42:
	s_clause 0x3
	flat_load_u16 v23, v[2:3] offset:256
	flat_load_u16 v24, v[4:5] offset:256
	;; [unrolled: 1-line block ×4, first 2 shown]
	s_mov_b32 s3, exec_lo
	s_waitcnt vmcnt(3) lgkmcnt(3)
	v_fma_mix_f32 v16, v20, v23, v16 op_sel_hi:[0,1,0]
	v_add_nc_u32_e32 v23, 0xc0, v15
	s_waitcnt vmcnt(2) lgkmcnt(2)
	s_delay_alu instid0(VALU_DEP_2) | instskip(SKIP_1) | instid1(VALU_DEP_1)
	v_fma_mix_f32 v16, v12, v24, v16 op_sel_hi:[0,1,0]
	s_waitcnt vmcnt(1) lgkmcnt(1)
	v_fma_mix_f32 v15, v11, v25, v16 op_sel_hi:[0,1,0]
	v_cmpx_gt_i32_e64 s4, v23
	s_cbranch_execz .LBB516_44
; %bb.43:
	s_clause 0x3
	flat_load_u16 v2, v[2:3] offset:384
	flat_load_u16 v3, v[4:5] offset:384
	;; [unrolled: 1-line block ×4, first 2 shown]
	s_waitcnt vmcnt(3) lgkmcnt(3)
	v_fma_mix_f32 v2, v20, v2, v14 op_sel_hi:[0,1,0]
	s_waitcnt vmcnt(2) lgkmcnt(2)
	s_delay_alu instid0(VALU_DEP_1) | instskip(SKIP_1) | instid1(VALU_DEP_1)
	v_fma_mix_f32 v2, v12, v3, v2 op_sel_hi:[0,1,0]
	s_waitcnt vmcnt(1) lgkmcnt(1)
	v_fma_mix_f32 v2, v11, v4, v2 op_sel_hi:[0,1,0]
	s_waitcnt vmcnt(0) lgkmcnt(0)
	s_delay_alu instid0(VALU_DEP_1)
	v_fma_mix_f32 v14, v10, v5, v2 op_sel_hi:[0,1,0]
.LBB516_44:
	s_or_b32 exec_lo, exec_lo, s3
	s_waitcnt vmcnt(0) lgkmcnt(0)
	v_fma_mix_f32 v16, v10, v22, v15 op_sel_hi:[0,1,0]
.LBB516_45:
	s_or_b32 exec_lo, exec_lo, s2
	s_waitcnt vmcnt(0) lgkmcnt(0)
	v_fma_mix_f32 v17, v10, v21, v17 op_sel_hi:[0,1,0]
.LBB516_46:
	s_or_b32 exec_lo, exec_lo, s0
	s_waitcnt vmcnt(0) lgkmcnt(0)
	v_fma_mix_f32 v18, v10, v19, v18 op_sel_hi:[0,1,0]
.LBB516_47:
	s_or_b32 exec_lo, exec_lo, s1
.LBB516_48:
	v_lshlrev_b32_e32 v2, 8, v13
	s_mov_b32 s0, exec_lo
                                        ; implicit-def: $vgpr3
                                        ; implicit-def: $vgpr4_vgpr5
	s_delay_alu instid0(VALU_DEP_1)
	v_add_lshl_u32 v1, v2, v1, 2
	ds_store_2addr_stride64_b32 v1, v18, v17 offset1:1
	ds_store_2addr_stride64_b32 v1, v16, v14 offset0:2 offset1:3
	s_waitcnt lgkmcnt(0)
	s_barrier
	buffer_gl0_inv
	v_cmpx_gt_u32_e32 0x100, v0
	s_cbranch_execz .LBB516_54
; %bb.49:
	v_lshlrev_b32_e32 v7, 2, v0
	s_mov_b32 s2, s17
	s_mov_b32 s1, exec_lo
	ds_load_2addr_stride64_b32 v[1:2], v7 offset1:4
	ds_load_2addr_stride64_b32 v[3:4], v7 offset0:8 offset1:12
	ds_load_2addr_stride64_b32 v[5:6], v7 offset0:16 offset1:20
	s_waitcnt lgkmcnt(2)
	v_add_f32_e32 v8, v1, v2
	ds_load_2addr_stride64_b32 v[1:2], v7 offset0:24 offset1:28
	s_waitcnt lgkmcnt(2)
	v_add_f32_e32 v3, v3, v8
	s_delay_alu instid0(VALU_DEP_1) | instskip(SKIP_3) | instid1(VALU_DEP_1)
	v_add_f32_e32 v8, v4, v3
	ds_load_2addr_stride64_b32 v[3:4], v7 offset0:32 offset1:36
	s_waitcnt lgkmcnt(2)
	v_add_f32_e32 v5, v5, v8
	v_add_f32_e32 v8, v6, v5
	ds_load_2addr_stride64_b32 v[5:6], v7 offset0:40 offset1:44
	s_waitcnt lgkmcnt(2)
	v_add_f32_e32 v1, v1, v8
	s_delay_alu instid0(VALU_DEP_1) | instskip(SKIP_1) | instid1(VALU_DEP_1)
	v_add_f32_e32 v1, v2, v1
	s_waitcnt lgkmcnt(1)
	v_add_f32_e32 v3, v3, v1
	ds_load_2addr_stride64_b32 v[1:2], v7 offset0:48 offset1:52
	v_add_f32_e32 v3, v4, v3
	s_waitcnt lgkmcnt(1)
	s_delay_alu instid0(VALU_DEP_1) | instskip(SKIP_3) | instid1(VALU_DEP_1)
	v_add_f32_e32 v5, v5, v3
	ds_load_2addr_stride64_b32 v[3:4], v7 offset0:56 offset1:60
	v_add_f32_e32 v5, v6, v5
	s_waitcnt lgkmcnt(1)
	v_add_f32_e32 v1, v1, v5
	s_delay_alu instid0(VALU_DEP_1) | instskip(SKIP_1) | instid1(VALU_DEP_1)
	v_add_f32_e32 v1, v2, v1
	s_waitcnt lgkmcnt(0)
	v_add_f32_e32 v2, v3, v1
	v_or_b32_e32 v1, s14, v0
                                        ; implicit-def: $vgpr3
	s_delay_alu instid0(VALU_DEP_2)
	v_add_f32_e32 v0, v4, v2
                                        ; implicit-def: $vgpr4_vgpr5
	ds_store_b32 v7, v0
	v_cmpx_gt_i32_e64 s4, v1
	s_cbranch_execz .LBB516_53
; %bb.50:
	v_mul_lo_u32 v4, v1, s16
	v_cmp_eq_f32_e64 s2, s7, 0
	v_mul_f32_e32 v3, s6, v0
	s_delay_alu instid0(VALU_DEP_2) | instskip(NEXT) | instid1(VALU_DEP_3)
	s_and_b32 vcc_lo, exec_lo, s2
	v_ashrrev_i32_e32 v5, 31, v4
	s_cbranch_vccnz .LBB516_52
; %bb.51:
	s_delay_alu instid0(VALU_DEP_1) | instskip(NEXT) | instid1(VALU_DEP_1)
	v_lshlrev_b64 v[0:1], 2, v[4:5]
	v_add_co_u32 v0, vcc_lo, s13, v0
	s_delay_alu instid0(VALU_DEP_2)
	v_add_co_ci_u32_e32 v1, vcc_lo, s15, v1, vcc_lo
	global_load_b32 v0, v[0:1], off
	s_waitcnt vmcnt(0)
	v_fmac_f32_e32 v3, s7, v0
.LBB516_52:
	s_or_b32 s2, s17, exec_lo
.LBB516_53:
	s_or_b32 exec_lo, exec_lo, s1
	s_delay_alu instid0(SALU_CYCLE_1) | instskip(SKIP_1) | instid1(SALU_CYCLE_1)
	s_and_not1_b32 s1, s17, exec_lo
	s_and_b32 s2, s2, exec_lo
	s_or_b32 s17, s1, s2
.LBB516_54:
	s_or_b32 exec_lo, exec_lo, s0
.LBB516_55:
	s_and_saveexec_b32 s0, s17
	s_cbranch_execz .LBB516_57
; %bb.56:
	v_lshlrev_b64 v[0:1], 2, v[4:5]
	s_delay_alu instid0(VALU_DEP_1) | instskip(NEXT) | instid1(VALU_DEP_2)
	v_add_co_u32 v0, vcc_lo, s13, v0
	v_add_co_ci_u32_e32 v1, vcc_lo, s15, v1, vcc_lo
	global_store_b32 v[0:1], v3, off
.LBB516_57:
	s_nop 0
	s_sendmsg sendmsg(MSG_DEALLOC_VGPRS)
	s_endpgm
	.section	.rodata,"a",@progbits
	.p2align	6, 0x0
	.amdhsa_kernel _ZL20rocblas_gemvn_kernelILi64ELi16EiPKDF16_fKPfEviiT3_lPKT2_lT1_lS7_lS8_lS4_lPT4_lS8_li
		.amdhsa_group_segment_fixed_size 16384
		.amdhsa_private_segment_fixed_size 0
		.amdhsa_kernarg_size 400
		.amdhsa_user_sgpr_count 14
		.amdhsa_user_sgpr_dispatch_ptr 0
		.amdhsa_user_sgpr_queue_ptr 0
		.amdhsa_user_sgpr_kernarg_segment_ptr 1
		.amdhsa_user_sgpr_dispatch_id 0
		.amdhsa_user_sgpr_private_segment_size 0
		.amdhsa_wavefront_size32 1
		.amdhsa_uses_dynamic_stack 0
		.amdhsa_enable_private_segment 0
		.amdhsa_system_sgpr_workgroup_id_x 1
		.amdhsa_system_sgpr_workgroup_id_y 0
		.amdhsa_system_sgpr_workgroup_id_z 1
		.amdhsa_system_sgpr_workgroup_info 0
		.amdhsa_system_vgpr_workitem_id 1
		.amdhsa_next_free_vgpr 45
		.amdhsa_next_free_sgpr 28
		.amdhsa_reserve_vcc 1
		.amdhsa_float_round_mode_32 0
		.amdhsa_float_round_mode_16_64 0
		.amdhsa_float_denorm_mode_32 3
		.amdhsa_float_denorm_mode_16_64 3
		.amdhsa_dx10_clamp 1
		.amdhsa_ieee_mode 1
		.amdhsa_fp16_overflow 0
		.amdhsa_workgroup_processor_mode 1
		.amdhsa_memory_ordered 1
		.amdhsa_forward_progress 0
		.amdhsa_shared_vgpr_count 0
		.amdhsa_exception_fp_ieee_invalid_op 0
		.amdhsa_exception_fp_denorm_src 0
		.amdhsa_exception_fp_ieee_div_zero 0
		.amdhsa_exception_fp_ieee_overflow 0
		.amdhsa_exception_fp_ieee_underflow 0
		.amdhsa_exception_fp_ieee_inexact 0
		.amdhsa_exception_int_div_zero 0
	.end_amdhsa_kernel
	.section	.text._ZL20rocblas_gemvn_kernelILi64ELi16EiPKDF16_fKPfEviiT3_lPKT2_lT1_lS7_lS8_lS4_lPT4_lS8_li,"axG",@progbits,_ZL20rocblas_gemvn_kernelILi64ELi16EiPKDF16_fKPfEviiT3_lPKT2_lT1_lS7_lS8_lS4_lPT4_lS8_li,comdat
.Lfunc_end516:
	.size	_ZL20rocblas_gemvn_kernelILi64ELi16EiPKDF16_fKPfEviiT3_lPKT2_lT1_lS7_lS8_lS4_lPT4_lS8_li, .Lfunc_end516-_ZL20rocblas_gemvn_kernelILi64ELi16EiPKDF16_fKPfEviiT3_lPKT2_lT1_lS7_lS8_lS4_lPT4_lS8_li
                                        ; -- End function
	.section	.AMDGPU.csdata,"",@progbits
; Kernel info:
; codeLenInByte = 3188
; NumSgprs: 30
; NumVgprs: 45
; ScratchSize: 0
; MemoryBound: 0
; FloatMode: 240
; IeeeMode: 1
; LDSByteSize: 16384 bytes/workgroup (compile time only)
; SGPRBlocks: 3
; VGPRBlocks: 5
; NumSGPRsForWavesPerEU: 30
; NumVGPRsForWavesPerEU: 45
; Occupancy: 16
; WaveLimiterHint : 1
; COMPUTE_PGM_RSRC2:SCRATCH_EN: 0
; COMPUTE_PGM_RSRC2:USER_SGPR: 14
; COMPUTE_PGM_RSRC2:TRAP_HANDLER: 0
; COMPUTE_PGM_RSRC2:TGID_X_EN: 1
; COMPUTE_PGM_RSRC2:TGID_Y_EN: 0
; COMPUTE_PGM_RSRC2:TGID_Z_EN: 1
; COMPUTE_PGM_RSRC2:TIDIG_COMP_CNT: 1
	.section	.text._ZL20rocblas_gemvn_kernelILi64ELi16ElPKDF16_fKPfEviiT3_lPKT2_lT1_lS7_lS8_lS4_lPT4_lS8_li,"axG",@progbits,_ZL20rocblas_gemvn_kernelILi64ELi16ElPKDF16_fKPfEviiT3_lPKT2_lT1_lS7_lS8_lS4_lPT4_lS8_li,comdat
	.globl	_ZL20rocblas_gemvn_kernelILi64ELi16ElPKDF16_fKPfEviiT3_lPKT2_lT1_lS7_lS8_lS4_lPT4_lS8_li ; -- Begin function _ZL20rocblas_gemvn_kernelILi64ELi16ElPKDF16_fKPfEviiT3_lPKT2_lT1_lS7_lS8_lS4_lPT4_lS8_li
	.p2align	8
	.type	_ZL20rocblas_gemvn_kernelILi64ELi16ElPKDF16_fKPfEviiT3_lPKT2_lT1_lS7_lS8_lS4_lPT4_lS8_li,@function
_ZL20rocblas_gemvn_kernelILi64ELi16ElPKDF16_fKPfEviiT3_lPKT2_lT1_lS7_lS8_lS4_lPT4_lS8_li: ; @_ZL20rocblas_gemvn_kernelILi64ELi16ElPKDF16_fKPfEviiT3_lPKT2_lT1_lS7_lS8_lS4_lPT4_lS8_li
; %bb.0:
	s_load_b64 s[4:5], s[0:1], 0x9c
	s_waitcnt lgkmcnt(0)
	s_lshr_b32 s3, s4, 16
	s_and_b32 s4, s4, 0xffff
	s_and_b32 s5, s5, 0xffff
	s_mul_i32 s3, s3, s4
	s_delay_alu instid0(SALU_CYCLE_1) | instskip(NEXT) | instid1(SALU_CYCLE_1)
	s_mul_i32 s3, s3, s5
	s_cmpk_lg_i32 s3, 0x400
	s_cbranch_scc1 .LBB517_57
; %bb.1:
	s_load_b128 s[8:11], s[0:1], 0x0
	s_waitcnt lgkmcnt(0)
	s_load_b32 s11, s[0:1], 0x58
	s_mov_b32 s2, s15
	v_cmp_eq_f32_e64 s15, s10, 0
	s_waitcnt lgkmcnt(0)
	v_cmp_eq_f32_e64 s3, s11, 1.0
	s_delay_alu instid0(VALU_DEP_1) | instskip(NEXT) | instid1(SALU_CYCLE_1)
	s_and_b32 s3, s15, s3
	s_and_b32 vcc_lo, exec_lo, s3
	s_cbranch_vccnz .LBB517_57
; %bb.2:
	s_clause 0x1
	s_load_b128 s[4:7], s[0:1], 0x18
	s_load_b64 s[12:13], s[0:1], 0x28
	v_cmp_neq_f32_e64 s20, s10, 0
	s_delay_alu instid0(VALU_DEP_1)
	s_and_b32 vcc_lo, exec_lo, s20
	s_cbranch_vccnz .LBB517_4
; %bb.3:
	s_mov_b32 s3, 0
	s_mov_b64 s[16:17], 0
	s_cbranch_execz .LBB517_5
	s_branch .LBB517_6
.LBB517_4:
	s_mov_b32 s3, -1
                                        ; implicit-def: $sgpr16_sgpr17
.LBB517_5:
	s_mov_b32 s3, 0
	s_delay_alu instid0(SALU_CYCLE_1)
	s_lshl_b64 s[16:17], s[2:3], 3
	s_waitcnt lgkmcnt(0)
	s_add_u32 s4, s4, s16
	s_addc_u32 s5, s5, s17
	s_lshl_b64 s[6:7], s[6:7], 1
	s_load_b64 s[4:5], s[4:5], 0x0
	s_waitcnt lgkmcnt(0)
	s_add_u32 s16, s4, s6
	s_addc_u32 s17, s5, s7
.LBB517_6:
	s_waitcnt lgkmcnt(0)
	s_clause 0x1
	s_load_b128 s[4:7], s[0:1], 0x38
	s_load_b64 s[18:19], s[0:1], 0x48
	s_and_not1_b32 vcc_lo, exec_lo, s20
	s_cbranch_vccnz .LBB517_8
; %bb.7:
	s_lshl_b64 s[20:21], s[2:3], 3
	s_waitcnt lgkmcnt(0)
	s_add_u32 s4, s4, s20
	s_addc_u32 s5, s5, s21
	s_lshl_b64 s[6:7], s[6:7], 1
	s_load_b64 s[4:5], s[4:5], 0x0
	s_waitcnt lgkmcnt(0)
	s_add_u32 s20, s4, s6
	s_addc_u32 s21, s5, s7
	s_branch .LBB517_9
.LBB517_8:
	s_mov_b64 s[20:21], 0
.LBB517_9:
	s_load_b128 s[24:27], s[0:1], 0x68
	s_waitcnt lgkmcnt(0)
	s_load_b64 s[6:7], s[0:1], 0x78
	s_lshl_b64 s[2:3], s[2:3], 3
	v_and_b32_e32 v20, 0x3ff, v0
	v_bfe_u32 v21, v0, 10, 10
	s_delay_alu instid0(VALU_DEP_1)
	v_lshl_add_u32 v19, v21, 6, v20
	s_add_u32 s0, s24, s2
	s_addc_u32 s1, s25, s3
	s_lshl_b64 s[22:23], s[26:27], 2
	s_load_b64 s[2:3], s[0:1], 0x0
	v_cmp_gt_u32_e64 s0, 0x100, v19
	s_waitcnt lgkmcnt(0)
	s_add_u32 s5, s2, s22
	s_addc_u32 s26, s3, s23
	s_and_not1_b32 vcc_lo, exec_lo, s15
	s_cbranch_vccnz .LBB517_16
; %bb.10:
	s_mov_b32 s1, 0
	s_mov_b32 s27, 0
                                        ; implicit-def: $vgpr1
                                        ; implicit-def: $vgpr2_vgpr3
	s_and_saveexec_b32 s2, s0
	s_cbranch_execz .LBB517_17
; %bb.11:
	v_lshl_or_b32 v0, s14, 8, v19
	v_mov_b32_e32 v1, 0
	s_ashr_i32 s23, s8, 31
	s_mov_b32 s22, s8
	s_mov_b32 s3, 0
	s_mov_b32 s0, exec_lo
                                        ; implicit-def: $vgpr2_vgpr3
	v_cmpx_gt_i64_e64 s[22:23], v[0:1]
	s_cbranch_execz .LBB517_15
; %bb.12:
	v_mad_u64_u32 v[2:3], null, v0, s6, 0
	v_cmp_eq_f32_e64 s3, s11, 0
	s_delay_alu instid0(VALU_DEP_1) | instskip(NEXT) | instid1(VALU_DEP_2)
	s_and_b32 vcc_lo, exec_lo, s3
	v_mad_u64_u32 v[4:5], null, v0, s7, v[3:4]
	s_delay_alu instid0(VALU_DEP_1)
	v_mov_b32_e32 v3, v4
	s_cbranch_vccnz .LBB517_14
; %bb.13:
	s_delay_alu instid0(VALU_DEP_1) | instskip(NEXT) | instid1(VALU_DEP_1)
	v_lshlrev_b64 v[0:1], 2, v[2:3]
	v_add_co_u32 v0, vcc_lo, s5, v0
	s_delay_alu instid0(VALU_DEP_2)
	v_add_co_ci_u32_e32 v1, vcc_lo, s26, v1, vcc_lo
	global_load_b32 v0, v[0:1], off
	s_waitcnt vmcnt(0)
	v_mul_f32_e32 v1, s11, v0
.LBB517_14:
	s_mov_b32 s3, exec_lo
.LBB517_15:
	s_or_b32 exec_lo, exec_lo, s0
	s_delay_alu instid0(SALU_CYCLE_1) | instskip(SKIP_1) | instid1(SALU_CYCLE_1)
	s_and_b32 s27, s3, exec_lo
	s_or_b32 exec_lo, exec_lo, s2
	s_and_b32 vcc_lo, exec_lo, s1
	s_cbranch_vccnz .LBB517_18
	s_branch .LBB517_55
.LBB517_16:
	s_mov_b32 s27, 0
                                        ; implicit-def: $vgpr1
                                        ; implicit-def: $vgpr2_vgpr3
	s_cbranch_execnz .LBB517_18
	s_branch .LBB517_55
.LBB517_17:
	s_or_b32 exec_lo, exec_lo, s2
	s_delay_alu instid0(SALU_CYCLE_1)
	s_and_b32 vcc_lo, exec_lo, s1
	s_cbranch_vccz .LBB517_55
.LBB517_18:
	s_ashr_i32 s0, s9, 31
	s_lshl_b32 s28, s14, 8
	s_lshr_b32 s0, s0, 26
	v_dual_mov_b32 v26, 0 :: v_dual_lshlrev_b32 v23, 2, v21
	v_dual_mov_b32 v25, 0 :: v_dual_add_nc_u32 v0, s28, v20
	v_mov_b32_e32 v24, 0
	v_mov_b32_e32 v22, 0
	s_add_i32 s29, s9, s0
	s_mov_b32 s30, exec_lo
	s_and_not1_b32 s29, s29, 63
	s_delay_alu instid0(SALU_CYCLE_1)
	v_cmpx_gt_i32_e64 s29, v23
	s_cbranch_execz .LBB517_30
; %bb.19:
	v_lshlrev_b32_e32 v22, 2, v21
	v_mad_u64_u32 v[5:6], null, s18, v21, 0
	v_add_nc_u32_e32 v10, 0xc0, v0
	v_mad_u64_u32 v[7:8], null, s12, v21, 0
	s_delay_alu instid0(VALU_DEP_4) | instskip(SKIP_1) | instid1(VALU_DEP_4)
	v_or_b32_e32 v29, 3, v22
	v_or_b32_e32 v31, 2, v22
	v_cmp_gt_i32_e64 s2, s8, v10
	v_ashrrev_i32_e32 v1, 31, v0
	v_cmp_gt_i32_e32 vcc_lo, s8, v0
	v_mad_u64_u32 v[3:4], null, s12, v29, 0
	v_mad_u64_u32 v[16:17], null, s18, v29, 0
	v_add_nc_u32_e32 v2, 64, v0
	v_add_nc_u32_e32 v9, 0x80, v0
	v_mad_u64_u32 v[14:15], null, s12, v31, 0
	v_mad_u64_u32 v[35:36], null, s18, v31, 0
	s_delay_alu instid0(VALU_DEP_4)
	v_cmp_gt_i32_e64 s0, s8, v2
	v_mov_b32_e32 v2, v4
	v_mov_b32_e32 v4, v6
	v_cmp_gt_i32_e64 s1, s8, v9
	v_mov_b32_e32 v6, v8
	s_lshl_b64 s[14:15], s[12:13], 7
	v_mad_u64_u32 v[9:10], null, s13, v29, v[2:3]
	v_mad_u64_u32 v[10:11], null, s19, v21, v[4:5]
	s_delay_alu instid0(VALU_DEP_3) | instskip(SKIP_2) | instid1(VALU_DEP_4)
	v_mad_u64_u32 v[11:12], null, s13, v21, v[6:7]
	v_lshlrev_b64 v[1:2], 1, v[0:1]
	s_lshl_b64 s[22:23], s[18:19], 7
	v_mov_b32_e32 v4, v9
	s_mov_b32 s31, 0
	s_delay_alu instid0(VALU_DEP_4) | instskip(SKIP_1) | instid1(VALU_DEP_4)
	v_mov_b32_e32 v6, v10
	s_mov_b64 s[24:25], s[20:21]
	v_mov_b32_e32 v8, v11
	v_lshlrev_b64 v[9:10], 1, v[3:4]
	s_delay_alu instid0(VALU_DEP_3) | instskip(SKIP_2) | instid1(VALU_DEP_4)
	v_lshlrev_b64 v[3:4], 3, v[5:6]
	v_mov_b32_e32 v5, v15
	v_mad_u64_u32 v[12:13], null, s18, v22, s[18:19]
	v_add_co_u32 v27, s3, s16, v9
	s_delay_alu instid0(VALU_DEP_1) | instskip(SKIP_1) | instid1(VALU_DEP_4)
	v_add_co_ci_u32_e64 v28, s3, s17, v10, s3
	v_mad_u64_u32 v[9:10], null, s12, v22, s[12:13]
	v_mov_b32_e32 v6, v13
	v_lshlrev_b64 v[7:8], 3, v[7:8]
	s_delay_alu instid0(VALU_DEP_2) | instskip(SKIP_1) | instid1(VALU_DEP_3)
	v_mad_u64_u32 v[24:25], null, s13, v31, v[5:6]
	v_mov_b32_e32 v5, v17
	v_mad_u64_u32 v[17:18], null, s19, v22, v[6:7]
	s_delay_alu instid0(VALU_DEP_2) | instskip(SKIP_2) | instid1(VALU_DEP_4)
	v_mad_u64_u32 v[25:26], null, s19, v29, v[5:6]
	v_mov_b32_e32 v5, v10
	v_mov_b32_e32 v15, v24
	;; [unrolled: 1-line block ×3, first 2 shown]
	v_add_co_u32 v29, s3, s16, v7
	s_delay_alu instid0(VALU_DEP_4) | instskip(SKIP_4) | instid1(VALU_DEP_4)
	v_mad_u64_u32 v[10:11], null, s13, v22, v[5:6]
	v_mov_b32_e32 v5, v36
	v_mov_b32_e32 v17, v25
	v_lshlrev_b64 v[14:15], 1, v[14:15]
	v_add_co_ci_u32_e64 v30, s3, s17, v8, s3
	v_mad_u64_u32 v[24:25], null, s19, v31, v[5:6]
	v_mov_b32_e32 v25, 0
	v_lshlrev_b64 v[9:10], 1, v[9:10]
	v_add_co_u32 v31, s3, s16, v14
	s_delay_alu instid0(VALU_DEP_1) | instskip(SKIP_1) | instid1(VALU_DEP_4)
	v_add_co_ci_u32_e64 v32, s3, s17, v15, s3
	v_mov_b32_e32 v36, v24
	v_add_co_u32 v33, s3, s16, v9
	v_lshlrev_b64 v[5:6], 1, v[12:13]
	v_lshlrev_b64 v[7:8], 1, v[16:17]
	v_add_co_ci_u32_e64 v34, s3, s17, v10, s3
	v_lshlrev_b64 v[9:10], 1, v[35:36]
	v_mov_b32_e32 v26, 0
	v_mov_b32_e32 v24, 0
	;; [unrolled: 1-line block ×3, first 2 shown]
	s_branch .LBB517_24
.LBB517_20:                             ;   in Loop: Header=BB517_24 Depth=1
	s_or_b32 exec_lo, exec_lo, s34
	s_waitcnt vmcnt(3) lgkmcnt(3)
	v_fma_mix_f32 v11, v47, v51, v24 op_sel_hi:[0,1,0]
	s_waitcnt vmcnt(2) lgkmcnt(2)
	s_delay_alu instid0(VALU_DEP_1) | instskip(SKIP_1) | instid1(VALU_DEP_1)
	v_fma_mix_f32 v11, v48, v52, v11 op_sel_hi:[0,1,0]
	s_waitcnt vmcnt(1) lgkmcnt(1)
	v_fma_mix_f32 v11, v49, v53, v11 op_sel_hi:[0,1,0]
	s_waitcnt vmcnt(0) lgkmcnt(0)
	s_delay_alu instid0(VALU_DEP_1)
	v_fma_mix_f32 v24, v50, v54, v11 op_sel_hi:[0,1,0]
.LBB517_21:                             ;   in Loop: Header=BB517_24 Depth=1
	s_or_b32 exec_lo, exec_lo, s33
	s_waitcnt vmcnt(3) lgkmcnt(3)
	v_fma_mix_f32 v11, v47, v43, v25 op_sel_hi:[0,1,0]
	s_waitcnt vmcnt(2) lgkmcnt(2)
	s_delay_alu instid0(VALU_DEP_1) | instskip(SKIP_1) | instid1(VALU_DEP_1)
	v_fma_mix_f32 v11, v48, v44, v11 op_sel_hi:[0,1,0]
	s_waitcnt vmcnt(1) lgkmcnt(1)
	v_fma_mix_f32 v11, v49, v45, v11 op_sel_hi:[0,1,0]
	s_waitcnt vmcnt(0) lgkmcnt(0)
	s_delay_alu instid0(VALU_DEP_1)
	v_fma_mix_f32 v25, v50, v46, v11 op_sel_hi:[0,1,0]
.LBB517_22:                             ;   in Loop: Header=BB517_24 Depth=1
	s_or_b32 exec_lo, exec_lo, s3
	s_waitcnt vmcnt(3) lgkmcnt(3)
	v_fma_mix_f32 v11, v35, v39, v26 op_sel_hi:[1,1,0]
	s_waitcnt vmcnt(2) lgkmcnt(2)
	s_delay_alu instid0(VALU_DEP_1) | instskip(SKIP_1) | instid1(VALU_DEP_1)
	v_fma_mix_f32 v11, v36, v40, v11 op_sel_hi:[1,1,0]
	s_waitcnt vmcnt(1) lgkmcnt(1)
	v_fma_mix_f32 v11, v37, v41, v11 op_sel_hi:[1,1,0]
	s_waitcnt vmcnt(0) lgkmcnt(0)
	s_delay_alu instid0(VALU_DEP_1)
	v_fma_mix_f32 v26, v38, v42, v11 op_sel_hi:[1,1,0]
.LBB517_23:                             ;   in Loop: Header=BB517_24 Depth=1
	s_or_b32 exec_lo, exec_lo, s4
	v_add_co_u32 v27, s3, v27, s14
	s_delay_alu instid0(VALU_DEP_1) | instskip(SKIP_4) | instid1(VALU_DEP_1)
	v_add_co_ci_u32_e64 v28, s3, s15, v28, s3
	v_add_co_u32 v29, s3, v29, s14
	v_add_nc_u32_e32 v23, 64, v23
	v_add_co_ci_u32_e64 v30, s3, s15, v30, s3
	v_add_co_u32 v31, s3, v31, s14
	v_add_co_ci_u32_e64 v32, s3, s15, v32, s3
	s_delay_alu instid0(VALU_DEP_4) | instskip(SKIP_1) | instid1(VALU_DEP_1)
	v_cmp_le_i32_e64 s3, s29, v23
	v_add_co_u32 v33, s4, v33, s14
	v_add_co_ci_u32_e64 v34, s4, s15, v34, s4
	s_add_u32 s24, s24, s22
	s_addc_u32 s25, s25, s23
	s_or_b32 s31, s3, s31
	s_delay_alu instid0(SALU_CYCLE_1)
	s_and_not1_b32 exec_lo, exec_lo, s31
	s_cbranch_execz .LBB517_29
.LBB517_24:                             ; =>This Inner Loop Header: Depth=1
	s_and_saveexec_b32 s4, vcc_lo
	s_cbranch_execz .LBB517_23
; %bb.25:                               ;   in Loop: Header=BB517_24 Depth=1
	v_add_co_u32 v35, s3, s24, v3
	s_delay_alu instid0(VALU_DEP_1) | instskip(SKIP_1) | instid1(VALU_DEP_1)
	v_add_co_ci_u32_e64 v36, s3, s25, v4, s3
	v_add_co_u32 v37, s3, s24, v5
	v_add_co_ci_u32_e64 v38, s3, s25, v6, s3
	v_add_co_u32 v39, s3, s24, v9
	s_delay_alu instid0(VALU_DEP_1) | instskip(SKIP_1) | instid1(VALU_DEP_1)
	v_add_co_ci_u32_e64 v40, s3, s25, v10, s3
	v_add_co_u32 v41, s3, s24, v7
	v_add_co_ci_u32_e64 v42, s3, s25, v8, s3
	;; [unrolled: 5-line block ×4, first 2 shown]
	s_clause 0x3
	flat_load_u16 v35, v[35:36]
	flat_load_u16 v36, v[37:38]
	;; [unrolled: 1-line block ×8, first 2 shown]
	s_and_saveexec_b32 s3, s0
	s_cbranch_execz .LBB517_22
; %bb.26:                               ;   in Loop: Header=BB517_24 Depth=1
	flat_load_u16 v43, v[11:12] offset:128
	flat_load_u16 v44, v[13:14] offset:128
	;; [unrolled: 1-line block ×4, first 2 shown]
	s_waitcnt vmcnt(11) lgkmcnt(11)
	v_cvt_f32_f16_e32 v47, v35
	s_waitcnt vmcnt(10) lgkmcnt(10)
	v_cvt_f32_f16_e32 v48, v36
	;; [unrolled: 2-line block ×4, first 2 shown]
	s_and_saveexec_b32 s33, s1
	s_cbranch_execz .LBB517_21
; %bb.27:                               ;   in Loop: Header=BB517_24 Depth=1
	flat_load_u16 v51, v[11:12] offset:256
	flat_load_u16 v52, v[13:14] offset:256
	;; [unrolled: 1-line block ×4, first 2 shown]
	s_and_saveexec_b32 s34, s2
	s_cbranch_execz .LBB517_20
; %bb.28:                               ;   in Loop: Header=BB517_24 Depth=1
	flat_load_u16 v11, v[11:12] offset:384
	flat_load_u16 v12, v[13:14] offset:384
	;; [unrolled: 1-line block ×4, first 2 shown]
	s_waitcnt vmcnt(3) lgkmcnt(3)
	v_fma_mix_f32 v11, v47, v11, v22 op_sel_hi:[0,1,0]
	s_waitcnt vmcnt(2) lgkmcnt(2)
	s_delay_alu instid0(VALU_DEP_1) | instskip(SKIP_1) | instid1(VALU_DEP_1)
	v_fma_mix_f32 v11, v48, v12, v11 op_sel_hi:[0,1,0]
	s_waitcnt vmcnt(1) lgkmcnt(1)
	v_fma_mix_f32 v11, v49, v13, v11 op_sel_hi:[0,1,0]
	s_waitcnt vmcnt(0) lgkmcnt(0)
	s_delay_alu instid0(VALU_DEP_1)
	v_fma_mix_f32 v22, v50, v14, v11 op_sel_hi:[0,1,0]
	s_branch .LBB517_20
.LBB517_29:
	s_or_b32 exec_lo, exec_lo, s31
.LBB517_30:
	s_delay_alu instid0(SALU_CYCLE_1) | instskip(SKIP_1) | instid1(SALU_CYCLE_1)
	s_or_b32 exec_lo, exec_lo, s30
	s_sub_i32 s0, s9, s29
	s_cmp_lt_i32 s0, 1
	s_cbranch_scc1 .LBB517_48
; %bb.31:
	v_cmp_gt_i32_e32 vcc_lo, s9, v23
	v_dual_mov_b32 v9, 0 :: v_dual_mov_b32 v10, 0
	v_or_b32_e32 v2, 1, v23
	v_dual_mov_b32 v11, 0 :: v_dual_mov_b32 v12, 0
	s_and_saveexec_b32 s1, vcc_lo
	s_cbranch_execz .LBB517_39
; %bb.32:
	v_mad_u64_u32 v[3:4], null, v23, s18, 0
	v_mov_b32_e32 v11, 0
	v_mov_b32_e32 v9, 0
	s_mov_b32 s2, exec_lo
	s_delay_alu instid0(VALU_DEP_3) | instskip(NEXT) | instid1(VALU_DEP_1)
	v_dual_mov_b32 v10, 0 :: v_dual_mov_b32 v1, v4
	v_mad_u64_u32 v[4:5], null, v23, s19, v[1:2]
	s_delay_alu instid0(VALU_DEP_1) | instskip(NEXT) | instid1(VALU_DEP_1)
	v_lshlrev_b64 v[3:4], 1, v[3:4]
	v_add_co_u32 v3, s0, s20, v3
	s_delay_alu instid0(VALU_DEP_1)
	v_add_co_ci_u32_e64 v4, s0, s21, v4, s0
	flat_load_u16 v1, v[3:4]
	v_cmpx_gt_i32_e64 s9, v2
	s_cbranch_execz .LBB517_38
; %bb.33:
	v_mad_u64_u32 v[3:4], null, v2, s18, 0
	v_mov_b32_e32 v10, 0
	s_mov_b32 s3, exec_lo
	v_mov_b32_e32 v9, 0
	s_delay_alu instid0(VALU_DEP_3) | instskip(NEXT) | instid1(VALU_DEP_1)
	v_mad_u64_u32 v[5:6], null, v2, s19, v[4:5]
	v_mov_b32_e32 v4, v5
	s_delay_alu instid0(VALU_DEP_1) | instskip(NEXT) | instid1(VALU_DEP_1)
	v_lshlrev_b64 v[3:4], 1, v[3:4]
	v_add_co_u32 v3, s0, s20, v3
	s_delay_alu instid0(VALU_DEP_1) | instskip(SKIP_2) | instid1(VALU_DEP_1)
	v_add_co_ci_u32_e64 v4, s0, s21, v4, s0
	flat_load_u16 v3, v[3:4]
	v_or_b32_e32 v4, 2, v23
	v_cmpx_gt_i32_e64 s9, v4
	s_cbranch_execz .LBB517_37
; %bb.34:
	v_mad_u64_u32 v[5:6], null, v4, s18, 0
	s_mov_b32 s4, exec_lo
	v_mov_b32_e32 v9, 0
	s_delay_alu instid0(VALU_DEP_2) | instskip(NEXT) | instid1(VALU_DEP_1)
	v_mad_u64_u32 v[7:8], null, v4, s19, v[6:7]
	v_mov_b32_e32 v6, v7
	s_delay_alu instid0(VALU_DEP_1) | instskip(NEXT) | instid1(VALU_DEP_1)
	v_lshlrev_b64 v[4:5], 1, v[5:6]
	v_add_co_u32 v4, s0, s20, v4
	s_delay_alu instid0(VALU_DEP_1) | instskip(SKIP_2) | instid1(VALU_DEP_1)
	v_add_co_ci_u32_e64 v5, s0, s21, v5, s0
	flat_load_u16 v4, v[4:5]
	v_or_b32_e32 v5, 3, v23
	v_cmpx_gt_i32_e64 s9, v5
	s_cbranch_execz .LBB517_36
; %bb.35:
	v_mad_u64_u32 v[6:7], null, v5, s18, 0
	s_delay_alu instid0(VALU_DEP_1) | instskip(NEXT) | instid1(VALU_DEP_1)
	v_mad_u64_u32 v[8:9], null, v5, s19, v[7:8]
	v_mov_b32_e32 v7, v8
	s_delay_alu instid0(VALU_DEP_1) | instskip(NEXT) | instid1(VALU_DEP_1)
	v_lshlrev_b64 v[5:6], 1, v[6:7]
	v_add_co_u32 v5, s0, s20, v5
	s_delay_alu instid0(VALU_DEP_1)
	v_add_co_ci_u32_e64 v6, s0, s21, v6, s0
	flat_load_u16 v5, v[5:6]
	s_waitcnt vmcnt(0) lgkmcnt(0)
	v_cvt_f32_f16_e32 v9, v5
.LBB517_36:
	s_or_b32 exec_lo, exec_lo, s4
	s_waitcnt vmcnt(0) lgkmcnt(0)
	v_cvt_f32_f16_e32 v10, v4
.LBB517_37:
	s_or_b32 exec_lo, exec_lo, s3
	s_waitcnt vmcnt(0) lgkmcnt(0)
	v_cvt_f32_f16_e32 v11, v3
.LBB517_38:
	s_or_b32 exec_lo, exec_lo, s2
	s_waitcnt vmcnt(0) lgkmcnt(0)
	v_cvt_f32_f16_e32 v12, v1
.LBB517_39:
	s_or_b32 exec_lo, exec_lo, s1
	s_delay_alu instid0(SALU_CYCLE_1)
	s_mov_b32 s1, exec_lo
	v_cmpx_gt_i32_e64 s8, v0
	s_cbranch_execz .LBB517_47
; %bb.40:
	v_mad_u64_u32 v[3:4], null, v23, s12, 0
	v_mad_u64_u32 v[5:6], null, v2, s12, 0
	v_or_b32_e32 v29, 2, v23
	v_ashrrev_i32_e32 v1, 31, v0
	v_or_b32_e32 v30, 3, v23
	v_cndmask_b32_e32 v3, 0, v3, vcc_lo
	s_delay_alu instid0(VALU_DEP_4)
	v_cmp_gt_i32_e64 s0, s9, v29
	v_mad_u64_u32 v[13:14], null, v23, s13, v[4:5]
	v_mad_u64_u32 v[14:15], null, v29, s12, 0
	v_lshlrev_b64 v[7:8], 1, v[0:1]
	v_mov_b32_e32 v1, v6
	v_mad_u64_u32 v[16:17], null, v30, s12, 0
	v_cndmask_b32_e32 v4, 0, v13, vcc_lo
	v_cmp_gt_i32_e32 vcc_lo, s9, v2
	s_delay_alu instid0(VALU_DEP_4)
	v_mad_u64_u32 v[27:28], null, v2, s13, v[1:2]
	v_mov_b32_e32 v1, v15
	v_cndmask_b32_e64 v13, 0, v14, s0
	v_mov_b32_e32 v6, v17
	v_cndmask_b32_e32 v2, 0, v5, vcc_lo
	v_lshlrev_b64 v[4:5], 1, v[3:4]
	s_delay_alu instid0(VALU_DEP_2) | instskip(NEXT) | instid1(VALU_DEP_1)
	v_mad_u64_u32 v[17:18], null, v29, s13, v[1:2]
	v_cndmask_b32_e64 v14, 0, v17, s0
	v_mad_u64_u32 v[17:18], null, v30, s13, v[6:7]
	v_cndmask_b32_e32 v3, 0, v27, vcc_lo
	v_add_co_u32 v1, vcc_lo, s16, v4
	v_add_co_ci_u32_e32 v5, vcc_lo, s17, v5, vcc_lo
	s_delay_alu instid0(VALU_DEP_3) | instskip(NEXT) | instid1(VALU_DEP_3)
	v_lshlrev_b64 v[3:4], 1, v[2:3]
	v_add_co_u32 v1, vcc_lo, v1, v7
	s_delay_alu instid0(VALU_DEP_3) | instskip(SKIP_1) | instid1(VALU_DEP_4)
	v_add_co_ci_u32_e32 v2, vcc_lo, v5, v8, vcc_lo
	v_lshlrev_b64 v[5:6], 1, v[13:14]
	v_add_co_u32 v3, vcc_lo, s16, v3
	v_add_co_ci_u32_e32 v4, vcc_lo, s17, v4, vcc_lo
	s_mov_b32 s0, exec_lo
	s_delay_alu instid0(VALU_DEP_2) | instskip(NEXT) | instid1(VALU_DEP_2)
	v_add_co_u32 v3, vcc_lo, v3, v7
	v_add_co_ci_u32_e32 v4, vcc_lo, v4, v8, vcc_lo
	v_cmp_gt_i32_e32 vcc_lo, s9, v30
	s_clause 0x1
	flat_load_u16 v15, v[1:2]
	flat_load_u16 v18, v[3:4]
	v_dual_cndmask_b32 v14, 0, v17 :: v_dual_cndmask_b32 v13, 0, v16
	v_add_co_u32 v5, vcc_lo, s16, v5
	v_add_co_ci_u32_e32 v6, vcc_lo, s17, v6, vcc_lo
	s_delay_alu instid0(VALU_DEP_3) | instskip(NEXT) | instid1(VALU_DEP_3)
	v_lshlrev_b64 v[13:14], 1, v[13:14]
	v_add_co_u32 v5, vcc_lo, v5, v7
	s_delay_alu instid0(VALU_DEP_3) | instskip(NEXT) | instid1(VALU_DEP_3)
	v_add_co_ci_u32_e32 v6, vcc_lo, v6, v8, vcc_lo
	v_add_co_u32 v13, vcc_lo, s16, v13
	s_delay_alu instid0(VALU_DEP_4)
	v_add_co_ci_u32_e32 v14, vcc_lo, s17, v14, vcc_lo
	flat_load_u16 v16, v[5:6]
	v_add_co_u32 v7, vcc_lo, v13, v7
	v_add_co_ci_u32_e32 v8, vcc_lo, v14, v8, vcc_lo
	flat_load_u16 v13, v[7:8]
	s_waitcnt vmcnt(3) lgkmcnt(3)
	v_fma_mix_f32 v14, v12, v15, v26 op_sel_hi:[0,1,0]
	v_add_nc_u32_e32 v15, 64, v0
	s_waitcnt vmcnt(2) lgkmcnt(2)
	s_delay_alu instid0(VALU_DEP_2) | instskip(SKIP_1) | instid1(VALU_DEP_1)
	v_fma_mix_f32 v14, v11, v18, v14 op_sel_hi:[0,1,0]
	s_waitcnt vmcnt(1) lgkmcnt(1)
	v_fma_mix_f32 v14, v10, v16, v14 op_sel_hi:[0,1,0]
	v_cmpx_gt_i32_e64 s8, v15
	s_cbranch_execz .LBB517_46
; %bb.41:
	s_clause 0x3
	flat_load_u16 v16, v[1:2] offset:128
	flat_load_u16 v17, v[3:4] offset:128
	;; [unrolled: 1-line block ×4, first 2 shown]
	s_mov_b32 s2, exec_lo
	s_waitcnt vmcnt(3) lgkmcnt(3)
	v_fma_mix_f32 v16, v12, v16, v25 op_sel_hi:[0,1,0]
	s_waitcnt vmcnt(2) lgkmcnt(2)
	s_delay_alu instid0(VALU_DEP_1) | instskip(SKIP_2) | instid1(VALU_DEP_2)
	v_fma_mix_f32 v16, v11, v17, v16 op_sel_hi:[0,1,0]
	v_add_nc_u32_e32 v17, 0x80, v0
	s_waitcnt vmcnt(1) lgkmcnt(1)
	v_fma_mix_f32 v16, v10, v18, v16 op_sel_hi:[0,1,0]
	s_delay_alu instid0(VALU_DEP_2)
	v_cmpx_gt_i32_e64 s8, v17
	s_cbranch_execz .LBB517_45
; %bb.42:
	s_clause 0x3
	flat_load_u16 v18, v[1:2] offset:256
	flat_load_u16 v23, v[3:4] offset:256
	;; [unrolled: 1-line block ×4, first 2 shown]
	s_mov_b32 s3, exec_lo
	s_waitcnt vmcnt(3) lgkmcnt(3)
	v_fma_mix_f32 v18, v12, v18, v24 op_sel_hi:[0,1,0]
	s_waitcnt vmcnt(2) lgkmcnt(2)
	s_delay_alu instid0(VALU_DEP_1) | instskip(SKIP_2) | instid1(VALU_DEP_2)
	v_fma_mix_f32 v18, v11, v23, v18 op_sel_hi:[0,1,0]
	v_add_nc_u32_e32 v23, 0xc0, v0
	s_waitcnt vmcnt(1) lgkmcnt(1)
	v_fma_mix_f32 v0, v10, v25, v18 op_sel_hi:[0,1,0]
	s_delay_alu instid0(VALU_DEP_2)
	v_cmpx_gt_i32_e64 s8, v23
	s_cbranch_execz .LBB517_44
; %bb.43:
	s_clause 0x3
	flat_load_u16 v1, v[1:2] offset:384
	flat_load_u16 v2, v[3:4] offset:384
	flat_load_u16 v3, v[5:6] offset:384
	flat_load_u16 v4, v[7:8] offset:384
	s_waitcnt vmcnt(3) lgkmcnt(3)
	v_fma_mix_f32 v1, v12, v1, v22 op_sel_hi:[0,1,0]
	s_waitcnt vmcnt(2) lgkmcnt(2)
	s_delay_alu instid0(VALU_DEP_1) | instskip(SKIP_1) | instid1(VALU_DEP_1)
	v_fma_mix_f32 v1, v11, v2, v1 op_sel_hi:[0,1,0]
	s_waitcnt vmcnt(1) lgkmcnt(1)
	v_fma_mix_f32 v1, v10, v3, v1 op_sel_hi:[0,1,0]
	s_waitcnt vmcnt(0) lgkmcnt(0)
	s_delay_alu instid0(VALU_DEP_1)
	v_fma_mix_f32 v22, v9, v4, v1 op_sel_hi:[0,1,0]
.LBB517_44:
	s_or_b32 exec_lo, exec_lo, s3
	s_waitcnt vmcnt(0) lgkmcnt(0)
	v_fma_mix_f32 v24, v9, v17, v0 op_sel_hi:[0,1,0]
.LBB517_45:
	s_or_b32 exec_lo, exec_lo, s2
	s_waitcnt vmcnt(0) lgkmcnt(0)
	v_fma_mix_f32 v25, v9, v15, v16 op_sel_hi:[0,1,0]
.LBB517_46:
	s_or_b32 exec_lo, exec_lo, s0
	s_waitcnt vmcnt(0) lgkmcnt(0)
	v_fma_mix_f32 v26, v9, v13, v14 op_sel_hi:[0,1,0]
.LBB517_47:
	s_or_b32 exec_lo, exec_lo, s1
.LBB517_48:
	v_lshlrev_b32_e32 v0, 8, v21
	s_mov_b32 s0, exec_lo
                                        ; implicit-def: $vgpr1
                                        ; implicit-def: $vgpr2_vgpr3
	s_delay_alu instid0(VALU_DEP_1)
	v_add_lshl_u32 v0, v0, v20, 2
	ds_store_2addr_stride64_b32 v0, v26, v25 offset1:1
	ds_store_2addr_stride64_b32 v0, v24, v22 offset0:2 offset1:3
	s_waitcnt lgkmcnt(0)
	s_barrier
	buffer_gl0_inv
	v_cmpx_gt_u32_e32 0x100, v19
	s_cbranch_execz .LBB517_54
; %bb.49:
	v_lshlrev_b32_e32 v6, 2, v19
	s_mov_b32 s2, s27
	s_mov_b32 s1, exec_lo
	ds_load_2addr_stride64_b32 v[0:1], v6 offset1:4
	ds_load_2addr_stride64_b32 v[2:3], v6 offset0:8 offset1:12
	ds_load_2addr_stride64_b32 v[4:5], v6 offset0:16 offset1:20
	s_waitcnt lgkmcnt(2)
	v_add_f32_e32 v7, v0, v1
	ds_load_2addr_stride64_b32 v[0:1], v6 offset0:24 offset1:28
	s_waitcnt lgkmcnt(2)
	v_add_f32_e32 v2, v2, v7
	s_delay_alu instid0(VALU_DEP_1) | instskip(SKIP_3) | instid1(VALU_DEP_1)
	v_add_f32_e32 v7, v3, v2
	ds_load_2addr_stride64_b32 v[2:3], v6 offset0:32 offset1:36
	s_waitcnt lgkmcnt(2)
	v_add_f32_e32 v4, v4, v7
	v_add_f32_e32 v7, v5, v4
	ds_load_2addr_stride64_b32 v[4:5], v6 offset0:40 offset1:44
	s_waitcnt lgkmcnt(2)
	v_add_f32_e32 v0, v0, v7
	s_delay_alu instid0(VALU_DEP_1) | instskip(SKIP_1) | instid1(VALU_DEP_1)
	v_add_f32_e32 v0, v1, v0
	s_waitcnt lgkmcnt(1)
	v_add_f32_e32 v2, v2, v0
	ds_load_2addr_stride64_b32 v[0:1], v6 offset0:48 offset1:52
	v_add_f32_e32 v2, v3, v2
	s_waitcnt lgkmcnt(1)
	s_delay_alu instid0(VALU_DEP_1) | instskip(SKIP_3) | instid1(VALU_DEP_1)
	v_add_f32_e32 v4, v4, v2
	ds_load_2addr_stride64_b32 v[2:3], v6 offset0:56 offset1:60
	v_add_f32_e32 v4, v5, v4
	s_waitcnt lgkmcnt(1)
	v_add_f32_e32 v0, v0, v4
	v_or_b32_e32 v4, s28, v19
	s_delay_alu instid0(VALU_DEP_2) | instskip(SKIP_1) | instid1(VALU_DEP_1)
	v_add_f32_e32 v0, v1, v0
                                        ; implicit-def: $vgpr1
	s_waitcnt lgkmcnt(0)
	v_add_f32_e32 v0, v2, v0
	s_delay_alu instid0(VALU_DEP_1)
	v_add_f32_e32 v0, v3, v0
                                        ; implicit-def: $vgpr2_vgpr3
	ds_store_b32 v6, v0
	v_cmpx_gt_i32_e64 s8, v4
	s_cbranch_execz .LBB517_53
; %bb.50:
	v_ashrrev_i32_e32 v1, 31, v4
	v_mul_lo_u32 v5, v4, s7
	v_mad_u64_u32 v[2:3], null, v4, s6, 0
	v_cmp_eq_f32_e64 s2, s11, 0
	s_delay_alu instid0(VALU_DEP_4) | instskip(SKIP_1) | instid1(VALU_DEP_3)
	v_mul_lo_u32 v4, v1, s6
	v_mul_f32_e32 v1, s10, v0
	s_and_b32 vcc_lo, exec_lo, s2
	s_delay_alu instid0(VALU_DEP_2)
	v_add3_u32 v3, v3, v5, v4
	s_cbranch_vccnz .LBB517_52
; %bb.51:
	s_delay_alu instid0(VALU_DEP_1) | instskip(NEXT) | instid1(VALU_DEP_1)
	v_lshlrev_b64 v[4:5], 2, v[2:3]
	v_add_co_u32 v4, vcc_lo, s5, v4
	s_delay_alu instid0(VALU_DEP_2)
	v_add_co_ci_u32_e32 v5, vcc_lo, s26, v5, vcc_lo
	global_load_b32 v0, v[4:5], off
	s_waitcnt vmcnt(0)
	v_fmac_f32_e32 v1, s11, v0
.LBB517_52:
	s_or_b32 s2, s27, exec_lo
.LBB517_53:
	s_or_b32 exec_lo, exec_lo, s1
	s_delay_alu instid0(SALU_CYCLE_1) | instskip(SKIP_1) | instid1(SALU_CYCLE_1)
	s_and_not1_b32 s1, s27, exec_lo
	s_and_b32 s2, s2, exec_lo
	s_or_b32 s27, s1, s2
.LBB517_54:
	s_or_b32 exec_lo, exec_lo, s0
.LBB517_55:
	s_and_saveexec_b32 s0, s27
	s_cbranch_execz .LBB517_57
; %bb.56:
	v_lshlrev_b64 v[2:3], 2, v[2:3]
	s_delay_alu instid0(VALU_DEP_1) | instskip(NEXT) | instid1(VALU_DEP_2)
	v_add_co_u32 v2, vcc_lo, s5, v2
	v_add_co_ci_u32_e32 v3, vcc_lo, s26, v3, vcc_lo
	global_store_b32 v[2:3], v1, off
.LBB517_57:
	s_nop 0
	s_sendmsg sendmsg(MSG_DEALLOC_VGPRS)
	s_endpgm
	.section	.rodata,"a",@progbits
	.p2align	6, 0x0
	.amdhsa_kernel _ZL20rocblas_gemvn_kernelILi64ELi16ElPKDF16_fKPfEviiT3_lPKT2_lT1_lS7_lS8_lS4_lPT4_lS8_li
		.amdhsa_group_segment_fixed_size 16384
		.amdhsa_private_segment_fixed_size 0
		.amdhsa_kernarg_size 400
		.amdhsa_user_sgpr_count 14
		.amdhsa_user_sgpr_dispatch_ptr 0
		.amdhsa_user_sgpr_queue_ptr 0
		.amdhsa_user_sgpr_kernarg_segment_ptr 1
		.amdhsa_user_sgpr_dispatch_id 0
		.amdhsa_user_sgpr_private_segment_size 0
		.amdhsa_wavefront_size32 1
		.amdhsa_uses_dynamic_stack 0
		.amdhsa_enable_private_segment 0
		.amdhsa_system_sgpr_workgroup_id_x 1
		.amdhsa_system_sgpr_workgroup_id_y 0
		.amdhsa_system_sgpr_workgroup_id_z 1
		.amdhsa_system_sgpr_workgroup_info 0
		.amdhsa_system_vgpr_workitem_id 1
		.amdhsa_next_free_vgpr 55
		.amdhsa_next_free_sgpr 35
		.amdhsa_reserve_vcc 1
		.amdhsa_float_round_mode_32 0
		.amdhsa_float_round_mode_16_64 0
		.amdhsa_float_denorm_mode_32 3
		.amdhsa_float_denorm_mode_16_64 3
		.amdhsa_dx10_clamp 1
		.amdhsa_ieee_mode 1
		.amdhsa_fp16_overflow 0
		.amdhsa_workgroup_processor_mode 1
		.amdhsa_memory_ordered 1
		.amdhsa_forward_progress 0
		.amdhsa_shared_vgpr_count 0
		.amdhsa_exception_fp_ieee_invalid_op 0
		.amdhsa_exception_fp_denorm_src 0
		.amdhsa_exception_fp_ieee_div_zero 0
		.amdhsa_exception_fp_ieee_overflow 0
		.amdhsa_exception_fp_ieee_underflow 0
		.amdhsa_exception_fp_ieee_inexact 0
		.amdhsa_exception_int_div_zero 0
	.end_amdhsa_kernel
	.section	.text._ZL20rocblas_gemvn_kernelILi64ELi16ElPKDF16_fKPfEviiT3_lPKT2_lT1_lS7_lS8_lS4_lPT4_lS8_li,"axG",@progbits,_ZL20rocblas_gemvn_kernelILi64ELi16ElPKDF16_fKPfEviiT3_lPKT2_lT1_lS7_lS8_lS4_lPT4_lS8_li,comdat
.Lfunc_end517:
	.size	_ZL20rocblas_gemvn_kernelILi64ELi16ElPKDF16_fKPfEviiT3_lPKT2_lT1_lS7_lS8_lS4_lPT4_lS8_li, .Lfunc_end517-_ZL20rocblas_gemvn_kernelILi64ELi16ElPKDF16_fKPfEviiT3_lPKT2_lT1_lS7_lS8_lS4_lPT4_lS8_li
                                        ; -- End function
	.section	.AMDGPU.csdata,"",@progbits
; Kernel info:
; codeLenInByte = 3548
; NumSgprs: 37
; NumVgprs: 55
; ScratchSize: 0
; MemoryBound: 0
; FloatMode: 240
; IeeeMode: 1
; LDSByteSize: 16384 bytes/workgroup (compile time only)
; SGPRBlocks: 4
; VGPRBlocks: 6
; NumSGPRsForWavesPerEU: 37
; NumVGPRsForWavesPerEU: 55
; Occupancy: 16
; WaveLimiterHint : 1
; COMPUTE_PGM_RSRC2:SCRATCH_EN: 0
; COMPUTE_PGM_RSRC2:USER_SGPR: 14
; COMPUTE_PGM_RSRC2:TRAP_HANDLER: 0
; COMPUTE_PGM_RSRC2:TGID_X_EN: 1
; COMPUTE_PGM_RSRC2:TGID_Y_EN: 0
; COMPUTE_PGM_RSRC2:TGID_Z_EN: 1
; COMPUTE_PGM_RSRC2:TIDIG_COMP_CNT: 1
	.section	.text._ZL22rocblas_gemvtsm_kernelILb0ELi256EPKDF16_PKfKPfEviiT2_lPKT1_lilS9_lilS6_lPT3_lil,"axG",@progbits,_ZL22rocblas_gemvtsm_kernelILb0ELi256EPKDF16_PKfKPfEviiT2_lPKT1_lilS9_lilS6_lPT3_lil,comdat
	.globl	_ZL22rocblas_gemvtsm_kernelILb0ELi256EPKDF16_PKfKPfEviiT2_lPKT1_lilS9_lilS6_lPT3_lil ; -- Begin function _ZL22rocblas_gemvtsm_kernelILb0ELi256EPKDF16_PKfKPfEviiT2_lPKT1_lilS9_lilS6_lPT3_lil
	.p2align	8
	.type	_ZL22rocblas_gemvtsm_kernelILb0ELi256EPKDF16_PKfKPfEviiT2_lPKT1_lilS9_lilS6_lPT3_lil,@function
_ZL22rocblas_gemvtsm_kernelILb0ELi256EPKDF16_PKfKPfEviiT2_lPKT1_lilS9_lilS6_lPT3_lil: ; @_ZL22rocblas_gemvtsm_kernelILb0ELi256EPKDF16_PKfKPfEviiT2_lPKT1_lilS9_lilS6_lPT3_lil
; %bb.0:
	s_mov_b32 s2, s15
	s_clause 0x1
	s_load_b256 s[12:19], s[0:1], 0x8
	s_load_b256 s[4:11], s[0:1], 0x58
	s_waitcnt lgkmcnt(0)
	s_mul_i32 s3, s2, s15
	s_mul_hi_u32 s15, s2, s14
	s_mul_i32 s14, s2, s14
	s_add_i32 s15, s15, s3
	s_mul_i32 s3, s2, s7
	s_lshl_b64 s[14:15], s[14:15], 2
	s_mul_hi_u32 s7, s2, s6
	s_add_u32 s12, s12, s14
	s_addc_u32 s13, s13, s15
	s_add_i32 s7, s7, s3
	s_mul_i32 s6, s2, s6
	s_delay_alu instid0(SALU_CYCLE_1) | instskip(NEXT) | instid1(SALU_CYCLE_1)
	s_lshl_b64 s[6:7], s[6:7], 2
	s_add_u32 s4, s4, s6
	s_addc_u32 s5, s5, s7
	s_load_b32 s21, s[12:13], 0x0
	s_load_b32 s20, s[4:5], 0x0
	s_waitcnt lgkmcnt(0)
	v_cmp_eq_f32_e64 s7, s21, 0
	v_cmp_eq_f32_e64 s3, s20, 1.0
	s_delay_alu instid0(VALU_DEP_1) | instskip(NEXT) | instid1(SALU_CYCLE_1)
	s_and_b32 s3, s7, s3
	s_and_b32 vcc_lo, exec_lo, s3
	s_mov_b32 s3, 0
	s_cbranch_vccnz .LBB518_38
; %bb.1:
	v_cmp_neq_f32_e64 s4, s21, 0
	s_mov_b64 s[14:15], 0
	s_and_b32 vcc_lo, exec_lo, s7
	s_mov_b64 s[12:13], 0
	s_cbranch_vccnz .LBB518_3
; %bb.2:
	s_lshl_b64 s[12:13], s[2:3], 3
	s_delay_alu instid0(SALU_CYCLE_1)
	s_add_u32 s12, s16, s12
	s_addc_u32 s13, s17, s13
	s_lshl_b64 s[16:17], s[18:19], 1
	s_load_b64 s[12:13], s[12:13], 0x0
	s_waitcnt lgkmcnt(0)
	s_add_u32 s12, s12, s16
	s_addc_u32 s13, s13, s17
.LBB518_3:
	s_and_not1_b32 vcc_lo, exec_lo, s4
	s_cbranch_vccnz .LBB518_5
; %bb.4:
	s_load_b128 s[16:19], s[0:1], 0x38
	s_lshl_b64 s[4:5], s[2:3], 3
	s_waitcnt lgkmcnt(0)
	s_add_u32 s4, s16, s4
	s_addc_u32 s5, s17, s5
	s_lshl_b64 s[14:15], s[18:19], 1
	s_load_b64 s[4:5], s[4:5], 0x0
	s_waitcnt lgkmcnt(0)
	s_add_u32 s14, s4, s14
	s_addc_u32 s15, s5, s15
.LBB518_5:
	s_lshl_b64 s[2:3], s[2:3], 3
	s_delay_alu instid0(SALU_CYCLE_1)
	s_add_u32 s2, s8, s2
	s_addc_u32 s3, s9, s3
	s_clause 0x1
	s_load_b64 s[4:5], s[0:1], 0x0
	s_load_b32 s6, s[0:1], 0x78
	s_load_b64 s[8:9], s[2:3], 0x0
	s_and_not1_b32 vcc_lo, exec_lo, s7
	s_mov_b32 s2, -1
	s_cbranch_vccnz .LBB518_20
; %bb.6:
	s_waitcnt lgkmcnt(0)
	s_cmp_gt_i32 s5, 0
	v_cmp_neq_f32_e64 s2, s20, 0
	s_cselect_b32 s16, -1, 0
	s_delay_alu instid0(SALU_CYCLE_1) | instskip(NEXT) | instid1(VALU_DEP_2)
	v_cndmask_b32_e64 v1, 0, 1, s16
	s_and_b32 vcc_lo, exec_lo, s2
	s_delay_alu instid0(VALU_DEP_1)
	v_cmp_ne_u32_e64 s2, 1, v1
	s_cbranch_vccnz .LBB518_13
; %bb.7:
	s_delay_alu instid0(VALU_DEP_1)
	s_and_b32 vcc_lo, exec_lo, s2
	s_cbranch_vccnz .LBB518_12
; %bb.8:
	v_mad_i64_i32 v[1:2], null, s6, v0, 0
	s_lshl_b64 s[2:3], s[10:11], 2
	s_ashr_i32 s7, s6, 31
	s_add_u32 s2, s8, s2
	s_addc_u32 s3, s9, s3
	v_mov_b32_e32 v3, 0
	s_delay_alu instid0(VALU_DEP_2) | instskip(NEXT) | instid1(VALU_DEP_1)
	v_lshlrev_b64 v[1:2], 2, v[1:2]
	v_add_co_u32 v1, vcc_lo, s2, v1
	s_delay_alu instid0(VALU_DEP_2)
	v_add_co_ci_u32_e32 v2, vcc_lo, s3, v2, vcc_lo
	s_lshl_b64 s[2:3], s[6:7], 10
	s_mov_b32 s7, 0
	s_branch .LBB518_10
.LBB518_9:                              ;   in Loop: Header=BB518_10 Depth=1
	s_or_b32 exec_lo, exec_lo, s17
	v_add_co_u32 v1, vcc_lo, v1, s2
	v_add_co_ci_u32_e32 v2, vcc_lo, s3, v2, vcc_lo
	s_addk_i32 s7, 0x100
	s_delay_alu instid0(SALU_CYCLE_1)
	s_cmp_ge_i32 s7, s5
	s_cbranch_scc1 .LBB518_12
.LBB518_10:                             ; =>This Inner Loop Header: Depth=1
	v_add_nc_u32_e32 v4, s7, v0
	s_mov_b32 s17, exec_lo
	s_delay_alu instid0(VALU_DEP_1)
	v_cmpx_gt_i32_e64 s5, v4
	s_cbranch_execz .LBB518_9
; %bb.11:                               ;   in Loop: Header=BB518_10 Depth=1
	global_store_b32 v[1:2], v3, off
	s_branch .LBB518_9
.LBB518_12:
	s_cbranch_execz .LBB518_14
	s_branch .LBB518_19
.LBB518_13:
.LBB518_14:
	s_and_not1_b32 vcc_lo, exec_lo, s16
	s_cbranch_vccnz .LBB518_19
; %bb.15:
	v_mad_i64_i32 v[1:2], null, s6, v0, 0
	s_lshl_b64 s[2:3], s[10:11], 2
	s_ashr_i32 s7, s6, 31
	s_add_u32 s2, s8, s2
	s_addc_u32 s3, s9, s3
	s_delay_alu instid0(VALU_DEP_1) | instskip(NEXT) | instid1(VALU_DEP_1)
	v_lshlrev_b64 v[1:2], 2, v[1:2]
	v_add_co_u32 v1, vcc_lo, s2, v1
	s_delay_alu instid0(VALU_DEP_2)
	v_add_co_ci_u32_e32 v2, vcc_lo, s3, v2, vcc_lo
	s_lshl_b64 s[2:3], s[6:7], 10
	s_mov_b32 s7, 0
	s_branch .LBB518_17
	.p2align	6
.LBB518_16:                             ;   in Loop: Header=BB518_17 Depth=1
	s_or_b32 exec_lo, exec_lo, s16
	v_add_co_u32 v1, vcc_lo, v1, s2
	v_add_co_ci_u32_e32 v2, vcc_lo, s3, v2, vcc_lo
	s_addk_i32 s7, 0x100
	s_delay_alu instid0(SALU_CYCLE_1)
	s_cmp_ge_i32 s7, s5
	s_cbranch_scc1 .LBB518_19
.LBB518_17:                             ; =>This Inner Loop Header: Depth=1
	v_add_nc_u32_e32 v3, s7, v0
	s_mov_b32 s16, exec_lo
	s_delay_alu instid0(VALU_DEP_1)
	v_cmpx_gt_i32_e64 s5, v3
	s_cbranch_execz .LBB518_16
; %bb.18:                               ;   in Loop: Header=BB518_17 Depth=1
	global_load_b32 v3, v[1:2], off
	s_waitcnt vmcnt(0)
	v_mul_f32_e32 v3, s20, v3
	global_store_b32 v[1:2], v3, off
	s_branch .LBB518_16
.LBB518_19:
	s_mov_b32 s2, 0
.LBB518_20:
	s_delay_alu instid0(SALU_CYCLE_1)
	s_and_not1_b32 vcc_lo, exec_lo, s2
	s_cbranch_vccnz .LBB518_38
; %bb.21:
	s_mov_b32 s2, exec_lo
	s_waitcnt lgkmcnt(0)
	v_cmpx_gt_i32_e64 s4, v0
	s_cbranch_execz .LBB518_23
; %bb.22:
	s_load_b32 s3, s[0:1], 0x48
	s_waitcnt lgkmcnt(0)
	v_mad_i64_i32 v[1:2], null, s3, v0, 0
	s_delay_alu instid0(VALU_DEP_1) | instskip(NEXT) | instid1(VALU_DEP_1)
	v_lshlrev_b64 v[1:2], 1, v[1:2]
	v_add_co_u32 v1, vcc_lo, s14, v1
	s_delay_alu instid0(VALU_DEP_2) | instskip(SKIP_4) | instid1(VALU_DEP_1)
	v_add_co_ci_u32_e32 v2, vcc_lo, s15, v2, vcc_lo
	flat_load_u16 v1, v[1:2]
	v_lshlrev_b32_e32 v2, 2, v0
	s_waitcnt vmcnt(0) lgkmcnt(0)
	v_cvt_f32_f16_e32 v1, v1
	v_mul_f32_e32 v1, s21, v1
	ds_store_b32 v2, v1
.LBB518_23:
	s_or_b32 exec_lo, exec_lo, s2
	s_cmp_lt_i32 s5, 1
	s_waitcnt lgkmcnt(0)
	s_waitcnt_vscnt null, 0x0
	s_barrier
	buffer_gl0_inv
	s_cbranch_scc1 .LBB518_38
; %bb.24:
	s_load_b32 s0, s[0:1], 0x28
	s_lshl_b64 s[2:3], s[10:11], 2
	s_delay_alu instid0(SALU_CYCLE_1)
	s_add_u32 s2, s8, s2
	s_addc_u32 s3, s9, s3
	s_ashr_i32 s7, s6, 31
	v_cmp_neq_f32_e64 s8, s20, 0
	s_waitcnt lgkmcnt(0)
	v_mad_i64_i32 v[1:2], null, s0, v0, 0
	s_ashr_i32 s1, s0, 31
	s_cmp_gt_i32 s4, 0
	s_cselect_b32 s9, -1, 0
	s_and_b32 s10, s4, 7
	s_cmp_gt_u32 s4, 7
	s_delay_alu instid0(VALU_DEP_1) | instskip(SKIP_3) | instid1(VALU_DEP_1)
	v_lshlrev_b64 v[1:2], 1, v[1:2]
	s_cselect_b32 s11, -1, 0
	s_and_b32 s4, s4, 0x7ffffff8
	s_cmp_lg_u32 s10, 0
	v_add_co_u32 v1, vcc_lo, s12, v1
	s_delay_alu instid0(VALU_DEP_2)
	v_add_co_ci_u32_e32 v2, vcc_lo, s13, v2, vcc_lo
	s_cselect_b32 s12, -1, 0
	s_mov_b32 s13, 0
	s_lshl_b64 s[0:1], s[0:1], 9
	s_branch .LBB518_27
.LBB518_25:                             ;   in Loop: Header=BB518_27 Depth=1
	s_delay_alu instid0(VALU_DEP_2)
	v_add_co_u32 v3, vcc_lo, s2, v3
	v_add_co_ci_u32_e32 v4, vcc_lo, s3, v4, vcc_lo
	global_store_b32 v[3:4], v7, off
.LBB518_26:                             ;   in Loop: Header=BB518_27 Depth=1
	s_or_b32 exec_lo, exec_lo, s14
	v_add_co_u32 v1, vcc_lo, v1, s0
	v_add_co_ci_u32_e32 v2, vcc_lo, s1, v2, vcc_lo
	s_addk_i32 s13, 0x100
	s_delay_alu instid0(SALU_CYCLE_1)
	s_cmp_ge_i32 s13, s5
	s_cbranch_scc1 .LBB518_38
.LBB518_27:                             ; =>This Loop Header: Depth=1
                                        ;     Child Loop BB518_33 Depth 2
                                        ;     Child Loop BB518_37 Depth 2
	v_add_nc_u32_e32 v3, s13, v0
	s_mov_b32 s14, exec_lo
	s_delay_alu instid0(VALU_DEP_1)
	v_cmpx_gt_i32_e64 s5, v3
	s_cbranch_execz .LBB518_26
; %bb.28:                               ;   in Loop: Header=BB518_27 Depth=1
	v_mad_u64_u32 v[4:5], null, v3, s6, 0
	s_and_not1_b32 vcc_lo, exec_lo, s8
	s_delay_alu instid0(VALU_DEP_1) | instskip(NEXT) | instid1(VALU_DEP_1)
	v_mad_u64_u32 v[6:7], null, v3, s7, v[5:6]
	v_mov_b32_e32 v5, v6
	s_delay_alu instid0(VALU_DEP_1)
	v_lshlrev_b64 v[3:4], 2, v[4:5]
	s_cbranch_vccnz .LBB518_30
; %bb.29:                               ;   in Loop: Header=BB518_27 Depth=1
	s_delay_alu instid0(VALU_DEP_1) | instskip(NEXT) | instid1(VALU_DEP_2)
	v_add_co_u32 v5, vcc_lo, s2, v3
	v_add_co_ci_u32_e32 v6, vcc_lo, s3, v4, vcc_lo
	global_load_b32 v5, v[5:6], off
	s_waitcnt vmcnt(0)
	v_mul_f32_e32 v7, s20, v5
	s_and_not1_b32 vcc_lo, exec_lo, s9
	s_cbranch_vccz .LBB518_31
	s_branch .LBB518_25
.LBB518_30:                             ;   in Loop: Header=BB518_27 Depth=1
	v_mov_b32_e32 v7, 0
	s_and_not1_b32 vcc_lo, exec_lo, s9
	s_cbranch_vccnz .LBB518_25
.LBB518_31:                             ;   in Loop: Header=BB518_27 Depth=1
	s_and_not1_b32 vcc_lo, exec_lo, s11
	s_cbranch_vccnz .LBB518_35
; %bb.32:                               ;   in Loop: Header=BB518_27 Depth=1
	v_dual_mov_b32 v6, v2 :: v_dual_mov_b32 v5, v1
	s_mov_b32 s15, 0
	s_mov_b32 s16, 0
	.p2align	6
.LBB518_33:                             ;   Parent Loop BB518_27 Depth=1
                                        ; =>  This Inner Loop Header: Depth=2
	flat_load_b128 v[8:11], v[5:6]
	v_mov_b32_e32 v16, s15
	v_add_co_u32 v5, vcc_lo, v5, 16
	v_add_co_ci_u32_e32 v6, vcc_lo, 0, v6, vcc_lo
	ds_load_b128 v[12:15], v16
	ds_load_b128 v[16:19], v16 offset:16
	s_add_i32 s16, s16, 8
	s_add_i32 s15, s15, 32
	s_cmp_eq_u32 s4, s16
	s_waitcnt vmcnt(0) lgkmcnt(1)
	v_fma_mix_f32 v7, v12, v8, v7 op_sel_hi:[0,1,0]
	s_delay_alu instid0(VALU_DEP_1) | instskip(NEXT) | instid1(VALU_DEP_1)
	v_fma_mix_f32 v7, v13, v8, v7 op_sel:[0,1,0] op_sel_hi:[0,1,0]
	v_fma_mix_f32 v7, v14, v9, v7 op_sel_hi:[0,1,0]
	s_delay_alu instid0(VALU_DEP_1) | instskip(SKIP_1) | instid1(VALU_DEP_1)
	v_fma_mix_f32 v7, v15, v9, v7 op_sel:[0,1,0] op_sel_hi:[0,1,0]
	s_waitcnt lgkmcnt(0)
	v_fma_mix_f32 v7, v16, v10, v7 op_sel_hi:[0,1,0]
	s_delay_alu instid0(VALU_DEP_1) | instskip(NEXT) | instid1(VALU_DEP_1)
	v_fma_mix_f32 v7, v17, v10, v7 op_sel:[0,1,0] op_sel_hi:[0,1,0]
	v_fma_mix_f32 v7, v18, v11, v7 op_sel_hi:[0,1,0]
	s_delay_alu instid0(VALU_DEP_1)
	v_fma_mix_f32 v7, v19, v11, v7 op_sel:[0,1,0] op_sel_hi:[0,1,0]
	s_cbranch_scc0 .LBB518_33
; %bb.34:                               ;   in Loop: Header=BB518_27 Depth=1
	s_mov_b32 s15, s4
	s_and_not1_b32 vcc_lo, exec_lo, s12
	s_cbranch_vccz .LBB518_36
	s_branch .LBB518_25
.LBB518_35:                             ;   in Loop: Header=BB518_27 Depth=1
	s_mov_b32 s15, 0
	s_and_not1_b32 vcc_lo, exec_lo, s12
	s_cbranch_vccnz .LBB518_25
.LBB518_36:                             ;   in Loop: Header=BB518_27 Depth=1
	s_lshl_b32 s16, s15, 1
	s_lshl_b32 s15, s15, 2
	v_add_co_u32 v5, vcc_lo, v1, s16
	v_add_co_ci_u32_e32 v6, vcc_lo, 0, v2, vcc_lo
	s_mov_b32 s16, s10
.LBB518_37:                             ;   Parent Loop BB518_27 Depth=1
                                        ; =>  This Inner Loop Header: Depth=2
	flat_load_u16 v8, v[5:6]
	v_mov_b32_e32 v9, s15
	v_add_co_u32 v5, vcc_lo, v5, 2
	v_add_co_ci_u32_e32 v6, vcc_lo, 0, v6, vcc_lo
	ds_load_b32 v9, v9
	s_add_i32 s16, s16, -1
	s_add_i32 s15, s15, 4
	s_cmp_lg_u32 s16, 0
	s_waitcnt vmcnt(0) lgkmcnt(0)
	v_fma_mix_f32 v7, v9, v8, v7 op_sel_hi:[0,1,0]
	s_cbranch_scc1 .LBB518_37
	s_branch .LBB518_25
.LBB518_38:
	s_nop 0
	s_sendmsg sendmsg(MSG_DEALLOC_VGPRS)
	s_endpgm
	.section	.rodata,"a",@progbits
	.p2align	6, 0x0
	.amdhsa_kernel _ZL22rocblas_gemvtsm_kernelILb0ELi256EPKDF16_PKfKPfEviiT2_lPKT1_lilS9_lilS6_lPT3_lil
		.amdhsa_group_segment_fixed_size 256
		.amdhsa_private_segment_fixed_size 0
		.amdhsa_kernarg_size 136
		.amdhsa_user_sgpr_count 15
		.amdhsa_user_sgpr_dispatch_ptr 0
		.amdhsa_user_sgpr_queue_ptr 0
		.amdhsa_user_sgpr_kernarg_segment_ptr 1
		.amdhsa_user_sgpr_dispatch_id 0
		.amdhsa_user_sgpr_private_segment_size 0
		.amdhsa_wavefront_size32 1
		.amdhsa_uses_dynamic_stack 0
		.amdhsa_enable_private_segment 0
		.amdhsa_system_sgpr_workgroup_id_x 1
		.amdhsa_system_sgpr_workgroup_id_y 0
		.amdhsa_system_sgpr_workgroup_id_z 0
		.amdhsa_system_sgpr_workgroup_info 0
		.amdhsa_system_vgpr_workitem_id 0
		.amdhsa_next_free_vgpr 20
		.amdhsa_next_free_sgpr 22
		.amdhsa_reserve_vcc 1
		.amdhsa_float_round_mode_32 0
		.amdhsa_float_round_mode_16_64 0
		.amdhsa_float_denorm_mode_32 3
		.amdhsa_float_denorm_mode_16_64 3
		.amdhsa_dx10_clamp 1
		.amdhsa_ieee_mode 1
		.amdhsa_fp16_overflow 0
		.amdhsa_workgroup_processor_mode 1
		.amdhsa_memory_ordered 1
		.amdhsa_forward_progress 0
		.amdhsa_shared_vgpr_count 0
		.amdhsa_exception_fp_ieee_invalid_op 0
		.amdhsa_exception_fp_denorm_src 0
		.amdhsa_exception_fp_ieee_div_zero 0
		.amdhsa_exception_fp_ieee_overflow 0
		.amdhsa_exception_fp_ieee_underflow 0
		.amdhsa_exception_fp_ieee_inexact 0
		.amdhsa_exception_int_div_zero 0
	.end_amdhsa_kernel
	.section	.text._ZL22rocblas_gemvtsm_kernelILb0ELi256EPKDF16_PKfKPfEviiT2_lPKT1_lilS9_lilS6_lPT3_lil,"axG",@progbits,_ZL22rocblas_gemvtsm_kernelILb0ELi256EPKDF16_PKfKPfEviiT2_lPKT1_lilS9_lilS6_lPT3_lil,comdat
.Lfunc_end518:
	.size	_ZL22rocblas_gemvtsm_kernelILb0ELi256EPKDF16_PKfKPfEviiT2_lPKT1_lilS9_lilS6_lPT3_lil, .Lfunc_end518-_ZL22rocblas_gemvtsm_kernelILb0ELi256EPKDF16_PKfKPfEviiT2_lPKT1_lilS9_lilS6_lPT3_lil
                                        ; -- End function
	.section	.AMDGPU.csdata,"",@progbits
; Kernel info:
; codeLenInByte = 1436
; NumSgprs: 24
; NumVgprs: 20
; ScratchSize: 0
; MemoryBound: 0
; FloatMode: 240
; IeeeMode: 1
; LDSByteSize: 256 bytes/workgroup (compile time only)
; SGPRBlocks: 2
; VGPRBlocks: 2
; NumSGPRsForWavesPerEU: 24
; NumVGPRsForWavesPerEU: 20
; Occupancy: 16
; WaveLimiterHint : 1
; COMPUTE_PGM_RSRC2:SCRATCH_EN: 0
; COMPUTE_PGM_RSRC2:USER_SGPR: 15
; COMPUTE_PGM_RSRC2:TRAP_HANDLER: 0
; COMPUTE_PGM_RSRC2:TGID_X_EN: 1
; COMPUTE_PGM_RSRC2:TGID_Y_EN: 0
; COMPUTE_PGM_RSRC2:TGID_Z_EN: 0
; COMPUTE_PGM_RSRC2:TIDIG_COMP_CNT: 0
	.section	.text._ZL22rocblas_gemvtsm_kernelILb0ELi256EPKDF16_fKPfEviiT2_lPKT1_lilS7_lilS4_lPT3_lil,"axG",@progbits,_ZL22rocblas_gemvtsm_kernelILb0ELi256EPKDF16_fKPfEviiT2_lPKT1_lilS7_lilS4_lPT3_lil,comdat
	.globl	_ZL22rocblas_gemvtsm_kernelILb0ELi256EPKDF16_fKPfEviiT2_lPKT1_lilS7_lilS4_lPT3_lil ; -- Begin function _ZL22rocblas_gemvtsm_kernelILb0ELi256EPKDF16_fKPfEviiT2_lPKT1_lilS7_lilS4_lPT3_lil
	.p2align	8
	.type	_ZL22rocblas_gemvtsm_kernelILb0ELi256EPKDF16_fKPfEviiT2_lPKT1_lilS7_lilS4_lPT3_lil,@function
_ZL22rocblas_gemvtsm_kernelILb0ELi256EPKDF16_fKPfEviiT2_lPKT1_lilS7_lilS4_lPT3_lil: ; @_ZL22rocblas_gemvtsm_kernelILb0ELi256EPKDF16_fKPfEviiT2_lPKT1_lilS7_lilS4_lPT3_lil
; %bb.0:
	s_load_b128 s[4:7], s[0:1], 0x0
	s_waitcnt lgkmcnt(0)
	s_load_b32 s7, s[0:1], 0x58
	v_cmp_eq_f32_e64 s13, s6, 0
	s_waitcnt lgkmcnt(0)
	v_cmp_eq_f32_e64 s3, s7, 1.0
	s_delay_alu instid0(VALU_DEP_1) | instskip(NEXT) | instid1(SALU_CYCLE_1)
	s_and_b32 s3, s13, s3
	s_and_b32 vcc_lo, exec_lo, s3
	s_cbranch_vccnz .LBB519_41
; %bb.1:
	v_cmp_neq_f32_e64 s8, s6, 0
	s_mov_b32 s2, s15
	s_delay_alu instid0(VALU_DEP_1)
	s_and_b32 vcc_lo, exec_lo, s8
	s_cbranch_vccnz .LBB519_3
; %bb.2:
	s_mov_b32 s3, 0
	s_mov_b64 s[14:15], 0
	s_cbranch_execz .LBB519_4
	s_branch .LBB519_5
.LBB519_3:
	s_mov_b32 s3, -1
                                        ; implicit-def: $sgpr14_sgpr15
.LBB519_4:
	s_load_b128 s[16:19], s[0:1], 0x18
	s_mov_b32 s3, 0
	s_delay_alu instid0(SALU_CYCLE_1)
	s_lshl_b64 s[10:11], s[2:3], 3
	s_waitcnt lgkmcnt(0)
	s_add_u32 s10, s16, s10
	s_addc_u32 s11, s17, s11
	s_lshl_b64 s[14:15], s[18:19], 1
	s_load_b64 s[10:11], s[10:11], 0x0
	s_waitcnt lgkmcnt(0)
	s_add_u32 s14, s10, s14
	s_addc_u32 s15, s11, s15
.LBB519_5:
	s_and_not1_b32 vcc_lo, exec_lo, s8
	s_cbranch_vccnz .LBB519_7
; %bb.6:
	s_load_b128 s[8:11], s[0:1], 0x38
	s_lshl_b64 s[16:17], s[2:3], 3
	s_waitcnt lgkmcnt(0)
	s_add_u32 s8, s8, s16
	s_addc_u32 s9, s9, s17
	s_lshl_b64 s[10:11], s[10:11], 1
	s_load_b64 s[8:9], s[8:9], 0x0
	s_waitcnt lgkmcnt(0)
	s_add_u32 s16, s8, s10
	s_addc_u32 s17, s9, s11
	s_branch .LBB519_8
.LBB519_7:
	s_mov_b64 s[16:17], 0
.LBB519_8:
	s_clause 0x1
	s_load_b128 s[8:11], s[0:1], 0x68
	s_load_b32 s12, s[0:1], 0x78
	s_lshl_b64 s[2:3], s[2:3], 3
	s_waitcnt lgkmcnt(0)
	s_add_u32 s2, s8, s2
	s_addc_u32 s3, s9, s3
	s_and_not1_b32 vcc_lo, exec_lo, s13
	s_load_b64 s[8:9], s[2:3], 0x0
	s_mov_b32 s2, -1
	s_cbranch_vccnz .LBB519_23
; %bb.9:
	s_cmp_gt_i32 s5, 0
	v_cmp_neq_f32_e64 s2, s7, 0
	s_cselect_b32 s18, -1, 0
	s_delay_alu instid0(SALU_CYCLE_1) | instskip(NEXT) | instid1(VALU_DEP_2)
	v_cndmask_b32_e64 v1, 0, 1, s18
	s_and_b32 vcc_lo, exec_lo, s2
	s_delay_alu instid0(VALU_DEP_1)
	v_cmp_ne_u32_e64 s2, 1, v1
	s_cbranch_vccnz .LBB519_16
; %bb.10:
	s_delay_alu instid0(VALU_DEP_1)
	s_and_b32 vcc_lo, exec_lo, s2
	s_cbranch_vccnz .LBB519_15
; %bb.11:
	v_mad_i64_i32 v[1:2], null, s12, v0, 0
	s_lshl_b64 s[2:3], s[10:11], 2
	s_ashr_i32 s13, s12, 31
	s_waitcnt lgkmcnt(0)
	s_add_u32 s2, s8, s2
	s_addc_u32 s3, s9, s3
	v_mov_b32_e32 v3, 0
	s_delay_alu instid0(VALU_DEP_2) | instskip(NEXT) | instid1(VALU_DEP_1)
	v_lshlrev_b64 v[1:2], 2, v[1:2]
	v_add_co_u32 v1, vcc_lo, s2, v1
	s_delay_alu instid0(VALU_DEP_2)
	v_add_co_ci_u32_e32 v2, vcc_lo, s3, v2, vcc_lo
	s_lshl_b64 s[2:3], s[12:13], 10
	s_mov_b32 s13, 0
	s_branch .LBB519_13
.LBB519_12:                             ;   in Loop: Header=BB519_13 Depth=1
	s_or_b32 exec_lo, exec_lo, s19
	v_add_co_u32 v1, vcc_lo, v1, s2
	v_add_co_ci_u32_e32 v2, vcc_lo, s3, v2, vcc_lo
	s_addk_i32 s13, 0x100
	s_delay_alu instid0(SALU_CYCLE_1)
	s_cmp_ge_i32 s13, s5
	s_cbranch_scc1 .LBB519_15
.LBB519_13:                             ; =>This Inner Loop Header: Depth=1
	v_add_nc_u32_e32 v4, s13, v0
	s_mov_b32 s19, exec_lo
	s_delay_alu instid0(VALU_DEP_1)
	v_cmpx_gt_i32_e64 s5, v4
	s_cbranch_execz .LBB519_12
; %bb.14:                               ;   in Loop: Header=BB519_13 Depth=1
	global_store_b32 v[1:2], v3, off
	s_branch .LBB519_12
.LBB519_15:
	s_cbranch_execz .LBB519_17
	s_branch .LBB519_22
.LBB519_16:
.LBB519_17:
	s_and_not1_b32 vcc_lo, exec_lo, s18
	s_cbranch_vccnz .LBB519_22
; %bb.18:
	v_mad_i64_i32 v[1:2], null, s12, v0, 0
	s_lshl_b64 s[2:3], s[10:11], 2
	s_ashr_i32 s13, s12, 31
	s_waitcnt lgkmcnt(0)
	s_add_u32 s2, s8, s2
	s_addc_u32 s3, s9, s3
	s_delay_alu instid0(VALU_DEP_1) | instskip(NEXT) | instid1(VALU_DEP_1)
	v_lshlrev_b64 v[1:2], 2, v[1:2]
	v_add_co_u32 v1, vcc_lo, s2, v1
	s_delay_alu instid0(VALU_DEP_2)
	v_add_co_ci_u32_e32 v2, vcc_lo, s3, v2, vcc_lo
	s_lshl_b64 s[2:3], s[12:13], 10
	s_mov_b32 s13, 0
	s_branch .LBB519_20
	.p2align	6
.LBB519_19:                             ;   in Loop: Header=BB519_20 Depth=1
	s_or_b32 exec_lo, exec_lo, s18
	v_add_co_u32 v1, vcc_lo, v1, s2
	v_add_co_ci_u32_e32 v2, vcc_lo, s3, v2, vcc_lo
	s_addk_i32 s13, 0x100
	s_delay_alu instid0(SALU_CYCLE_1)
	s_cmp_ge_i32 s13, s5
	s_cbranch_scc1 .LBB519_22
.LBB519_20:                             ; =>This Inner Loop Header: Depth=1
	v_add_nc_u32_e32 v3, s13, v0
	s_mov_b32 s18, exec_lo
	s_delay_alu instid0(VALU_DEP_1)
	v_cmpx_gt_i32_e64 s5, v3
	s_cbranch_execz .LBB519_19
; %bb.21:                               ;   in Loop: Header=BB519_20 Depth=1
	global_load_b32 v3, v[1:2], off
	s_waitcnt vmcnt(0)
	v_mul_f32_e32 v3, s7, v3
	global_store_b32 v[1:2], v3, off
	s_branch .LBB519_19
.LBB519_22:
	s_mov_b32 s2, 0
.LBB519_23:
	s_delay_alu instid0(SALU_CYCLE_1)
	s_and_not1_b32 vcc_lo, exec_lo, s2
	s_cbranch_vccnz .LBB519_41
; %bb.24:
	s_mov_b32 s2, exec_lo
	v_cmpx_gt_i32_e64 s4, v0
	s_cbranch_execz .LBB519_26
; %bb.25:
	s_load_b32 s3, s[0:1], 0x48
	s_waitcnt lgkmcnt(0)
	v_mad_i64_i32 v[1:2], null, s3, v0, 0
	s_delay_alu instid0(VALU_DEP_1) | instskip(NEXT) | instid1(VALU_DEP_1)
	v_lshlrev_b64 v[1:2], 1, v[1:2]
	v_add_co_u32 v1, vcc_lo, s16, v1
	s_delay_alu instid0(VALU_DEP_2) | instskip(SKIP_4) | instid1(VALU_DEP_1)
	v_add_co_ci_u32_e32 v2, vcc_lo, s17, v2, vcc_lo
	flat_load_u16 v1, v[1:2]
	v_lshlrev_b32_e32 v2, 2, v0
	s_waitcnt vmcnt(0) lgkmcnt(0)
	v_cvt_f32_f16_e32 v1, v1
	v_mul_f32_e32 v1, s6, v1
	ds_store_b32 v2, v1
.LBB519_26:
	s_or_b32 exec_lo, exec_lo, s2
	s_cmp_lt_i32 s5, 1
	s_waitcnt lgkmcnt(0)
	s_waitcnt_vscnt null, 0x0
	s_barrier
	buffer_gl0_inv
	s_cbranch_scc1 .LBB519_41
; %bb.27:
	s_load_b32 s0, s[0:1], 0x28
	s_lshl_b64 s[2:3], s[10:11], 2
	s_delay_alu instid0(SALU_CYCLE_1)
	s_add_u32 s2, s8, s2
	s_addc_u32 s3, s9, s3
	s_ashr_i32 s6, s12, 31
	v_cmp_neq_f32_e64 s8, s7, 0
	s_waitcnt lgkmcnt(0)
	v_mad_i64_i32 v[1:2], null, s0, v0, 0
	s_ashr_i32 s1, s0, 31
	s_cmp_gt_i32 s4, 0
	s_cselect_b32 s9, -1, 0
	s_and_b32 s10, s4, 7
	s_cmp_gt_u32 s4, 7
	s_delay_alu instid0(VALU_DEP_1) | instskip(SKIP_4) | instid1(VALU_DEP_1)
	v_lshlrev_b64 v[1:2], 1, v[1:2]
	s_cselect_b32 s11, -1, 0
	s_and_b32 s4, s4, 0x7ffffff8
	s_cmp_lg_u32 s10, 0
	s_cselect_b32 s13, -1, 0
	v_add_co_u32 v1, vcc_lo, s14, v1
	v_add_co_ci_u32_e32 v2, vcc_lo, s15, v2, vcc_lo
	s_mov_b32 s14, 0
	s_lshl_b64 s[0:1], s[0:1], 9
	s_branch .LBB519_30
.LBB519_28:                             ;   in Loop: Header=BB519_30 Depth=1
	s_delay_alu instid0(VALU_DEP_2)
	v_add_co_u32 v3, vcc_lo, s2, v3
	v_add_co_ci_u32_e32 v4, vcc_lo, s3, v4, vcc_lo
	global_store_b32 v[3:4], v7, off
.LBB519_29:                             ;   in Loop: Header=BB519_30 Depth=1
	s_or_b32 exec_lo, exec_lo, s15
	v_add_co_u32 v1, vcc_lo, v1, s0
	v_add_co_ci_u32_e32 v2, vcc_lo, s1, v2, vcc_lo
	s_addk_i32 s14, 0x100
	s_delay_alu instid0(SALU_CYCLE_1)
	s_cmp_ge_i32 s14, s5
	s_cbranch_scc1 .LBB519_41
.LBB519_30:                             ; =>This Loop Header: Depth=1
                                        ;     Child Loop BB519_36 Depth 2
                                        ;     Child Loop BB519_40 Depth 2
	v_add_nc_u32_e32 v3, s14, v0
	s_mov_b32 s15, exec_lo
	s_delay_alu instid0(VALU_DEP_1)
	v_cmpx_gt_i32_e64 s5, v3
	s_cbranch_execz .LBB519_29
; %bb.31:                               ;   in Loop: Header=BB519_30 Depth=1
	v_mad_u64_u32 v[4:5], null, v3, s12, 0
	s_and_not1_b32 vcc_lo, exec_lo, s8
	s_delay_alu instid0(VALU_DEP_1) | instskip(NEXT) | instid1(VALU_DEP_1)
	v_mad_u64_u32 v[6:7], null, v3, s6, v[5:6]
	v_mov_b32_e32 v5, v6
	s_delay_alu instid0(VALU_DEP_1)
	v_lshlrev_b64 v[3:4], 2, v[4:5]
	s_cbranch_vccnz .LBB519_33
; %bb.32:                               ;   in Loop: Header=BB519_30 Depth=1
	s_delay_alu instid0(VALU_DEP_1) | instskip(NEXT) | instid1(VALU_DEP_2)
	v_add_co_u32 v5, vcc_lo, s2, v3
	v_add_co_ci_u32_e32 v6, vcc_lo, s3, v4, vcc_lo
	global_load_b32 v5, v[5:6], off
	s_waitcnt vmcnt(0)
	v_mul_f32_e32 v7, s7, v5
	s_and_not1_b32 vcc_lo, exec_lo, s9
	s_cbranch_vccz .LBB519_34
	s_branch .LBB519_28
.LBB519_33:                             ;   in Loop: Header=BB519_30 Depth=1
	v_mov_b32_e32 v7, 0
	s_and_not1_b32 vcc_lo, exec_lo, s9
	s_cbranch_vccnz .LBB519_28
.LBB519_34:                             ;   in Loop: Header=BB519_30 Depth=1
	s_and_not1_b32 vcc_lo, exec_lo, s11
	s_cbranch_vccnz .LBB519_38
; %bb.35:                               ;   in Loop: Header=BB519_30 Depth=1
	v_dual_mov_b32 v6, v2 :: v_dual_mov_b32 v5, v1
	s_mov_b32 s16, 0
	s_mov_b32 s17, 0
	.p2align	6
.LBB519_36:                             ;   Parent Loop BB519_30 Depth=1
                                        ; =>  This Inner Loop Header: Depth=2
	flat_load_b128 v[8:11], v[5:6]
	v_mov_b32_e32 v16, s16
	v_add_co_u32 v5, vcc_lo, v5, 16
	v_add_co_ci_u32_e32 v6, vcc_lo, 0, v6, vcc_lo
	ds_load_b128 v[12:15], v16
	ds_load_b128 v[16:19], v16 offset:16
	s_add_i32 s17, s17, 8
	s_add_i32 s16, s16, 32
	s_cmp_eq_u32 s4, s17
	s_waitcnt vmcnt(0) lgkmcnt(1)
	v_fma_mix_f32 v7, v12, v8, v7 op_sel_hi:[0,1,0]
	s_delay_alu instid0(VALU_DEP_1) | instskip(NEXT) | instid1(VALU_DEP_1)
	v_fma_mix_f32 v7, v13, v8, v7 op_sel:[0,1,0] op_sel_hi:[0,1,0]
	v_fma_mix_f32 v7, v14, v9, v7 op_sel_hi:[0,1,0]
	s_delay_alu instid0(VALU_DEP_1) | instskip(SKIP_1) | instid1(VALU_DEP_1)
	v_fma_mix_f32 v7, v15, v9, v7 op_sel:[0,1,0] op_sel_hi:[0,1,0]
	s_waitcnt lgkmcnt(0)
	v_fma_mix_f32 v7, v16, v10, v7 op_sel_hi:[0,1,0]
	s_delay_alu instid0(VALU_DEP_1) | instskip(NEXT) | instid1(VALU_DEP_1)
	v_fma_mix_f32 v7, v17, v10, v7 op_sel:[0,1,0] op_sel_hi:[0,1,0]
	v_fma_mix_f32 v7, v18, v11, v7 op_sel_hi:[0,1,0]
	s_delay_alu instid0(VALU_DEP_1)
	v_fma_mix_f32 v7, v19, v11, v7 op_sel:[0,1,0] op_sel_hi:[0,1,0]
	s_cbranch_scc0 .LBB519_36
; %bb.37:                               ;   in Loop: Header=BB519_30 Depth=1
	s_mov_b32 s16, s4
	s_and_not1_b32 vcc_lo, exec_lo, s13
	s_cbranch_vccz .LBB519_39
	s_branch .LBB519_28
.LBB519_38:                             ;   in Loop: Header=BB519_30 Depth=1
	s_mov_b32 s16, 0
	s_and_not1_b32 vcc_lo, exec_lo, s13
	s_cbranch_vccnz .LBB519_28
.LBB519_39:                             ;   in Loop: Header=BB519_30 Depth=1
	s_lshl_b32 s17, s16, 1
	s_lshl_b32 s16, s16, 2
	v_add_co_u32 v5, vcc_lo, v1, s17
	v_add_co_ci_u32_e32 v6, vcc_lo, 0, v2, vcc_lo
	s_mov_b32 s17, s10
.LBB519_40:                             ;   Parent Loop BB519_30 Depth=1
                                        ; =>  This Inner Loop Header: Depth=2
	flat_load_u16 v8, v[5:6]
	v_mov_b32_e32 v9, s16
	v_add_co_u32 v5, vcc_lo, v5, 2
	v_add_co_ci_u32_e32 v6, vcc_lo, 0, v6, vcc_lo
	ds_load_b32 v9, v9
	s_add_i32 s17, s17, -1
	s_add_i32 s16, s16, 4
	s_cmp_lg_u32 s17, 0
	s_waitcnt vmcnt(0) lgkmcnt(0)
	v_fma_mix_f32 v7, v9, v8, v7 op_sel_hi:[0,1,0]
	s_cbranch_scc1 .LBB519_40
	s_branch .LBB519_28
.LBB519_41:
	s_nop 0
	s_sendmsg sendmsg(MSG_DEALLOC_VGPRS)
	s_endpgm
	.section	.rodata,"a",@progbits
	.p2align	6, 0x0
	.amdhsa_kernel _ZL22rocblas_gemvtsm_kernelILb0ELi256EPKDF16_fKPfEviiT2_lPKT1_lilS7_lilS4_lPT3_lil
		.amdhsa_group_segment_fixed_size 256
		.amdhsa_private_segment_fixed_size 0
		.amdhsa_kernarg_size 136
		.amdhsa_user_sgpr_count 15
		.amdhsa_user_sgpr_dispatch_ptr 0
		.amdhsa_user_sgpr_queue_ptr 0
		.amdhsa_user_sgpr_kernarg_segment_ptr 1
		.amdhsa_user_sgpr_dispatch_id 0
		.amdhsa_user_sgpr_private_segment_size 0
		.amdhsa_wavefront_size32 1
		.amdhsa_uses_dynamic_stack 0
		.amdhsa_enable_private_segment 0
		.amdhsa_system_sgpr_workgroup_id_x 1
		.amdhsa_system_sgpr_workgroup_id_y 0
		.amdhsa_system_sgpr_workgroup_id_z 0
		.amdhsa_system_sgpr_workgroup_info 0
		.amdhsa_system_vgpr_workitem_id 0
		.amdhsa_next_free_vgpr 20
		.amdhsa_next_free_sgpr 20
		.amdhsa_reserve_vcc 1
		.amdhsa_float_round_mode_32 0
		.amdhsa_float_round_mode_16_64 0
		.amdhsa_float_denorm_mode_32 3
		.amdhsa_float_denorm_mode_16_64 3
		.amdhsa_dx10_clamp 1
		.amdhsa_ieee_mode 1
		.amdhsa_fp16_overflow 0
		.amdhsa_workgroup_processor_mode 1
		.amdhsa_memory_ordered 1
		.amdhsa_forward_progress 0
		.amdhsa_shared_vgpr_count 0
		.amdhsa_exception_fp_ieee_invalid_op 0
		.amdhsa_exception_fp_denorm_src 0
		.amdhsa_exception_fp_ieee_div_zero 0
		.amdhsa_exception_fp_ieee_overflow 0
		.amdhsa_exception_fp_ieee_underflow 0
		.amdhsa_exception_fp_ieee_inexact 0
		.amdhsa_exception_int_div_zero 0
	.end_amdhsa_kernel
	.section	.text._ZL22rocblas_gemvtsm_kernelILb0ELi256EPKDF16_fKPfEviiT2_lPKT1_lilS7_lilS4_lPT3_lil,"axG",@progbits,_ZL22rocblas_gemvtsm_kernelILb0ELi256EPKDF16_fKPfEviiT2_lPKT1_lilS7_lilS4_lPT3_lil,comdat
.Lfunc_end519:
	.size	_ZL22rocblas_gemvtsm_kernelILb0ELi256EPKDF16_fKPfEviiT2_lPKT1_lilS7_lilS4_lPT3_lil, .Lfunc_end519-_ZL22rocblas_gemvtsm_kernelILb0ELi256EPKDF16_fKPfEviiT2_lPKT1_lilS7_lilS4_lPT3_lil
                                        ; -- End function
	.section	.AMDGPU.csdata,"",@progbits
; Kernel info:
; codeLenInByte = 1388
; NumSgprs: 22
; NumVgprs: 20
; ScratchSize: 0
; MemoryBound: 0
; FloatMode: 240
; IeeeMode: 1
; LDSByteSize: 256 bytes/workgroup (compile time only)
; SGPRBlocks: 2
; VGPRBlocks: 2
; NumSGPRsForWavesPerEU: 22
; NumVGPRsForWavesPerEU: 20
; Occupancy: 16
; WaveLimiterHint : 1
; COMPUTE_PGM_RSRC2:SCRATCH_EN: 0
; COMPUTE_PGM_RSRC2:USER_SGPR: 15
; COMPUTE_PGM_RSRC2:TRAP_HANDLER: 0
; COMPUTE_PGM_RSRC2:TGID_X_EN: 1
; COMPUTE_PGM_RSRC2:TGID_Y_EN: 0
; COMPUTE_PGM_RSRC2:TGID_Z_EN: 0
; COMPUTE_PGM_RSRC2:TIDIG_COMP_CNT: 0
	.section	.text._ZL23rocblas_gemvt_sn_reduceILi256ELi8EfPKfKPfEviT2_lPT3_lilPT1_i,"axG",@progbits,_ZL23rocblas_gemvt_sn_reduceILi256ELi8EfPKfKPfEviT2_lPT3_lilPT1_i,comdat
	.globl	_ZL23rocblas_gemvt_sn_reduceILi256ELi8EfPKfKPfEviT2_lPT3_lilPT1_i ; -- Begin function _ZL23rocblas_gemvt_sn_reduceILi256ELi8EfPKfKPfEviT2_lPT3_lilPT1_i
	.p2align	8
	.type	_ZL23rocblas_gemvt_sn_reduceILi256ELi8EfPKfKPfEviT2_lPT3_lilPT1_i,@function
_ZL23rocblas_gemvt_sn_reduceILi256ELi8EfPKfKPfEviT2_lPT3_lilPT1_i: ; @_ZL23rocblas_gemvt_sn_reduceILi256ELi8EfPKfKPfEviT2_lPT3_lilPT1_i
; %bb.0:
	s_clause 0x1
	s_load_b32 s16, s[0:1], 0x0
	s_load_b256 s[4:11], s[0:1], 0x8
	s_mov_b32 s2, s15
	s_mov_b32 s3, 0
	s_load_b32 s17, s[0:1], 0x4c
	s_lshl_b64 s[12:13], s[2:3], 3
	v_dual_mov_b32 v3, 0 :: v_dual_lshlrev_b32 v4, 3, v0
	s_waitcnt lgkmcnt(0)
	s_ashr_i32 s18, s16, 31
	s_mul_i32 s7, s15, s7
	s_mul_hi_u32 s15, s15, s6
	s_add_u32 s8, s8, s12
	s_addc_u32 s9, s9, s13
	s_add_i32 s7, s15, s7
	s_mul_i32 s6, s2, s6
	s_delay_alu instid0(SALU_CYCLE_1)
	s_lshl_b64 s[12:13], s[6:7], 2
	s_load_b64 s[6:7], s[0:1], 0x38
	s_add_u32 s12, s4, s12
	s_addc_u32 s13, s5, s13
	s_load_b64 s[4:5], s[8:9], 0x0
	s_load_b32 s15, s[12:13], 0x0
	s_add_u32 s12, s0, 0x48
	s_mul_i32 s2, s17, s2
	s_addc_u32 s13, s1, 0
	s_lshr_b32 s8, s18, 29
	s_add_i32 s2, s2, s14
	s_add_i32 s8, s16, s8
	s_mul_i32 s9, s2, s18
	s_and_b32 s17, s8, -8
	s_mul_hi_u32 s8, s2, s16
	s_mov_b32 s18, exec_lo
	s_add_i32 s9, s8, s9
	s_mul_i32 s8, s2, s16
	v_cmpx_gt_i32_e64 s17, v4
	s_cbranch_execz .LBB520_4
; %bb.1:
	s_load_b32 s2, s[12:13], 0xc
	v_lshlrev_b32_e32 v1, 5, v0
	s_lshl_b64 s[20:21], s[8:9], 2
	v_mov_b32_e32 v3, 0
	s_waitcnt lgkmcnt(0)
	s_and_b32 s2, s2, 0xffff
	s_delay_alu instid0(SALU_CYCLE_1) | instskip(SKIP_3) | instid1(VALU_DEP_1)
	s_lshl_b32 s12, s2, 3
	s_add_u32 s13, s6, s20
	s_addc_u32 s19, s7, s21
	v_add_co_u32 v1, s13, s13, v1
	v_add_co_ci_u32_e64 v2, null, s19, 0, s13
	s_lshl_b32 s13, s2, 5
	s_delay_alu instid0(VALU_DEP_2) | instskip(NEXT) | instid1(VALU_DEP_2)
	v_add_co_u32 v1, vcc_lo, v1, 28
	v_add_co_ci_u32_e32 v2, vcc_lo, 0, v2, vcc_lo
	.p2align	6
.LBB520_2:                              ; =>This Inner Loop Header: Depth=1
	s_clause 0x1
	global_load_b128 v[5:8], v[1:2], off offset:-28
	global_load_b128 v[9:12], v[1:2], off offset:-12
	v_add_co_u32 v1, vcc_lo, v1, s13
	v_add_co_ci_u32_e32 v2, vcc_lo, 0, v2, vcc_lo
	v_add_nc_u32_e32 v4, s12, v4
	s_delay_alu instid0(VALU_DEP_1) | instskip(NEXT) | instid1(VALU_DEP_1)
	v_cmp_le_i32_e64 s2, s17, v4
	s_or_b32 s3, s2, s3
	s_waitcnt vmcnt(1)
	v_add_f32_e32 v3, v3, v5
	s_delay_alu instid0(VALU_DEP_1) | instskip(NEXT) | instid1(VALU_DEP_1)
	v_add_f32_e32 v3, v3, v6
	v_add_f32_e32 v3, v3, v7
	s_delay_alu instid0(VALU_DEP_1) | instskip(SKIP_1) | instid1(VALU_DEP_1)
	v_add_f32_e32 v3, v3, v8
	s_waitcnt vmcnt(0)
	v_add_f32_e32 v3, v3, v9
	s_delay_alu instid0(VALU_DEP_1) | instskip(NEXT) | instid1(VALU_DEP_1)
	v_add_f32_e32 v3, v3, v10
	v_add_f32_e32 v3, v3, v11
	s_delay_alu instid0(VALU_DEP_1)
	v_add_f32_e32 v3, v3, v12
	s_and_not1_b32 exec_lo, exec_lo, s3
	s_cbranch_execnz .LBB520_2
; %bb.3:
	s_or_b32 exec_lo, exec_lo, s3
.LBB520_4:
	s_delay_alu instid0(SALU_CYCLE_1) | instskip(SKIP_1) | instid1(SALU_CYCLE_1)
	s_or_b32 exec_lo, exec_lo, s18
	s_sub_i32 s2, s16, s17
	v_cmp_gt_u32_e32 vcc_lo, s2, v0
	s_and_saveexec_b32 s2, vcc_lo
	s_cbranch_execz .LBB520_6
; %bb.5:
	v_xad_u32 v1, v0, -1, s16
	v_mov_b32_e32 v2, 0
	s_lshl_b64 s[8:9], s[8:9], 2
	s_waitcnt lgkmcnt(0)
	s_add_u32 s3, s6, s8
	s_addc_u32 s6, s7, s9
	v_lshlrev_b64 v[1:2], 2, v[1:2]
	s_delay_alu instid0(VALU_DEP_1) | instskip(NEXT) | instid1(VALU_DEP_2)
	v_add_co_u32 v1, vcc_lo, s3, v1
	v_add_co_ci_u32_e32 v2, vcc_lo, s6, v2, vcc_lo
	global_load_b32 v1, v[1:2], off
	s_waitcnt vmcnt(0)
	v_add_f32_e32 v3, v3, v1
.LBB520_6:
	s_or_b32 exec_lo, exec_lo, s2
	v_and_b32_e32 v1, 31, v0
	v_cmp_gt_u32_e32 vcc_lo, 32, v0
	s_delay_alu instid0(VALU_DEP_2)
	v_lshlrev_b32_e32 v2, 2, v1
	s_and_saveexec_b32 s2, vcc_lo
	s_cbranch_execz .LBB520_8
; %bb.7:
	v_mov_b32_e32 v4, 0
	ds_store_b32 v2, v4
.LBB520_8:
	s_or_b32 exec_lo, exec_lo, s2
	v_mbcnt_lo_u32_b32 v5, -1, 0
	s_mov_b32 s3, exec_lo
	s_waitcnt lgkmcnt(0)
	s_barrier
	buffer_gl0_inv
	v_cmp_gt_u32_e64 s2, 16, v5
	s_delay_alu instid0(VALU_DEP_1) | instskip(SKIP_1) | instid1(VALU_DEP_2)
	v_cndmask_b32_e64 v4, 0, 1, s2
	v_cmp_gt_u32_e64 s2, 24, v5
	v_lshlrev_b32_e32 v4, 4, v4
	s_delay_alu instid0(VALU_DEP_2) | instskip(SKIP_1) | instid1(VALU_DEP_3)
	v_cndmask_b32_e64 v6, 0, 1, s2
	v_cmp_gt_u32_e64 s2, 28, v5
	v_add_lshl_u32 v4, v4, v5, 2
	s_delay_alu instid0(VALU_DEP_3)
	v_lshlrev_b32_e32 v6, 3, v6
	ds_bpermute_b32 v4, v4, v3
	v_add_lshl_u32 v6, v6, v5, 2
	s_waitcnt lgkmcnt(0)
	v_add_f32_e32 v4, v3, v4
	v_cndmask_b32_e64 v3, 0, 1, s2
	v_cmp_gt_u32_e64 s2, 30, v5
	s_delay_alu instid0(VALU_DEP_2)
	v_lshlrev_b32_e32 v3, 2, v3
	ds_bpermute_b32 v6, v6, v4
	v_add_lshl_u32 v3, v3, v5, 2
	s_waitcnt lgkmcnt(0)
	v_add_f32_e32 v6, v4, v6
	v_cndmask_b32_e64 v4, 0, 1, s2
	v_cmp_ne_u32_e64 s2, 31, v5
	s_delay_alu instid0(VALU_DEP_2) | instskip(NEXT) | instid1(VALU_DEP_1)
	v_lshlrev_b32_e32 v4, 1, v4
	v_add_lshl_u32 v4, v4, v5, 2
	s_delay_alu instid0(VALU_DEP_3) | instskip(NEXT) | instid1(VALU_DEP_1)
	v_add_co_ci_u32_e64 v5, s2, 0, v5, s2
	v_lshlrev_b32_e32 v5, 2, v5
	ds_bpermute_b32 v7, v3, v6
	s_waitcnt lgkmcnt(0)
	v_add_f32_e32 v6, v6, v7
	ds_bpermute_b32 v7, v4, v6
	s_waitcnt lgkmcnt(0)
	v_add_f32_e32 v6, v6, v7
	ds_bpermute_b32 v7, v5, v6
	v_cmpx_eq_u32_e32 0, v1
	s_cbranch_execz .LBB520_10
; %bb.9:
	v_lshrrev_b32_e32 v1, 3, v0
	s_waitcnt lgkmcnt(0)
	s_delay_alu instid0(VALU_DEP_1)
	v_dual_add_f32 v6, v6, v7 :: v_dual_and_b32 v1, 28, v1
	ds_store_b32 v1, v6
.LBB520_10:
	s_or_b32 exec_lo, exec_lo, s3
	v_mov_b32_e32 v1, 0
	s_mov_b32 s3, exec_lo
	s_waitcnt lgkmcnt(0)
	s_barrier
	buffer_gl0_inv
	v_cmpx_gt_u32_e32 8, v0
	s_cbranch_execz .LBB520_12
; %bb.11:
	ds_load_b32 v1, v2
.LBB520_12:
	s_or_b32 exec_lo, exec_lo, s3
	s_and_saveexec_b32 s2, vcc_lo
	s_cbranch_execz .LBB520_14
; %bb.13:
	s_waitcnt lgkmcnt(0)
	ds_bpermute_b32 v2, v3, v1
	s_waitcnt lgkmcnt(0)
	v_add_f32_e32 v1, v1, v2
	ds_bpermute_b32 v2, v4, v1
	s_waitcnt lgkmcnt(0)
	v_add_f32_e32 v1, v1, v2
	;; [unrolled: 3-line block ×3, first 2 shown]
.LBB520_14:
	s_or_b32 exec_lo, exec_lo, s2
	s_delay_alu instid0(SALU_CYCLE_1)
	s_mov_b32 s2, exec_lo
	v_cmpx_eq_u32_e32 0, v0
	s_cbranch_execz .LBB520_18
; %bb.15:
	s_load_b32 s0, s[0:1], 0x28
	v_cmp_eq_f32_e64 s1, s15, 0
	s_lshl_b64 s[2:3], s[10:11], 2
	s_waitcnt lgkmcnt(0)
	s_ashr_i32 s6, s0, 31
	s_mul_hi_u32 s7, s0, s14
	s_mul_i32 s6, s6, s14
	s_add_u32 s2, s4, s2
	s_mul_i32 s0, s0, s14
	s_addc_u32 s3, s5, s3
	s_and_b32 vcc_lo, exec_lo, s1
	s_add_i32 s1, s7, s6
	s_cbranch_vccnz .LBB520_17
; %bb.16:
	s_lshl_b64 s[4:5], s[0:1], 2
	s_delay_alu instid0(SALU_CYCLE_1)
	s_add_u32 s4, s2, s4
	s_addc_u32 s5, s3, s5
	s_load_b32 s4, s[4:5], 0x0
	s_waitcnt lgkmcnt(0)
	v_fmac_f32_e64 v1, s15, s4
.LBB520_17:
	s_lshl_b64 s[0:1], s[0:1], 2
	v_mov_b32_e32 v0, 0
	s_add_u32 s0, s2, s0
	s_addc_u32 s1, s3, s1
	global_store_b32 v0, v1, s[0:1]
.LBB520_18:
	s_nop 0
	s_sendmsg sendmsg(MSG_DEALLOC_VGPRS)
	s_endpgm
	.section	.rodata,"a",@progbits
	.p2align	6, 0x0
	.amdhsa_kernel _ZL23rocblas_gemvt_sn_reduceILi256ELi8EfPKfKPfEviT2_lPT3_lilPT1_i
		.amdhsa_group_segment_fixed_size 128
		.amdhsa_private_segment_fixed_size 0
		.amdhsa_kernarg_size 328
		.amdhsa_user_sgpr_count 13
		.amdhsa_user_sgpr_dispatch_ptr 0
		.amdhsa_user_sgpr_queue_ptr 0
		.amdhsa_user_sgpr_kernarg_segment_ptr 1
		.amdhsa_user_sgpr_dispatch_id 0
		.amdhsa_user_sgpr_private_segment_size 0
		.amdhsa_wavefront_size32 1
		.amdhsa_uses_dynamic_stack 0
		.amdhsa_enable_private_segment 0
		.amdhsa_system_sgpr_workgroup_id_x 1
		.amdhsa_system_sgpr_workgroup_id_y 1
		.amdhsa_system_sgpr_workgroup_id_z 1
		.amdhsa_system_sgpr_workgroup_info 0
		.amdhsa_system_vgpr_workitem_id 0
		.amdhsa_next_free_vgpr 13
		.amdhsa_next_free_sgpr 22
		.amdhsa_reserve_vcc 1
		.amdhsa_float_round_mode_32 0
		.amdhsa_float_round_mode_16_64 0
		.amdhsa_float_denorm_mode_32 3
		.amdhsa_float_denorm_mode_16_64 3
		.amdhsa_dx10_clamp 1
		.amdhsa_ieee_mode 1
		.amdhsa_fp16_overflow 0
		.amdhsa_workgroup_processor_mode 1
		.amdhsa_memory_ordered 1
		.amdhsa_forward_progress 0
		.amdhsa_shared_vgpr_count 0
		.amdhsa_exception_fp_ieee_invalid_op 0
		.amdhsa_exception_fp_denorm_src 0
		.amdhsa_exception_fp_ieee_div_zero 0
		.amdhsa_exception_fp_ieee_overflow 0
		.amdhsa_exception_fp_ieee_underflow 0
		.amdhsa_exception_fp_ieee_inexact 0
		.amdhsa_exception_int_div_zero 0
	.end_amdhsa_kernel
	.section	.text._ZL23rocblas_gemvt_sn_reduceILi256ELi8EfPKfKPfEviT2_lPT3_lilPT1_i,"axG",@progbits,_ZL23rocblas_gemvt_sn_reduceILi256ELi8EfPKfKPfEviT2_lPT3_lilPT1_i,comdat
.Lfunc_end520:
	.size	_ZL23rocblas_gemvt_sn_reduceILi256ELi8EfPKfKPfEviT2_lPT3_lilPT1_i, .Lfunc_end520-_ZL23rocblas_gemvt_sn_reduceILi256ELi8EfPKfKPfEviT2_lPT3_lilPT1_i
                                        ; -- End function
	.section	.AMDGPU.csdata,"",@progbits
; Kernel info:
; codeLenInByte = 1076
; NumSgprs: 24
; NumVgprs: 13
; ScratchSize: 0
; MemoryBound: 0
; FloatMode: 240
; IeeeMode: 1
; LDSByteSize: 128 bytes/workgroup (compile time only)
; SGPRBlocks: 2
; VGPRBlocks: 1
; NumSGPRsForWavesPerEU: 24
; NumVGPRsForWavesPerEU: 13
; Occupancy: 16
; WaveLimiterHint : 1
; COMPUTE_PGM_RSRC2:SCRATCH_EN: 0
; COMPUTE_PGM_RSRC2:USER_SGPR: 13
; COMPUTE_PGM_RSRC2:TRAP_HANDLER: 0
; COMPUTE_PGM_RSRC2:TGID_X_EN: 1
; COMPUTE_PGM_RSRC2:TGID_Y_EN: 1
; COMPUTE_PGM_RSRC2:TGID_Z_EN: 1
; COMPUTE_PGM_RSRC2:TIDIG_COMP_CNT: 0
	.section	.text._ZL23rocblas_gemvt_sn_reduceILi256ELi8EffKPfEviT2_lPT3_lilPT1_i,"axG",@progbits,_ZL23rocblas_gemvt_sn_reduceILi256ELi8EffKPfEviT2_lPT3_lilPT1_i,comdat
	.globl	_ZL23rocblas_gemvt_sn_reduceILi256ELi8EffKPfEviT2_lPT3_lilPT1_i ; -- Begin function _ZL23rocblas_gemvt_sn_reduceILi256ELi8EffKPfEviT2_lPT3_lilPT1_i
	.p2align	8
	.type	_ZL23rocblas_gemvt_sn_reduceILi256ELi8EffKPfEviT2_lPT3_lilPT1_i,@function
_ZL23rocblas_gemvt_sn_reduceILi256ELi8EffKPfEviT2_lPT3_lilPT1_i: ; @_ZL23rocblas_gemvt_sn_reduceILi256ELi8EffKPfEviT2_lPT3_lilPT1_i
; %bb.0:
	s_clause 0x2
	s_load_b128 s[4:7], s[0:1], 0x10
	s_load_b64 s[8:9], s[0:1], 0x0
	s_load_b32 s12, s[0:1], 0x44
	s_mov_b32 s2, s15
	s_mov_b32 s3, 0
	v_dual_mov_b32 v3, 0 :: v_dual_lshlrev_b32 v4, 3, v0
	s_lshl_b64 s[10:11], s[2:3], 3
	s_mov_b32 s18, exec_lo
	s_waitcnt lgkmcnt(0)
	s_add_u32 s4, s4, s10
	s_addc_u32 s5, s5, s11
	s_load_b64 s[10:11], s[0:1], 0x30
	s_load_b64 s[4:5], s[4:5], 0x0
	s_ashr_i32 s13, s8, 31
	s_add_u32 s16, s0, 64
	s_mul_i32 s2, s12, s15
	s_addc_u32 s17, s1, 0
	s_lshr_b32 s12, s13, 29
	s_add_i32 s2, s2, s14
	s_add_i32 s12, s8, s12
	s_mul_i32 s13, s2, s13
	s_and_b32 s15, s12, -8
	s_mul_hi_u32 s12, s2, s8
	s_delay_alu instid0(SALU_CYCLE_1)
	s_add_i32 s13, s12, s13
	s_mul_i32 s12, s2, s8
	v_cmpx_gt_i32_e64 s15, v4
	s_cbranch_execz .LBB521_4
; %bb.1:
	s_load_b32 s2, s[16:17], 0xc
	v_lshlrev_b32_e32 v1, 5, v0
	s_lshl_b64 s[20:21], s[12:13], 2
	v_mov_b32_e32 v3, 0
	s_waitcnt lgkmcnt(0)
	s_and_b32 s2, s2, 0xffff
	s_delay_alu instid0(SALU_CYCLE_1) | instskip(SKIP_3) | instid1(VALU_DEP_1)
	s_lshl_b32 s16, s2, 3
	s_add_u32 s17, s10, s20
	s_addc_u32 s19, s11, s21
	v_add_co_u32 v1, s17, s17, v1
	v_add_co_ci_u32_e64 v2, null, s19, 0, s17
	s_lshl_b32 s17, s2, 5
	s_delay_alu instid0(VALU_DEP_2) | instskip(NEXT) | instid1(VALU_DEP_2)
	v_add_co_u32 v1, vcc_lo, v1, 28
	v_add_co_ci_u32_e32 v2, vcc_lo, 0, v2, vcc_lo
	.p2align	6
.LBB521_2:                              ; =>This Inner Loop Header: Depth=1
	s_clause 0x1
	global_load_b128 v[5:8], v[1:2], off offset:-28
	global_load_b128 v[9:12], v[1:2], off offset:-12
	v_add_co_u32 v1, vcc_lo, v1, s17
	v_add_co_ci_u32_e32 v2, vcc_lo, 0, v2, vcc_lo
	v_add_nc_u32_e32 v4, s16, v4
	s_delay_alu instid0(VALU_DEP_1) | instskip(NEXT) | instid1(VALU_DEP_1)
	v_cmp_le_i32_e64 s2, s15, v4
	s_or_b32 s3, s2, s3
	s_waitcnt vmcnt(1)
	v_add_f32_e32 v3, v3, v5
	s_delay_alu instid0(VALU_DEP_1) | instskip(NEXT) | instid1(VALU_DEP_1)
	v_add_f32_e32 v3, v3, v6
	v_add_f32_e32 v3, v3, v7
	s_delay_alu instid0(VALU_DEP_1) | instskip(SKIP_1) | instid1(VALU_DEP_1)
	v_add_f32_e32 v3, v3, v8
	s_waitcnt vmcnt(0)
	v_add_f32_e32 v3, v3, v9
	s_delay_alu instid0(VALU_DEP_1) | instskip(NEXT) | instid1(VALU_DEP_1)
	v_add_f32_e32 v3, v3, v10
	v_add_f32_e32 v3, v3, v11
	s_delay_alu instid0(VALU_DEP_1)
	v_add_f32_e32 v3, v3, v12
	s_and_not1_b32 exec_lo, exec_lo, s3
	s_cbranch_execnz .LBB521_2
; %bb.3:
	s_or_b32 exec_lo, exec_lo, s3
.LBB521_4:
	s_delay_alu instid0(SALU_CYCLE_1) | instskip(SKIP_1) | instid1(SALU_CYCLE_1)
	s_or_b32 exec_lo, exec_lo, s18
	s_sub_i32 s2, s8, s15
	v_cmp_gt_u32_e32 vcc_lo, s2, v0
	s_and_saveexec_b32 s2, vcc_lo
	s_cbranch_execz .LBB521_6
; %bb.5:
	v_xad_u32 v1, v0, -1, s8
	v_mov_b32_e32 v2, 0
	s_lshl_b64 s[12:13], s[12:13], 2
	s_waitcnt lgkmcnt(0)
	s_add_u32 s3, s10, s12
	s_addc_u32 s8, s11, s13
	v_lshlrev_b64 v[1:2], 2, v[1:2]
	s_delay_alu instid0(VALU_DEP_1) | instskip(NEXT) | instid1(VALU_DEP_2)
	v_add_co_u32 v1, vcc_lo, s3, v1
	v_add_co_ci_u32_e32 v2, vcc_lo, s8, v2, vcc_lo
	global_load_b32 v1, v[1:2], off
	s_waitcnt vmcnt(0)
	v_add_f32_e32 v3, v3, v1
.LBB521_6:
	s_or_b32 exec_lo, exec_lo, s2
	v_and_b32_e32 v1, 31, v0
	v_cmp_gt_u32_e32 vcc_lo, 32, v0
	s_delay_alu instid0(VALU_DEP_2)
	v_lshlrev_b32_e32 v2, 2, v1
	s_and_saveexec_b32 s2, vcc_lo
	s_cbranch_execz .LBB521_8
; %bb.7:
	v_mov_b32_e32 v4, 0
	ds_store_b32 v2, v4
.LBB521_8:
	s_or_b32 exec_lo, exec_lo, s2
	v_mbcnt_lo_u32_b32 v5, -1, 0
	s_mov_b32 s3, exec_lo
	s_waitcnt lgkmcnt(0)
	s_barrier
	buffer_gl0_inv
	v_cmp_gt_u32_e64 s2, 16, v5
	s_delay_alu instid0(VALU_DEP_1) | instskip(SKIP_1) | instid1(VALU_DEP_2)
	v_cndmask_b32_e64 v4, 0, 1, s2
	v_cmp_gt_u32_e64 s2, 24, v5
	v_lshlrev_b32_e32 v4, 4, v4
	s_delay_alu instid0(VALU_DEP_2) | instskip(SKIP_1) | instid1(VALU_DEP_3)
	v_cndmask_b32_e64 v6, 0, 1, s2
	v_cmp_gt_u32_e64 s2, 28, v5
	v_add_lshl_u32 v4, v4, v5, 2
	s_delay_alu instid0(VALU_DEP_3)
	v_lshlrev_b32_e32 v6, 3, v6
	ds_bpermute_b32 v4, v4, v3
	v_add_lshl_u32 v6, v6, v5, 2
	s_waitcnt lgkmcnt(0)
	v_add_f32_e32 v4, v3, v4
	v_cndmask_b32_e64 v3, 0, 1, s2
	v_cmp_gt_u32_e64 s2, 30, v5
	s_delay_alu instid0(VALU_DEP_2)
	v_lshlrev_b32_e32 v3, 2, v3
	ds_bpermute_b32 v6, v6, v4
	v_add_lshl_u32 v3, v3, v5, 2
	s_waitcnt lgkmcnt(0)
	v_add_f32_e32 v6, v4, v6
	v_cndmask_b32_e64 v4, 0, 1, s2
	v_cmp_ne_u32_e64 s2, 31, v5
	s_delay_alu instid0(VALU_DEP_2) | instskip(NEXT) | instid1(VALU_DEP_1)
	v_lshlrev_b32_e32 v4, 1, v4
	v_add_lshl_u32 v4, v4, v5, 2
	s_delay_alu instid0(VALU_DEP_3) | instskip(NEXT) | instid1(VALU_DEP_1)
	v_add_co_ci_u32_e64 v5, s2, 0, v5, s2
	v_lshlrev_b32_e32 v5, 2, v5
	ds_bpermute_b32 v7, v3, v6
	s_waitcnt lgkmcnt(0)
	v_add_f32_e32 v6, v6, v7
	ds_bpermute_b32 v7, v4, v6
	s_waitcnt lgkmcnt(0)
	v_add_f32_e32 v6, v6, v7
	ds_bpermute_b32 v7, v5, v6
	v_cmpx_eq_u32_e32 0, v1
	s_cbranch_execz .LBB521_10
; %bb.9:
	v_lshrrev_b32_e32 v1, 3, v0
	s_waitcnt lgkmcnt(0)
	s_delay_alu instid0(VALU_DEP_1)
	v_dual_add_f32 v6, v6, v7 :: v_dual_and_b32 v1, 28, v1
	ds_store_b32 v1, v6
.LBB521_10:
	s_or_b32 exec_lo, exec_lo, s3
	v_mov_b32_e32 v1, 0
	s_mov_b32 s3, exec_lo
	s_waitcnt lgkmcnt(0)
	s_barrier
	buffer_gl0_inv
	v_cmpx_gt_u32_e32 8, v0
	s_cbranch_execz .LBB521_12
; %bb.11:
	ds_load_b32 v1, v2
.LBB521_12:
	s_or_b32 exec_lo, exec_lo, s3
	s_and_saveexec_b32 s2, vcc_lo
	s_cbranch_execz .LBB521_14
; %bb.13:
	s_waitcnt lgkmcnt(0)
	ds_bpermute_b32 v2, v3, v1
	s_waitcnt lgkmcnt(0)
	v_add_f32_e32 v1, v1, v2
	ds_bpermute_b32 v2, v4, v1
	s_waitcnt lgkmcnt(0)
	v_add_f32_e32 v1, v1, v2
	;; [unrolled: 3-line block ×3, first 2 shown]
.LBB521_14:
	s_or_b32 exec_lo, exec_lo, s2
	s_delay_alu instid0(SALU_CYCLE_1)
	s_mov_b32 s2, exec_lo
	v_cmpx_eq_u32_e32 0, v0
	s_cbranch_execz .LBB521_18
; %bb.15:
	s_load_b32 s0, s[0:1], 0x20
	v_cmp_eq_f32_e64 s1, s9, 0
	s_lshl_b64 s[2:3], s[6:7], 2
	s_waitcnt lgkmcnt(0)
	s_ashr_i32 s6, s0, 31
	s_mul_hi_u32 s7, s0, s14
	s_mul_i32 s6, s6, s14
	s_add_u32 s2, s4, s2
	s_mul_i32 s0, s0, s14
	s_addc_u32 s3, s5, s3
	s_and_b32 vcc_lo, exec_lo, s1
	s_add_i32 s1, s7, s6
	s_cbranch_vccnz .LBB521_17
; %bb.16:
	s_lshl_b64 s[4:5], s[0:1], 2
	s_delay_alu instid0(SALU_CYCLE_1)
	s_add_u32 s4, s2, s4
	s_addc_u32 s5, s3, s5
	s_load_b32 s4, s[4:5], 0x0
	s_waitcnt lgkmcnt(0)
	v_fmac_f32_e64 v1, s4, s9
.LBB521_17:
	s_lshl_b64 s[0:1], s[0:1], 2
	v_mov_b32_e32 v0, 0
	s_add_u32 s0, s2, s0
	s_addc_u32 s1, s3, s1
	global_store_b32 v0, v1, s[0:1]
.LBB521_18:
	s_nop 0
	s_sendmsg sendmsg(MSG_DEALLOC_VGPRS)
	s_endpgm
	.section	.rodata,"a",@progbits
	.p2align	6, 0x0
	.amdhsa_kernel _ZL23rocblas_gemvt_sn_reduceILi256ELi8EffKPfEviT2_lPT3_lilPT1_i
		.amdhsa_group_segment_fixed_size 128
		.amdhsa_private_segment_fixed_size 0
		.amdhsa_kernarg_size 320
		.amdhsa_user_sgpr_count 13
		.amdhsa_user_sgpr_dispatch_ptr 0
		.amdhsa_user_sgpr_queue_ptr 0
		.amdhsa_user_sgpr_kernarg_segment_ptr 1
		.amdhsa_user_sgpr_dispatch_id 0
		.amdhsa_user_sgpr_private_segment_size 0
		.amdhsa_wavefront_size32 1
		.amdhsa_uses_dynamic_stack 0
		.amdhsa_enable_private_segment 0
		.amdhsa_system_sgpr_workgroup_id_x 1
		.amdhsa_system_sgpr_workgroup_id_y 1
		.amdhsa_system_sgpr_workgroup_id_z 1
		.amdhsa_system_sgpr_workgroup_info 0
		.amdhsa_system_vgpr_workitem_id 0
		.amdhsa_next_free_vgpr 13
		.amdhsa_next_free_sgpr 22
		.amdhsa_reserve_vcc 1
		.amdhsa_float_round_mode_32 0
		.amdhsa_float_round_mode_16_64 0
		.amdhsa_float_denorm_mode_32 3
		.amdhsa_float_denorm_mode_16_64 3
		.amdhsa_dx10_clamp 1
		.amdhsa_ieee_mode 1
		.amdhsa_fp16_overflow 0
		.amdhsa_workgroup_processor_mode 1
		.amdhsa_memory_ordered 1
		.amdhsa_forward_progress 0
		.amdhsa_shared_vgpr_count 0
		.amdhsa_exception_fp_ieee_invalid_op 0
		.amdhsa_exception_fp_denorm_src 0
		.amdhsa_exception_fp_ieee_div_zero 0
		.amdhsa_exception_fp_ieee_overflow 0
		.amdhsa_exception_fp_ieee_underflow 0
		.amdhsa_exception_fp_ieee_inexact 0
		.amdhsa_exception_int_div_zero 0
	.end_amdhsa_kernel
	.section	.text._ZL23rocblas_gemvt_sn_reduceILi256ELi8EffKPfEviT2_lPT3_lilPT1_i,"axG",@progbits,_ZL23rocblas_gemvt_sn_reduceILi256ELi8EffKPfEviT2_lPT3_lilPT1_i,comdat
.Lfunc_end521:
	.size	_ZL23rocblas_gemvt_sn_reduceILi256ELi8EffKPfEviT2_lPT3_lilPT1_i, .Lfunc_end521-_ZL23rocblas_gemvt_sn_reduceILi256ELi8EffKPfEviT2_lPT3_lilPT1_i
                                        ; -- End function
	.section	.AMDGPU.csdata,"",@progbits
; Kernel info:
; codeLenInByte = 1036
; NumSgprs: 24
; NumVgprs: 13
; ScratchSize: 0
; MemoryBound: 0
; FloatMode: 240
; IeeeMode: 1
; LDSByteSize: 128 bytes/workgroup (compile time only)
; SGPRBlocks: 2
; VGPRBlocks: 1
; NumSGPRsForWavesPerEU: 24
; NumVGPRsForWavesPerEU: 13
; Occupancy: 16
; WaveLimiterHint : 1
; COMPUTE_PGM_RSRC2:SCRATCH_EN: 0
; COMPUTE_PGM_RSRC2:USER_SGPR: 13
; COMPUTE_PGM_RSRC2:TRAP_HANDLER: 0
; COMPUTE_PGM_RSRC2:TGID_X_EN: 1
; COMPUTE_PGM_RSRC2:TGID_Y_EN: 1
; COMPUTE_PGM_RSRC2:TGID_Z_EN: 1
; COMPUTE_PGM_RSRC2:TIDIG_COMP_CNT: 0
	.section	.text._ZL32rocblas_gemvt_warp_reduce_kernelILb0ELi256EiPKDF16_PKfKPfEviiT3_lPKT2_lT1_lS9_lSA_lS6_lPT4_lSA_li,"axG",@progbits,_ZL32rocblas_gemvt_warp_reduce_kernelILb0ELi256EiPKDF16_PKfKPfEviiT3_lPKT2_lT1_lS9_lSA_lS6_lPT4_lSA_li,comdat
	.globl	_ZL32rocblas_gemvt_warp_reduce_kernelILb0ELi256EiPKDF16_PKfKPfEviiT3_lPKT2_lT1_lS9_lSA_lS6_lPT4_lSA_li ; -- Begin function _ZL32rocblas_gemvt_warp_reduce_kernelILb0ELi256EiPKDF16_PKfKPfEviiT3_lPKT2_lT1_lS9_lSA_lS6_lPT4_lSA_li
	.p2align	8
	.type	_ZL32rocblas_gemvt_warp_reduce_kernelILb0ELi256EiPKDF16_PKfKPfEviiT3_lPKT2_lT1_lS9_lSA_lS6_lPT4_lSA_li,@function
_ZL32rocblas_gemvt_warp_reduce_kernelILb0ELi256EiPKDF16_PKfKPfEviiT3_lPKT2_lT1_lS9_lSA_lS6_lPT4_lSA_li: ; @_ZL32rocblas_gemvt_warp_reduce_kernelILb0ELi256EiPKDF16_PKfKPfEviiT3_lPKT2_lT1_lS9_lSA_lS6_lPT4_lSA_li
; %bb.0:
	s_clause 0x1
	s_load_b256 s[16:23], s[0:1], 0x8
	s_load_b256 s[4:11], s[0:1], 0x58
	s_mov_b32 s2, s15
	s_waitcnt lgkmcnt(0)
	s_mul_i32 s3, s15, s19
	s_mul_hi_u32 s13, s15, s18
	s_mul_i32 s12, s15, s18
	s_add_i32 s13, s13, s3
	s_mul_i32 s3, s15, s7
	s_lshl_b64 s[12:13], s[12:13], 2
	s_mul_hi_u32 s7, s15, s6
	s_add_u32 s12, s16, s12
	s_addc_u32 s13, s17, s13
	s_add_i32 s7, s7, s3
	s_mul_i32 s6, s15, s6
	s_delay_alu instid0(SALU_CYCLE_1) | instskip(NEXT) | instid1(SALU_CYCLE_1)
	s_lshl_b64 s[6:7], s[6:7], 2
	s_add_u32 s4, s4, s6
	s_addc_u32 s5, s5, s7
	s_load_b32 s13, s[12:13], 0x0
	s_load_b32 s12, s[4:5], 0x0
	s_waitcnt lgkmcnt(0)
	v_cmp_eq_f32_e64 s15, s13, 0
	v_cmp_eq_f32_e64 s3, s12, 1.0
	s_delay_alu instid0(VALU_DEP_1) | instskip(NEXT) | instid1(SALU_CYCLE_1)
	s_and_b32 s3, s15, s3
	s_and_b32 vcc_lo, exec_lo, s3
	s_mov_b32 s3, 0
	s_cbranch_vccnz .LBB522_33
; %bb.1:
	v_cmp_neq_f32_e64 s16, s13, 0
	s_mov_b64 s[4:5], 0
	s_and_b32 vcc_lo, exec_lo, s15
	s_mov_b64 s[6:7], 0
	s_cbranch_vccnz .LBB522_3
; %bb.2:
	s_lshl_b64 s[6:7], s[2:3], 3
	s_delay_alu instid0(SALU_CYCLE_1)
	s_add_u32 s6, s20, s6
	s_addc_u32 s7, s21, s7
	s_lshl_b64 s[18:19], s[22:23], 1
	s_load_b64 s[6:7], s[6:7], 0x0
	s_waitcnt lgkmcnt(0)
	s_add_u32 s6, s6, s18
	s_addc_u32 s7, s7, s19
.LBB522_3:
	s_and_not1_b32 vcc_lo, exec_lo, s16
	s_cbranch_vccnz .LBB522_5
; %bb.4:
	s_load_b128 s[16:19], s[0:1], 0x38
	s_lshl_b64 s[4:5], s[2:3], 3
	s_waitcnt lgkmcnt(0)
	s_add_u32 s4, s16, s4
	s_addc_u32 s5, s17, s5
	s_lshl_b64 s[16:17], s[18:19], 1
	s_load_b64 s[4:5], s[4:5], 0x0
	s_waitcnt lgkmcnt(0)
	s_add_u32 s4, s4, s16
	s_addc_u32 s5, s5, s17
.LBB522_5:
	s_lshl_b64 s[2:3], s[2:3], 3
	s_delay_alu instid0(SALU_CYCLE_1)
	s_add_u32 s2, s8, s2
	s_addc_u32 s3, s9, s3
	s_lshl_b64 s[10:11], s[10:11], 2
	s_load_b64 s[8:9], s[2:3], 0x0
	s_load_b32 s16, s[0:1], 0x78
	v_cmp_eq_u32_e64 s2, 0, v0
	s_waitcnt lgkmcnt(0)
	s_add_u32 s10, s8, s10
	s_addc_u32 s11, s9, s11
	s_and_not1_b32 vcc_lo, exec_lo, s15
	s_cbranch_vccnz .LBB522_10
; %bb.6:
	s_mov_b32 s3, 0
	s_mov_b32 s15, 0
                                        ; implicit-def: $vgpr1
                                        ; implicit-def: $sgpr8_sgpr9
	s_and_saveexec_b32 s17, s2
	s_cbranch_execz .LBB522_11
; %bb.7:
	v_cmp_eq_f32_e64 s2, s12, 0
	v_mov_b32_e32 v1, 0
	s_mul_i32 s8, s14, s16
	s_delay_alu instid0(SALU_CYCLE_1) | instskip(NEXT) | instid1(VALU_DEP_2)
	s_ashr_i32 s9, s8, 31
	s_and_b32 vcc_lo, exec_lo, s2
	s_cbranch_vccnz .LBB522_9
; %bb.8:
	s_lshl_b64 s[18:19], s[8:9], 2
	s_delay_alu instid0(SALU_CYCLE_1)
	s_add_u32 s18, s10, s18
	s_addc_u32 s19, s11, s19
	s_load_b32 s2, s[18:19], 0x0
	s_waitcnt lgkmcnt(0)
	v_mul_f32_e64 v1, s12, s2
.LBB522_9:
	s_mov_b32 s15, exec_lo
	s_or_b32 exec_lo, exec_lo, s17
	s_delay_alu instid0(SALU_CYCLE_1)
	s_and_b32 vcc_lo, exec_lo, s3
	s_cbranch_vccnz .LBB522_12
	s_branch .LBB522_31
.LBB522_10:
	s_mov_b32 s15, 0
                                        ; implicit-def: $vgpr1
                                        ; implicit-def: $sgpr8_sgpr9
	s_cbranch_execnz .LBB522_12
	s_branch .LBB522_31
.LBB522_11:
	s_or_b32 exec_lo, exec_lo, s17
	s_delay_alu instid0(SALU_CYCLE_1)
	s_and_b32 vcc_lo, exec_lo, s3
	s_cbranch_vccz .LBB522_31
.LBB522_12:
	s_clause 0x2
	s_load_b32 s2, s[0:1], 0x28
	s_load_b32 s3, s[0:1], 0x0
	;; [unrolled: 1-line block ×3, first 2 shown]
	v_mov_b32_e32 v7, 0
	s_waitcnt lgkmcnt(0)
	s_mul_i32 s8, s14, s2
	v_cmp_gt_i32_e32 vcc_lo, s3, v0
	s_ashr_i32 s9, s8, 31
	s_delay_alu instid0(SALU_CYCLE_1)
	s_lshl_b64 s[8:9], s[8:9], 1
	v_cndmask_b32_e32 v1, 0, v0, vcc_lo
	s_add_u32 s0, s8, s6
	s_addc_u32 s6, s9, s7
	s_ashr_i32 s2, s3, 31
	s_mov_b32 s7, 0
	v_lshlrev_b32_e32 v1, 1, v1
	s_lshr_b32 s2, s2, 24
	s_delay_alu instid0(SALU_CYCLE_1) | instskip(NEXT) | instid1(SALU_CYCLE_1)
	s_add_i32 s2, s3, s2
	s_and_b32 s2, s2, 0xffffff00
	s_delay_alu instid0(VALU_DEP_1) | instskip(NEXT) | instid1(VALU_DEP_1)
	v_add_co_u32 v1, s0, s0, v1
	v_add_co_ci_u32_e64 v2, null, s6, 0, s0
	s_mov_b32 s6, exec_lo
	v_cmpx_gt_i32_e64 s2, v0
	s_cbranch_execz .LBB522_16
; %bb.13:
	v_mul_lo_u32 v3, v0, s1
	v_dual_mov_b32 v7, 0 :: v_dual_mov_b32 v6, v2
	v_dual_mov_b32 v5, v1 :: v_dual_mov_b32 v8, v0
	s_lshl_b32 s8, s1, 8
	.p2align	6
.LBB522_14:                             ; =>This Inner Loop Header: Depth=1
	s_delay_alu instid0(VALU_DEP_3) | instskip(NEXT) | instid1(VALU_DEP_2)
	v_ashrrev_i32_e32 v4, 31, v3
	v_add_nc_u32_e32 v8, 0x100, v8
	s_delay_alu instid0(VALU_DEP_2) | instskip(NEXT) | instid1(VALU_DEP_2)
	v_lshlrev_b64 v[9:10], 1, v[3:4]
	v_cmp_le_i32_e64 s0, s2, v8
	v_add_nc_u32_e32 v3, s8, v3
	s_delay_alu instid0(VALU_DEP_2) | instskip(NEXT) | instid1(VALU_DEP_3)
	s_or_b32 s7, s0, s7
	v_add_co_u32 v9, vcc_lo, s4, v9
	s_delay_alu instid0(VALU_DEP_4)
	v_add_co_ci_u32_e32 v10, vcc_lo, s5, v10, vcc_lo
	flat_load_u16 v4, v[5:6]
	flat_load_u16 v9, v[9:10]
	v_add_co_u32 v5, vcc_lo, 0x200, v5
	v_add_co_ci_u32_e32 v6, vcc_lo, 0, v6, vcc_lo
	s_waitcnt vmcnt(0) lgkmcnt(0)
	v_mul_f16_e32 v4, v4, v9
	s_delay_alu instid0(VALU_DEP_1) | instskip(NEXT) | instid1(VALU_DEP_1)
	v_cvt_f32_f16_e32 v4, v4
	v_add_f32_e32 v7, v7, v4
	s_and_not1_b32 exec_lo, exec_lo, s7
	s_cbranch_execnz .LBB522_14
; %bb.15:
	s_or_b32 exec_lo, exec_lo, s7
.LBB522_16:
	s_delay_alu instid0(SALU_CYCLE_1) | instskip(SKIP_2) | instid1(VALU_DEP_1)
	s_or_b32 exec_lo, exec_lo, s6
	v_add_nc_u32_e32 v3, s2, v0
	s_mov_b32 s0, exec_lo
	v_cmpx_gt_i32_e64 s3, v3
	s_cbranch_execz .LBB522_18
; %bb.17:
	v_mul_lo_u32 v3, v3, s1
	s_ashr_i32 s3, s2, 31
	s_delay_alu instid0(SALU_CYCLE_1) | instskip(NEXT) | instid1(SALU_CYCLE_1)
	s_lshl_b64 s[2:3], s[2:3], 1
	v_add_co_u32 v1, vcc_lo, v1, s2
	v_add_co_ci_u32_e32 v2, vcc_lo, s3, v2, vcc_lo
	s_delay_alu instid0(VALU_DEP_3) | instskip(NEXT) | instid1(VALU_DEP_1)
	v_ashrrev_i32_e32 v4, 31, v3
	v_lshlrev_b64 v[3:4], 1, v[3:4]
	s_delay_alu instid0(VALU_DEP_1) | instskip(NEXT) | instid1(VALU_DEP_2)
	v_add_co_u32 v3, vcc_lo, s4, v3
	v_add_co_ci_u32_e32 v4, vcc_lo, s5, v4, vcc_lo
	flat_load_u16 v1, v[1:2]
	flat_load_u16 v2, v[3:4]
	s_waitcnt vmcnt(0) lgkmcnt(0)
	v_mul_f16_e32 v1, v1, v2
	s_delay_alu instid0(VALU_DEP_1) | instskip(NEXT) | instid1(VALU_DEP_1)
	v_cvt_f32_f16_e32 v1, v1
	v_add_f32_e32 v7, v7, v1
.LBB522_18:
	s_or_b32 exec_lo, exec_lo, s0
	v_and_b32_e32 v4, 31, v0
	v_cmp_gt_u32_e32 vcc_lo, 32, v0
	s_delay_alu instid0(VALU_DEP_2)
	v_lshlrev_b32_e32 v1, 2, v4
	s_and_saveexec_b32 s0, vcc_lo
	s_cbranch_execz .LBB522_20
; %bb.19:
	v_mov_b32_e32 v2, 0
	ds_store_b32 v1, v2
.LBB522_20:
	s_or_b32 exec_lo, exec_lo, s0
	v_mbcnt_lo_u32_b32 v5, -1, 0
	s_mov_b32 s1, exec_lo
	s_waitcnt lgkmcnt(0)
	s_barrier
	buffer_gl0_inv
	v_cmp_gt_u32_e64 s0, 16, v5
	s_delay_alu instid0(VALU_DEP_1) | instskip(SKIP_1) | instid1(VALU_DEP_2)
	v_cndmask_b32_e64 v2, 0, 1, s0
	v_cmp_gt_u32_e64 s0, 24, v5
	v_lshlrev_b32_e32 v2, 4, v2
	s_delay_alu instid0(VALU_DEP_2) | instskip(SKIP_1) | instid1(VALU_DEP_3)
	v_cndmask_b32_e64 v3, 0, 1, s0
	v_cmp_gt_u32_e64 s0, 28, v5
	v_add_lshl_u32 v2, v2, v5, 2
	ds_bpermute_b32 v2, v2, v7
	s_waitcnt lgkmcnt(0)
	v_dual_add_f32 v6, v7, v2 :: v_dual_lshlrev_b32 v3, 3, v3
	s_delay_alu instid0(VALU_DEP_1) | instskip(SKIP_4) | instid1(VALU_DEP_1)
	v_add_lshl_u32 v3, v3, v5, 2
	v_cndmask_b32_e64 v2, 0, 1, s0
	v_cmp_gt_u32_e64 s0, 30, v5
	ds_bpermute_b32 v3, v3, v6
	v_lshlrev_b32_e32 v2, 2, v2
	v_add_lshl_u32 v2, v2, v5, 2
	s_waitcnt lgkmcnt(0)
	v_add_f32_e32 v6, v6, v3
	v_cndmask_b32_e64 v3, 0, 1, s0
	v_cmp_ne_u32_e64 s0, 31, v5
	s_delay_alu instid0(VALU_DEP_2) | instskip(NEXT) | instid1(VALU_DEP_1)
	v_lshlrev_b32_e32 v3, 1, v3
	v_add_lshl_u32 v3, v3, v5, 2
	s_delay_alu instid0(VALU_DEP_3) | instskip(NEXT) | instid1(VALU_DEP_1)
	v_add_co_ci_u32_e64 v5, s0, 0, v5, s0
	v_lshlrev_b32_e32 v5, 2, v5
	ds_bpermute_b32 v7, v2, v6
	s_waitcnt lgkmcnt(0)
	v_add_f32_e32 v6, v6, v7
	ds_bpermute_b32 v7, v3, v6
	s_waitcnt lgkmcnt(0)
	v_add_f32_e32 v6, v6, v7
	ds_bpermute_b32 v7, v5, v6
	v_cmpx_eq_u32_e32 0, v4
	s_cbranch_execz .LBB522_22
; %bb.21:
	v_lshrrev_b32_e32 v4, 3, v0
	s_waitcnt lgkmcnt(0)
	v_add_f32_e32 v6, v6, v7
	s_delay_alu instid0(VALU_DEP_2)
	v_and_b32_e32 v4, 28, v4
	ds_store_b32 v4, v6
.LBB522_22:
	s_or_b32 exec_lo, exec_lo, s1
	v_mov_b32_e32 v4, 0
	s_mov_b32 s1, exec_lo
	s_waitcnt lgkmcnt(0)
	s_barrier
	buffer_gl0_inv
	v_cmpx_gt_u32_e32 8, v0
	s_cbranch_execz .LBB522_24
; %bb.23:
	ds_load_b32 v4, v1
.LBB522_24:
	s_or_b32 exec_lo, exec_lo, s1
	s_and_saveexec_b32 s0, vcc_lo
	s_cbranch_execz .LBB522_26
; %bb.25:
	s_waitcnt lgkmcnt(0)
	ds_bpermute_b32 v1, v2, v4
	s_waitcnt lgkmcnt(0)
	v_add_f32_e32 v1, v4, v1
	ds_bpermute_b32 v2, v3, v1
	s_waitcnt lgkmcnt(0)
	v_add_f32_e32 v1, v1, v2
	;; [unrolled: 3-line block ×3, first 2 shown]
.LBB522_26:
	s_or_b32 exec_lo, exec_lo, s0
	s_delay_alu instid0(SALU_CYCLE_1)
	s_mov_b32 s0, exec_lo
                                        ; implicit-def: $vgpr1
                                        ; implicit-def: $sgpr8_sgpr9
	v_cmpx_eq_u32_e32 0, v0
	s_cbranch_execz .LBB522_30
; %bb.27:
	v_cmp_eq_f32_e64 s1, s12, 0
	s_waitcnt lgkmcnt(0)
	v_mul_f32_e32 v1, s13, v4
	s_mul_i32 s8, s14, s16
	s_delay_alu instid0(SALU_CYCLE_1)
	s_ashr_i32 s9, s8, 31
	s_and_b32 vcc_lo, exec_lo, s1
	s_cbranch_vccnz .LBB522_29
; %bb.28:
	s_lshl_b64 s[2:3], s[8:9], 2
	s_delay_alu instid0(SALU_CYCLE_1)
	s_add_u32 s2, s10, s2
	s_addc_u32 s3, s11, s3
	s_load_b32 s1, s[2:3], 0x0
	s_waitcnt lgkmcnt(0)
	v_fmac_f32_e64 v1, s12, s1
.LBB522_29:
	s_or_b32 s15, s15, exec_lo
.LBB522_30:
	s_or_b32 exec_lo, exec_lo, s0
.LBB522_31:
	s_and_saveexec_b32 s0, s15
	s_cbranch_execz .LBB522_33
; %bb.32:
	s_lshl_b64 s[0:1], s[8:9], 2
	v_mov_b32_e32 v0, 0
	s_add_u32 s0, s10, s0
	s_addc_u32 s1, s11, s1
	global_store_b32 v0, v1, s[0:1]
.LBB522_33:
	s_nop 0
	s_sendmsg sendmsg(MSG_DEALLOC_VGPRS)
	s_endpgm
	.section	.rodata,"a",@progbits
	.p2align	6, 0x0
	.amdhsa_kernel _ZL32rocblas_gemvt_warp_reduce_kernelILb0ELi256EiPKDF16_PKfKPfEviiT3_lPKT2_lT1_lS9_lSA_lS6_lPT4_lSA_li
		.amdhsa_group_segment_fixed_size 128
		.amdhsa_private_segment_fixed_size 0
		.amdhsa_kernarg_size 140
		.amdhsa_user_sgpr_count 14
		.amdhsa_user_sgpr_dispatch_ptr 0
		.amdhsa_user_sgpr_queue_ptr 0
		.amdhsa_user_sgpr_kernarg_segment_ptr 1
		.amdhsa_user_sgpr_dispatch_id 0
		.amdhsa_user_sgpr_private_segment_size 0
		.amdhsa_wavefront_size32 1
		.amdhsa_uses_dynamic_stack 0
		.amdhsa_enable_private_segment 0
		.amdhsa_system_sgpr_workgroup_id_x 1
		.amdhsa_system_sgpr_workgroup_id_y 0
		.amdhsa_system_sgpr_workgroup_id_z 1
		.amdhsa_system_sgpr_workgroup_info 0
		.amdhsa_system_vgpr_workitem_id 0
		.amdhsa_next_free_vgpr 11
		.amdhsa_next_free_sgpr 24
		.amdhsa_reserve_vcc 1
		.amdhsa_float_round_mode_32 0
		.amdhsa_float_round_mode_16_64 0
		.amdhsa_float_denorm_mode_32 3
		.amdhsa_float_denorm_mode_16_64 3
		.amdhsa_dx10_clamp 1
		.amdhsa_ieee_mode 1
		.amdhsa_fp16_overflow 0
		.amdhsa_workgroup_processor_mode 1
		.amdhsa_memory_ordered 1
		.amdhsa_forward_progress 0
		.amdhsa_shared_vgpr_count 0
		.amdhsa_exception_fp_ieee_invalid_op 0
		.amdhsa_exception_fp_denorm_src 0
		.amdhsa_exception_fp_ieee_div_zero 0
		.amdhsa_exception_fp_ieee_overflow 0
		.amdhsa_exception_fp_ieee_underflow 0
		.amdhsa_exception_fp_ieee_inexact 0
		.amdhsa_exception_int_div_zero 0
	.end_amdhsa_kernel
	.section	.text._ZL32rocblas_gemvt_warp_reduce_kernelILb0ELi256EiPKDF16_PKfKPfEviiT3_lPKT2_lT1_lS9_lSA_lS6_lPT4_lSA_li,"axG",@progbits,_ZL32rocblas_gemvt_warp_reduce_kernelILb0ELi256EiPKDF16_PKfKPfEviiT3_lPKT2_lT1_lS9_lSA_lS6_lPT4_lSA_li,comdat
.Lfunc_end522:
	.size	_ZL32rocblas_gemvt_warp_reduce_kernelILb0ELi256EiPKDF16_PKfKPfEviiT3_lPKT2_lT1_lS9_lSA_lS6_lPT4_lSA_li, .Lfunc_end522-_ZL32rocblas_gemvt_warp_reduce_kernelILb0ELi256EiPKDF16_PKfKPfEviiT3_lPKT2_lT1_lS9_lSA_lS6_lPT4_lSA_li
                                        ; -- End function
	.section	.AMDGPU.csdata,"",@progbits
; Kernel info:
; codeLenInByte = 1468
; NumSgprs: 26
; NumVgprs: 11
; ScratchSize: 0
; MemoryBound: 0
; FloatMode: 240
; IeeeMode: 1
; LDSByteSize: 128 bytes/workgroup (compile time only)
; SGPRBlocks: 3
; VGPRBlocks: 1
; NumSGPRsForWavesPerEU: 26
; NumVGPRsForWavesPerEU: 11
; Occupancy: 16
; WaveLimiterHint : 1
; COMPUTE_PGM_RSRC2:SCRATCH_EN: 0
; COMPUTE_PGM_RSRC2:USER_SGPR: 14
; COMPUTE_PGM_RSRC2:TRAP_HANDLER: 0
; COMPUTE_PGM_RSRC2:TGID_X_EN: 1
; COMPUTE_PGM_RSRC2:TGID_Y_EN: 0
; COMPUTE_PGM_RSRC2:TGID_Z_EN: 1
; COMPUTE_PGM_RSRC2:TIDIG_COMP_CNT: 0
	.section	.text._ZL32rocblas_gemvt_warp_reduce_kernelILb0ELi256ElPKDF16_PKfKPfEviiT3_lPKT2_lT1_lS9_lSA_lS6_lPT4_lSA_li,"axG",@progbits,_ZL32rocblas_gemvt_warp_reduce_kernelILb0ELi256ElPKDF16_PKfKPfEviiT3_lPKT2_lT1_lS9_lSA_lS6_lPT4_lSA_li,comdat
	.globl	_ZL32rocblas_gemvt_warp_reduce_kernelILb0ELi256ElPKDF16_PKfKPfEviiT3_lPKT2_lT1_lS9_lSA_lS6_lPT4_lSA_li ; -- Begin function _ZL32rocblas_gemvt_warp_reduce_kernelILb0ELi256ElPKDF16_PKfKPfEviiT3_lPKT2_lT1_lS9_lSA_lS6_lPT4_lSA_li
	.p2align	8
	.type	_ZL32rocblas_gemvt_warp_reduce_kernelILb0ELi256ElPKDF16_PKfKPfEviiT3_lPKT2_lT1_lS9_lSA_lS6_lPT4_lSA_li,@function
_ZL32rocblas_gemvt_warp_reduce_kernelILb0ELi256ElPKDF16_PKfKPfEviiT3_lPKT2_lT1_lS9_lSA_lS6_lPT4_lSA_li: ; @_ZL32rocblas_gemvt_warp_reduce_kernelILb0ELi256ElPKDF16_PKfKPfEviiT3_lPKT2_lT1_lS9_lSA_lS6_lPT4_lSA_li
; %bb.0:
	s_clause 0x1
	s_load_b256 s[16:23], s[0:1], 0x8
	s_load_b256 s[4:11], s[0:1], 0x58
	s_mov_b32 s2, s15
	s_waitcnt lgkmcnt(0)
	s_mul_i32 s3, s15, s19
	s_mul_hi_u32 s13, s15, s18
	s_mul_i32 s12, s15, s18
	s_add_i32 s13, s13, s3
	s_mul_i32 s3, s15, s7
	s_lshl_b64 s[12:13], s[12:13], 2
	s_mul_hi_u32 s7, s15, s6
	s_add_u32 s12, s16, s12
	s_addc_u32 s13, s17, s13
	s_add_i32 s7, s7, s3
	s_mul_i32 s6, s15, s6
	s_delay_alu instid0(SALU_CYCLE_1) | instskip(NEXT) | instid1(SALU_CYCLE_1)
	s_lshl_b64 s[6:7], s[6:7], 2
	s_add_u32 s4, s4, s6
	s_addc_u32 s5, s5, s7
	s_load_b32 s28, s[12:13], 0x0
	s_load_b32 s15, s[4:5], 0x0
	s_waitcnt lgkmcnt(0)
	v_cmp_eq_f32_e64 s29, s28, 0
	v_cmp_eq_f32_e64 s3, s15, 1.0
	s_delay_alu instid0(VALU_DEP_1) | instskip(NEXT) | instid1(SALU_CYCLE_1)
	s_and_b32 s3, s29, s3
	s_and_b32 vcc_lo, exec_lo, s3
	s_mov_b32 s3, 0
	s_cbranch_vccnz .LBB523_33
; %bb.1:
	s_clause 0x1
	s_load_b64 s[24:25], s[0:1], 0x28
	s_load_b64 s[12:13], s[0:1], 0x78
	v_cmp_neq_f32_e64 s30, s28, 0
	s_mov_b64 s[16:17], 0
	s_and_b32 vcc_lo, exec_lo, s29
	s_mov_b64 s[26:27], 0
	s_cbranch_vccnz .LBB523_3
; %bb.2:
	s_lshl_b64 s[4:5], s[2:3], 3
	s_delay_alu instid0(SALU_CYCLE_1)
	s_add_u32 s4, s20, s4
	s_addc_u32 s5, s21, s5
	s_lshl_b64 s[6:7], s[22:23], 1
	s_load_b64 s[4:5], s[4:5], 0x0
	s_waitcnt lgkmcnt(0)
	s_add_u32 s26, s4, s6
	s_addc_u32 s27, s5, s7
.LBB523_3:
	s_clause 0x1
	s_load_b128 s[4:7], s[0:1], 0x38
	s_load_b64 s[18:19], s[0:1], 0x48
	s_and_not1_b32 vcc_lo, exec_lo, s30
	s_cbranch_vccnz .LBB523_5
; %bb.4:
	s_lshl_b64 s[16:17], s[2:3], 3
	s_waitcnt lgkmcnt(0)
	s_add_u32 s4, s4, s16
	s_addc_u32 s5, s5, s17
	s_lshl_b64 s[6:7], s[6:7], 1
	s_load_b64 s[4:5], s[4:5], 0x0
	s_waitcnt lgkmcnt(0)
	s_add_u32 s16, s4, s6
	s_addc_u32 s17, s5, s7
.LBB523_5:
	s_lshl_b64 s[2:3], s[2:3], 3
	s_delay_alu instid0(SALU_CYCLE_1)
	s_add_u32 s2, s8, s2
	s_addc_u32 s3, s9, s3
	s_waitcnt lgkmcnt(0)
	s_lshl_b64 s[6:7], s[10:11], 2
	s_load_b64 s[4:5], s[2:3], 0x0
	v_cmp_eq_u32_e64 s2, 0, v0
	s_waitcnt lgkmcnt(0)
	s_add_u32 s6, s4, s6
	s_addc_u32 s7, s5, s7
	s_and_not1_b32 vcc_lo, exec_lo, s29
	s_cbranch_vccnz .LBB523_10
; %bb.6:
	s_mov_b32 s3, 0
	s_mov_b32 s8, 0
                                        ; implicit-def: $vgpr1
                                        ; implicit-def: $sgpr4_sgpr5
	s_and_saveexec_b32 s9, s2
	s_cbranch_execz .LBB523_11
; %bb.7:
	v_cmp_eq_f32_e64 s2, s15, 0
	s_mul_i32 s4, s14, s13
	s_mul_hi_u32 s5, s14, s12
	s_ashr_i32 s8, s14, 31
	v_mov_b32_e32 v1, 0
	s_add_i32 s4, s5, s4
	s_mul_i32 s8, s8, s12
	s_and_b32 vcc_lo, exec_lo, s2
	s_add_i32 s5, s4, s8
	s_mul_i32 s4, s14, s12
	s_cbranch_vccnz .LBB523_9
; %bb.8:
	s_lshl_b64 s[10:11], s[4:5], 2
	s_delay_alu instid0(SALU_CYCLE_1)
	s_add_u32 s10, s6, s10
	s_addc_u32 s11, s7, s11
	s_load_b32 s2, s[10:11], 0x0
	s_waitcnt lgkmcnt(0)
	v_mul_f32_e64 v1, s15, s2
.LBB523_9:
	s_mov_b32 s8, exec_lo
	s_or_b32 exec_lo, exec_lo, s9
	s_delay_alu instid0(SALU_CYCLE_1)
	s_and_b32 vcc_lo, exec_lo, s3
	s_cbranch_vccnz .LBB523_12
	s_branch .LBB523_31
.LBB523_10:
	s_mov_b32 s8, 0
                                        ; implicit-def: $vgpr1
                                        ; implicit-def: $sgpr4_sgpr5
	s_cbranch_execnz .LBB523_12
	s_branch .LBB523_31
.LBB523_11:
	s_or_b32 exec_lo, exec_lo, s9
	s_delay_alu instid0(SALU_CYCLE_1)
	s_and_b32 vcc_lo, exec_lo, s3
	s_cbranch_vccz .LBB523_31
.LBB523_12:
	s_load_b32 s3, s[0:1], 0x0
	s_mul_i32 s0, s14, s25
	s_mul_hi_u32 s2, s14, s24
	s_ashr_i32 s1, s14, 31
	s_add_i32 s0, s2, s0
	s_mul_i32 s2, s1, s24
	s_mul_i32 s4, s14, s24
	s_add_i32 s5, s0, s2
	v_mov_b32_e32 v7, 0
	s_lshl_b64 s[4:5], s[4:5], 1
	s_mov_b32 s10, 0
	s_add_u32 s0, s4, s26
	s_addc_u32 s4, s5, s27
	s_mov_b32 s9, exec_lo
	s_waitcnt lgkmcnt(0)
	v_cmp_gt_i32_e32 vcc_lo, s3, v0
	s_ashr_i32 s2, s3, 31
	s_delay_alu instid0(SALU_CYCLE_1) | instskip(NEXT) | instid1(SALU_CYCLE_1)
	s_lshr_b32 s2, s2, 24
	s_add_i32 s2, s3, s2
	v_cndmask_b32_e32 v1, 0, v0, vcc_lo
	s_and_b32 s2, s2, 0xffffff00
	s_delay_alu instid0(VALU_DEP_1) | instskip(NEXT) | instid1(VALU_DEP_1)
	v_lshlrev_b32_e32 v1, 1, v1
	v_add_co_u32 v1, s0, s0, v1
	s_delay_alu instid0(VALU_DEP_1)
	v_add_co_ci_u32_e64 v2, null, s4, 0, s0
	v_cmpx_gt_i32_e64 s2, v0
	s_cbranch_execz .LBB523_16
; %bb.13:
	v_mad_u64_u32 v[3:4], null, s18, v0, 0
	v_mov_b32_e32 v8, v0
	s_lshl_b64 s[4:5], s[18:19], 9
	v_mov_b32_e32 v7, 0
	s_delay_alu instid0(VALU_DEP_3) | instskip(NEXT) | instid1(VALU_DEP_1)
	v_mad_u64_u32 v[5:6], null, s19, v0, v[4:5]
	v_mov_b32_e32 v4, v5
	s_delay_alu instid0(VALU_DEP_1) | instskip(SKIP_1) | instid1(VALU_DEP_2)
	v_lshlrev_b64 v[5:6], 1, v[3:4]
	v_dual_mov_b32 v4, v2 :: v_dual_mov_b32 v3, v1
	v_add_co_u32 v5, vcc_lo, s16, v5
	s_delay_alu instid0(VALU_DEP_3)
	v_add_co_ci_u32_e32 v6, vcc_lo, s17, v6, vcc_lo
	.p2align	6
.LBB523_14:                             ; =>This Inner Loop Header: Depth=1
	flat_load_u16 v9, v[3:4]
	flat_load_u16 v10, v[5:6]
	v_add_co_u32 v3, vcc_lo, 0x200, v3
	v_add_co_ci_u32_e32 v4, vcc_lo, 0, v4, vcc_lo
	v_add_co_u32 v5, vcc_lo, v5, s4
	v_add_co_ci_u32_e32 v6, vcc_lo, s5, v6, vcc_lo
	s_waitcnt vmcnt(0) lgkmcnt(0)
	v_mul_f16_e32 v9, v9, v10
	s_delay_alu instid0(VALU_DEP_1) | instskip(NEXT) | instid1(VALU_DEP_1)
	v_cvt_f32_f16_e32 v9, v9
	v_dual_add_f32 v7, v7, v9 :: v_dual_add_nc_u32 v8, 0x100, v8
	s_delay_alu instid0(VALU_DEP_1) | instskip(NEXT) | instid1(VALU_DEP_1)
	v_cmp_le_i32_e64 s0, s2, v8
	s_or_b32 s10, s0, s10
	s_delay_alu instid0(SALU_CYCLE_1)
	s_and_not1_b32 exec_lo, exec_lo, s10
	s_cbranch_execnz .LBB523_14
; %bb.15:
	s_or_b32 exec_lo, exec_lo, s10
.LBB523_16:
	s_delay_alu instid0(SALU_CYCLE_1) | instskip(SKIP_2) | instid1(VALU_DEP_1)
	s_or_b32 exec_lo, exec_lo, s9
	v_add_nc_u32_e32 v3, s2, v0
	s_mov_b32 s0, exec_lo
	v_cmpx_gt_i32_e64 s3, v3
	s_cbranch_execz .LBB523_18
; %bb.17:
	v_ashrrev_i32_e32 v6, 31, v3
	v_mul_lo_u32 v8, v3, s19
	v_mad_u64_u32 v[4:5], null, v3, s18, 0
	s_ashr_i32 s3, s2, 31
	s_delay_alu instid0(VALU_DEP_3) | instskip(SKIP_1) | instid1(SALU_CYCLE_1)
	v_mul_lo_u32 v3, v6, s18
	s_lshl_b64 s[2:3], s[2:3], 1
	v_add_co_u32 v1, vcc_lo, v1, s2
	v_add_co_ci_u32_e32 v2, vcc_lo, s3, v2, vcc_lo
	s_delay_alu instid0(VALU_DEP_3) | instskip(NEXT) | instid1(VALU_DEP_1)
	v_add3_u32 v5, v5, v8, v3
	v_lshlrev_b64 v[3:4], 1, v[4:5]
	s_delay_alu instid0(VALU_DEP_1) | instskip(NEXT) | instid1(VALU_DEP_2)
	v_add_co_u32 v3, vcc_lo, s16, v3
	v_add_co_ci_u32_e32 v4, vcc_lo, s17, v4, vcc_lo
	flat_load_u16 v1, v[1:2]
	flat_load_u16 v2, v[3:4]
	s_waitcnt vmcnt(0) lgkmcnt(0)
	v_mul_f16_e32 v1, v1, v2
	s_delay_alu instid0(VALU_DEP_1) | instskip(NEXT) | instid1(VALU_DEP_1)
	v_cvt_f32_f16_e32 v1, v1
	v_add_f32_e32 v7, v7, v1
.LBB523_18:
	s_or_b32 exec_lo, exec_lo, s0
	v_and_b32_e32 v4, 31, v0
	v_cmp_gt_u32_e32 vcc_lo, 32, v0
	s_delay_alu instid0(VALU_DEP_2)
	v_lshlrev_b32_e32 v1, 2, v4
	s_and_saveexec_b32 s0, vcc_lo
	s_cbranch_execz .LBB523_20
; %bb.19:
	v_mov_b32_e32 v2, 0
	ds_store_b32 v1, v2
.LBB523_20:
	s_or_b32 exec_lo, exec_lo, s0
	v_mbcnt_lo_u32_b32 v5, -1, 0
	s_mov_b32 s2, exec_lo
	s_waitcnt lgkmcnt(0)
	s_barrier
	buffer_gl0_inv
	v_cmp_gt_u32_e64 s0, 16, v5
	s_delay_alu instid0(VALU_DEP_1) | instskip(SKIP_1) | instid1(VALU_DEP_2)
	v_cndmask_b32_e64 v2, 0, 1, s0
	v_cmp_gt_u32_e64 s0, 24, v5
	v_lshlrev_b32_e32 v2, 4, v2
	s_delay_alu instid0(VALU_DEP_2) | instskip(SKIP_1) | instid1(VALU_DEP_3)
	v_cndmask_b32_e64 v3, 0, 1, s0
	v_cmp_gt_u32_e64 s0, 28, v5
	v_add_lshl_u32 v2, v2, v5, 2
	ds_bpermute_b32 v2, v2, v7
	s_waitcnt lgkmcnt(0)
	v_dual_add_f32 v6, v7, v2 :: v_dual_lshlrev_b32 v3, 3, v3
	s_delay_alu instid0(VALU_DEP_1) | instskip(SKIP_4) | instid1(VALU_DEP_1)
	v_add_lshl_u32 v3, v3, v5, 2
	v_cndmask_b32_e64 v2, 0, 1, s0
	v_cmp_gt_u32_e64 s0, 30, v5
	ds_bpermute_b32 v3, v3, v6
	v_lshlrev_b32_e32 v2, 2, v2
	v_add_lshl_u32 v2, v2, v5, 2
	s_waitcnt lgkmcnt(0)
	v_add_f32_e32 v6, v6, v3
	v_cndmask_b32_e64 v3, 0, 1, s0
	v_cmp_ne_u32_e64 s0, 31, v5
	s_delay_alu instid0(VALU_DEP_2) | instskip(NEXT) | instid1(VALU_DEP_1)
	v_lshlrev_b32_e32 v3, 1, v3
	v_add_lshl_u32 v3, v3, v5, 2
	s_delay_alu instid0(VALU_DEP_3) | instskip(NEXT) | instid1(VALU_DEP_1)
	v_add_co_ci_u32_e64 v5, s0, 0, v5, s0
	v_lshlrev_b32_e32 v5, 2, v5
	ds_bpermute_b32 v7, v2, v6
	s_waitcnt lgkmcnt(0)
	v_add_f32_e32 v6, v6, v7
	ds_bpermute_b32 v7, v3, v6
	s_waitcnt lgkmcnt(0)
	v_add_f32_e32 v6, v6, v7
	ds_bpermute_b32 v7, v5, v6
	v_cmpx_eq_u32_e32 0, v4
	s_cbranch_execz .LBB523_22
; %bb.21:
	v_lshrrev_b32_e32 v4, 3, v0
	s_waitcnt lgkmcnt(0)
	v_add_f32_e32 v6, v6, v7
	s_delay_alu instid0(VALU_DEP_2)
	v_and_b32_e32 v4, 28, v4
	ds_store_b32 v4, v6
.LBB523_22:
	s_or_b32 exec_lo, exec_lo, s2
	v_mov_b32_e32 v4, 0
	s_mov_b32 s2, exec_lo
	s_waitcnt lgkmcnt(0)
	s_barrier
	buffer_gl0_inv
	v_cmpx_gt_u32_e32 8, v0
	s_cbranch_execz .LBB523_24
; %bb.23:
	ds_load_b32 v4, v1
.LBB523_24:
	s_or_b32 exec_lo, exec_lo, s2
	s_and_saveexec_b32 s0, vcc_lo
	s_cbranch_execz .LBB523_26
; %bb.25:
	s_waitcnt lgkmcnt(0)
	ds_bpermute_b32 v1, v2, v4
	s_waitcnt lgkmcnt(0)
	v_add_f32_e32 v1, v4, v1
	ds_bpermute_b32 v2, v3, v1
	s_waitcnt lgkmcnt(0)
	v_add_f32_e32 v1, v1, v2
	;; [unrolled: 3-line block ×3, first 2 shown]
.LBB523_26:
	s_or_b32 exec_lo, exec_lo, s0
	s_delay_alu instid0(SALU_CYCLE_1)
	s_mov_b32 s0, exec_lo
                                        ; implicit-def: $vgpr1
                                        ; implicit-def: $sgpr4_sgpr5
	v_cmpx_eq_u32_e32 0, v0
	s_cbranch_execz .LBB523_30
; %bb.27:
	v_cmp_eq_f32_e64 s4, s15, 0
	s_mul_i32 s2, s14, s13
	s_mul_hi_u32 s3, s14, s12
	s_waitcnt lgkmcnt(0)
	v_mul_f32_e32 v1, s28, v4
	s_add_i32 s2, s3, s2
	s_mul_i32 s1, s1, s12
	s_and_b32 vcc_lo, exec_lo, s4
	s_add_i32 s5, s2, s1
	s_mul_i32 s4, s14, s12
	s_cbranch_vccnz .LBB523_29
; %bb.28:
	s_lshl_b64 s[2:3], s[4:5], 2
	s_delay_alu instid0(SALU_CYCLE_1)
	s_add_u32 s2, s6, s2
	s_addc_u32 s3, s7, s3
	s_load_b32 s1, s[2:3], 0x0
	s_waitcnt lgkmcnt(0)
	v_fmac_f32_e64 v1, s15, s1
.LBB523_29:
	s_or_b32 s8, s8, exec_lo
.LBB523_30:
	s_or_b32 exec_lo, exec_lo, s0
.LBB523_31:
	s_and_saveexec_b32 s0, s8
	s_cbranch_execz .LBB523_33
; %bb.32:
	s_lshl_b64 s[0:1], s[4:5], 2
	v_mov_b32_e32 v0, 0
	s_add_u32 s0, s6, s0
	s_addc_u32 s1, s7, s1
	global_store_b32 v0, v1, s[0:1]
.LBB523_33:
	s_nop 0
	s_sendmsg sendmsg(MSG_DEALLOC_VGPRS)
	s_endpgm
	.section	.rodata,"a",@progbits
	.p2align	6, 0x0
	.amdhsa_kernel _ZL32rocblas_gemvt_warp_reduce_kernelILb0ELi256ElPKDF16_PKfKPfEviiT3_lPKT2_lT1_lS9_lSA_lS6_lPT4_lSA_li
		.amdhsa_group_segment_fixed_size 128
		.amdhsa_private_segment_fixed_size 0
		.amdhsa_kernarg_size 140
		.amdhsa_user_sgpr_count 14
		.amdhsa_user_sgpr_dispatch_ptr 0
		.amdhsa_user_sgpr_queue_ptr 0
		.amdhsa_user_sgpr_kernarg_segment_ptr 1
		.amdhsa_user_sgpr_dispatch_id 0
		.amdhsa_user_sgpr_private_segment_size 0
		.amdhsa_wavefront_size32 1
		.amdhsa_uses_dynamic_stack 0
		.amdhsa_enable_private_segment 0
		.amdhsa_system_sgpr_workgroup_id_x 1
		.amdhsa_system_sgpr_workgroup_id_y 0
		.amdhsa_system_sgpr_workgroup_id_z 1
		.amdhsa_system_sgpr_workgroup_info 0
		.amdhsa_system_vgpr_workitem_id 0
		.amdhsa_next_free_vgpr 11
		.amdhsa_next_free_sgpr 31
		.amdhsa_reserve_vcc 1
		.amdhsa_float_round_mode_32 0
		.amdhsa_float_round_mode_16_64 0
		.amdhsa_float_denorm_mode_32 3
		.amdhsa_float_denorm_mode_16_64 3
		.amdhsa_dx10_clamp 1
		.amdhsa_ieee_mode 1
		.amdhsa_fp16_overflow 0
		.amdhsa_workgroup_processor_mode 1
		.amdhsa_memory_ordered 1
		.amdhsa_forward_progress 0
		.amdhsa_shared_vgpr_count 0
		.amdhsa_exception_fp_ieee_invalid_op 0
		.amdhsa_exception_fp_denorm_src 0
		.amdhsa_exception_fp_ieee_div_zero 0
		.amdhsa_exception_fp_ieee_overflow 0
		.amdhsa_exception_fp_ieee_underflow 0
		.amdhsa_exception_fp_ieee_inexact 0
		.amdhsa_exception_int_div_zero 0
	.end_amdhsa_kernel
	.section	.text._ZL32rocblas_gemvt_warp_reduce_kernelILb0ELi256ElPKDF16_PKfKPfEviiT3_lPKT2_lT1_lS9_lSA_lS6_lPT4_lSA_li,"axG",@progbits,_ZL32rocblas_gemvt_warp_reduce_kernelILb0ELi256ElPKDF16_PKfKPfEviiT3_lPKT2_lT1_lS9_lSA_lS6_lPT4_lSA_li,comdat
.Lfunc_end523:
	.size	_ZL32rocblas_gemvt_warp_reduce_kernelILb0ELi256ElPKDF16_PKfKPfEviiT3_lPKT2_lT1_lS9_lSA_lS6_lPT4_lSA_li, .Lfunc_end523-_ZL32rocblas_gemvt_warp_reduce_kernelILb0ELi256ElPKDF16_PKfKPfEviiT3_lPKT2_lT1_lS9_lSA_lS6_lPT4_lSA_li
                                        ; -- End function
	.section	.AMDGPU.csdata,"",@progbits
; Kernel info:
; codeLenInByte = 1568
; NumSgprs: 33
; NumVgprs: 11
; ScratchSize: 0
; MemoryBound: 0
; FloatMode: 240
; IeeeMode: 1
; LDSByteSize: 128 bytes/workgroup (compile time only)
; SGPRBlocks: 4
; VGPRBlocks: 1
; NumSGPRsForWavesPerEU: 33
; NumVGPRsForWavesPerEU: 11
; Occupancy: 16
; WaveLimiterHint : 1
; COMPUTE_PGM_RSRC2:SCRATCH_EN: 0
; COMPUTE_PGM_RSRC2:USER_SGPR: 14
; COMPUTE_PGM_RSRC2:TRAP_HANDLER: 0
; COMPUTE_PGM_RSRC2:TGID_X_EN: 1
; COMPUTE_PGM_RSRC2:TGID_Y_EN: 0
; COMPUTE_PGM_RSRC2:TGID_Z_EN: 1
; COMPUTE_PGM_RSRC2:TIDIG_COMP_CNT: 0
	.section	.text._ZL32rocblas_gemvt_warp_reduce_kernelILb0ELi256EiPKDF16_fKPfEviiT3_lPKT2_lT1_lS7_lS8_lS4_lPT4_lS8_li,"axG",@progbits,_ZL32rocblas_gemvt_warp_reduce_kernelILb0ELi256EiPKDF16_fKPfEviiT3_lPKT2_lT1_lS7_lS8_lS4_lPT4_lS8_li,comdat
	.globl	_ZL32rocblas_gemvt_warp_reduce_kernelILb0ELi256EiPKDF16_fKPfEviiT3_lPKT2_lT1_lS7_lS8_lS4_lPT4_lS8_li ; -- Begin function _ZL32rocblas_gemvt_warp_reduce_kernelILb0ELi256EiPKDF16_fKPfEviiT3_lPKT2_lT1_lS7_lS8_lS4_lPT4_lS8_li
	.p2align	8
	.type	_ZL32rocblas_gemvt_warp_reduce_kernelILb0ELi256EiPKDF16_fKPfEviiT3_lPKT2_lT1_lS7_lS8_lS4_lPT4_lS8_li,@function
_ZL32rocblas_gemvt_warp_reduce_kernelILb0ELi256EiPKDF16_fKPfEviiT3_lPKT2_lT1_lS7_lS8_lS4_lPT4_lS8_li: ; @_ZL32rocblas_gemvt_warp_reduce_kernelILb0ELi256EiPKDF16_fKPfEviiT3_lPKT2_lT1_lS7_lS8_lS4_lPT4_lS8_li
; %bb.0:
	s_clause 0x1
	s_load_b32 s11, s[0:1], 0x8
	s_load_b32 s10, s[0:1], 0x58
	s_waitcnt lgkmcnt(0)
	v_cmp_eq_f32_e64 s8, s11, 0
	v_cmp_eq_f32_e64 s3, s10, 1.0
	s_delay_alu instid0(VALU_DEP_1) | instskip(NEXT) | instid1(SALU_CYCLE_1)
	s_and_b32 s3, s8, s3
	s_and_b32 vcc_lo, exec_lo, s3
	s_cbranch_vccnz .LBB524_36
; %bb.1:
	v_cmp_neq_f32_e64 s4, s11, 0
	s_mov_b32 s2, s15
	s_delay_alu instid0(VALU_DEP_1)
	s_and_b32 vcc_lo, exec_lo, s4
	s_cbranch_vccnz .LBB524_3
; %bb.2:
	s_mov_b32 s3, 0
	s_mov_b64 s[6:7], 0
	s_cbranch_execz .LBB524_4
	s_branch .LBB524_5
.LBB524_3:
	s_mov_b32 s3, -1
                                        ; implicit-def: $sgpr6_sgpr7
.LBB524_4:
	s_load_b128 s[16:19], s[0:1], 0x18
	s_mov_b32 s3, 0
	s_delay_alu instid0(SALU_CYCLE_1)
	s_lshl_b64 s[6:7], s[2:3], 3
	s_waitcnt lgkmcnt(0)
	s_add_u32 s6, s16, s6
	s_addc_u32 s7, s17, s7
	s_lshl_b64 s[12:13], s[18:19], 1
	s_load_b64 s[6:7], s[6:7], 0x0
	s_waitcnt lgkmcnt(0)
	s_add_u32 s6, s6, s12
	s_addc_u32 s7, s7, s13
.LBB524_5:
	s_and_not1_b32 vcc_lo, exec_lo, s4
	s_cbranch_vccnz .LBB524_7
; %bb.6:
	s_load_b128 s[16:19], s[0:1], 0x38
	s_lshl_b64 s[4:5], s[2:3], 3
	s_waitcnt lgkmcnt(0)
	s_add_u32 s4, s16, s4
	s_addc_u32 s5, s17, s5
	s_lshl_b64 s[12:13], s[18:19], 1
	s_load_b64 s[4:5], s[4:5], 0x0
	s_waitcnt lgkmcnt(0)
	s_add_u32 s4, s4, s12
	s_addc_u32 s5, s5, s13
	s_branch .LBB524_8
.LBB524_7:
	s_mov_b64 s[4:5], 0
.LBB524_8:
	s_clause 0x1
	s_load_b128 s[16:19], s[0:1], 0x68
	s_load_b32 s15, s[0:1], 0x78
	s_lshl_b64 s[2:3], s[2:3], 3
	s_waitcnt lgkmcnt(0)
	s_add_u32 s2, s16, s2
	s_addc_u32 s3, s17, s3
	s_lshl_b64 s[16:17], s[18:19], 2
	s_load_b64 s[12:13], s[2:3], 0x0
	v_cmp_eq_u32_e64 s2, 0, v0
	s_waitcnt lgkmcnt(0)
	s_add_u32 s12, s12, s16
	s_addc_u32 s13, s13, s17
	s_and_not1_b32 vcc_lo, exec_lo, s8
	s_cbranch_vccnz .LBB524_13
; %bb.9:
	s_mov_b32 s3, 0
	s_mov_b32 s16, 0
                                        ; implicit-def: $vgpr1
                                        ; implicit-def: $sgpr8_sgpr9
	s_and_saveexec_b32 s17, s2
	s_cbranch_execz .LBB524_14
; %bb.10:
	v_cmp_eq_f32_e64 s2, s10, 0
	v_mov_b32_e32 v1, 0
	s_mul_i32 s8, s14, s15
	s_delay_alu instid0(SALU_CYCLE_1) | instskip(NEXT) | instid1(VALU_DEP_2)
	s_ashr_i32 s9, s8, 31
	s_and_b32 vcc_lo, exec_lo, s2
	s_cbranch_vccnz .LBB524_12
; %bb.11:
	s_lshl_b64 s[18:19], s[8:9], 2
	s_delay_alu instid0(SALU_CYCLE_1)
	s_add_u32 s18, s12, s18
	s_addc_u32 s19, s13, s19
	s_load_b32 s2, s[18:19], 0x0
	s_waitcnt lgkmcnt(0)
	v_mul_f32_e64 v1, s2, s10
.LBB524_12:
	s_mov_b32 s16, exec_lo
	s_or_b32 exec_lo, exec_lo, s17
	s_delay_alu instid0(SALU_CYCLE_1)
	s_and_b32 vcc_lo, exec_lo, s3
	s_cbranch_vccnz .LBB524_15
	s_branch .LBB524_34
.LBB524_13:
	s_mov_b32 s16, 0
                                        ; implicit-def: $vgpr1
                                        ; implicit-def: $sgpr8_sgpr9
	s_cbranch_execnz .LBB524_15
	s_branch .LBB524_34
.LBB524_14:
	s_or_b32 exec_lo, exec_lo, s17
	s_delay_alu instid0(SALU_CYCLE_1)
	s_and_b32 vcc_lo, exec_lo, s3
	s_cbranch_vccz .LBB524_34
.LBB524_15:
	s_clause 0x2
	s_load_b32 s2, s[0:1], 0x28
	s_load_b32 s3, s[0:1], 0x0
	;; [unrolled: 1-line block ×3, first 2 shown]
	v_mov_b32_e32 v7, 0
	s_waitcnt lgkmcnt(0)
	s_mul_i32 s8, s14, s2
	v_cmp_gt_i32_e32 vcc_lo, s3, v0
	s_ashr_i32 s9, s8, 31
	s_delay_alu instid0(SALU_CYCLE_1)
	s_lshl_b64 s[8:9], s[8:9], 1
	v_cndmask_b32_e32 v1, 0, v0, vcc_lo
	s_add_u32 s0, s8, s6
	s_addc_u32 s6, s9, s7
	s_ashr_i32 s2, s3, 31
	s_mov_b32 s7, 0
	v_lshlrev_b32_e32 v1, 1, v1
	s_lshr_b32 s2, s2, 24
	s_delay_alu instid0(SALU_CYCLE_1) | instskip(NEXT) | instid1(SALU_CYCLE_1)
	s_add_i32 s2, s3, s2
	s_and_b32 s2, s2, 0xffffff00
	s_delay_alu instid0(VALU_DEP_1) | instskip(NEXT) | instid1(VALU_DEP_1)
	v_add_co_u32 v1, s0, s0, v1
	v_add_co_ci_u32_e64 v2, null, s6, 0, s0
	s_mov_b32 s6, exec_lo
	v_cmpx_gt_i32_e64 s2, v0
	s_cbranch_execz .LBB524_19
; %bb.16:
	v_mul_lo_u32 v3, v0, s1
	v_dual_mov_b32 v7, 0 :: v_dual_mov_b32 v6, v2
	v_dual_mov_b32 v5, v1 :: v_dual_mov_b32 v8, v0
	s_lshl_b32 s8, s1, 8
	.p2align	6
.LBB524_17:                             ; =>This Inner Loop Header: Depth=1
	s_delay_alu instid0(VALU_DEP_3) | instskip(NEXT) | instid1(VALU_DEP_2)
	v_ashrrev_i32_e32 v4, 31, v3
	v_add_nc_u32_e32 v8, 0x100, v8
	s_delay_alu instid0(VALU_DEP_2) | instskip(NEXT) | instid1(VALU_DEP_2)
	v_lshlrev_b64 v[9:10], 1, v[3:4]
	v_cmp_le_i32_e64 s0, s2, v8
	v_add_nc_u32_e32 v3, s8, v3
	s_delay_alu instid0(VALU_DEP_2) | instskip(NEXT) | instid1(VALU_DEP_3)
	s_or_b32 s7, s0, s7
	v_add_co_u32 v9, vcc_lo, s4, v9
	s_delay_alu instid0(VALU_DEP_4)
	v_add_co_ci_u32_e32 v10, vcc_lo, s5, v10, vcc_lo
	flat_load_u16 v4, v[5:6]
	flat_load_u16 v9, v[9:10]
	v_add_co_u32 v5, vcc_lo, 0x200, v5
	v_add_co_ci_u32_e32 v6, vcc_lo, 0, v6, vcc_lo
	s_waitcnt vmcnt(0) lgkmcnt(0)
	v_mul_f16_e32 v4, v4, v9
	s_delay_alu instid0(VALU_DEP_1) | instskip(NEXT) | instid1(VALU_DEP_1)
	v_cvt_f32_f16_e32 v4, v4
	v_add_f32_e32 v7, v7, v4
	s_and_not1_b32 exec_lo, exec_lo, s7
	s_cbranch_execnz .LBB524_17
; %bb.18:
	s_or_b32 exec_lo, exec_lo, s7
.LBB524_19:
	s_delay_alu instid0(SALU_CYCLE_1) | instskip(SKIP_2) | instid1(VALU_DEP_1)
	s_or_b32 exec_lo, exec_lo, s6
	v_add_nc_u32_e32 v3, s2, v0
	s_mov_b32 s0, exec_lo
	v_cmpx_gt_i32_e64 s3, v3
	s_cbranch_execz .LBB524_21
; %bb.20:
	v_mul_lo_u32 v3, v3, s1
	s_ashr_i32 s3, s2, 31
	s_delay_alu instid0(SALU_CYCLE_1) | instskip(NEXT) | instid1(SALU_CYCLE_1)
	s_lshl_b64 s[2:3], s[2:3], 1
	v_add_co_u32 v1, vcc_lo, v1, s2
	v_add_co_ci_u32_e32 v2, vcc_lo, s3, v2, vcc_lo
	s_delay_alu instid0(VALU_DEP_3) | instskip(NEXT) | instid1(VALU_DEP_1)
	v_ashrrev_i32_e32 v4, 31, v3
	v_lshlrev_b64 v[3:4], 1, v[3:4]
	s_delay_alu instid0(VALU_DEP_1) | instskip(NEXT) | instid1(VALU_DEP_2)
	v_add_co_u32 v3, vcc_lo, s4, v3
	v_add_co_ci_u32_e32 v4, vcc_lo, s5, v4, vcc_lo
	flat_load_u16 v1, v[1:2]
	flat_load_u16 v2, v[3:4]
	s_waitcnt vmcnt(0) lgkmcnt(0)
	v_mul_f16_e32 v1, v1, v2
	s_delay_alu instid0(VALU_DEP_1) | instskip(NEXT) | instid1(VALU_DEP_1)
	v_cvt_f32_f16_e32 v1, v1
	v_add_f32_e32 v7, v7, v1
.LBB524_21:
	s_or_b32 exec_lo, exec_lo, s0
	v_and_b32_e32 v4, 31, v0
	v_cmp_gt_u32_e32 vcc_lo, 32, v0
	s_delay_alu instid0(VALU_DEP_2)
	v_lshlrev_b32_e32 v1, 2, v4
	s_and_saveexec_b32 s0, vcc_lo
	s_cbranch_execz .LBB524_23
; %bb.22:
	v_mov_b32_e32 v2, 0
	ds_store_b32 v1, v2
.LBB524_23:
	s_or_b32 exec_lo, exec_lo, s0
	v_mbcnt_lo_u32_b32 v5, -1, 0
	s_mov_b32 s1, exec_lo
	s_waitcnt lgkmcnt(0)
	s_barrier
	buffer_gl0_inv
	v_cmp_gt_u32_e64 s0, 16, v5
	s_delay_alu instid0(VALU_DEP_1) | instskip(SKIP_1) | instid1(VALU_DEP_2)
	v_cndmask_b32_e64 v2, 0, 1, s0
	v_cmp_gt_u32_e64 s0, 24, v5
	v_lshlrev_b32_e32 v2, 4, v2
	s_delay_alu instid0(VALU_DEP_2) | instskip(SKIP_1) | instid1(VALU_DEP_3)
	v_cndmask_b32_e64 v3, 0, 1, s0
	v_cmp_gt_u32_e64 s0, 28, v5
	v_add_lshl_u32 v2, v2, v5, 2
	ds_bpermute_b32 v2, v2, v7
	s_waitcnt lgkmcnt(0)
	v_dual_add_f32 v6, v7, v2 :: v_dual_lshlrev_b32 v3, 3, v3
	s_delay_alu instid0(VALU_DEP_1) | instskip(SKIP_4) | instid1(VALU_DEP_1)
	v_add_lshl_u32 v3, v3, v5, 2
	v_cndmask_b32_e64 v2, 0, 1, s0
	v_cmp_gt_u32_e64 s0, 30, v5
	ds_bpermute_b32 v3, v3, v6
	v_lshlrev_b32_e32 v2, 2, v2
	v_add_lshl_u32 v2, v2, v5, 2
	s_waitcnt lgkmcnt(0)
	v_add_f32_e32 v6, v6, v3
	v_cndmask_b32_e64 v3, 0, 1, s0
	v_cmp_ne_u32_e64 s0, 31, v5
	s_delay_alu instid0(VALU_DEP_2) | instskip(NEXT) | instid1(VALU_DEP_1)
	v_lshlrev_b32_e32 v3, 1, v3
	v_add_lshl_u32 v3, v3, v5, 2
	s_delay_alu instid0(VALU_DEP_3) | instskip(NEXT) | instid1(VALU_DEP_1)
	v_add_co_ci_u32_e64 v5, s0, 0, v5, s0
	v_lshlrev_b32_e32 v5, 2, v5
	ds_bpermute_b32 v7, v2, v6
	s_waitcnt lgkmcnt(0)
	v_add_f32_e32 v6, v6, v7
	ds_bpermute_b32 v7, v3, v6
	s_waitcnt lgkmcnt(0)
	v_add_f32_e32 v6, v6, v7
	ds_bpermute_b32 v7, v5, v6
	v_cmpx_eq_u32_e32 0, v4
	s_cbranch_execz .LBB524_25
; %bb.24:
	v_lshrrev_b32_e32 v4, 3, v0
	s_waitcnt lgkmcnt(0)
	v_add_f32_e32 v6, v6, v7
	s_delay_alu instid0(VALU_DEP_2)
	v_and_b32_e32 v4, 28, v4
	ds_store_b32 v4, v6
.LBB524_25:
	s_or_b32 exec_lo, exec_lo, s1
	v_mov_b32_e32 v4, 0
	s_mov_b32 s1, exec_lo
	s_waitcnt lgkmcnt(0)
	s_barrier
	buffer_gl0_inv
	v_cmpx_gt_u32_e32 8, v0
	s_cbranch_execz .LBB524_27
; %bb.26:
	ds_load_b32 v4, v1
.LBB524_27:
	s_or_b32 exec_lo, exec_lo, s1
	s_and_saveexec_b32 s0, vcc_lo
	s_cbranch_execz .LBB524_29
; %bb.28:
	s_waitcnt lgkmcnt(0)
	ds_bpermute_b32 v1, v2, v4
	s_waitcnt lgkmcnt(0)
	v_add_f32_e32 v1, v4, v1
	ds_bpermute_b32 v2, v3, v1
	s_waitcnt lgkmcnt(0)
	v_add_f32_e32 v1, v1, v2
	;; [unrolled: 3-line block ×3, first 2 shown]
.LBB524_29:
	s_or_b32 exec_lo, exec_lo, s0
	s_delay_alu instid0(SALU_CYCLE_1)
	s_mov_b32 s0, exec_lo
                                        ; implicit-def: $vgpr1
                                        ; implicit-def: $sgpr8_sgpr9
	v_cmpx_eq_u32_e32 0, v0
	s_cbranch_execz .LBB524_33
; %bb.30:
	v_cmp_eq_f32_e64 s1, s10, 0
	s_waitcnt lgkmcnt(0)
	v_mul_f32_e32 v1, s11, v4
	s_mul_i32 s8, s14, s15
	s_delay_alu instid0(SALU_CYCLE_1)
	s_ashr_i32 s9, s8, 31
	s_and_b32 vcc_lo, exec_lo, s1
	s_cbranch_vccnz .LBB524_32
; %bb.31:
	s_lshl_b64 s[2:3], s[8:9], 2
	s_delay_alu instid0(SALU_CYCLE_1)
	s_add_u32 s2, s12, s2
	s_addc_u32 s3, s13, s3
	s_load_b32 s1, s[2:3], 0x0
	s_waitcnt lgkmcnt(0)
	v_fmac_f32_e64 v1, s1, s10
.LBB524_32:
	s_or_b32 s16, s16, exec_lo
.LBB524_33:
	s_or_b32 exec_lo, exec_lo, s0
.LBB524_34:
	s_and_saveexec_b32 s0, s16
	s_cbranch_execz .LBB524_36
; %bb.35:
	s_lshl_b64 s[0:1], s[8:9], 2
	v_mov_b32_e32 v0, 0
	s_add_u32 s0, s12, s0
	s_addc_u32 s1, s13, s1
	global_store_b32 v0, v1, s[0:1]
.LBB524_36:
	s_nop 0
	s_sendmsg sendmsg(MSG_DEALLOC_VGPRS)
	s_endpgm
	.section	.rodata,"a",@progbits
	.p2align	6, 0x0
	.amdhsa_kernel _ZL32rocblas_gemvt_warp_reduce_kernelILb0ELi256EiPKDF16_fKPfEviiT3_lPKT2_lT1_lS7_lS8_lS4_lPT4_lS8_li
		.amdhsa_group_segment_fixed_size 128
		.amdhsa_private_segment_fixed_size 0
		.amdhsa_kernarg_size 140
		.amdhsa_user_sgpr_count 14
		.amdhsa_user_sgpr_dispatch_ptr 0
		.amdhsa_user_sgpr_queue_ptr 0
		.amdhsa_user_sgpr_kernarg_segment_ptr 1
		.amdhsa_user_sgpr_dispatch_id 0
		.amdhsa_user_sgpr_private_segment_size 0
		.amdhsa_wavefront_size32 1
		.amdhsa_uses_dynamic_stack 0
		.amdhsa_enable_private_segment 0
		.amdhsa_system_sgpr_workgroup_id_x 1
		.amdhsa_system_sgpr_workgroup_id_y 0
		.amdhsa_system_sgpr_workgroup_id_z 1
		.amdhsa_system_sgpr_workgroup_info 0
		.amdhsa_system_vgpr_workitem_id 0
		.amdhsa_next_free_vgpr 11
		.amdhsa_next_free_sgpr 20
		.amdhsa_reserve_vcc 1
		.amdhsa_float_round_mode_32 0
		.amdhsa_float_round_mode_16_64 0
		.amdhsa_float_denorm_mode_32 3
		.amdhsa_float_denorm_mode_16_64 3
		.amdhsa_dx10_clamp 1
		.amdhsa_ieee_mode 1
		.amdhsa_fp16_overflow 0
		.amdhsa_workgroup_processor_mode 1
		.amdhsa_memory_ordered 1
		.amdhsa_forward_progress 0
		.amdhsa_shared_vgpr_count 0
		.amdhsa_exception_fp_ieee_invalid_op 0
		.amdhsa_exception_fp_denorm_src 0
		.amdhsa_exception_fp_ieee_div_zero 0
		.amdhsa_exception_fp_ieee_overflow 0
		.amdhsa_exception_fp_ieee_underflow 0
		.amdhsa_exception_fp_ieee_inexact 0
		.amdhsa_exception_int_div_zero 0
	.end_amdhsa_kernel
	.section	.text._ZL32rocblas_gemvt_warp_reduce_kernelILb0ELi256EiPKDF16_fKPfEviiT3_lPKT2_lT1_lS7_lS8_lS4_lPT4_lS8_li,"axG",@progbits,_ZL32rocblas_gemvt_warp_reduce_kernelILb0ELi256EiPKDF16_fKPfEviiT3_lPKT2_lT1_lS7_lS8_lS4_lPT4_lS8_li,comdat
.Lfunc_end524:
	.size	_ZL32rocblas_gemvt_warp_reduce_kernelILb0ELi256EiPKDF16_fKPfEviiT3_lPKT2_lT1_lS7_lS8_lS4_lPT4_lS8_li, .Lfunc_end524-_ZL32rocblas_gemvt_warp_reduce_kernelILb0ELi256EiPKDF16_fKPfEviiT3_lPKT2_lT1_lS7_lS8_lS4_lPT4_lS8_li
                                        ; -- End function
	.section	.AMDGPU.csdata,"",@progbits
; Kernel info:
; codeLenInByte = 1436
; NumSgprs: 22
; NumVgprs: 11
; ScratchSize: 0
; MemoryBound: 0
; FloatMode: 240
; IeeeMode: 1
; LDSByteSize: 128 bytes/workgroup (compile time only)
; SGPRBlocks: 2
; VGPRBlocks: 1
; NumSGPRsForWavesPerEU: 22
; NumVGPRsForWavesPerEU: 11
; Occupancy: 16
; WaveLimiterHint : 1
; COMPUTE_PGM_RSRC2:SCRATCH_EN: 0
; COMPUTE_PGM_RSRC2:USER_SGPR: 14
; COMPUTE_PGM_RSRC2:TRAP_HANDLER: 0
; COMPUTE_PGM_RSRC2:TGID_X_EN: 1
; COMPUTE_PGM_RSRC2:TGID_Y_EN: 0
; COMPUTE_PGM_RSRC2:TGID_Z_EN: 1
; COMPUTE_PGM_RSRC2:TIDIG_COMP_CNT: 0
	.section	.text._ZL32rocblas_gemvt_warp_reduce_kernelILb0ELi256ElPKDF16_fKPfEviiT3_lPKT2_lT1_lS7_lS8_lS4_lPT4_lS8_li,"axG",@progbits,_ZL32rocblas_gemvt_warp_reduce_kernelILb0ELi256ElPKDF16_fKPfEviiT3_lPKT2_lT1_lS7_lS8_lS4_lPT4_lS8_li,comdat
	.globl	_ZL32rocblas_gemvt_warp_reduce_kernelILb0ELi256ElPKDF16_fKPfEviiT3_lPKT2_lT1_lS7_lS8_lS4_lPT4_lS8_li ; -- Begin function _ZL32rocblas_gemvt_warp_reduce_kernelILb0ELi256ElPKDF16_fKPfEviiT3_lPKT2_lT1_lS7_lS8_lS4_lPT4_lS8_li
	.p2align	8
	.type	_ZL32rocblas_gemvt_warp_reduce_kernelILb0ELi256ElPKDF16_fKPfEviiT3_lPKT2_lT1_lS7_lS8_lS4_lPT4_lS8_li,@function
_ZL32rocblas_gemvt_warp_reduce_kernelILb0ELi256ElPKDF16_fKPfEviiT3_lPKT2_lT1_lS7_lS8_lS4_lPT4_lS8_li: ; @_ZL32rocblas_gemvt_warp_reduce_kernelILb0ELi256ElPKDF16_fKPfEviiT3_lPKT2_lT1_lS7_lS8_lS4_lPT4_lS8_li
; %bb.0:
	s_mov_b32 s2, s15
	s_clause 0x1
	s_load_b32 s18, s[0:1], 0x8
	s_load_b32 s15, s[0:1], 0x58
	s_waitcnt lgkmcnt(0)
	v_cmp_eq_f32_e64 s16, s18, 0
	v_cmp_eq_f32_e64 s3, s15, 1.0
	s_delay_alu instid0(VALU_DEP_1) | instskip(NEXT) | instid1(SALU_CYCLE_1)
	s_and_b32 s3, s16, s3
	s_and_b32 vcc_lo, exec_lo, s3
	s_cbranch_vccnz .LBB525_36
; %bb.1:
	s_clause 0x1
	s_load_b128 s[4:7], s[0:1], 0x18
	s_load_b64 s[10:11], s[0:1], 0x28
	v_cmp_neq_f32_e64 s17, s18, 0
	s_delay_alu instid0(VALU_DEP_1)
	s_and_b32 vcc_lo, exec_lo, s17
	s_cbranch_vccnz .LBB525_3
; %bb.2:
	s_mov_b32 s3, 0
	s_mov_b64 s[12:13], 0
	s_cbranch_execz .LBB525_4
	s_branch .LBB525_5
.LBB525_3:
	s_mov_b32 s3, -1
                                        ; implicit-def: $sgpr12_sgpr13
.LBB525_4:
	s_mov_b32 s3, 0
	s_delay_alu instid0(SALU_CYCLE_1)
	s_lshl_b64 s[8:9], s[2:3], 3
	s_waitcnt lgkmcnt(0)
	s_add_u32 s4, s4, s8
	s_addc_u32 s5, s5, s9
	s_lshl_b64 s[6:7], s[6:7], 1
	s_load_b64 s[4:5], s[4:5], 0x0
	s_waitcnt lgkmcnt(0)
	s_add_u32 s12, s4, s6
	s_addc_u32 s13, s5, s7
.LBB525_5:
	s_waitcnt lgkmcnt(0)
	s_clause 0x1
	s_load_b128 s[4:7], s[0:1], 0x38
	s_load_b64 s[8:9], s[0:1], 0x48
	s_and_not1_b32 vcc_lo, exec_lo, s17
	s_cbranch_vccnz .LBB525_7
; %bb.6:
	s_lshl_b64 s[20:21], s[2:3], 3
	s_waitcnt lgkmcnt(0)
	s_add_u32 s4, s4, s20
	s_addc_u32 s5, s5, s21
	s_lshl_b64 s[6:7], s[6:7], 1
	s_load_b64 s[4:5], s[4:5], 0x0
	s_waitcnt lgkmcnt(0)
	s_add_u32 s6, s4, s6
	s_addc_u32 s7, s5, s7
	s_branch .LBB525_8
.LBB525_7:
	s_waitcnt lgkmcnt(0)
	s_mov_b64 s[6:7], 0
.LBB525_8:
	s_clause 0x1
	s_load_b128 s[20:23], s[0:1], 0x68
	s_load_b64 s[4:5], s[0:1], 0x78
	s_lshl_b64 s[2:3], s[2:3], 3
	s_waitcnt lgkmcnt(0)
	s_add_u32 s2, s20, s2
	s_addc_u32 s3, s21, s3
	s_lshl_b64 s[22:23], s[22:23], 2
	s_load_b64 s[20:21], s[2:3], 0x0
	v_cmp_eq_u32_e64 s2, 0, v0
	s_waitcnt lgkmcnt(0)
	s_add_u32 s19, s20, s22
	s_addc_u32 s20, s21, s23
	s_and_not1_b32 vcc_lo, exec_lo, s16
	s_cbranch_vccnz .LBB525_13
; %bb.9:
	s_mov_b32 s3, 0
	s_mov_b32 s21, 0
                                        ; implicit-def: $vgpr1
                                        ; implicit-def: $sgpr16_sgpr17
	s_and_saveexec_b32 s22, s2
	s_cbranch_execz .LBB525_14
; %bb.10:
	v_cmp_eq_f32_e64 s2, s15, 0
	s_mul_i32 s16, s14, s5
	s_mul_hi_u32 s17, s14, s4
	s_ashr_i32 s21, s14, 31
	v_mov_b32_e32 v1, 0
	s_add_i32 s16, s17, s16
	s_mul_i32 s21, s21, s4
	s_and_b32 vcc_lo, exec_lo, s2
	s_add_i32 s17, s16, s21
	s_mul_i32 s16, s14, s4
	s_cbranch_vccnz .LBB525_12
; %bb.11:
	s_lshl_b64 s[24:25], s[16:17], 2
	s_delay_alu instid0(SALU_CYCLE_1)
	s_add_u32 s24, s19, s24
	s_addc_u32 s25, s20, s25
	s_load_b32 s2, s[24:25], 0x0
	s_waitcnt lgkmcnt(0)
	v_mul_f32_e64 v1, s2, s15
.LBB525_12:
	s_mov_b32 s21, exec_lo
	s_or_b32 exec_lo, exec_lo, s22
	s_delay_alu instid0(SALU_CYCLE_1)
	s_and_b32 vcc_lo, exec_lo, s3
	s_cbranch_vccnz .LBB525_15
	s_branch .LBB525_34
.LBB525_13:
	s_mov_b32 s21, 0
                                        ; implicit-def: $vgpr1
                                        ; implicit-def: $sgpr16_sgpr17
	s_cbranch_execnz .LBB525_15
	s_branch .LBB525_34
.LBB525_14:
	s_or_b32 exec_lo, exec_lo, s22
	s_delay_alu instid0(SALU_CYCLE_1)
	s_and_b32 vcc_lo, exec_lo, s3
	s_cbranch_vccz .LBB525_34
.LBB525_15:
	s_load_b32 s3, s[0:1], 0x0
	s_mul_i32 s0, s14, s11
	s_mul_hi_u32 s2, s14, s10
	s_ashr_i32 s1, s14, 31
	s_add_i32 s0, s2, s0
	s_mul_i32 s2, s1, s10
	s_mul_i32 s10, s14, s10
	s_add_i32 s11, s0, s2
	v_mov_b32_e32 v7, 0
	s_lshl_b64 s[10:11], s[10:11], 1
	s_delay_alu instid0(SALU_CYCLE_1)
	s_add_u32 s0, s10, s12
	s_addc_u32 s10, s11, s13
	s_mov_b32 s13, 0
	s_mov_b32 s12, exec_lo
	s_waitcnt lgkmcnt(0)
	v_cmp_gt_i32_e32 vcc_lo, s3, v0
	s_ashr_i32 s2, s3, 31
	s_delay_alu instid0(SALU_CYCLE_1) | instskip(NEXT) | instid1(SALU_CYCLE_1)
	s_lshr_b32 s2, s2, 24
	s_add_i32 s2, s3, s2
	v_cndmask_b32_e32 v1, 0, v0, vcc_lo
	s_and_b32 s2, s2, 0xffffff00
	s_delay_alu instid0(VALU_DEP_1) | instskip(NEXT) | instid1(VALU_DEP_1)
	v_lshlrev_b32_e32 v1, 1, v1
	v_add_co_u32 v1, s0, s0, v1
	s_delay_alu instid0(VALU_DEP_1)
	v_add_co_ci_u32_e64 v2, null, s10, 0, s0
	v_cmpx_gt_i32_e64 s2, v0
	s_cbranch_execz .LBB525_19
; %bb.16:
	v_mad_u64_u32 v[3:4], null, s8, v0, 0
	v_mov_b32_e32 v8, v0
	s_lshl_b64 s[10:11], s[8:9], 9
	v_mov_b32_e32 v7, 0
	s_delay_alu instid0(VALU_DEP_3) | instskip(NEXT) | instid1(VALU_DEP_1)
	v_mad_u64_u32 v[5:6], null, s9, v0, v[4:5]
	v_mov_b32_e32 v4, v5
	s_delay_alu instid0(VALU_DEP_1) | instskip(SKIP_1) | instid1(VALU_DEP_2)
	v_lshlrev_b64 v[5:6], 1, v[3:4]
	v_dual_mov_b32 v4, v2 :: v_dual_mov_b32 v3, v1
	v_add_co_u32 v5, vcc_lo, s6, v5
	s_delay_alu instid0(VALU_DEP_3)
	v_add_co_ci_u32_e32 v6, vcc_lo, s7, v6, vcc_lo
	.p2align	6
.LBB525_17:                             ; =>This Inner Loop Header: Depth=1
	flat_load_u16 v9, v[3:4]
	flat_load_u16 v10, v[5:6]
	v_add_co_u32 v3, vcc_lo, 0x200, v3
	v_add_co_ci_u32_e32 v4, vcc_lo, 0, v4, vcc_lo
	v_add_co_u32 v5, vcc_lo, v5, s10
	v_add_co_ci_u32_e32 v6, vcc_lo, s11, v6, vcc_lo
	s_waitcnt vmcnt(0) lgkmcnt(0)
	v_mul_f16_e32 v9, v9, v10
	s_delay_alu instid0(VALU_DEP_1) | instskip(NEXT) | instid1(VALU_DEP_1)
	v_cvt_f32_f16_e32 v9, v9
	v_dual_add_f32 v7, v7, v9 :: v_dual_add_nc_u32 v8, 0x100, v8
	s_delay_alu instid0(VALU_DEP_1) | instskip(NEXT) | instid1(VALU_DEP_1)
	v_cmp_le_i32_e64 s0, s2, v8
	s_or_b32 s13, s0, s13
	s_delay_alu instid0(SALU_CYCLE_1)
	s_and_not1_b32 exec_lo, exec_lo, s13
	s_cbranch_execnz .LBB525_17
; %bb.18:
	s_or_b32 exec_lo, exec_lo, s13
.LBB525_19:
	s_delay_alu instid0(SALU_CYCLE_1) | instskip(SKIP_2) | instid1(VALU_DEP_1)
	s_or_b32 exec_lo, exec_lo, s12
	v_add_nc_u32_e32 v3, s2, v0
	s_mov_b32 s0, exec_lo
	v_cmpx_gt_i32_e64 s3, v3
	s_cbranch_execz .LBB525_21
; %bb.20:
	v_ashrrev_i32_e32 v6, 31, v3
	v_mul_lo_u32 v8, v3, s9
	v_mad_u64_u32 v[4:5], null, v3, s8, 0
	s_ashr_i32 s3, s2, 31
	s_delay_alu instid0(VALU_DEP_3) | instskip(SKIP_1) | instid1(SALU_CYCLE_1)
	v_mul_lo_u32 v3, v6, s8
	s_lshl_b64 s[2:3], s[2:3], 1
	v_add_co_u32 v1, vcc_lo, v1, s2
	v_add_co_ci_u32_e32 v2, vcc_lo, s3, v2, vcc_lo
	s_delay_alu instid0(VALU_DEP_3) | instskip(NEXT) | instid1(VALU_DEP_1)
	v_add3_u32 v5, v5, v8, v3
	v_lshlrev_b64 v[3:4], 1, v[4:5]
	s_delay_alu instid0(VALU_DEP_1) | instskip(NEXT) | instid1(VALU_DEP_2)
	v_add_co_u32 v3, vcc_lo, s6, v3
	v_add_co_ci_u32_e32 v4, vcc_lo, s7, v4, vcc_lo
	flat_load_u16 v1, v[1:2]
	flat_load_u16 v2, v[3:4]
	s_waitcnt vmcnt(0) lgkmcnt(0)
	v_mul_f16_e32 v1, v1, v2
	s_delay_alu instid0(VALU_DEP_1) | instskip(NEXT) | instid1(VALU_DEP_1)
	v_cvt_f32_f16_e32 v1, v1
	v_add_f32_e32 v7, v7, v1
.LBB525_21:
	s_or_b32 exec_lo, exec_lo, s0
	v_and_b32_e32 v4, 31, v0
	v_cmp_gt_u32_e32 vcc_lo, 32, v0
	s_delay_alu instid0(VALU_DEP_2)
	v_lshlrev_b32_e32 v1, 2, v4
	s_and_saveexec_b32 s0, vcc_lo
	s_cbranch_execz .LBB525_23
; %bb.22:
	v_mov_b32_e32 v2, 0
	ds_store_b32 v1, v2
.LBB525_23:
	s_or_b32 exec_lo, exec_lo, s0
	v_mbcnt_lo_u32_b32 v5, -1, 0
	s_mov_b32 s2, exec_lo
	s_waitcnt lgkmcnt(0)
	s_barrier
	buffer_gl0_inv
	v_cmp_gt_u32_e64 s0, 16, v5
	s_delay_alu instid0(VALU_DEP_1) | instskip(SKIP_1) | instid1(VALU_DEP_2)
	v_cndmask_b32_e64 v2, 0, 1, s0
	v_cmp_gt_u32_e64 s0, 24, v5
	v_lshlrev_b32_e32 v2, 4, v2
	s_delay_alu instid0(VALU_DEP_2) | instskip(SKIP_1) | instid1(VALU_DEP_3)
	v_cndmask_b32_e64 v3, 0, 1, s0
	v_cmp_gt_u32_e64 s0, 28, v5
	v_add_lshl_u32 v2, v2, v5, 2
	ds_bpermute_b32 v2, v2, v7
	s_waitcnt lgkmcnt(0)
	v_dual_add_f32 v6, v7, v2 :: v_dual_lshlrev_b32 v3, 3, v3
	s_delay_alu instid0(VALU_DEP_1) | instskip(SKIP_4) | instid1(VALU_DEP_1)
	v_add_lshl_u32 v3, v3, v5, 2
	v_cndmask_b32_e64 v2, 0, 1, s0
	v_cmp_gt_u32_e64 s0, 30, v5
	ds_bpermute_b32 v3, v3, v6
	v_lshlrev_b32_e32 v2, 2, v2
	v_add_lshl_u32 v2, v2, v5, 2
	s_waitcnt lgkmcnt(0)
	v_add_f32_e32 v6, v6, v3
	v_cndmask_b32_e64 v3, 0, 1, s0
	v_cmp_ne_u32_e64 s0, 31, v5
	s_delay_alu instid0(VALU_DEP_2) | instskip(NEXT) | instid1(VALU_DEP_1)
	v_lshlrev_b32_e32 v3, 1, v3
	v_add_lshl_u32 v3, v3, v5, 2
	s_delay_alu instid0(VALU_DEP_3) | instskip(NEXT) | instid1(VALU_DEP_1)
	v_add_co_ci_u32_e64 v5, s0, 0, v5, s0
	v_lshlrev_b32_e32 v5, 2, v5
	ds_bpermute_b32 v7, v2, v6
	s_waitcnt lgkmcnt(0)
	v_add_f32_e32 v6, v6, v7
	ds_bpermute_b32 v7, v3, v6
	s_waitcnt lgkmcnt(0)
	v_add_f32_e32 v6, v6, v7
	ds_bpermute_b32 v7, v5, v6
	v_cmpx_eq_u32_e32 0, v4
	s_cbranch_execz .LBB525_25
; %bb.24:
	v_lshrrev_b32_e32 v4, 3, v0
	s_waitcnt lgkmcnt(0)
	v_add_f32_e32 v6, v6, v7
	s_delay_alu instid0(VALU_DEP_2)
	v_and_b32_e32 v4, 28, v4
	ds_store_b32 v4, v6
.LBB525_25:
	s_or_b32 exec_lo, exec_lo, s2
	v_mov_b32_e32 v4, 0
	s_mov_b32 s2, exec_lo
	s_waitcnt lgkmcnt(0)
	s_barrier
	buffer_gl0_inv
	v_cmpx_gt_u32_e32 8, v0
	s_cbranch_execz .LBB525_27
; %bb.26:
	ds_load_b32 v4, v1
.LBB525_27:
	s_or_b32 exec_lo, exec_lo, s2
	s_and_saveexec_b32 s0, vcc_lo
	s_cbranch_execz .LBB525_29
; %bb.28:
	s_waitcnt lgkmcnt(0)
	ds_bpermute_b32 v1, v2, v4
	s_waitcnt lgkmcnt(0)
	v_add_f32_e32 v1, v4, v1
	ds_bpermute_b32 v2, v3, v1
	s_waitcnt lgkmcnt(0)
	v_add_f32_e32 v1, v1, v2
	;; [unrolled: 3-line block ×3, first 2 shown]
.LBB525_29:
	s_or_b32 exec_lo, exec_lo, s0
	s_delay_alu instid0(SALU_CYCLE_1)
	s_mov_b32 s0, exec_lo
                                        ; implicit-def: $vgpr1
                                        ; implicit-def: $sgpr16_sgpr17
	v_cmpx_eq_u32_e32 0, v0
	s_cbranch_execz .LBB525_33
; %bb.30:
	s_mul_i32 s2, s14, s5
	v_cmp_eq_f32_e64 s5, s15, 0
	s_mul_hi_u32 s3, s14, s4
	s_waitcnt lgkmcnt(0)
	v_mul_f32_e32 v1, s18, v4
	s_add_i32 s2, s3, s2
	s_mul_i32 s1, s1, s4
	s_and_b32 vcc_lo, exec_lo, s5
	s_add_i32 s17, s2, s1
	s_mul_i32 s16, s14, s4
	s_cbranch_vccnz .LBB525_32
; %bb.31:
	s_lshl_b64 s[2:3], s[16:17], 2
	s_delay_alu instid0(SALU_CYCLE_1)
	s_add_u32 s2, s19, s2
	s_addc_u32 s3, s20, s3
	s_load_b32 s1, s[2:3], 0x0
	s_waitcnt lgkmcnt(0)
	v_fmac_f32_e64 v1, s1, s15
.LBB525_32:
	s_or_b32 s21, s21, exec_lo
.LBB525_33:
	s_or_b32 exec_lo, exec_lo, s0
.LBB525_34:
	s_and_saveexec_b32 s0, s21
	s_cbranch_execz .LBB525_36
; %bb.35:
	s_lshl_b64 s[0:1], s[16:17], 2
	v_mov_b32_e32 v0, 0
	s_add_u32 s0, s19, s0
	s_addc_u32 s1, s20, s1
	global_store_b32 v0, v1, s[0:1]
.LBB525_36:
	s_nop 0
	s_sendmsg sendmsg(MSG_DEALLOC_VGPRS)
	s_endpgm
	.section	.rodata,"a",@progbits
	.p2align	6, 0x0
	.amdhsa_kernel _ZL32rocblas_gemvt_warp_reduce_kernelILb0ELi256ElPKDF16_fKPfEviiT3_lPKT2_lT1_lS7_lS8_lS4_lPT4_lS8_li
		.amdhsa_group_segment_fixed_size 128
		.amdhsa_private_segment_fixed_size 0
		.amdhsa_kernarg_size 140
		.amdhsa_user_sgpr_count 14
		.amdhsa_user_sgpr_dispatch_ptr 0
		.amdhsa_user_sgpr_queue_ptr 0
		.amdhsa_user_sgpr_kernarg_segment_ptr 1
		.amdhsa_user_sgpr_dispatch_id 0
		.amdhsa_user_sgpr_private_segment_size 0
		.amdhsa_wavefront_size32 1
		.amdhsa_uses_dynamic_stack 0
		.amdhsa_enable_private_segment 0
		.amdhsa_system_sgpr_workgroup_id_x 1
		.amdhsa_system_sgpr_workgroup_id_y 0
		.amdhsa_system_sgpr_workgroup_id_z 1
		.amdhsa_system_sgpr_workgroup_info 0
		.amdhsa_system_vgpr_workitem_id 0
		.amdhsa_next_free_vgpr 11
		.amdhsa_next_free_sgpr 26
		.amdhsa_reserve_vcc 1
		.amdhsa_float_round_mode_32 0
		.amdhsa_float_round_mode_16_64 0
		.amdhsa_float_denorm_mode_32 3
		.amdhsa_float_denorm_mode_16_64 3
		.amdhsa_dx10_clamp 1
		.amdhsa_ieee_mode 1
		.amdhsa_fp16_overflow 0
		.amdhsa_workgroup_processor_mode 1
		.amdhsa_memory_ordered 1
		.amdhsa_forward_progress 0
		.amdhsa_shared_vgpr_count 0
		.amdhsa_exception_fp_ieee_invalid_op 0
		.amdhsa_exception_fp_denorm_src 0
		.amdhsa_exception_fp_ieee_div_zero 0
		.amdhsa_exception_fp_ieee_overflow 0
		.amdhsa_exception_fp_ieee_underflow 0
		.amdhsa_exception_fp_ieee_inexact 0
		.amdhsa_exception_int_div_zero 0
	.end_amdhsa_kernel
	.section	.text._ZL32rocblas_gemvt_warp_reduce_kernelILb0ELi256ElPKDF16_fKPfEviiT3_lPKT2_lT1_lS7_lS8_lS4_lPT4_lS8_li,"axG",@progbits,_ZL32rocblas_gemvt_warp_reduce_kernelILb0ELi256ElPKDF16_fKPfEviiT3_lPKT2_lT1_lS7_lS8_lS4_lPT4_lS8_li,comdat
.Lfunc_end525:
	.size	_ZL32rocblas_gemvt_warp_reduce_kernelILb0ELi256ElPKDF16_fKPfEviiT3_lPKT2_lT1_lS7_lS8_lS4_lPT4_lS8_li, .Lfunc_end525-_ZL32rocblas_gemvt_warp_reduce_kernelILb0ELi256ElPKDF16_fKPfEviiT3_lPKT2_lT1_lS7_lS8_lS4_lPT4_lS8_li
                                        ; -- End function
	.section	.AMDGPU.csdata,"",@progbits
; Kernel info:
; codeLenInByte = 1544
; NumSgprs: 28
; NumVgprs: 11
; ScratchSize: 0
; MemoryBound: 0
; FloatMode: 240
; IeeeMode: 1
; LDSByteSize: 128 bytes/workgroup (compile time only)
; SGPRBlocks: 3
; VGPRBlocks: 1
; NumSGPRsForWavesPerEU: 28
; NumVGPRsForWavesPerEU: 11
; Occupancy: 16
; WaveLimiterHint : 1
; COMPUTE_PGM_RSRC2:SCRATCH_EN: 0
; COMPUTE_PGM_RSRC2:USER_SGPR: 14
; COMPUTE_PGM_RSRC2:TRAP_HANDLER: 0
; COMPUTE_PGM_RSRC2:TGID_X_EN: 1
; COMPUTE_PGM_RSRC2:TGID_Y_EN: 0
; COMPUTE_PGM_RSRC2:TGID_Z_EN: 1
; COMPUTE_PGM_RSRC2:TIDIG_COMP_CNT: 0
	.section	.text._ZL20rocblas_gemvt_kernelILb0ELi256EPKDF16_PKfKPfEviiT2_lPKT1_lilS9_lilS6_lPT3_lili,"axG",@progbits,_ZL20rocblas_gemvt_kernelILb0ELi256EPKDF16_PKfKPfEviiT2_lPKT1_lilS9_lilS6_lPT3_lili,comdat
	.globl	_ZL20rocblas_gemvt_kernelILb0ELi256EPKDF16_PKfKPfEviiT2_lPKT1_lilS9_lilS6_lPT3_lili ; -- Begin function _ZL20rocblas_gemvt_kernelILb0ELi256EPKDF16_PKfKPfEviiT2_lPKT1_lilS9_lilS6_lPT3_lili
	.p2align	8
	.type	_ZL20rocblas_gemvt_kernelILb0ELi256EPKDF16_PKfKPfEviiT2_lPKT1_lilS9_lilS6_lPT3_lili,@function
_ZL20rocblas_gemvt_kernelILb0ELi256EPKDF16_PKfKPfEviiT2_lPKT1_lilS9_lilS6_lPT3_lili: ; @_ZL20rocblas_gemvt_kernelILb0ELi256EPKDF16_PKfKPfEviiT2_lPKT1_lilS9_lilS6_lPT3_lili
; %bb.0:
	s_clause 0x1
	s_load_b256 s[16:23], s[0:1], 0x8
	s_load_b256 s[4:11], s[0:1], 0x58
	s_waitcnt lgkmcnt(0)
	s_mul_i32 s3, s15, s19
	s_mul_hi_u32 s13, s15, s18
	s_mul_i32 s12, s15, s18
	s_add_i32 s13, s13, s3
	s_mul_i32 s3, s15, s7
	s_lshl_b64 s[12:13], s[12:13], 2
	s_mul_hi_u32 s7, s15, s6
	s_add_u32 s12, s16, s12
	s_addc_u32 s13, s17, s13
	s_add_i32 s7, s7, s3
	s_mul_i32 s6, s15, s6
	s_delay_alu instid0(SALU_CYCLE_1) | instskip(NEXT) | instid1(SALU_CYCLE_1)
	s_lshl_b64 s[6:7], s[6:7], 2
	s_add_u32 s4, s4, s6
	s_addc_u32 s5, s5, s7
	s_load_b32 s13, s[12:13], 0x0
	s_load_b32 s12, s[4:5], 0x0
	s_waitcnt lgkmcnt(0)
	v_cmp_eq_f32_e64 s16, s13, 0
	v_cmp_eq_f32_e64 s3, s12, 1.0
	s_delay_alu instid0(VALU_DEP_1) | instskip(NEXT) | instid1(SALU_CYCLE_1)
	s_and_b32 s3, s16, s3
	s_and_b32 vcc_lo, exec_lo, s3
	s_mov_b32 s3, 0
	s_cbranch_vccnz .LBB526_40
; %bb.1:
	s_mov_b32 s2, s15
	v_cmp_neq_f32_e64 s15, s13, 0
	s_mov_b64 s[4:5], 0
	s_and_b32 vcc_lo, exec_lo, s16
	s_mov_b64 s[6:7], 0
	s_cbranch_vccnz .LBB526_3
; %bb.2:
	s_lshl_b64 s[6:7], s[2:3], 3
	s_delay_alu instid0(SALU_CYCLE_1)
	s_add_u32 s6, s20, s6
	s_addc_u32 s7, s21, s7
	s_lshl_b64 s[18:19], s[22:23], 1
	s_load_b64 s[6:7], s[6:7], 0x0
	s_waitcnt lgkmcnt(0)
	s_add_u32 s6, s6, s18
	s_addc_u32 s7, s7, s19
.LBB526_3:
	s_and_not1_b32 vcc_lo, exec_lo, s15
	s_cbranch_vccnz .LBB526_5
; %bb.4:
	s_load_b128 s[20:23], s[0:1], 0x38
	s_lshl_b64 s[4:5], s[2:3], 3
	s_waitcnt lgkmcnt(0)
	s_add_u32 s4, s20, s4
	s_addc_u32 s5, s21, s5
	s_lshl_b64 s[18:19], s[22:23], 1
	s_load_b64 s[4:5], s[4:5], 0x0
	s_waitcnt lgkmcnt(0)
	s_add_u32 s4, s4, s18
	s_addc_u32 s5, s5, s19
.LBB526_5:
	s_lshl_b64 s[2:3], s[2:3], 3
	s_delay_alu instid0(SALU_CYCLE_1)
	s_add_u32 s2, s8, s2
	s_addc_u32 s3, s9, s3
	s_lshl_b64 s[10:11], s[10:11], 2
	s_load_b64 s[8:9], s[2:3], 0x0
	s_load_b32 s15, s[0:1], 0x78
	v_cmp_eq_u32_e64 s2, 0, v0
	s_waitcnt lgkmcnt(0)
	s_add_u32 s10, s8, s10
	s_addc_u32 s11, s9, s11
	s_and_not1_b32 vcc_lo, exec_lo, s16
	s_cbranch_vccnz .LBB526_10
; %bb.6:
	s_mov_b32 s3, 0
	s_mov_b32 s16, 0
                                        ; implicit-def: $vgpr1
                                        ; implicit-def: $sgpr8_sgpr9
	s_and_saveexec_b32 s17, s2
	s_cbranch_execz .LBB526_11
; %bb.7:
	v_cmp_eq_f32_e64 s2, s12, 0
	v_mov_b32_e32 v1, 0
	s_mul_hi_i32 s9, s15, s14
	s_mul_i32 s8, s15, s14
	s_delay_alu instid0(VALU_DEP_2)
	s_and_b32 vcc_lo, exec_lo, s2
	s_cbranch_vccnz .LBB526_9
; %bb.8:
	s_lshl_b64 s[18:19], s[8:9], 2
	s_delay_alu instid0(SALU_CYCLE_1)
	s_add_u32 s18, s10, s18
	s_addc_u32 s19, s11, s19
	s_load_b32 s2, s[18:19], 0x0
	s_waitcnt lgkmcnt(0)
	v_mul_f32_e64 v1, s12, s2
.LBB526_9:
	s_mov_b32 s16, exec_lo
	s_or_b32 exec_lo, exec_lo, s17
	s_delay_alu instid0(SALU_CYCLE_1)
	s_and_b32 vcc_lo, exec_lo, s3
	s_cbranch_vccnz .LBB526_12
	s_branch .LBB526_38
.LBB526_10:
	s_mov_b32 s16, 0
                                        ; implicit-def: $vgpr1
                                        ; implicit-def: $sgpr8_sgpr9
	s_cbranch_execnz .LBB526_12
	s_branch .LBB526_38
.LBB526_11:
	s_or_b32 exec_lo, exec_lo, s17
	s_delay_alu instid0(SALU_CYCLE_1)
	s_and_b32 vcc_lo, exec_lo, s3
	s_cbranch_vccz .LBB526_38
.LBB526_12:
	s_clause 0x2
	s_load_b32 s2, s[0:1], 0x28
	s_load_b32 s3, s[0:1], 0x0
	;; [unrolled: 1-line block ×3, first 2 shown]
	v_mov_b32_e32 v7, 0
	s_waitcnt lgkmcnt(0)
	s_mul_hi_i32 s9, s2, s14
	v_cmp_gt_i32_e32 vcc_lo, s3, v0
	s_mul_i32 s8, s2, s14
	s_delay_alu instid0(SALU_CYCLE_1) | instskip(NEXT) | instid1(SALU_CYCLE_1)
	s_lshl_b64 s[8:9], s[8:9], 1
	s_add_u32 s1, s8, s6
	v_cndmask_b32_e32 v1, 0, v0, vcc_lo
	s_addc_u32 s2, s9, s7
	s_ashr_i32 s6, s3, 31
	s_mov_b32 s8, 0
	s_lshr_b32 s6, s6, 24
	v_lshlrev_b32_e32 v1, 1, v1
	s_add_i32 s6, s3, s6
	s_delay_alu instid0(VALU_DEP_1) | instskip(NEXT) | instid1(VALU_DEP_1)
	v_add_co_u32 v1, s1, s1, v1
	v_add_co_ci_u32_e64 v2, null, s2, 0, s1
	s_and_b32 s2, s6, 0xffffff00
	s_cmpk_lt_i32 s3, 0x100
	s_cbranch_scc1 .LBB526_15
; %bb.13:
	v_mad_i64_i32 v[3:4], null, s0, v0, 0
	v_dual_mov_b32 v7, 0 :: v_dual_mov_b32 v6, v2
	v_mov_b32_e32 v5, v1
	s_ashr_i32 s1, s0, 31
	s_delay_alu instid0(SALU_CYCLE_1) | instskip(NEXT) | instid1(VALU_DEP_3)
	s_lshl_b64 s[6:7], s[0:1], 9
	v_lshlrev_b64 v[3:4], 1, v[3:4]
	s_delay_alu instid0(VALU_DEP_1) | instskip(NEXT) | instid1(VALU_DEP_2)
	v_add_co_u32 v3, vcc_lo, s4, v3
	v_add_co_ci_u32_e32 v4, vcc_lo, s5, v4, vcc_lo
	.p2align	6
.LBB526_14:                             ; =>This Inner Loop Header: Depth=1
	flat_load_u16 v8, v[5:6]
	flat_load_u16 v9, v[3:4]
	v_add_co_u32 v3, vcc_lo, v3, s6
	v_add_co_ci_u32_e32 v4, vcc_lo, s7, v4, vcc_lo
	v_add_co_u32 v5, vcc_lo, 0x200, v5
	v_add_co_ci_u32_e32 v6, vcc_lo, 0, v6, vcc_lo
	s_addk_i32 s8, 0x100
	s_delay_alu instid0(SALU_CYCLE_1) | instskip(SKIP_2) | instid1(VALU_DEP_1)
	s_cmp_ge_i32 s8, s2
	s_waitcnt vmcnt(0) lgkmcnt(0)
	v_mul_f16_e32 v8, v8, v9
	v_cvt_f32_f16_e32 v8, v8
	s_delay_alu instid0(VALU_DEP_1)
	v_add_f32_e32 v7, v7, v8
	s_cbranch_scc0 .LBB526_14
.LBB526_15:
	v_add_nc_u32_e32 v3, s2, v0
	s_mov_b32 s1, exec_lo
	s_delay_alu instid0(VALU_DEP_1)
	v_cmpx_gt_i32_e64 s3, v3
	s_cbranch_execz .LBB526_17
; %bb.16:
	v_mad_i64_i32 v[4:5], null, s0, v3, 0
	s_ashr_i32 s3, s2, 31
	s_delay_alu instid0(SALU_CYCLE_1) | instskip(NEXT) | instid1(SALU_CYCLE_1)
	s_lshl_b64 s[2:3], s[2:3], 1
	v_add_co_u32 v1, vcc_lo, v1, s2
	s_delay_alu instid0(VALU_DEP_2) | instskip(SKIP_1) | instid1(VALU_DEP_2)
	v_lshlrev_b64 v[3:4], 1, v[4:5]
	v_add_co_ci_u32_e32 v2, vcc_lo, s3, v2, vcc_lo
	v_add_co_u32 v3, vcc_lo, s4, v3
	s_delay_alu instid0(VALU_DEP_3) | instskip(SKIP_4) | instid1(VALU_DEP_1)
	v_add_co_ci_u32_e32 v4, vcc_lo, s5, v4, vcc_lo
	flat_load_u16 v1, v[1:2]
	flat_load_u16 v2, v[3:4]
	s_waitcnt vmcnt(0) lgkmcnt(0)
	v_mul_f16_e32 v1, v1, v2
	v_cvt_f32_f16_e32 v1, v1
	s_delay_alu instid0(VALU_DEP_1)
	v_add_f32_e32 v7, v7, v1
.LBB526_17:
	s_or_b32 exec_lo, exec_lo, s1
	v_lshlrev_b32_e32 v1, 2, v0
	s_mov_b32 s0, exec_lo
	ds_store_b32 v1, v7
	s_waitcnt lgkmcnt(0)
	s_barrier
	buffer_gl0_inv
	v_cmpx_gt_u32_e32 0x80, v0
	s_cbranch_execz .LBB526_19
; %bb.18:
	ds_load_2addr_stride64_b32 v[2:3], v1 offset1:2
	s_waitcnt lgkmcnt(0)
	v_add_f32_e32 v2, v3, v2
	ds_store_b32 v1, v2
.LBB526_19:
	s_or_b32 exec_lo, exec_lo, s0
	s_delay_alu instid0(SALU_CYCLE_1)
	s_mov_b32 s0, exec_lo
	s_waitcnt lgkmcnt(0)
	s_barrier
	buffer_gl0_inv
	v_cmpx_gt_u32_e32 64, v0
	s_cbranch_execz .LBB526_21
; %bb.20:
	ds_load_2addr_stride64_b32 v[2:3], v1 offset1:1
	s_waitcnt lgkmcnt(0)
	v_add_f32_e32 v2, v3, v2
	ds_store_b32 v1, v2
.LBB526_21:
	s_or_b32 exec_lo, exec_lo, s0
	s_delay_alu instid0(SALU_CYCLE_1)
	s_mov_b32 s0, exec_lo
	s_waitcnt lgkmcnt(0)
	s_barrier
	buffer_gl0_inv
	v_cmpx_gt_u32_e32 32, v0
	s_cbranch_execz .LBB526_23
; %bb.22:
	ds_load_2addr_b32 v[2:3], v1 offset1:32
	s_waitcnt lgkmcnt(0)
	v_add_f32_e32 v2, v3, v2
	ds_store_b32 v1, v2
.LBB526_23:
	s_or_b32 exec_lo, exec_lo, s0
	s_delay_alu instid0(SALU_CYCLE_1)
	s_mov_b32 s0, exec_lo
	s_waitcnt lgkmcnt(0)
	s_barrier
	buffer_gl0_inv
	v_cmpx_gt_u32_e32 16, v0
	s_cbranch_execz .LBB526_25
; %bb.24:
	ds_load_2addr_b32 v[2:3], v1 offset1:16
	s_waitcnt lgkmcnt(0)
	v_add_f32_e32 v2, v3, v2
	ds_store_b32 v1, v2
.LBB526_25:
	s_or_b32 exec_lo, exec_lo, s0
	s_delay_alu instid0(SALU_CYCLE_1)
	s_mov_b32 s0, exec_lo
	s_waitcnt lgkmcnt(0)
	s_barrier
	buffer_gl0_inv
	v_cmpx_gt_u32_e32 8, v0
	s_cbranch_execz .LBB526_27
; %bb.26:
	ds_load_2addr_b32 v[2:3], v1 offset1:8
	s_waitcnt lgkmcnt(0)
	v_add_f32_e32 v2, v3, v2
	ds_store_b32 v1, v2
.LBB526_27:
	s_or_b32 exec_lo, exec_lo, s0
	s_delay_alu instid0(SALU_CYCLE_1)
	s_mov_b32 s0, exec_lo
	s_waitcnt lgkmcnt(0)
	s_barrier
	buffer_gl0_inv
	v_cmpx_gt_u32_e32 4, v0
	s_cbranch_execz .LBB526_29
; %bb.28:
	ds_load_2addr_b32 v[2:3], v1 offset1:4
	s_waitcnt lgkmcnt(0)
	v_add_f32_e32 v2, v3, v2
	ds_store_b32 v1, v2
.LBB526_29:
	s_or_b32 exec_lo, exec_lo, s0
	s_delay_alu instid0(SALU_CYCLE_1)
	s_mov_b32 s0, exec_lo
	s_waitcnt lgkmcnt(0)
	s_barrier
	buffer_gl0_inv
	v_cmpx_gt_u32_e32 2, v0
	s_cbranch_execz .LBB526_31
; %bb.30:
	ds_load_2addr_b32 v[2:3], v1 offset1:2
	s_waitcnt lgkmcnt(0)
	v_add_f32_e32 v2, v3, v2
	ds_store_b32 v1, v2
.LBB526_31:
	s_or_b32 exec_lo, exec_lo, s0
	v_cmp_eq_u32_e32 vcc_lo, 0, v0
	s_waitcnt lgkmcnt(0)
	s_barrier
	buffer_gl0_inv
	s_and_saveexec_b32 s0, vcc_lo
	s_cbranch_execz .LBB526_33
; %bb.32:
	v_mov_b32_e32 v2, 0
	ds_load_b64 v[0:1], v2
	s_waitcnt lgkmcnt(0)
	v_add_f32_e32 v0, v1, v0
	ds_store_b32 v2, v0
.LBB526_33:
	s_or_b32 exec_lo, exec_lo, s0
	s_waitcnt lgkmcnt(0)
	s_barrier
	buffer_gl0_inv
                                        ; implicit-def: $vgpr1
                                        ; implicit-def: $sgpr8_sgpr9
	s_and_saveexec_b32 s0, vcc_lo
	s_cbranch_execz .LBB526_37
; %bb.34:
	v_mov_b32_e32 v0, 0
	v_cmp_eq_f32_e64 s1, s12, 0
	s_mul_hi_i32 s9, s15, s14
	s_mul_i32 s8, s15, s14
	ds_load_b32 v0, v0
	s_and_b32 vcc_lo, exec_lo, s1
	s_waitcnt lgkmcnt(0)
	v_mul_f32_e32 v1, s13, v0
	s_cbranch_vccnz .LBB526_36
; %bb.35:
	s_lshl_b64 s[2:3], s[8:9], 2
	s_delay_alu instid0(SALU_CYCLE_1)
	s_add_u32 s2, s10, s2
	s_addc_u32 s3, s11, s3
	s_load_b32 s1, s[2:3], 0x0
	s_waitcnt lgkmcnt(0)
	v_fmac_f32_e64 v1, s12, s1
.LBB526_36:
	s_or_b32 s16, s16, exec_lo
.LBB526_37:
	s_or_b32 exec_lo, exec_lo, s0
.LBB526_38:
	s_and_saveexec_b32 s0, s16
	s_cbranch_execz .LBB526_40
; %bb.39:
	s_lshl_b64 s[0:1], s[8:9], 2
	v_mov_b32_e32 v0, 0
	s_add_u32 s0, s10, s0
	s_addc_u32 s1, s11, s1
	global_store_b32 v0, v1, s[0:1]
.LBB526_40:
	s_nop 0
	s_sendmsg sendmsg(MSG_DEALLOC_VGPRS)
	s_endpgm
	.section	.rodata,"a",@progbits
	.p2align	6, 0x0
	.amdhsa_kernel _ZL20rocblas_gemvt_kernelILb0ELi256EPKDF16_PKfKPfEviiT2_lPKT1_lilS9_lilS6_lPT3_lili
		.amdhsa_group_segment_fixed_size 1024
		.amdhsa_private_segment_fixed_size 0
		.amdhsa_kernarg_size 140
		.amdhsa_user_sgpr_count 14
		.amdhsa_user_sgpr_dispatch_ptr 0
		.amdhsa_user_sgpr_queue_ptr 0
		.amdhsa_user_sgpr_kernarg_segment_ptr 1
		.amdhsa_user_sgpr_dispatch_id 0
		.amdhsa_user_sgpr_private_segment_size 0
		.amdhsa_wavefront_size32 1
		.amdhsa_uses_dynamic_stack 0
		.amdhsa_enable_private_segment 0
		.amdhsa_system_sgpr_workgroup_id_x 1
		.amdhsa_system_sgpr_workgroup_id_y 0
		.amdhsa_system_sgpr_workgroup_id_z 1
		.amdhsa_system_sgpr_workgroup_info 0
		.amdhsa_system_vgpr_workitem_id 0
		.amdhsa_next_free_vgpr 10
		.amdhsa_next_free_sgpr 24
		.amdhsa_reserve_vcc 1
		.amdhsa_float_round_mode_32 0
		.amdhsa_float_round_mode_16_64 0
		.amdhsa_float_denorm_mode_32 3
		.amdhsa_float_denorm_mode_16_64 3
		.amdhsa_dx10_clamp 1
		.amdhsa_ieee_mode 1
		.amdhsa_fp16_overflow 0
		.amdhsa_workgroup_processor_mode 1
		.amdhsa_memory_ordered 1
		.amdhsa_forward_progress 0
		.amdhsa_shared_vgpr_count 0
		.amdhsa_exception_fp_ieee_invalid_op 0
		.amdhsa_exception_fp_denorm_src 0
		.amdhsa_exception_fp_ieee_div_zero 0
		.amdhsa_exception_fp_ieee_overflow 0
		.amdhsa_exception_fp_ieee_underflow 0
		.amdhsa_exception_fp_ieee_inexact 0
		.amdhsa_exception_int_div_zero 0
	.end_amdhsa_kernel
	.section	.text._ZL20rocblas_gemvt_kernelILb0ELi256EPKDF16_PKfKPfEviiT2_lPKT1_lilS9_lilS6_lPT3_lili,"axG",@progbits,_ZL20rocblas_gemvt_kernelILb0ELi256EPKDF16_PKfKPfEviiT2_lPKT1_lilS9_lilS6_lPT3_lili,comdat
.Lfunc_end526:
	.size	_ZL20rocblas_gemvt_kernelILb0ELi256EPKDF16_PKfKPfEviiT2_lPKT1_lilS9_lilS6_lPT3_lili, .Lfunc_end526-_ZL20rocblas_gemvt_kernelILb0ELi256EPKDF16_PKfKPfEviiT2_lPKT1_lilS9_lilS6_lPT3_lili
                                        ; -- End function
	.section	.AMDGPU.csdata,"",@progbits
; Kernel info:
; codeLenInByte = 1496
; NumSgprs: 26
; NumVgprs: 10
; ScratchSize: 0
; MemoryBound: 0
; FloatMode: 240
; IeeeMode: 1
; LDSByteSize: 1024 bytes/workgroup (compile time only)
; SGPRBlocks: 3
; VGPRBlocks: 1
; NumSGPRsForWavesPerEU: 26
; NumVGPRsForWavesPerEU: 10
; Occupancy: 16
; WaveLimiterHint : 1
; COMPUTE_PGM_RSRC2:SCRATCH_EN: 0
; COMPUTE_PGM_RSRC2:USER_SGPR: 14
; COMPUTE_PGM_RSRC2:TRAP_HANDLER: 0
; COMPUTE_PGM_RSRC2:TGID_X_EN: 1
; COMPUTE_PGM_RSRC2:TGID_Y_EN: 0
; COMPUTE_PGM_RSRC2:TGID_Z_EN: 1
; COMPUTE_PGM_RSRC2:TIDIG_COMP_CNT: 0
	.section	.text._ZL20rocblas_gemvt_kernelILb0ELi256EPKDF16_fKPfEviiT2_lPKT1_lilS7_lilS4_lPT3_lili,"axG",@progbits,_ZL20rocblas_gemvt_kernelILb0ELi256EPKDF16_fKPfEviiT2_lPKT1_lilS7_lilS4_lPT3_lili,comdat
	.globl	_ZL20rocblas_gemvt_kernelILb0ELi256EPKDF16_fKPfEviiT2_lPKT1_lilS7_lilS4_lPT3_lili ; -- Begin function _ZL20rocblas_gemvt_kernelILb0ELi256EPKDF16_fKPfEviiT2_lPKT1_lilS7_lilS4_lPT3_lili
	.p2align	8
	.type	_ZL20rocblas_gemvt_kernelILb0ELi256EPKDF16_fKPfEviiT2_lPKT1_lilS7_lilS4_lPT3_lili,@function
_ZL20rocblas_gemvt_kernelILb0ELi256EPKDF16_fKPfEviiT2_lPKT1_lilS7_lilS4_lPT3_lili: ; @_ZL20rocblas_gemvt_kernelILb0ELi256EPKDF16_fKPfEviiT2_lPKT1_lilS7_lilS4_lPT3_lili
; %bb.0:
	s_clause 0x1
	s_load_b32 s11, s[0:1], 0x8
	s_load_b32 s10, s[0:1], 0x58
	s_waitcnt lgkmcnt(0)
	v_cmp_eq_f32_e64 s8, s11, 0
	v_cmp_eq_f32_e64 s3, s10, 1.0
	s_delay_alu instid0(VALU_DEP_1) | instskip(NEXT) | instid1(SALU_CYCLE_1)
	s_and_b32 s3, s8, s3
	s_and_b32 vcc_lo, exec_lo, s3
	s_cbranch_vccnz .LBB527_43
; %bb.1:
	v_cmp_neq_f32_e64 s4, s11, 0
	s_mov_b32 s2, s15
	s_delay_alu instid0(VALU_DEP_1)
	s_and_b32 vcc_lo, exec_lo, s4
	s_cbranch_vccnz .LBB527_3
; %bb.2:
	s_mov_b32 s3, 0
	s_mov_b64 s[6:7], 0
	s_cbranch_execz .LBB527_4
	s_branch .LBB527_5
.LBB527_3:
	s_mov_b32 s3, -1
                                        ; implicit-def: $sgpr6_sgpr7
.LBB527_4:
	s_load_b128 s[16:19], s[0:1], 0x18
	s_mov_b32 s3, 0
	s_delay_alu instid0(SALU_CYCLE_1)
	s_lshl_b64 s[6:7], s[2:3], 3
	s_waitcnt lgkmcnt(0)
	s_add_u32 s6, s16, s6
	s_addc_u32 s7, s17, s7
	s_lshl_b64 s[12:13], s[18:19], 1
	s_load_b64 s[6:7], s[6:7], 0x0
	s_waitcnt lgkmcnt(0)
	s_add_u32 s6, s6, s12
	s_addc_u32 s7, s7, s13
.LBB527_5:
	s_and_not1_b32 vcc_lo, exec_lo, s4
	s_cbranch_vccnz .LBB527_7
; %bb.6:
	s_load_b128 s[16:19], s[0:1], 0x38
	s_lshl_b64 s[4:5], s[2:3], 3
	s_waitcnt lgkmcnt(0)
	s_add_u32 s4, s16, s4
	s_addc_u32 s5, s17, s5
	s_lshl_b64 s[12:13], s[18:19], 1
	s_load_b64 s[4:5], s[4:5], 0x0
	s_waitcnt lgkmcnt(0)
	s_add_u32 s4, s4, s12
	s_addc_u32 s5, s5, s13
	s_branch .LBB527_8
.LBB527_7:
	s_mov_b64 s[4:5], 0
.LBB527_8:
	s_clause 0x1
	s_load_b128 s[16:19], s[0:1], 0x68
	s_load_b32 s15, s[0:1], 0x78
	s_lshl_b64 s[2:3], s[2:3], 3
	s_waitcnt lgkmcnt(0)
	s_add_u32 s2, s16, s2
	s_addc_u32 s3, s17, s3
	s_lshl_b64 s[16:17], s[18:19], 2
	s_load_b64 s[12:13], s[2:3], 0x0
	v_cmp_eq_u32_e64 s2, 0, v0
	s_waitcnt lgkmcnt(0)
	s_add_u32 s12, s12, s16
	s_addc_u32 s13, s13, s17
	s_and_not1_b32 vcc_lo, exec_lo, s8
	s_cbranch_vccnz .LBB527_13
; %bb.9:
	s_mov_b32 s3, 0
	s_mov_b32 s16, 0
                                        ; implicit-def: $vgpr1
                                        ; implicit-def: $sgpr8_sgpr9
	s_and_saveexec_b32 s17, s2
	s_cbranch_execz .LBB527_14
; %bb.10:
	v_cmp_eq_f32_e64 s2, s10, 0
	v_mov_b32_e32 v1, 0
	s_mul_hi_i32 s9, s15, s14
	s_mul_i32 s8, s15, s14
	s_delay_alu instid0(VALU_DEP_2)
	s_and_b32 vcc_lo, exec_lo, s2
	s_cbranch_vccnz .LBB527_12
; %bb.11:
	s_lshl_b64 s[18:19], s[8:9], 2
	s_delay_alu instid0(SALU_CYCLE_1)
	s_add_u32 s18, s12, s18
	s_addc_u32 s19, s13, s19
	s_load_b32 s2, s[18:19], 0x0
	s_waitcnt lgkmcnt(0)
	v_mul_f32_e64 v1, s2, s10
.LBB527_12:
	s_mov_b32 s16, exec_lo
	s_or_b32 exec_lo, exec_lo, s17
	s_delay_alu instid0(SALU_CYCLE_1)
	s_and_b32 vcc_lo, exec_lo, s3
	s_cbranch_vccnz .LBB527_15
	s_branch .LBB527_41
.LBB527_13:
	s_mov_b32 s16, 0
                                        ; implicit-def: $vgpr1
                                        ; implicit-def: $sgpr8_sgpr9
	s_cbranch_execnz .LBB527_15
	s_branch .LBB527_41
.LBB527_14:
	s_or_b32 exec_lo, exec_lo, s17
	s_delay_alu instid0(SALU_CYCLE_1)
	s_and_b32 vcc_lo, exec_lo, s3
	s_cbranch_vccz .LBB527_41
.LBB527_15:
	s_clause 0x2
	s_load_b32 s2, s[0:1], 0x28
	s_load_b32 s3, s[0:1], 0x0
	;; [unrolled: 1-line block ×3, first 2 shown]
	v_mov_b32_e32 v7, 0
	s_waitcnt lgkmcnt(0)
	s_mul_hi_i32 s9, s2, s14
	v_cmp_gt_i32_e32 vcc_lo, s3, v0
	s_mul_i32 s8, s2, s14
	s_delay_alu instid0(SALU_CYCLE_1) | instskip(NEXT) | instid1(SALU_CYCLE_1)
	s_lshl_b64 s[8:9], s[8:9], 1
	s_add_u32 s1, s8, s6
	v_cndmask_b32_e32 v1, 0, v0, vcc_lo
	s_addc_u32 s2, s9, s7
	s_ashr_i32 s6, s3, 31
	s_mov_b32 s8, 0
	s_lshr_b32 s6, s6, 24
	v_lshlrev_b32_e32 v1, 1, v1
	s_add_i32 s6, s3, s6
	s_delay_alu instid0(VALU_DEP_1) | instskip(NEXT) | instid1(VALU_DEP_1)
	v_add_co_u32 v1, s1, s1, v1
	v_add_co_ci_u32_e64 v2, null, s2, 0, s1
	s_and_b32 s2, s6, 0xffffff00
	s_cmpk_lt_i32 s3, 0x100
	s_cbranch_scc1 .LBB527_18
; %bb.16:
	v_mad_i64_i32 v[3:4], null, s0, v0, 0
	v_dual_mov_b32 v7, 0 :: v_dual_mov_b32 v6, v2
	v_mov_b32_e32 v5, v1
	s_ashr_i32 s1, s0, 31
	s_delay_alu instid0(SALU_CYCLE_1) | instskip(NEXT) | instid1(VALU_DEP_3)
	s_lshl_b64 s[6:7], s[0:1], 9
	v_lshlrev_b64 v[3:4], 1, v[3:4]
	s_delay_alu instid0(VALU_DEP_1) | instskip(NEXT) | instid1(VALU_DEP_2)
	v_add_co_u32 v3, vcc_lo, s4, v3
	v_add_co_ci_u32_e32 v4, vcc_lo, s5, v4, vcc_lo
	.p2align	6
.LBB527_17:                             ; =>This Inner Loop Header: Depth=1
	flat_load_u16 v8, v[5:6]
	flat_load_u16 v9, v[3:4]
	v_add_co_u32 v3, vcc_lo, v3, s6
	v_add_co_ci_u32_e32 v4, vcc_lo, s7, v4, vcc_lo
	v_add_co_u32 v5, vcc_lo, 0x200, v5
	v_add_co_ci_u32_e32 v6, vcc_lo, 0, v6, vcc_lo
	s_addk_i32 s8, 0x100
	s_delay_alu instid0(SALU_CYCLE_1) | instskip(SKIP_2) | instid1(VALU_DEP_1)
	s_cmp_ge_i32 s8, s2
	s_waitcnt vmcnt(0) lgkmcnt(0)
	v_mul_f16_e32 v8, v8, v9
	v_cvt_f32_f16_e32 v8, v8
	s_delay_alu instid0(VALU_DEP_1)
	v_add_f32_e32 v7, v7, v8
	s_cbranch_scc0 .LBB527_17
.LBB527_18:
	v_add_nc_u32_e32 v3, s2, v0
	s_mov_b32 s1, exec_lo
	s_delay_alu instid0(VALU_DEP_1)
	v_cmpx_gt_i32_e64 s3, v3
	s_cbranch_execz .LBB527_20
; %bb.19:
	v_mad_i64_i32 v[4:5], null, s0, v3, 0
	s_ashr_i32 s3, s2, 31
	s_delay_alu instid0(SALU_CYCLE_1) | instskip(NEXT) | instid1(SALU_CYCLE_1)
	s_lshl_b64 s[2:3], s[2:3], 1
	v_add_co_u32 v1, vcc_lo, v1, s2
	s_delay_alu instid0(VALU_DEP_2) | instskip(SKIP_1) | instid1(VALU_DEP_2)
	v_lshlrev_b64 v[3:4], 1, v[4:5]
	v_add_co_ci_u32_e32 v2, vcc_lo, s3, v2, vcc_lo
	v_add_co_u32 v3, vcc_lo, s4, v3
	s_delay_alu instid0(VALU_DEP_3) | instskip(SKIP_4) | instid1(VALU_DEP_1)
	v_add_co_ci_u32_e32 v4, vcc_lo, s5, v4, vcc_lo
	flat_load_u16 v1, v[1:2]
	flat_load_u16 v2, v[3:4]
	s_waitcnt vmcnt(0) lgkmcnt(0)
	v_mul_f16_e32 v1, v1, v2
	v_cvt_f32_f16_e32 v1, v1
	s_delay_alu instid0(VALU_DEP_1)
	v_add_f32_e32 v7, v7, v1
.LBB527_20:
	s_or_b32 exec_lo, exec_lo, s1
	v_lshlrev_b32_e32 v1, 2, v0
	s_mov_b32 s0, exec_lo
	ds_store_b32 v1, v7
	s_waitcnt lgkmcnt(0)
	s_barrier
	buffer_gl0_inv
	v_cmpx_gt_u32_e32 0x80, v0
	s_cbranch_execz .LBB527_22
; %bb.21:
	ds_load_2addr_stride64_b32 v[2:3], v1 offset1:2
	s_waitcnt lgkmcnt(0)
	v_add_f32_e32 v2, v3, v2
	ds_store_b32 v1, v2
.LBB527_22:
	s_or_b32 exec_lo, exec_lo, s0
	s_delay_alu instid0(SALU_CYCLE_1)
	s_mov_b32 s0, exec_lo
	s_waitcnt lgkmcnt(0)
	s_barrier
	buffer_gl0_inv
	v_cmpx_gt_u32_e32 64, v0
	s_cbranch_execz .LBB527_24
; %bb.23:
	ds_load_2addr_stride64_b32 v[2:3], v1 offset1:1
	s_waitcnt lgkmcnt(0)
	v_add_f32_e32 v2, v3, v2
	ds_store_b32 v1, v2
.LBB527_24:
	s_or_b32 exec_lo, exec_lo, s0
	s_delay_alu instid0(SALU_CYCLE_1)
	s_mov_b32 s0, exec_lo
	s_waitcnt lgkmcnt(0)
	s_barrier
	buffer_gl0_inv
	v_cmpx_gt_u32_e32 32, v0
	s_cbranch_execz .LBB527_26
; %bb.25:
	ds_load_2addr_b32 v[2:3], v1 offset1:32
	s_waitcnt lgkmcnt(0)
	v_add_f32_e32 v2, v3, v2
	ds_store_b32 v1, v2
.LBB527_26:
	s_or_b32 exec_lo, exec_lo, s0
	s_delay_alu instid0(SALU_CYCLE_1)
	s_mov_b32 s0, exec_lo
	s_waitcnt lgkmcnt(0)
	s_barrier
	buffer_gl0_inv
	v_cmpx_gt_u32_e32 16, v0
	s_cbranch_execz .LBB527_28
; %bb.27:
	ds_load_2addr_b32 v[2:3], v1 offset1:16
	s_waitcnt lgkmcnt(0)
	v_add_f32_e32 v2, v3, v2
	ds_store_b32 v1, v2
.LBB527_28:
	;; [unrolled: 14-line block ×5, first 2 shown]
	s_or_b32 exec_lo, exec_lo, s0
	v_cmp_eq_u32_e32 vcc_lo, 0, v0
	s_waitcnt lgkmcnt(0)
	s_barrier
	buffer_gl0_inv
	s_and_saveexec_b32 s0, vcc_lo
	s_cbranch_execz .LBB527_36
; %bb.35:
	v_mov_b32_e32 v2, 0
	ds_load_b64 v[0:1], v2
	s_waitcnt lgkmcnt(0)
	v_add_f32_e32 v0, v1, v0
	ds_store_b32 v2, v0
.LBB527_36:
	s_or_b32 exec_lo, exec_lo, s0
	s_waitcnt lgkmcnt(0)
	s_barrier
	buffer_gl0_inv
                                        ; implicit-def: $vgpr1
                                        ; implicit-def: $sgpr8_sgpr9
	s_and_saveexec_b32 s0, vcc_lo
	s_cbranch_execz .LBB527_40
; %bb.37:
	v_mov_b32_e32 v0, 0
	v_cmp_eq_f32_e64 s1, s10, 0
	s_mul_hi_i32 s9, s15, s14
	s_mul_i32 s8, s15, s14
	ds_load_b32 v0, v0
	s_and_b32 vcc_lo, exec_lo, s1
	s_waitcnt lgkmcnt(0)
	v_mul_f32_e32 v1, s11, v0
	s_cbranch_vccnz .LBB527_39
; %bb.38:
	s_lshl_b64 s[2:3], s[8:9], 2
	s_delay_alu instid0(SALU_CYCLE_1)
	s_add_u32 s2, s12, s2
	s_addc_u32 s3, s13, s3
	s_load_b32 s1, s[2:3], 0x0
	s_waitcnt lgkmcnt(0)
	v_fmac_f32_e64 v1, s1, s10
.LBB527_39:
	s_or_b32 s16, s16, exec_lo
.LBB527_40:
	s_or_b32 exec_lo, exec_lo, s0
.LBB527_41:
	s_and_saveexec_b32 s0, s16
	s_cbranch_execz .LBB527_43
; %bb.42:
	s_lshl_b64 s[0:1], s[8:9], 2
	v_mov_b32_e32 v0, 0
	s_add_u32 s0, s12, s0
	s_addc_u32 s1, s13, s1
	global_store_b32 v0, v1, s[0:1]
.LBB527_43:
	s_nop 0
	s_sendmsg sendmsg(MSG_DEALLOC_VGPRS)
	s_endpgm
	.section	.rodata,"a",@progbits
	.p2align	6, 0x0
	.amdhsa_kernel _ZL20rocblas_gemvt_kernelILb0ELi256EPKDF16_fKPfEviiT2_lPKT1_lilS7_lilS4_lPT3_lili
		.amdhsa_group_segment_fixed_size 1024
		.amdhsa_private_segment_fixed_size 0
		.amdhsa_kernarg_size 140
		.amdhsa_user_sgpr_count 14
		.amdhsa_user_sgpr_dispatch_ptr 0
		.amdhsa_user_sgpr_queue_ptr 0
		.amdhsa_user_sgpr_kernarg_segment_ptr 1
		.amdhsa_user_sgpr_dispatch_id 0
		.amdhsa_user_sgpr_private_segment_size 0
		.amdhsa_wavefront_size32 1
		.amdhsa_uses_dynamic_stack 0
		.amdhsa_enable_private_segment 0
		.amdhsa_system_sgpr_workgroup_id_x 1
		.amdhsa_system_sgpr_workgroup_id_y 0
		.amdhsa_system_sgpr_workgroup_id_z 1
		.amdhsa_system_sgpr_workgroup_info 0
		.amdhsa_system_vgpr_workitem_id 0
		.amdhsa_next_free_vgpr 10
		.amdhsa_next_free_sgpr 20
		.amdhsa_reserve_vcc 1
		.amdhsa_float_round_mode_32 0
		.amdhsa_float_round_mode_16_64 0
		.amdhsa_float_denorm_mode_32 3
		.amdhsa_float_denorm_mode_16_64 3
		.amdhsa_dx10_clamp 1
		.amdhsa_ieee_mode 1
		.amdhsa_fp16_overflow 0
		.amdhsa_workgroup_processor_mode 1
		.amdhsa_memory_ordered 1
		.amdhsa_forward_progress 0
		.amdhsa_shared_vgpr_count 0
		.amdhsa_exception_fp_ieee_invalid_op 0
		.amdhsa_exception_fp_denorm_src 0
		.amdhsa_exception_fp_ieee_div_zero 0
		.amdhsa_exception_fp_ieee_overflow 0
		.amdhsa_exception_fp_ieee_underflow 0
		.amdhsa_exception_fp_ieee_inexact 0
		.amdhsa_exception_int_div_zero 0
	.end_amdhsa_kernel
	.section	.text._ZL20rocblas_gemvt_kernelILb0ELi256EPKDF16_fKPfEviiT2_lPKT1_lilS7_lilS4_lPT3_lili,"axG",@progbits,_ZL20rocblas_gemvt_kernelILb0ELi256EPKDF16_fKPfEviiT2_lPKT1_lilS7_lilS4_lPT3_lili,comdat
.Lfunc_end527:
	.size	_ZL20rocblas_gemvt_kernelILb0ELi256EPKDF16_fKPfEviiT2_lPKT1_lilS7_lilS4_lPT3_lili, .Lfunc_end527-_ZL20rocblas_gemvt_kernelILb0ELi256EPKDF16_fKPfEviiT2_lPKT1_lilS7_lilS4_lPT3_lili
                                        ; -- End function
	.section	.AMDGPU.csdata,"",@progbits
; Kernel info:
; codeLenInByte = 1464
; NumSgprs: 22
; NumVgprs: 10
; ScratchSize: 0
; MemoryBound: 0
; FloatMode: 240
; IeeeMode: 1
; LDSByteSize: 1024 bytes/workgroup (compile time only)
; SGPRBlocks: 2
; VGPRBlocks: 1
; NumSGPRsForWavesPerEU: 22
; NumVGPRsForWavesPerEU: 10
; Occupancy: 16
; WaveLimiterHint : 1
; COMPUTE_PGM_RSRC2:SCRATCH_EN: 0
; COMPUTE_PGM_RSRC2:USER_SGPR: 14
; COMPUTE_PGM_RSRC2:TRAP_HANDLER: 0
; COMPUTE_PGM_RSRC2:TGID_X_EN: 1
; COMPUTE_PGM_RSRC2:TGID_Y_EN: 0
; COMPUTE_PGM_RSRC2:TGID_Z_EN: 1
; COMPUTE_PGM_RSRC2:TIDIG_COMP_CNT: 0
	.section	.text._ZL32rocblas_gemvt_warp_reduce_kernelILb0ELi1024EiPKDF16_PKfKPfEviiT3_lPKT2_lT1_lS9_lSA_lS6_lPT4_lSA_li,"axG",@progbits,_ZL32rocblas_gemvt_warp_reduce_kernelILb0ELi1024EiPKDF16_PKfKPfEviiT3_lPKT2_lT1_lS9_lSA_lS6_lPT4_lSA_li,comdat
	.globl	_ZL32rocblas_gemvt_warp_reduce_kernelILb0ELi1024EiPKDF16_PKfKPfEviiT3_lPKT2_lT1_lS9_lSA_lS6_lPT4_lSA_li ; -- Begin function _ZL32rocblas_gemvt_warp_reduce_kernelILb0ELi1024EiPKDF16_PKfKPfEviiT3_lPKT2_lT1_lS9_lSA_lS6_lPT4_lSA_li
	.p2align	8
	.type	_ZL32rocblas_gemvt_warp_reduce_kernelILb0ELi1024EiPKDF16_PKfKPfEviiT3_lPKT2_lT1_lS9_lSA_lS6_lPT4_lSA_li,@function
_ZL32rocblas_gemvt_warp_reduce_kernelILb0ELi1024EiPKDF16_PKfKPfEviiT3_lPKT2_lT1_lS9_lSA_lS6_lPT4_lSA_li: ; @_ZL32rocblas_gemvt_warp_reduce_kernelILb0ELi1024EiPKDF16_PKfKPfEviiT3_lPKT2_lT1_lS9_lSA_lS6_lPT4_lSA_li
; %bb.0:
	s_clause 0x1
	s_load_b256 s[16:23], s[0:1], 0x8
	s_load_b256 s[4:11], s[0:1], 0x58
	s_mov_b32 s2, s15
	s_waitcnt lgkmcnt(0)
	s_mul_i32 s3, s15, s19
	s_mul_hi_u32 s13, s15, s18
	s_mul_i32 s12, s15, s18
	s_add_i32 s13, s13, s3
	s_mul_i32 s3, s15, s7
	s_lshl_b64 s[12:13], s[12:13], 2
	s_mul_hi_u32 s7, s15, s6
	s_add_u32 s12, s16, s12
	s_addc_u32 s13, s17, s13
	s_add_i32 s7, s7, s3
	s_mul_i32 s6, s15, s6
	s_delay_alu instid0(SALU_CYCLE_1) | instskip(NEXT) | instid1(SALU_CYCLE_1)
	s_lshl_b64 s[6:7], s[6:7], 2
	s_add_u32 s4, s4, s6
	s_addc_u32 s5, s5, s7
	s_load_b32 s13, s[12:13], 0x0
	s_load_b32 s12, s[4:5], 0x0
	s_waitcnt lgkmcnt(0)
	v_cmp_eq_f32_e64 s15, s13, 0
	v_cmp_eq_f32_e64 s3, s12, 1.0
	s_delay_alu instid0(VALU_DEP_1) | instskip(NEXT) | instid1(SALU_CYCLE_1)
	s_and_b32 s3, s15, s3
	s_and_b32 vcc_lo, exec_lo, s3
	s_mov_b32 s3, 0
	s_cbranch_vccnz .LBB528_33
; %bb.1:
	v_cmp_neq_f32_e64 s16, s13, 0
	s_mov_b64 s[4:5], 0
	s_and_b32 vcc_lo, exec_lo, s15
	s_mov_b64 s[6:7], 0
	s_cbranch_vccnz .LBB528_3
; %bb.2:
	s_lshl_b64 s[6:7], s[2:3], 3
	s_delay_alu instid0(SALU_CYCLE_1)
	s_add_u32 s6, s20, s6
	s_addc_u32 s7, s21, s7
	s_lshl_b64 s[18:19], s[22:23], 1
	s_load_b64 s[6:7], s[6:7], 0x0
	s_waitcnt lgkmcnt(0)
	s_add_u32 s6, s6, s18
	s_addc_u32 s7, s7, s19
.LBB528_3:
	s_and_not1_b32 vcc_lo, exec_lo, s16
	s_cbranch_vccnz .LBB528_5
; %bb.4:
	s_load_b128 s[16:19], s[0:1], 0x38
	s_lshl_b64 s[4:5], s[2:3], 3
	s_waitcnt lgkmcnt(0)
	s_add_u32 s4, s16, s4
	s_addc_u32 s5, s17, s5
	s_lshl_b64 s[16:17], s[18:19], 1
	s_load_b64 s[4:5], s[4:5], 0x0
	s_waitcnt lgkmcnt(0)
	s_add_u32 s4, s4, s16
	s_addc_u32 s5, s5, s17
.LBB528_5:
	s_lshl_b64 s[2:3], s[2:3], 3
	s_delay_alu instid0(SALU_CYCLE_1)
	s_add_u32 s2, s8, s2
	s_addc_u32 s3, s9, s3
	s_lshl_b64 s[10:11], s[10:11], 2
	s_load_b64 s[8:9], s[2:3], 0x0
	s_load_b32 s16, s[0:1], 0x78
	v_cmp_eq_u32_e64 s2, 0, v0
	s_waitcnt lgkmcnt(0)
	s_add_u32 s10, s8, s10
	s_addc_u32 s11, s9, s11
	s_and_not1_b32 vcc_lo, exec_lo, s15
	s_cbranch_vccnz .LBB528_10
; %bb.6:
	s_mov_b32 s3, 0
	s_mov_b32 s15, 0
                                        ; implicit-def: $vgpr1
                                        ; implicit-def: $sgpr8_sgpr9
	s_and_saveexec_b32 s17, s2
	s_cbranch_execz .LBB528_11
; %bb.7:
	v_cmp_eq_f32_e64 s2, s12, 0
	v_mov_b32_e32 v1, 0
	s_mul_i32 s8, s14, s16
	s_delay_alu instid0(SALU_CYCLE_1) | instskip(NEXT) | instid1(VALU_DEP_2)
	s_ashr_i32 s9, s8, 31
	s_and_b32 vcc_lo, exec_lo, s2
	s_cbranch_vccnz .LBB528_9
; %bb.8:
	s_lshl_b64 s[18:19], s[8:9], 2
	s_delay_alu instid0(SALU_CYCLE_1)
	s_add_u32 s18, s10, s18
	s_addc_u32 s19, s11, s19
	s_load_b32 s2, s[18:19], 0x0
	s_waitcnt lgkmcnt(0)
	v_mul_f32_e64 v1, s12, s2
.LBB528_9:
	s_mov_b32 s15, exec_lo
	s_or_b32 exec_lo, exec_lo, s17
	s_delay_alu instid0(SALU_CYCLE_1)
	s_and_b32 vcc_lo, exec_lo, s3
	s_cbranch_vccnz .LBB528_12
	s_branch .LBB528_31
.LBB528_10:
	s_mov_b32 s15, 0
                                        ; implicit-def: $vgpr1
                                        ; implicit-def: $sgpr8_sgpr9
	s_cbranch_execnz .LBB528_12
	s_branch .LBB528_31
.LBB528_11:
	s_or_b32 exec_lo, exec_lo, s17
	s_delay_alu instid0(SALU_CYCLE_1)
	s_and_b32 vcc_lo, exec_lo, s3
	s_cbranch_vccz .LBB528_31
.LBB528_12:
	s_clause 0x2
	s_load_b32 s2, s[0:1], 0x28
	s_load_b32 s3, s[0:1], 0x0
	;; [unrolled: 1-line block ×3, first 2 shown]
	v_mov_b32_e32 v7, 0
	s_waitcnt lgkmcnt(0)
	s_mul_i32 s8, s14, s2
	v_cmp_gt_i32_e32 vcc_lo, s3, v0
	s_ashr_i32 s9, s8, 31
	s_delay_alu instid0(SALU_CYCLE_1)
	s_lshl_b64 s[8:9], s[8:9], 1
	v_cndmask_b32_e32 v1, 0, v0, vcc_lo
	s_add_u32 s0, s8, s6
	s_addc_u32 s6, s9, s7
	s_ashr_i32 s2, s3, 31
	s_mov_b32 s7, 0
	v_lshlrev_b32_e32 v1, 1, v1
	s_lshr_b32 s2, s2, 22
	s_delay_alu instid0(SALU_CYCLE_1) | instskip(NEXT) | instid1(SALU_CYCLE_1)
	s_add_i32 s2, s3, s2
	s_and_b32 s2, s2, 0xfffffc00
	s_delay_alu instid0(VALU_DEP_1) | instskip(NEXT) | instid1(VALU_DEP_1)
	v_add_co_u32 v1, s0, s0, v1
	v_add_co_ci_u32_e64 v2, null, s6, 0, s0
	s_mov_b32 s6, exec_lo
	v_cmpx_gt_i32_e64 s2, v0
	s_cbranch_execz .LBB528_16
; %bb.13:
	v_mul_lo_u32 v3, v0, s1
	v_dual_mov_b32 v7, 0 :: v_dual_mov_b32 v6, v2
	v_dual_mov_b32 v5, v1 :: v_dual_mov_b32 v8, v0
	s_lshl_b32 s8, s1, 10
	.p2align	6
.LBB528_14:                             ; =>This Inner Loop Header: Depth=1
	s_delay_alu instid0(VALU_DEP_3) | instskip(NEXT) | instid1(VALU_DEP_2)
	v_ashrrev_i32_e32 v4, 31, v3
	v_add_nc_u32_e32 v8, 0x400, v8
	s_delay_alu instid0(VALU_DEP_2) | instskip(NEXT) | instid1(VALU_DEP_2)
	v_lshlrev_b64 v[9:10], 1, v[3:4]
	v_cmp_le_i32_e64 s0, s2, v8
	v_add_nc_u32_e32 v3, s8, v3
	s_delay_alu instid0(VALU_DEP_2) | instskip(NEXT) | instid1(VALU_DEP_3)
	s_or_b32 s7, s0, s7
	v_add_co_u32 v9, vcc_lo, s4, v9
	s_delay_alu instid0(VALU_DEP_4)
	v_add_co_ci_u32_e32 v10, vcc_lo, s5, v10, vcc_lo
	flat_load_u16 v4, v[5:6]
	flat_load_u16 v9, v[9:10]
	v_add_co_u32 v5, vcc_lo, 0x800, v5
	v_add_co_ci_u32_e32 v6, vcc_lo, 0, v6, vcc_lo
	s_waitcnt vmcnt(0) lgkmcnt(0)
	v_mul_f16_e32 v4, v4, v9
	s_delay_alu instid0(VALU_DEP_1) | instskip(NEXT) | instid1(VALU_DEP_1)
	v_cvt_f32_f16_e32 v4, v4
	v_add_f32_e32 v7, v7, v4
	s_and_not1_b32 exec_lo, exec_lo, s7
	s_cbranch_execnz .LBB528_14
; %bb.15:
	s_or_b32 exec_lo, exec_lo, s7
.LBB528_16:
	s_delay_alu instid0(SALU_CYCLE_1) | instskip(SKIP_2) | instid1(VALU_DEP_1)
	s_or_b32 exec_lo, exec_lo, s6
	v_or_b32_e32 v3, s2, v0
	s_mov_b32 s0, exec_lo
	v_cmpx_gt_i32_e64 s3, v3
	s_cbranch_execz .LBB528_18
; %bb.17:
	v_mul_lo_u32 v3, v3, s1
	s_ashr_i32 s3, s2, 31
	s_delay_alu instid0(SALU_CYCLE_1) | instskip(NEXT) | instid1(SALU_CYCLE_1)
	s_lshl_b64 s[2:3], s[2:3], 1
	v_add_co_u32 v1, vcc_lo, v1, s2
	v_add_co_ci_u32_e32 v2, vcc_lo, s3, v2, vcc_lo
	s_delay_alu instid0(VALU_DEP_3) | instskip(NEXT) | instid1(VALU_DEP_1)
	v_ashrrev_i32_e32 v4, 31, v3
	v_lshlrev_b64 v[3:4], 1, v[3:4]
	s_delay_alu instid0(VALU_DEP_1) | instskip(NEXT) | instid1(VALU_DEP_2)
	v_add_co_u32 v3, vcc_lo, s4, v3
	v_add_co_ci_u32_e32 v4, vcc_lo, s5, v4, vcc_lo
	flat_load_u16 v1, v[1:2]
	flat_load_u16 v2, v[3:4]
	s_waitcnt vmcnt(0) lgkmcnt(0)
	v_mul_f16_e32 v1, v1, v2
	s_delay_alu instid0(VALU_DEP_1) | instskip(NEXT) | instid1(VALU_DEP_1)
	v_cvt_f32_f16_e32 v1, v1
	v_add_f32_e32 v7, v7, v1
.LBB528_18:
	s_or_b32 exec_lo, exec_lo, s0
	v_and_b32_e32 v6, 31, v0
	v_cmp_gt_u32_e32 vcc_lo, 32, v0
	s_delay_alu instid0(VALU_DEP_2)
	v_lshlrev_b32_e32 v1, 2, v6
	s_and_saveexec_b32 s0, vcc_lo
	s_cbranch_execz .LBB528_20
; %bb.19:
	v_mov_b32_e32 v2, 0
	ds_store_b32 v1, v2
.LBB528_20:
	s_or_b32 exec_lo, exec_lo, s0
	v_mbcnt_lo_u32_b32 v8, -1, 0
	s_mov_b32 s1, exec_lo
	s_waitcnt lgkmcnt(0)
	s_barrier
	buffer_gl0_inv
	v_cmp_gt_u32_e64 s0, 16, v8
	s_delay_alu instid0(VALU_DEP_1) | instskip(SKIP_1) | instid1(VALU_DEP_2)
	v_cndmask_b32_e64 v2, 0, 1, s0
	v_cmp_gt_u32_e64 s0, 24, v8
	v_lshlrev_b32_e32 v2, 4, v2
	s_delay_alu instid0(VALU_DEP_2) | instskip(SKIP_1) | instid1(VALU_DEP_3)
	v_cndmask_b32_e64 v3, 0, 1, s0
	v_cmp_gt_u32_e64 s0, 28, v8
	v_add_lshl_u32 v2, v2, v8, 2
	s_delay_alu instid0(VALU_DEP_3)
	v_lshlrev_b32_e32 v3, 3, v3
	ds_bpermute_b32 v4, v2, v7
	v_add_lshl_u32 v3, v3, v8, 2
	s_waitcnt lgkmcnt(0)
	v_add_f32_e32 v5, v7, v4
	v_cndmask_b32_e64 v4, 0, 1, s0
	v_cmp_gt_u32_e64 s0, 30, v8
	ds_bpermute_b32 v7, v3, v5
	s_waitcnt lgkmcnt(0)
	v_dual_add_f32 v7, v5, v7 :: v_dual_lshlrev_b32 v4, 2, v4
	s_delay_alu instid0(VALU_DEP_1)
	v_add_lshl_u32 v4, v4, v8, 2
	v_cndmask_b32_e64 v5, 0, 1, s0
	v_cmp_ne_u32_e64 s0, 31, v8
	ds_bpermute_b32 v9, v4, v7
	v_lshlrev_b32_e32 v5, 1, v5
	v_add_co_ci_u32_e64 v10, s0, 0, v8, s0
	s_delay_alu instid0(VALU_DEP_2)
	v_add_lshl_u32 v5, v5, v8, 2
	s_waitcnt lgkmcnt(0)
	v_add_f32_e32 v7, v7, v9
	ds_bpermute_b32 v9, v5, v7
	s_waitcnt lgkmcnt(0)
	v_dual_add_f32 v8, v7, v9 :: v_dual_lshlrev_b32 v7, 2, v10
	ds_bpermute_b32 v9, v7, v8
	v_cmpx_eq_u32_e32 0, v6
	s_cbranch_execz .LBB528_22
; %bb.21:
	v_lshrrev_b32_e32 v6, 3, v0
	s_waitcnt lgkmcnt(0)
	v_add_f32_e32 v8, v8, v9
	s_delay_alu instid0(VALU_DEP_2)
	v_and_b32_e32 v6, 0x7c, v6
	ds_store_b32 v6, v8
.LBB528_22:
	s_or_b32 exec_lo, exec_lo, s1
	v_mov_b32_e32 v6, 0
	s_waitcnt lgkmcnt(0)
	s_barrier
	buffer_gl0_inv
	s_and_saveexec_b32 s0, vcc_lo
	s_cbranch_execz .LBB528_24
; %bb.23:
	ds_load_b32 v6, v1
.LBB528_24:
	s_or_b32 exec_lo, exec_lo, s0
	s_and_saveexec_b32 s0, vcc_lo
	s_cbranch_execz .LBB528_26
; %bb.25:
	s_waitcnt lgkmcnt(0)
	ds_bpermute_b32 v1, v2, v6
	s_waitcnt lgkmcnt(0)
	v_add_f32_e32 v1, v6, v1
	ds_bpermute_b32 v2, v3, v1
	s_waitcnt lgkmcnt(0)
	v_add_f32_e32 v1, v1, v2
	;; [unrolled: 3-line block ×5, first 2 shown]
.LBB528_26:
	s_or_b32 exec_lo, exec_lo, s0
	s_delay_alu instid0(SALU_CYCLE_1)
	s_mov_b32 s0, exec_lo
                                        ; implicit-def: $vgpr1
                                        ; implicit-def: $sgpr8_sgpr9
	v_cmpx_eq_u32_e32 0, v0
	s_cbranch_execz .LBB528_30
; %bb.27:
	v_cmp_eq_f32_e64 s1, s12, 0
	s_waitcnt lgkmcnt(0)
	v_mul_f32_e32 v1, s13, v6
	s_mul_i32 s8, s14, s16
	s_delay_alu instid0(SALU_CYCLE_1)
	s_ashr_i32 s9, s8, 31
	s_and_b32 vcc_lo, exec_lo, s1
	s_cbranch_vccnz .LBB528_29
; %bb.28:
	s_lshl_b64 s[2:3], s[8:9], 2
	s_delay_alu instid0(SALU_CYCLE_1)
	s_add_u32 s2, s10, s2
	s_addc_u32 s3, s11, s3
	s_load_b32 s1, s[2:3], 0x0
	s_waitcnt lgkmcnt(0)
	v_fmac_f32_e64 v1, s12, s1
.LBB528_29:
	s_or_b32 s15, s15, exec_lo
.LBB528_30:
	s_or_b32 exec_lo, exec_lo, s0
.LBB528_31:
	s_and_saveexec_b32 s0, s15
	s_cbranch_execz .LBB528_33
; %bb.32:
	s_lshl_b64 s[0:1], s[8:9], 2
	v_mov_b32_e32 v0, 0
	s_add_u32 s0, s10, s0
	s_addc_u32 s1, s11, s1
	global_store_b32 v0, v1, s[0:1]
.LBB528_33:
	s_nop 0
	s_sendmsg sendmsg(MSG_DEALLOC_VGPRS)
	s_endpgm
	.section	.rodata,"a",@progbits
	.p2align	6, 0x0
	.amdhsa_kernel _ZL32rocblas_gemvt_warp_reduce_kernelILb0ELi1024EiPKDF16_PKfKPfEviiT3_lPKT2_lT1_lS9_lSA_lS6_lPT4_lSA_li
		.amdhsa_group_segment_fixed_size 128
		.amdhsa_private_segment_fixed_size 0
		.amdhsa_kernarg_size 140
		.amdhsa_user_sgpr_count 14
		.amdhsa_user_sgpr_dispatch_ptr 0
		.amdhsa_user_sgpr_queue_ptr 0
		.amdhsa_user_sgpr_kernarg_segment_ptr 1
		.amdhsa_user_sgpr_dispatch_id 0
		.amdhsa_user_sgpr_private_segment_size 0
		.amdhsa_wavefront_size32 1
		.amdhsa_uses_dynamic_stack 0
		.amdhsa_enable_private_segment 0
		.amdhsa_system_sgpr_workgroup_id_x 1
		.amdhsa_system_sgpr_workgroup_id_y 0
		.amdhsa_system_sgpr_workgroup_id_z 1
		.amdhsa_system_sgpr_workgroup_info 0
		.amdhsa_system_vgpr_workitem_id 0
		.amdhsa_next_free_vgpr 11
		.amdhsa_next_free_sgpr 24
		.amdhsa_reserve_vcc 1
		.amdhsa_float_round_mode_32 0
		.amdhsa_float_round_mode_16_64 0
		.amdhsa_float_denorm_mode_32 3
		.amdhsa_float_denorm_mode_16_64 3
		.amdhsa_dx10_clamp 1
		.amdhsa_ieee_mode 1
		.amdhsa_fp16_overflow 0
		.amdhsa_workgroup_processor_mode 1
		.amdhsa_memory_ordered 1
		.amdhsa_forward_progress 0
		.amdhsa_shared_vgpr_count 0
		.amdhsa_exception_fp_ieee_invalid_op 0
		.amdhsa_exception_fp_denorm_src 0
		.amdhsa_exception_fp_ieee_div_zero 0
		.amdhsa_exception_fp_ieee_overflow 0
		.amdhsa_exception_fp_ieee_underflow 0
		.amdhsa_exception_fp_ieee_inexact 0
		.amdhsa_exception_int_div_zero 0
	.end_amdhsa_kernel
	.section	.text._ZL32rocblas_gemvt_warp_reduce_kernelILb0ELi1024EiPKDF16_PKfKPfEviiT3_lPKT2_lT1_lS9_lSA_lS6_lPT4_lSA_li,"axG",@progbits,_ZL32rocblas_gemvt_warp_reduce_kernelILb0ELi1024EiPKDF16_PKfKPfEviiT3_lPKT2_lT1_lS9_lSA_lS6_lPT4_lSA_li,comdat
.Lfunc_end528:
	.size	_ZL32rocblas_gemvt_warp_reduce_kernelILb0ELi1024EiPKDF16_PKfKPfEviiT3_lPKT2_lT1_lS9_lSA_lS6_lPT4_lSA_li, .Lfunc_end528-_ZL32rocblas_gemvt_warp_reduce_kernelILb0ELi1024EiPKDF16_PKfKPfEviiT3_lPKT2_lT1_lS9_lSA_lS6_lPT4_lSA_li
                                        ; -- End function
	.section	.AMDGPU.csdata,"",@progbits
; Kernel info:
; codeLenInByte = 1500
; NumSgprs: 26
; NumVgprs: 11
; ScratchSize: 0
; MemoryBound: 0
; FloatMode: 240
; IeeeMode: 1
; LDSByteSize: 128 bytes/workgroup (compile time only)
; SGPRBlocks: 3
; VGPRBlocks: 1
; NumSGPRsForWavesPerEU: 26
; NumVGPRsForWavesPerEU: 11
; Occupancy: 16
; WaveLimiterHint : 1
; COMPUTE_PGM_RSRC2:SCRATCH_EN: 0
; COMPUTE_PGM_RSRC2:USER_SGPR: 14
; COMPUTE_PGM_RSRC2:TRAP_HANDLER: 0
; COMPUTE_PGM_RSRC2:TGID_X_EN: 1
; COMPUTE_PGM_RSRC2:TGID_Y_EN: 0
; COMPUTE_PGM_RSRC2:TGID_Z_EN: 1
; COMPUTE_PGM_RSRC2:TIDIG_COMP_CNT: 0
	.section	.text._ZL32rocblas_gemvt_warp_reduce_kernelILb0ELi1024ElPKDF16_PKfKPfEviiT3_lPKT2_lT1_lS9_lSA_lS6_lPT4_lSA_li,"axG",@progbits,_ZL32rocblas_gemvt_warp_reduce_kernelILb0ELi1024ElPKDF16_PKfKPfEviiT3_lPKT2_lT1_lS9_lSA_lS6_lPT4_lSA_li,comdat
	.globl	_ZL32rocblas_gemvt_warp_reduce_kernelILb0ELi1024ElPKDF16_PKfKPfEviiT3_lPKT2_lT1_lS9_lSA_lS6_lPT4_lSA_li ; -- Begin function _ZL32rocblas_gemvt_warp_reduce_kernelILb0ELi1024ElPKDF16_PKfKPfEviiT3_lPKT2_lT1_lS9_lSA_lS6_lPT4_lSA_li
	.p2align	8
	.type	_ZL32rocblas_gemvt_warp_reduce_kernelILb0ELi1024ElPKDF16_PKfKPfEviiT3_lPKT2_lT1_lS9_lSA_lS6_lPT4_lSA_li,@function
_ZL32rocblas_gemvt_warp_reduce_kernelILb0ELi1024ElPKDF16_PKfKPfEviiT3_lPKT2_lT1_lS9_lSA_lS6_lPT4_lSA_li: ; @_ZL32rocblas_gemvt_warp_reduce_kernelILb0ELi1024ElPKDF16_PKfKPfEviiT3_lPKT2_lT1_lS9_lSA_lS6_lPT4_lSA_li
; %bb.0:
	s_clause 0x1
	s_load_b256 s[16:23], s[0:1], 0x8
	s_load_b256 s[4:11], s[0:1], 0x58
	s_mov_b32 s2, s15
	s_waitcnt lgkmcnt(0)
	s_mul_i32 s3, s15, s19
	s_mul_hi_u32 s13, s15, s18
	s_mul_i32 s12, s15, s18
	s_add_i32 s13, s13, s3
	s_mul_i32 s3, s15, s7
	s_lshl_b64 s[12:13], s[12:13], 2
	s_mul_hi_u32 s7, s15, s6
	s_add_u32 s12, s16, s12
	s_addc_u32 s13, s17, s13
	s_add_i32 s7, s7, s3
	s_mul_i32 s6, s15, s6
	s_delay_alu instid0(SALU_CYCLE_1) | instskip(NEXT) | instid1(SALU_CYCLE_1)
	s_lshl_b64 s[6:7], s[6:7], 2
	s_add_u32 s4, s4, s6
	s_addc_u32 s5, s5, s7
	s_load_b32 s28, s[12:13], 0x0
	s_load_b32 s15, s[4:5], 0x0
	s_waitcnt lgkmcnt(0)
	v_cmp_eq_f32_e64 s29, s28, 0
	v_cmp_eq_f32_e64 s3, s15, 1.0
	s_delay_alu instid0(VALU_DEP_1) | instskip(NEXT) | instid1(SALU_CYCLE_1)
	s_and_b32 s3, s29, s3
	s_and_b32 vcc_lo, exec_lo, s3
	s_mov_b32 s3, 0
	s_cbranch_vccnz .LBB529_33
; %bb.1:
	s_clause 0x1
	s_load_b64 s[24:25], s[0:1], 0x28
	s_load_b64 s[12:13], s[0:1], 0x78
	v_cmp_neq_f32_e64 s30, s28, 0
	s_mov_b64 s[16:17], 0
	s_and_b32 vcc_lo, exec_lo, s29
	s_mov_b64 s[26:27], 0
	s_cbranch_vccnz .LBB529_3
; %bb.2:
	s_lshl_b64 s[4:5], s[2:3], 3
	s_delay_alu instid0(SALU_CYCLE_1)
	s_add_u32 s4, s20, s4
	s_addc_u32 s5, s21, s5
	s_lshl_b64 s[6:7], s[22:23], 1
	s_load_b64 s[4:5], s[4:5], 0x0
	s_waitcnt lgkmcnt(0)
	s_add_u32 s26, s4, s6
	s_addc_u32 s27, s5, s7
.LBB529_3:
	s_clause 0x1
	s_load_b128 s[4:7], s[0:1], 0x38
	s_load_b64 s[18:19], s[0:1], 0x48
	s_and_not1_b32 vcc_lo, exec_lo, s30
	s_cbranch_vccnz .LBB529_5
; %bb.4:
	s_lshl_b64 s[16:17], s[2:3], 3
	s_waitcnt lgkmcnt(0)
	s_add_u32 s4, s4, s16
	s_addc_u32 s5, s5, s17
	s_lshl_b64 s[6:7], s[6:7], 1
	s_load_b64 s[4:5], s[4:5], 0x0
	s_waitcnt lgkmcnt(0)
	s_add_u32 s16, s4, s6
	s_addc_u32 s17, s5, s7
.LBB529_5:
	s_lshl_b64 s[2:3], s[2:3], 3
	s_delay_alu instid0(SALU_CYCLE_1)
	s_add_u32 s2, s8, s2
	s_addc_u32 s3, s9, s3
	s_waitcnt lgkmcnt(0)
	s_lshl_b64 s[6:7], s[10:11], 2
	s_load_b64 s[4:5], s[2:3], 0x0
	v_cmp_eq_u32_e64 s2, 0, v0
	s_waitcnt lgkmcnt(0)
	s_add_u32 s6, s4, s6
	s_addc_u32 s7, s5, s7
	s_and_not1_b32 vcc_lo, exec_lo, s29
	s_cbranch_vccnz .LBB529_10
; %bb.6:
	s_mov_b32 s3, 0
	s_mov_b32 s8, 0
                                        ; implicit-def: $vgpr1
                                        ; implicit-def: $sgpr4_sgpr5
	s_and_saveexec_b32 s9, s2
	s_cbranch_execz .LBB529_11
; %bb.7:
	v_cmp_eq_f32_e64 s2, s15, 0
	s_mul_i32 s4, s14, s13
	s_mul_hi_u32 s5, s14, s12
	s_ashr_i32 s8, s14, 31
	v_mov_b32_e32 v1, 0
	s_add_i32 s4, s5, s4
	s_mul_i32 s8, s8, s12
	s_and_b32 vcc_lo, exec_lo, s2
	s_add_i32 s5, s4, s8
	s_mul_i32 s4, s14, s12
	s_cbranch_vccnz .LBB529_9
; %bb.8:
	s_lshl_b64 s[10:11], s[4:5], 2
	s_delay_alu instid0(SALU_CYCLE_1)
	s_add_u32 s10, s6, s10
	s_addc_u32 s11, s7, s11
	s_load_b32 s2, s[10:11], 0x0
	s_waitcnt lgkmcnt(0)
	v_mul_f32_e64 v1, s15, s2
.LBB529_9:
	s_mov_b32 s8, exec_lo
	s_or_b32 exec_lo, exec_lo, s9
	s_delay_alu instid0(SALU_CYCLE_1)
	s_and_b32 vcc_lo, exec_lo, s3
	s_cbranch_vccnz .LBB529_12
	s_branch .LBB529_31
.LBB529_10:
	s_mov_b32 s8, 0
                                        ; implicit-def: $vgpr1
                                        ; implicit-def: $sgpr4_sgpr5
	s_cbranch_execnz .LBB529_12
	s_branch .LBB529_31
.LBB529_11:
	s_or_b32 exec_lo, exec_lo, s9
	s_delay_alu instid0(SALU_CYCLE_1)
	s_and_b32 vcc_lo, exec_lo, s3
	s_cbranch_vccz .LBB529_31
.LBB529_12:
	s_load_b32 s3, s[0:1], 0x0
	s_mul_i32 s0, s14, s25
	s_mul_hi_u32 s2, s14, s24
	s_ashr_i32 s1, s14, 31
	s_add_i32 s0, s2, s0
	s_mul_i32 s2, s1, s24
	s_mul_i32 s4, s14, s24
	s_add_i32 s5, s0, s2
	v_mov_b32_e32 v7, 0
	s_lshl_b64 s[4:5], s[4:5], 1
	s_mov_b32 s10, 0
	s_add_u32 s0, s4, s26
	s_addc_u32 s4, s5, s27
	s_mov_b32 s9, exec_lo
	s_waitcnt lgkmcnt(0)
	v_cmp_gt_i32_e32 vcc_lo, s3, v0
	s_ashr_i32 s2, s3, 31
	s_delay_alu instid0(SALU_CYCLE_1) | instskip(NEXT) | instid1(SALU_CYCLE_1)
	s_lshr_b32 s2, s2, 22
	s_add_i32 s2, s3, s2
	v_cndmask_b32_e32 v1, 0, v0, vcc_lo
	s_and_b32 s2, s2, 0xfffffc00
	s_delay_alu instid0(VALU_DEP_1) | instskip(NEXT) | instid1(VALU_DEP_1)
	v_lshlrev_b32_e32 v1, 1, v1
	v_add_co_u32 v1, s0, s0, v1
	s_delay_alu instid0(VALU_DEP_1)
	v_add_co_ci_u32_e64 v2, null, s4, 0, s0
	v_cmpx_gt_i32_e64 s2, v0
	s_cbranch_execz .LBB529_16
; %bb.13:
	v_mad_u64_u32 v[3:4], null, s18, v0, 0
	v_mov_b32_e32 v8, v0
	s_lshl_b64 s[4:5], s[18:19], 11
	v_mov_b32_e32 v7, 0
	s_delay_alu instid0(VALU_DEP_3) | instskip(NEXT) | instid1(VALU_DEP_1)
	v_mad_u64_u32 v[5:6], null, s19, v0, v[4:5]
	v_mov_b32_e32 v4, v5
	s_delay_alu instid0(VALU_DEP_1) | instskip(SKIP_1) | instid1(VALU_DEP_2)
	v_lshlrev_b64 v[5:6], 1, v[3:4]
	v_dual_mov_b32 v4, v2 :: v_dual_mov_b32 v3, v1
	v_add_co_u32 v5, vcc_lo, s16, v5
	s_delay_alu instid0(VALU_DEP_3)
	v_add_co_ci_u32_e32 v6, vcc_lo, s17, v6, vcc_lo
	.p2align	6
.LBB529_14:                             ; =>This Inner Loop Header: Depth=1
	flat_load_u16 v9, v[3:4]
	flat_load_u16 v10, v[5:6]
	v_add_co_u32 v3, vcc_lo, 0x800, v3
	v_add_co_ci_u32_e32 v4, vcc_lo, 0, v4, vcc_lo
	v_add_co_u32 v5, vcc_lo, v5, s4
	v_add_co_ci_u32_e32 v6, vcc_lo, s5, v6, vcc_lo
	s_waitcnt vmcnt(0) lgkmcnt(0)
	v_mul_f16_e32 v9, v9, v10
	s_delay_alu instid0(VALU_DEP_1) | instskip(NEXT) | instid1(VALU_DEP_1)
	v_cvt_f32_f16_e32 v9, v9
	v_dual_add_f32 v7, v7, v9 :: v_dual_add_nc_u32 v8, 0x400, v8
	s_delay_alu instid0(VALU_DEP_1) | instskip(NEXT) | instid1(VALU_DEP_1)
	v_cmp_le_i32_e64 s0, s2, v8
	s_or_b32 s10, s0, s10
	s_delay_alu instid0(SALU_CYCLE_1)
	s_and_not1_b32 exec_lo, exec_lo, s10
	s_cbranch_execnz .LBB529_14
; %bb.15:
	s_or_b32 exec_lo, exec_lo, s10
.LBB529_16:
	s_delay_alu instid0(SALU_CYCLE_1) | instskip(SKIP_2) | instid1(VALU_DEP_1)
	s_or_b32 exec_lo, exec_lo, s9
	v_or_b32_e32 v3, s2, v0
	s_mov_b32 s0, exec_lo
	v_cmpx_gt_i32_e64 s3, v3
	s_cbranch_execz .LBB529_18
; %bb.17:
	v_ashrrev_i32_e32 v6, 31, v3
	v_mul_lo_u32 v8, v3, s19
	v_mad_u64_u32 v[4:5], null, v3, s18, 0
	s_ashr_i32 s3, s2, 31
	s_delay_alu instid0(VALU_DEP_3) | instskip(SKIP_1) | instid1(SALU_CYCLE_1)
	v_mul_lo_u32 v3, v6, s18
	s_lshl_b64 s[2:3], s[2:3], 1
	v_add_co_u32 v1, vcc_lo, v1, s2
	v_add_co_ci_u32_e32 v2, vcc_lo, s3, v2, vcc_lo
	s_delay_alu instid0(VALU_DEP_3) | instskip(NEXT) | instid1(VALU_DEP_1)
	v_add3_u32 v5, v5, v8, v3
	v_lshlrev_b64 v[3:4], 1, v[4:5]
	s_delay_alu instid0(VALU_DEP_1) | instskip(NEXT) | instid1(VALU_DEP_2)
	v_add_co_u32 v3, vcc_lo, s16, v3
	v_add_co_ci_u32_e32 v4, vcc_lo, s17, v4, vcc_lo
	flat_load_u16 v1, v[1:2]
	flat_load_u16 v2, v[3:4]
	s_waitcnt vmcnt(0) lgkmcnt(0)
	v_mul_f16_e32 v1, v1, v2
	s_delay_alu instid0(VALU_DEP_1) | instskip(NEXT) | instid1(VALU_DEP_1)
	v_cvt_f32_f16_e32 v1, v1
	v_add_f32_e32 v7, v7, v1
.LBB529_18:
	s_or_b32 exec_lo, exec_lo, s0
	v_and_b32_e32 v6, 31, v0
	v_cmp_gt_u32_e32 vcc_lo, 32, v0
	s_delay_alu instid0(VALU_DEP_2)
	v_lshlrev_b32_e32 v1, 2, v6
	s_and_saveexec_b32 s0, vcc_lo
	s_cbranch_execz .LBB529_20
; %bb.19:
	v_mov_b32_e32 v2, 0
	ds_store_b32 v1, v2
.LBB529_20:
	s_or_b32 exec_lo, exec_lo, s0
	v_mbcnt_lo_u32_b32 v8, -1, 0
	s_mov_b32 s2, exec_lo
	s_waitcnt lgkmcnt(0)
	s_barrier
	buffer_gl0_inv
	v_cmp_gt_u32_e64 s0, 16, v8
	s_delay_alu instid0(VALU_DEP_1) | instskip(SKIP_1) | instid1(VALU_DEP_2)
	v_cndmask_b32_e64 v2, 0, 1, s0
	v_cmp_gt_u32_e64 s0, 24, v8
	v_lshlrev_b32_e32 v2, 4, v2
	s_delay_alu instid0(VALU_DEP_2) | instskip(SKIP_1) | instid1(VALU_DEP_3)
	v_cndmask_b32_e64 v3, 0, 1, s0
	v_cmp_gt_u32_e64 s0, 28, v8
	v_add_lshl_u32 v2, v2, v8, 2
	s_delay_alu instid0(VALU_DEP_3)
	v_lshlrev_b32_e32 v3, 3, v3
	ds_bpermute_b32 v4, v2, v7
	v_add_lshl_u32 v3, v3, v8, 2
	s_waitcnt lgkmcnt(0)
	v_add_f32_e32 v5, v7, v4
	v_cndmask_b32_e64 v4, 0, 1, s0
	v_cmp_gt_u32_e64 s0, 30, v8
	ds_bpermute_b32 v7, v3, v5
	s_waitcnt lgkmcnt(0)
	v_dual_add_f32 v7, v5, v7 :: v_dual_lshlrev_b32 v4, 2, v4
	s_delay_alu instid0(VALU_DEP_1)
	v_add_lshl_u32 v4, v4, v8, 2
	v_cndmask_b32_e64 v5, 0, 1, s0
	v_cmp_ne_u32_e64 s0, 31, v8
	ds_bpermute_b32 v9, v4, v7
	v_lshlrev_b32_e32 v5, 1, v5
	v_add_co_ci_u32_e64 v10, s0, 0, v8, s0
	s_delay_alu instid0(VALU_DEP_2)
	v_add_lshl_u32 v5, v5, v8, 2
	s_waitcnt lgkmcnt(0)
	v_add_f32_e32 v7, v7, v9
	ds_bpermute_b32 v9, v5, v7
	s_waitcnt lgkmcnt(0)
	v_dual_add_f32 v8, v7, v9 :: v_dual_lshlrev_b32 v7, 2, v10
	ds_bpermute_b32 v9, v7, v8
	v_cmpx_eq_u32_e32 0, v6
	s_cbranch_execz .LBB529_22
; %bb.21:
	v_lshrrev_b32_e32 v6, 3, v0
	s_waitcnt lgkmcnt(0)
	v_add_f32_e32 v8, v8, v9
	s_delay_alu instid0(VALU_DEP_2)
	v_and_b32_e32 v6, 0x7c, v6
	ds_store_b32 v6, v8
.LBB529_22:
	s_or_b32 exec_lo, exec_lo, s2
	v_mov_b32_e32 v6, 0
	s_waitcnt lgkmcnt(0)
	s_barrier
	buffer_gl0_inv
	s_and_saveexec_b32 s0, vcc_lo
	s_cbranch_execz .LBB529_24
; %bb.23:
	ds_load_b32 v6, v1
.LBB529_24:
	s_or_b32 exec_lo, exec_lo, s0
	s_and_saveexec_b32 s0, vcc_lo
	s_cbranch_execz .LBB529_26
; %bb.25:
	s_waitcnt lgkmcnt(0)
	ds_bpermute_b32 v1, v2, v6
	s_waitcnt lgkmcnt(0)
	v_add_f32_e32 v1, v6, v1
	ds_bpermute_b32 v2, v3, v1
	s_waitcnt lgkmcnt(0)
	v_add_f32_e32 v1, v1, v2
	;; [unrolled: 3-line block ×5, first 2 shown]
.LBB529_26:
	s_or_b32 exec_lo, exec_lo, s0
	s_delay_alu instid0(SALU_CYCLE_1)
	s_mov_b32 s0, exec_lo
                                        ; implicit-def: $vgpr1
                                        ; implicit-def: $sgpr4_sgpr5
	v_cmpx_eq_u32_e32 0, v0
	s_cbranch_execz .LBB529_30
; %bb.27:
	v_cmp_eq_f32_e64 s4, s15, 0
	s_mul_i32 s2, s14, s13
	s_mul_hi_u32 s3, s14, s12
	s_waitcnt lgkmcnt(0)
	v_mul_f32_e32 v1, s28, v6
	s_add_i32 s2, s3, s2
	s_mul_i32 s1, s1, s12
	s_and_b32 vcc_lo, exec_lo, s4
	s_add_i32 s5, s2, s1
	s_mul_i32 s4, s14, s12
	s_cbranch_vccnz .LBB529_29
; %bb.28:
	s_lshl_b64 s[2:3], s[4:5], 2
	s_delay_alu instid0(SALU_CYCLE_1)
	s_add_u32 s2, s6, s2
	s_addc_u32 s3, s7, s3
	s_load_b32 s1, s[2:3], 0x0
	s_waitcnt lgkmcnt(0)
	v_fmac_f32_e64 v1, s15, s1
.LBB529_29:
	s_or_b32 s8, s8, exec_lo
.LBB529_30:
	s_or_b32 exec_lo, exec_lo, s0
.LBB529_31:
	s_and_saveexec_b32 s0, s8
	s_cbranch_execz .LBB529_33
; %bb.32:
	s_lshl_b64 s[0:1], s[4:5], 2
	v_mov_b32_e32 v0, 0
	s_add_u32 s0, s6, s0
	s_addc_u32 s1, s7, s1
	global_store_b32 v0, v1, s[0:1]
.LBB529_33:
	s_nop 0
	s_sendmsg sendmsg(MSG_DEALLOC_VGPRS)
	s_endpgm
	.section	.rodata,"a",@progbits
	.p2align	6, 0x0
	.amdhsa_kernel _ZL32rocblas_gemvt_warp_reduce_kernelILb0ELi1024ElPKDF16_PKfKPfEviiT3_lPKT2_lT1_lS9_lSA_lS6_lPT4_lSA_li
		.amdhsa_group_segment_fixed_size 128
		.amdhsa_private_segment_fixed_size 0
		.amdhsa_kernarg_size 140
		.amdhsa_user_sgpr_count 14
		.amdhsa_user_sgpr_dispatch_ptr 0
		.amdhsa_user_sgpr_queue_ptr 0
		.amdhsa_user_sgpr_kernarg_segment_ptr 1
		.amdhsa_user_sgpr_dispatch_id 0
		.amdhsa_user_sgpr_private_segment_size 0
		.amdhsa_wavefront_size32 1
		.amdhsa_uses_dynamic_stack 0
		.amdhsa_enable_private_segment 0
		.amdhsa_system_sgpr_workgroup_id_x 1
		.amdhsa_system_sgpr_workgroup_id_y 0
		.amdhsa_system_sgpr_workgroup_id_z 1
		.amdhsa_system_sgpr_workgroup_info 0
		.amdhsa_system_vgpr_workitem_id 0
		.amdhsa_next_free_vgpr 11
		.amdhsa_next_free_sgpr 31
		.amdhsa_reserve_vcc 1
		.amdhsa_float_round_mode_32 0
		.amdhsa_float_round_mode_16_64 0
		.amdhsa_float_denorm_mode_32 3
		.amdhsa_float_denorm_mode_16_64 3
		.amdhsa_dx10_clamp 1
		.amdhsa_ieee_mode 1
		.amdhsa_fp16_overflow 0
		.amdhsa_workgroup_processor_mode 1
		.amdhsa_memory_ordered 1
		.amdhsa_forward_progress 0
		.amdhsa_shared_vgpr_count 0
		.amdhsa_exception_fp_ieee_invalid_op 0
		.amdhsa_exception_fp_denorm_src 0
		.amdhsa_exception_fp_ieee_div_zero 0
		.amdhsa_exception_fp_ieee_overflow 0
		.amdhsa_exception_fp_ieee_underflow 0
		.amdhsa_exception_fp_ieee_inexact 0
		.amdhsa_exception_int_div_zero 0
	.end_amdhsa_kernel
	.section	.text._ZL32rocblas_gemvt_warp_reduce_kernelILb0ELi1024ElPKDF16_PKfKPfEviiT3_lPKT2_lT1_lS9_lSA_lS6_lPT4_lSA_li,"axG",@progbits,_ZL32rocblas_gemvt_warp_reduce_kernelILb0ELi1024ElPKDF16_PKfKPfEviiT3_lPKT2_lT1_lS9_lSA_lS6_lPT4_lSA_li,comdat
.Lfunc_end529:
	.size	_ZL32rocblas_gemvt_warp_reduce_kernelILb0ELi1024ElPKDF16_PKfKPfEviiT3_lPKT2_lT1_lS9_lSA_lS6_lPT4_lSA_li, .Lfunc_end529-_ZL32rocblas_gemvt_warp_reduce_kernelILb0ELi1024ElPKDF16_PKfKPfEviiT3_lPKT2_lT1_lS9_lSA_lS6_lPT4_lSA_li
                                        ; -- End function
	.section	.AMDGPU.csdata,"",@progbits
; Kernel info:
; codeLenInByte = 1600
; NumSgprs: 33
; NumVgprs: 11
; ScratchSize: 0
; MemoryBound: 0
; FloatMode: 240
; IeeeMode: 1
; LDSByteSize: 128 bytes/workgroup (compile time only)
; SGPRBlocks: 4
; VGPRBlocks: 1
; NumSGPRsForWavesPerEU: 33
; NumVGPRsForWavesPerEU: 11
; Occupancy: 16
; WaveLimiterHint : 1
; COMPUTE_PGM_RSRC2:SCRATCH_EN: 0
; COMPUTE_PGM_RSRC2:USER_SGPR: 14
; COMPUTE_PGM_RSRC2:TRAP_HANDLER: 0
; COMPUTE_PGM_RSRC2:TGID_X_EN: 1
; COMPUTE_PGM_RSRC2:TGID_Y_EN: 0
; COMPUTE_PGM_RSRC2:TGID_Z_EN: 1
; COMPUTE_PGM_RSRC2:TIDIG_COMP_CNT: 0
	.section	.text._ZL32rocblas_gemvt_warp_reduce_kernelILb0ELi1024EiPKDF16_fKPfEviiT3_lPKT2_lT1_lS7_lS8_lS4_lPT4_lS8_li,"axG",@progbits,_ZL32rocblas_gemvt_warp_reduce_kernelILb0ELi1024EiPKDF16_fKPfEviiT3_lPKT2_lT1_lS7_lS8_lS4_lPT4_lS8_li,comdat
	.globl	_ZL32rocblas_gemvt_warp_reduce_kernelILb0ELi1024EiPKDF16_fKPfEviiT3_lPKT2_lT1_lS7_lS8_lS4_lPT4_lS8_li ; -- Begin function _ZL32rocblas_gemvt_warp_reduce_kernelILb0ELi1024EiPKDF16_fKPfEviiT3_lPKT2_lT1_lS7_lS8_lS4_lPT4_lS8_li
	.p2align	8
	.type	_ZL32rocblas_gemvt_warp_reduce_kernelILb0ELi1024EiPKDF16_fKPfEviiT3_lPKT2_lT1_lS7_lS8_lS4_lPT4_lS8_li,@function
_ZL32rocblas_gemvt_warp_reduce_kernelILb0ELi1024EiPKDF16_fKPfEviiT3_lPKT2_lT1_lS7_lS8_lS4_lPT4_lS8_li: ; @_ZL32rocblas_gemvt_warp_reduce_kernelILb0ELi1024EiPKDF16_fKPfEviiT3_lPKT2_lT1_lS7_lS8_lS4_lPT4_lS8_li
; %bb.0:
	s_clause 0x1
	s_load_b32 s11, s[0:1], 0x8
	s_load_b32 s10, s[0:1], 0x58
	s_waitcnt lgkmcnt(0)
	v_cmp_eq_f32_e64 s8, s11, 0
	v_cmp_eq_f32_e64 s3, s10, 1.0
	s_delay_alu instid0(VALU_DEP_1) | instskip(NEXT) | instid1(SALU_CYCLE_1)
	s_and_b32 s3, s8, s3
	s_and_b32 vcc_lo, exec_lo, s3
	s_cbranch_vccnz .LBB530_36
; %bb.1:
	v_cmp_neq_f32_e64 s4, s11, 0
	s_mov_b32 s2, s15
	s_delay_alu instid0(VALU_DEP_1)
	s_and_b32 vcc_lo, exec_lo, s4
	s_cbranch_vccnz .LBB530_3
; %bb.2:
	s_mov_b32 s3, 0
	s_mov_b64 s[6:7], 0
	s_cbranch_execz .LBB530_4
	s_branch .LBB530_5
.LBB530_3:
	s_mov_b32 s3, -1
                                        ; implicit-def: $sgpr6_sgpr7
.LBB530_4:
	s_load_b128 s[16:19], s[0:1], 0x18
	s_mov_b32 s3, 0
	s_delay_alu instid0(SALU_CYCLE_1)
	s_lshl_b64 s[6:7], s[2:3], 3
	s_waitcnt lgkmcnt(0)
	s_add_u32 s6, s16, s6
	s_addc_u32 s7, s17, s7
	s_lshl_b64 s[12:13], s[18:19], 1
	s_load_b64 s[6:7], s[6:7], 0x0
	s_waitcnt lgkmcnt(0)
	s_add_u32 s6, s6, s12
	s_addc_u32 s7, s7, s13
.LBB530_5:
	s_and_not1_b32 vcc_lo, exec_lo, s4
	s_cbranch_vccnz .LBB530_7
; %bb.6:
	s_load_b128 s[16:19], s[0:1], 0x38
	s_lshl_b64 s[4:5], s[2:3], 3
	s_waitcnt lgkmcnt(0)
	s_add_u32 s4, s16, s4
	s_addc_u32 s5, s17, s5
	s_lshl_b64 s[12:13], s[18:19], 1
	s_load_b64 s[4:5], s[4:5], 0x0
	s_waitcnt lgkmcnt(0)
	s_add_u32 s4, s4, s12
	s_addc_u32 s5, s5, s13
	s_branch .LBB530_8
.LBB530_7:
	s_mov_b64 s[4:5], 0
.LBB530_8:
	s_clause 0x1
	s_load_b128 s[16:19], s[0:1], 0x68
	s_load_b32 s15, s[0:1], 0x78
	s_lshl_b64 s[2:3], s[2:3], 3
	s_waitcnt lgkmcnt(0)
	s_add_u32 s2, s16, s2
	s_addc_u32 s3, s17, s3
	s_lshl_b64 s[16:17], s[18:19], 2
	s_load_b64 s[12:13], s[2:3], 0x0
	v_cmp_eq_u32_e64 s2, 0, v0
	s_waitcnt lgkmcnt(0)
	s_add_u32 s12, s12, s16
	s_addc_u32 s13, s13, s17
	s_and_not1_b32 vcc_lo, exec_lo, s8
	s_cbranch_vccnz .LBB530_13
; %bb.9:
	s_mov_b32 s3, 0
	s_mov_b32 s16, 0
                                        ; implicit-def: $vgpr1
                                        ; implicit-def: $sgpr8_sgpr9
	s_and_saveexec_b32 s17, s2
	s_cbranch_execz .LBB530_14
; %bb.10:
	v_cmp_eq_f32_e64 s2, s10, 0
	v_mov_b32_e32 v1, 0
	s_mul_i32 s8, s14, s15
	s_delay_alu instid0(SALU_CYCLE_1) | instskip(NEXT) | instid1(VALU_DEP_2)
	s_ashr_i32 s9, s8, 31
	s_and_b32 vcc_lo, exec_lo, s2
	s_cbranch_vccnz .LBB530_12
; %bb.11:
	s_lshl_b64 s[18:19], s[8:9], 2
	s_delay_alu instid0(SALU_CYCLE_1)
	s_add_u32 s18, s12, s18
	s_addc_u32 s19, s13, s19
	s_load_b32 s2, s[18:19], 0x0
	s_waitcnt lgkmcnt(0)
	v_mul_f32_e64 v1, s2, s10
.LBB530_12:
	s_mov_b32 s16, exec_lo
	s_or_b32 exec_lo, exec_lo, s17
	s_delay_alu instid0(SALU_CYCLE_1)
	s_and_b32 vcc_lo, exec_lo, s3
	s_cbranch_vccnz .LBB530_15
	s_branch .LBB530_34
.LBB530_13:
	s_mov_b32 s16, 0
                                        ; implicit-def: $vgpr1
                                        ; implicit-def: $sgpr8_sgpr9
	s_cbranch_execnz .LBB530_15
	s_branch .LBB530_34
.LBB530_14:
	s_or_b32 exec_lo, exec_lo, s17
	s_delay_alu instid0(SALU_CYCLE_1)
	s_and_b32 vcc_lo, exec_lo, s3
	s_cbranch_vccz .LBB530_34
.LBB530_15:
	s_clause 0x2
	s_load_b32 s2, s[0:1], 0x28
	s_load_b32 s3, s[0:1], 0x0
	s_load_b32 s1, s[0:1], 0x48
	v_mov_b32_e32 v7, 0
	s_waitcnt lgkmcnt(0)
	s_mul_i32 s8, s14, s2
	v_cmp_gt_i32_e32 vcc_lo, s3, v0
	s_ashr_i32 s9, s8, 31
	s_delay_alu instid0(SALU_CYCLE_1)
	s_lshl_b64 s[8:9], s[8:9], 1
	v_cndmask_b32_e32 v1, 0, v0, vcc_lo
	s_add_u32 s0, s8, s6
	s_addc_u32 s6, s9, s7
	s_ashr_i32 s2, s3, 31
	s_mov_b32 s7, 0
	v_lshlrev_b32_e32 v1, 1, v1
	s_lshr_b32 s2, s2, 22
	s_delay_alu instid0(SALU_CYCLE_1) | instskip(NEXT) | instid1(SALU_CYCLE_1)
	s_add_i32 s2, s3, s2
	s_and_b32 s2, s2, 0xfffffc00
	s_delay_alu instid0(VALU_DEP_1) | instskip(NEXT) | instid1(VALU_DEP_1)
	v_add_co_u32 v1, s0, s0, v1
	v_add_co_ci_u32_e64 v2, null, s6, 0, s0
	s_mov_b32 s6, exec_lo
	v_cmpx_gt_i32_e64 s2, v0
	s_cbranch_execz .LBB530_19
; %bb.16:
	v_mul_lo_u32 v3, v0, s1
	v_dual_mov_b32 v7, 0 :: v_dual_mov_b32 v6, v2
	v_dual_mov_b32 v5, v1 :: v_dual_mov_b32 v8, v0
	s_lshl_b32 s8, s1, 10
	.p2align	6
.LBB530_17:                             ; =>This Inner Loop Header: Depth=1
	s_delay_alu instid0(VALU_DEP_3) | instskip(NEXT) | instid1(VALU_DEP_2)
	v_ashrrev_i32_e32 v4, 31, v3
	v_add_nc_u32_e32 v8, 0x400, v8
	s_delay_alu instid0(VALU_DEP_2) | instskip(NEXT) | instid1(VALU_DEP_2)
	v_lshlrev_b64 v[9:10], 1, v[3:4]
	v_cmp_le_i32_e64 s0, s2, v8
	v_add_nc_u32_e32 v3, s8, v3
	s_delay_alu instid0(VALU_DEP_2) | instskip(NEXT) | instid1(VALU_DEP_3)
	s_or_b32 s7, s0, s7
	v_add_co_u32 v9, vcc_lo, s4, v9
	s_delay_alu instid0(VALU_DEP_4)
	v_add_co_ci_u32_e32 v10, vcc_lo, s5, v10, vcc_lo
	flat_load_u16 v4, v[5:6]
	flat_load_u16 v9, v[9:10]
	v_add_co_u32 v5, vcc_lo, 0x800, v5
	v_add_co_ci_u32_e32 v6, vcc_lo, 0, v6, vcc_lo
	s_waitcnt vmcnt(0) lgkmcnt(0)
	v_mul_f16_e32 v4, v4, v9
	s_delay_alu instid0(VALU_DEP_1) | instskip(NEXT) | instid1(VALU_DEP_1)
	v_cvt_f32_f16_e32 v4, v4
	v_add_f32_e32 v7, v7, v4
	s_and_not1_b32 exec_lo, exec_lo, s7
	s_cbranch_execnz .LBB530_17
; %bb.18:
	s_or_b32 exec_lo, exec_lo, s7
.LBB530_19:
	s_delay_alu instid0(SALU_CYCLE_1) | instskip(SKIP_2) | instid1(VALU_DEP_1)
	s_or_b32 exec_lo, exec_lo, s6
	v_or_b32_e32 v3, s2, v0
	s_mov_b32 s0, exec_lo
	v_cmpx_gt_i32_e64 s3, v3
	s_cbranch_execz .LBB530_21
; %bb.20:
	v_mul_lo_u32 v3, v3, s1
	s_ashr_i32 s3, s2, 31
	s_delay_alu instid0(SALU_CYCLE_1) | instskip(NEXT) | instid1(SALU_CYCLE_1)
	s_lshl_b64 s[2:3], s[2:3], 1
	v_add_co_u32 v1, vcc_lo, v1, s2
	v_add_co_ci_u32_e32 v2, vcc_lo, s3, v2, vcc_lo
	s_delay_alu instid0(VALU_DEP_3) | instskip(NEXT) | instid1(VALU_DEP_1)
	v_ashrrev_i32_e32 v4, 31, v3
	v_lshlrev_b64 v[3:4], 1, v[3:4]
	s_delay_alu instid0(VALU_DEP_1) | instskip(NEXT) | instid1(VALU_DEP_2)
	v_add_co_u32 v3, vcc_lo, s4, v3
	v_add_co_ci_u32_e32 v4, vcc_lo, s5, v4, vcc_lo
	flat_load_u16 v1, v[1:2]
	flat_load_u16 v2, v[3:4]
	s_waitcnt vmcnt(0) lgkmcnt(0)
	v_mul_f16_e32 v1, v1, v2
	s_delay_alu instid0(VALU_DEP_1) | instskip(NEXT) | instid1(VALU_DEP_1)
	v_cvt_f32_f16_e32 v1, v1
	v_add_f32_e32 v7, v7, v1
.LBB530_21:
	s_or_b32 exec_lo, exec_lo, s0
	v_and_b32_e32 v6, 31, v0
	v_cmp_gt_u32_e32 vcc_lo, 32, v0
	s_delay_alu instid0(VALU_DEP_2)
	v_lshlrev_b32_e32 v1, 2, v6
	s_and_saveexec_b32 s0, vcc_lo
	s_cbranch_execz .LBB530_23
; %bb.22:
	v_mov_b32_e32 v2, 0
	ds_store_b32 v1, v2
.LBB530_23:
	s_or_b32 exec_lo, exec_lo, s0
	v_mbcnt_lo_u32_b32 v8, -1, 0
	s_mov_b32 s1, exec_lo
	s_waitcnt lgkmcnt(0)
	s_barrier
	buffer_gl0_inv
	v_cmp_gt_u32_e64 s0, 16, v8
	s_delay_alu instid0(VALU_DEP_1) | instskip(SKIP_1) | instid1(VALU_DEP_2)
	v_cndmask_b32_e64 v2, 0, 1, s0
	v_cmp_gt_u32_e64 s0, 24, v8
	v_lshlrev_b32_e32 v2, 4, v2
	s_delay_alu instid0(VALU_DEP_2) | instskip(SKIP_1) | instid1(VALU_DEP_3)
	v_cndmask_b32_e64 v3, 0, 1, s0
	v_cmp_gt_u32_e64 s0, 28, v8
	v_add_lshl_u32 v2, v2, v8, 2
	s_delay_alu instid0(VALU_DEP_3)
	v_lshlrev_b32_e32 v3, 3, v3
	ds_bpermute_b32 v4, v2, v7
	v_add_lshl_u32 v3, v3, v8, 2
	s_waitcnt lgkmcnt(0)
	v_add_f32_e32 v5, v7, v4
	v_cndmask_b32_e64 v4, 0, 1, s0
	v_cmp_gt_u32_e64 s0, 30, v8
	ds_bpermute_b32 v7, v3, v5
	s_waitcnt lgkmcnt(0)
	v_dual_add_f32 v7, v5, v7 :: v_dual_lshlrev_b32 v4, 2, v4
	s_delay_alu instid0(VALU_DEP_1)
	v_add_lshl_u32 v4, v4, v8, 2
	v_cndmask_b32_e64 v5, 0, 1, s0
	v_cmp_ne_u32_e64 s0, 31, v8
	ds_bpermute_b32 v9, v4, v7
	v_lshlrev_b32_e32 v5, 1, v5
	v_add_co_ci_u32_e64 v10, s0, 0, v8, s0
	s_delay_alu instid0(VALU_DEP_2)
	v_add_lshl_u32 v5, v5, v8, 2
	s_waitcnt lgkmcnt(0)
	v_add_f32_e32 v7, v7, v9
	ds_bpermute_b32 v9, v5, v7
	s_waitcnt lgkmcnt(0)
	v_dual_add_f32 v8, v7, v9 :: v_dual_lshlrev_b32 v7, 2, v10
	ds_bpermute_b32 v9, v7, v8
	v_cmpx_eq_u32_e32 0, v6
	s_cbranch_execz .LBB530_25
; %bb.24:
	v_lshrrev_b32_e32 v6, 3, v0
	s_waitcnt lgkmcnt(0)
	v_add_f32_e32 v8, v8, v9
	s_delay_alu instid0(VALU_DEP_2)
	v_and_b32_e32 v6, 0x7c, v6
	ds_store_b32 v6, v8
.LBB530_25:
	s_or_b32 exec_lo, exec_lo, s1
	v_mov_b32_e32 v6, 0
	s_waitcnt lgkmcnt(0)
	s_barrier
	buffer_gl0_inv
	s_and_saveexec_b32 s0, vcc_lo
	s_cbranch_execz .LBB530_27
; %bb.26:
	ds_load_b32 v6, v1
.LBB530_27:
	s_or_b32 exec_lo, exec_lo, s0
	s_and_saveexec_b32 s0, vcc_lo
	s_cbranch_execz .LBB530_29
; %bb.28:
	s_waitcnt lgkmcnt(0)
	ds_bpermute_b32 v1, v2, v6
	s_waitcnt lgkmcnt(0)
	v_add_f32_e32 v1, v6, v1
	ds_bpermute_b32 v2, v3, v1
	s_waitcnt lgkmcnt(0)
	v_add_f32_e32 v1, v1, v2
	;; [unrolled: 3-line block ×5, first 2 shown]
.LBB530_29:
	s_or_b32 exec_lo, exec_lo, s0
	s_delay_alu instid0(SALU_CYCLE_1)
	s_mov_b32 s0, exec_lo
                                        ; implicit-def: $vgpr1
                                        ; implicit-def: $sgpr8_sgpr9
	v_cmpx_eq_u32_e32 0, v0
	s_cbranch_execz .LBB530_33
; %bb.30:
	v_cmp_eq_f32_e64 s1, s10, 0
	s_waitcnt lgkmcnt(0)
	v_mul_f32_e32 v1, s11, v6
	s_mul_i32 s8, s14, s15
	s_delay_alu instid0(SALU_CYCLE_1)
	s_ashr_i32 s9, s8, 31
	s_and_b32 vcc_lo, exec_lo, s1
	s_cbranch_vccnz .LBB530_32
; %bb.31:
	s_lshl_b64 s[2:3], s[8:9], 2
	s_delay_alu instid0(SALU_CYCLE_1)
	s_add_u32 s2, s12, s2
	s_addc_u32 s3, s13, s3
	s_load_b32 s1, s[2:3], 0x0
	s_waitcnt lgkmcnt(0)
	v_fmac_f32_e64 v1, s1, s10
.LBB530_32:
	s_or_b32 s16, s16, exec_lo
.LBB530_33:
	s_or_b32 exec_lo, exec_lo, s0
.LBB530_34:
	s_and_saveexec_b32 s0, s16
	s_cbranch_execz .LBB530_36
; %bb.35:
	s_lshl_b64 s[0:1], s[8:9], 2
	v_mov_b32_e32 v0, 0
	s_add_u32 s0, s12, s0
	s_addc_u32 s1, s13, s1
	global_store_b32 v0, v1, s[0:1]
.LBB530_36:
	s_nop 0
	s_sendmsg sendmsg(MSG_DEALLOC_VGPRS)
	s_endpgm
	.section	.rodata,"a",@progbits
	.p2align	6, 0x0
	.amdhsa_kernel _ZL32rocblas_gemvt_warp_reduce_kernelILb0ELi1024EiPKDF16_fKPfEviiT3_lPKT2_lT1_lS7_lS8_lS4_lPT4_lS8_li
		.amdhsa_group_segment_fixed_size 128
		.amdhsa_private_segment_fixed_size 0
		.amdhsa_kernarg_size 140
		.amdhsa_user_sgpr_count 14
		.amdhsa_user_sgpr_dispatch_ptr 0
		.amdhsa_user_sgpr_queue_ptr 0
		.amdhsa_user_sgpr_kernarg_segment_ptr 1
		.amdhsa_user_sgpr_dispatch_id 0
		.amdhsa_user_sgpr_private_segment_size 0
		.amdhsa_wavefront_size32 1
		.amdhsa_uses_dynamic_stack 0
		.amdhsa_enable_private_segment 0
		.amdhsa_system_sgpr_workgroup_id_x 1
		.amdhsa_system_sgpr_workgroup_id_y 0
		.amdhsa_system_sgpr_workgroup_id_z 1
		.amdhsa_system_sgpr_workgroup_info 0
		.amdhsa_system_vgpr_workitem_id 0
		.amdhsa_next_free_vgpr 11
		.amdhsa_next_free_sgpr 20
		.amdhsa_reserve_vcc 1
		.amdhsa_float_round_mode_32 0
		.amdhsa_float_round_mode_16_64 0
		.amdhsa_float_denorm_mode_32 3
		.amdhsa_float_denorm_mode_16_64 3
		.amdhsa_dx10_clamp 1
		.amdhsa_ieee_mode 1
		.amdhsa_fp16_overflow 0
		.amdhsa_workgroup_processor_mode 1
		.amdhsa_memory_ordered 1
		.amdhsa_forward_progress 0
		.amdhsa_shared_vgpr_count 0
		.amdhsa_exception_fp_ieee_invalid_op 0
		.amdhsa_exception_fp_denorm_src 0
		.amdhsa_exception_fp_ieee_div_zero 0
		.amdhsa_exception_fp_ieee_overflow 0
		.amdhsa_exception_fp_ieee_underflow 0
		.amdhsa_exception_fp_ieee_inexact 0
		.amdhsa_exception_int_div_zero 0
	.end_amdhsa_kernel
	.section	.text._ZL32rocblas_gemvt_warp_reduce_kernelILb0ELi1024EiPKDF16_fKPfEviiT3_lPKT2_lT1_lS7_lS8_lS4_lPT4_lS8_li,"axG",@progbits,_ZL32rocblas_gemvt_warp_reduce_kernelILb0ELi1024EiPKDF16_fKPfEviiT3_lPKT2_lT1_lS7_lS8_lS4_lPT4_lS8_li,comdat
.Lfunc_end530:
	.size	_ZL32rocblas_gemvt_warp_reduce_kernelILb0ELi1024EiPKDF16_fKPfEviiT3_lPKT2_lT1_lS7_lS8_lS4_lPT4_lS8_li, .Lfunc_end530-_ZL32rocblas_gemvt_warp_reduce_kernelILb0ELi1024EiPKDF16_fKPfEviiT3_lPKT2_lT1_lS7_lS8_lS4_lPT4_lS8_li
                                        ; -- End function
	.section	.AMDGPU.csdata,"",@progbits
; Kernel info:
; codeLenInByte = 1468
; NumSgprs: 22
; NumVgprs: 11
; ScratchSize: 0
; MemoryBound: 0
; FloatMode: 240
; IeeeMode: 1
; LDSByteSize: 128 bytes/workgroup (compile time only)
; SGPRBlocks: 2
; VGPRBlocks: 1
; NumSGPRsForWavesPerEU: 22
; NumVGPRsForWavesPerEU: 11
; Occupancy: 16
; WaveLimiterHint : 1
; COMPUTE_PGM_RSRC2:SCRATCH_EN: 0
; COMPUTE_PGM_RSRC2:USER_SGPR: 14
; COMPUTE_PGM_RSRC2:TRAP_HANDLER: 0
; COMPUTE_PGM_RSRC2:TGID_X_EN: 1
; COMPUTE_PGM_RSRC2:TGID_Y_EN: 0
; COMPUTE_PGM_RSRC2:TGID_Z_EN: 1
; COMPUTE_PGM_RSRC2:TIDIG_COMP_CNT: 0
	.section	.text._ZL32rocblas_gemvt_warp_reduce_kernelILb0ELi1024ElPKDF16_fKPfEviiT3_lPKT2_lT1_lS7_lS8_lS4_lPT4_lS8_li,"axG",@progbits,_ZL32rocblas_gemvt_warp_reduce_kernelILb0ELi1024ElPKDF16_fKPfEviiT3_lPKT2_lT1_lS7_lS8_lS4_lPT4_lS8_li,comdat
	.globl	_ZL32rocblas_gemvt_warp_reduce_kernelILb0ELi1024ElPKDF16_fKPfEviiT3_lPKT2_lT1_lS7_lS8_lS4_lPT4_lS8_li ; -- Begin function _ZL32rocblas_gemvt_warp_reduce_kernelILb0ELi1024ElPKDF16_fKPfEviiT3_lPKT2_lT1_lS7_lS8_lS4_lPT4_lS8_li
	.p2align	8
	.type	_ZL32rocblas_gemvt_warp_reduce_kernelILb0ELi1024ElPKDF16_fKPfEviiT3_lPKT2_lT1_lS7_lS8_lS4_lPT4_lS8_li,@function
_ZL32rocblas_gemvt_warp_reduce_kernelILb0ELi1024ElPKDF16_fKPfEviiT3_lPKT2_lT1_lS7_lS8_lS4_lPT4_lS8_li: ; @_ZL32rocblas_gemvt_warp_reduce_kernelILb0ELi1024ElPKDF16_fKPfEviiT3_lPKT2_lT1_lS7_lS8_lS4_lPT4_lS8_li
; %bb.0:
	s_mov_b32 s2, s15
	s_clause 0x1
	s_load_b32 s18, s[0:1], 0x8
	s_load_b32 s15, s[0:1], 0x58
	s_waitcnt lgkmcnt(0)
	v_cmp_eq_f32_e64 s16, s18, 0
	v_cmp_eq_f32_e64 s3, s15, 1.0
	s_delay_alu instid0(VALU_DEP_1) | instskip(NEXT) | instid1(SALU_CYCLE_1)
	s_and_b32 s3, s16, s3
	s_and_b32 vcc_lo, exec_lo, s3
	s_cbranch_vccnz .LBB531_36
; %bb.1:
	s_clause 0x1
	s_load_b128 s[4:7], s[0:1], 0x18
	s_load_b64 s[10:11], s[0:1], 0x28
	v_cmp_neq_f32_e64 s17, s18, 0
	s_delay_alu instid0(VALU_DEP_1)
	s_and_b32 vcc_lo, exec_lo, s17
	s_cbranch_vccnz .LBB531_3
; %bb.2:
	s_mov_b32 s3, 0
	s_mov_b64 s[12:13], 0
	s_cbranch_execz .LBB531_4
	s_branch .LBB531_5
.LBB531_3:
	s_mov_b32 s3, -1
                                        ; implicit-def: $sgpr12_sgpr13
.LBB531_4:
	s_mov_b32 s3, 0
	s_delay_alu instid0(SALU_CYCLE_1)
	s_lshl_b64 s[8:9], s[2:3], 3
	s_waitcnt lgkmcnt(0)
	s_add_u32 s4, s4, s8
	s_addc_u32 s5, s5, s9
	s_lshl_b64 s[6:7], s[6:7], 1
	s_load_b64 s[4:5], s[4:5], 0x0
	s_waitcnt lgkmcnt(0)
	s_add_u32 s12, s4, s6
	s_addc_u32 s13, s5, s7
.LBB531_5:
	s_waitcnt lgkmcnt(0)
	s_clause 0x1
	s_load_b128 s[4:7], s[0:1], 0x38
	s_load_b64 s[8:9], s[0:1], 0x48
	s_and_not1_b32 vcc_lo, exec_lo, s17
	s_cbranch_vccnz .LBB531_7
; %bb.6:
	s_lshl_b64 s[20:21], s[2:3], 3
	s_waitcnt lgkmcnt(0)
	s_add_u32 s4, s4, s20
	s_addc_u32 s5, s5, s21
	s_lshl_b64 s[6:7], s[6:7], 1
	s_load_b64 s[4:5], s[4:5], 0x0
	s_waitcnt lgkmcnt(0)
	s_add_u32 s6, s4, s6
	s_addc_u32 s7, s5, s7
	s_branch .LBB531_8
.LBB531_7:
	s_waitcnt lgkmcnt(0)
	s_mov_b64 s[6:7], 0
.LBB531_8:
	s_clause 0x1
	s_load_b128 s[20:23], s[0:1], 0x68
	s_load_b64 s[4:5], s[0:1], 0x78
	s_lshl_b64 s[2:3], s[2:3], 3
	s_waitcnt lgkmcnt(0)
	s_add_u32 s2, s20, s2
	s_addc_u32 s3, s21, s3
	s_lshl_b64 s[22:23], s[22:23], 2
	s_load_b64 s[20:21], s[2:3], 0x0
	v_cmp_eq_u32_e64 s2, 0, v0
	s_waitcnt lgkmcnt(0)
	s_add_u32 s19, s20, s22
	s_addc_u32 s20, s21, s23
	s_and_not1_b32 vcc_lo, exec_lo, s16
	s_cbranch_vccnz .LBB531_13
; %bb.9:
	s_mov_b32 s3, 0
	s_mov_b32 s21, 0
                                        ; implicit-def: $vgpr1
                                        ; implicit-def: $sgpr16_sgpr17
	s_and_saveexec_b32 s22, s2
	s_cbranch_execz .LBB531_14
; %bb.10:
	v_cmp_eq_f32_e64 s2, s15, 0
	s_mul_i32 s16, s14, s5
	s_mul_hi_u32 s17, s14, s4
	s_ashr_i32 s21, s14, 31
	v_mov_b32_e32 v1, 0
	s_add_i32 s16, s17, s16
	s_mul_i32 s21, s21, s4
	s_and_b32 vcc_lo, exec_lo, s2
	s_add_i32 s17, s16, s21
	s_mul_i32 s16, s14, s4
	s_cbranch_vccnz .LBB531_12
; %bb.11:
	s_lshl_b64 s[24:25], s[16:17], 2
	s_delay_alu instid0(SALU_CYCLE_1)
	s_add_u32 s24, s19, s24
	s_addc_u32 s25, s20, s25
	s_load_b32 s2, s[24:25], 0x0
	s_waitcnt lgkmcnt(0)
	v_mul_f32_e64 v1, s2, s15
.LBB531_12:
	s_mov_b32 s21, exec_lo
	s_or_b32 exec_lo, exec_lo, s22
	s_delay_alu instid0(SALU_CYCLE_1)
	s_and_b32 vcc_lo, exec_lo, s3
	s_cbranch_vccnz .LBB531_15
	s_branch .LBB531_34
.LBB531_13:
	s_mov_b32 s21, 0
                                        ; implicit-def: $vgpr1
                                        ; implicit-def: $sgpr16_sgpr17
	s_cbranch_execnz .LBB531_15
	s_branch .LBB531_34
.LBB531_14:
	s_or_b32 exec_lo, exec_lo, s22
	s_delay_alu instid0(SALU_CYCLE_1)
	s_and_b32 vcc_lo, exec_lo, s3
	s_cbranch_vccz .LBB531_34
.LBB531_15:
	s_load_b32 s3, s[0:1], 0x0
	s_mul_i32 s0, s14, s11
	s_mul_hi_u32 s2, s14, s10
	s_ashr_i32 s1, s14, 31
	s_add_i32 s0, s2, s0
	s_mul_i32 s2, s1, s10
	s_mul_i32 s10, s14, s10
	s_add_i32 s11, s0, s2
	v_mov_b32_e32 v7, 0
	s_lshl_b64 s[10:11], s[10:11], 1
	s_delay_alu instid0(SALU_CYCLE_1)
	s_add_u32 s0, s10, s12
	s_addc_u32 s10, s11, s13
	s_mov_b32 s13, 0
	s_mov_b32 s12, exec_lo
	s_waitcnt lgkmcnt(0)
	v_cmp_gt_i32_e32 vcc_lo, s3, v0
	s_ashr_i32 s2, s3, 31
	s_delay_alu instid0(SALU_CYCLE_1) | instskip(NEXT) | instid1(SALU_CYCLE_1)
	s_lshr_b32 s2, s2, 22
	s_add_i32 s2, s3, s2
	v_cndmask_b32_e32 v1, 0, v0, vcc_lo
	s_and_b32 s2, s2, 0xfffffc00
	s_delay_alu instid0(VALU_DEP_1) | instskip(NEXT) | instid1(VALU_DEP_1)
	v_lshlrev_b32_e32 v1, 1, v1
	v_add_co_u32 v1, s0, s0, v1
	s_delay_alu instid0(VALU_DEP_1)
	v_add_co_ci_u32_e64 v2, null, s10, 0, s0
	v_cmpx_gt_i32_e64 s2, v0
	s_cbranch_execz .LBB531_19
; %bb.16:
	v_mad_u64_u32 v[3:4], null, s8, v0, 0
	v_mov_b32_e32 v8, v0
	s_lshl_b64 s[10:11], s[8:9], 11
	v_mov_b32_e32 v7, 0
	s_delay_alu instid0(VALU_DEP_3) | instskip(NEXT) | instid1(VALU_DEP_1)
	v_mad_u64_u32 v[5:6], null, s9, v0, v[4:5]
	v_mov_b32_e32 v4, v5
	s_delay_alu instid0(VALU_DEP_1) | instskip(SKIP_1) | instid1(VALU_DEP_2)
	v_lshlrev_b64 v[5:6], 1, v[3:4]
	v_dual_mov_b32 v4, v2 :: v_dual_mov_b32 v3, v1
	v_add_co_u32 v5, vcc_lo, s6, v5
	s_delay_alu instid0(VALU_DEP_3)
	v_add_co_ci_u32_e32 v6, vcc_lo, s7, v6, vcc_lo
	.p2align	6
.LBB531_17:                             ; =>This Inner Loop Header: Depth=1
	flat_load_u16 v9, v[3:4]
	flat_load_u16 v10, v[5:6]
	v_add_co_u32 v3, vcc_lo, 0x800, v3
	v_add_co_ci_u32_e32 v4, vcc_lo, 0, v4, vcc_lo
	v_add_co_u32 v5, vcc_lo, v5, s10
	v_add_co_ci_u32_e32 v6, vcc_lo, s11, v6, vcc_lo
	s_waitcnt vmcnt(0) lgkmcnt(0)
	v_mul_f16_e32 v9, v9, v10
	s_delay_alu instid0(VALU_DEP_1) | instskip(NEXT) | instid1(VALU_DEP_1)
	v_cvt_f32_f16_e32 v9, v9
	v_dual_add_f32 v7, v7, v9 :: v_dual_add_nc_u32 v8, 0x400, v8
	s_delay_alu instid0(VALU_DEP_1) | instskip(NEXT) | instid1(VALU_DEP_1)
	v_cmp_le_i32_e64 s0, s2, v8
	s_or_b32 s13, s0, s13
	s_delay_alu instid0(SALU_CYCLE_1)
	s_and_not1_b32 exec_lo, exec_lo, s13
	s_cbranch_execnz .LBB531_17
; %bb.18:
	s_or_b32 exec_lo, exec_lo, s13
.LBB531_19:
	s_delay_alu instid0(SALU_CYCLE_1) | instskip(SKIP_2) | instid1(VALU_DEP_1)
	s_or_b32 exec_lo, exec_lo, s12
	v_or_b32_e32 v3, s2, v0
	s_mov_b32 s0, exec_lo
	v_cmpx_gt_i32_e64 s3, v3
	s_cbranch_execz .LBB531_21
; %bb.20:
	v_ashrrev_i32_e32 v6, 31, v3
	v_mul_lo_u32 v8, v3, s9
	v_mad_u64_u32 v[4:5], null, v3, s8, 0
	s_ashr_i32 s3, s2, 31
	s_delay_alu instid0(VALU_DEP_3) | instskip(SKIP_1) | instid1(SALU_CYCLE_1)
	v_mul_lo_u32 v3, v6, s8
	s_lshl_b64 s[2:3], s[2:3], 1
	v_add_co_u32 v1, vcc_lo, v1, s2
	v_add_co_ci_u32_e32 v2, vcc_lo, s3, v2, vcc_lo
	s_delay_alu instid0(VALU_DEP_3) | instskip(NEXT) | instid1(VALU_DEP_1)
	v_add3_u32 v5, v5, v8, v3
	v_lshlrev_b64 v[3:4], 1, v[4:5]
	s_delay_alu instid0(VALU_DEP_1) | instskip(NEXT) | instid1(VALU_DEP_2)
	v_add_co_u32 v3, vcc_lo, s6, v3
	v_add_co_ci_u32_e32 v4, vcc_lo, s7, v4, vcc_lo
	flat_load_u16 v1, v[1:2]
	flat_load_u16 v2, v[3:4]
	s_waitcnt vmcnt(0) lgkmcnt(0)
	v_mul_f16_e32 v1, v1, v2
	s_delay_alu instid0(VALU_DEP_1) | instskip(NEXT) | instid1(VALU_DEP_1)
	v_cvt_f32_f16_e32 v1, v1
	v_add_f32_e32 v7, v7, v1
.LBB531_21:
	s_or_b32 exec_lo, exec_lo, s0
	v_and_b32_e32 v6, 31, v0
	v_cmp_gt_u32_e32 vcc_lo, 32, v0
	s_delay_alu instid0(VALU_DEP_2)
	v_lshlrev_b32_e32 v1, 2, v6
	s_and_saveexec_b32 s0, vcc_lo
	s_cbranch_execz .LBB531_23
; %bb.22:
	v_mov_b32_e32 v2, 0
	ds_store_b32 v1, v2
.LBB531_23:
	s_or_b32 exec_lo, exec_lo, s0
	v_mbcnt_lo_u32_b32 v8, -1, 0
	s_mov_b32 s2, exec_lo
	s_waitcnt lgkmcnt(0)
	s_barrier
	buffer_gl0_inv
	v_cmp_gt_u32_e64 s0, 16, v8
	s_delay_alu instid0(VALU_DEP_1) | instskip(SKIP_1) | instid1(VALU_DEP_2)
	v_cndmask_b32_e64 v2, 0, 1, s0
	v_cmp_gt_u32_e64 s0, 24, v8
	v_lshlrev_b32_e32 v2, 4, v2
	s_delay_alu instid0(VALU_DEP_2) | instskip(SKIP_1) | instid1(VALU_DEP_3)
	v_cndmask_b32_e64 v3, 0, 1, s0
	v_cmp_gt_u32_e64 s0, 28, v8
	v_add_lshl_u32 v2, v2, v8, 2
	s_delay_alu instid0(VALU_DEP_3)
	v_lshlrev_b32_e32 v3, 3, v3
	ds_bpermute_b32 v4, v2, v7
	v_add_lshl_u32 v3, v3, v8, 2
	s_waitcnt lgkmcnt(0)
	v_add_f32_e32 v5, v7, v4
	v_cndmask_b32_e64 v4, 0, 1, s0
	v_cmp_gt_u32_e64 s0, 30, v8
	ds_bpermute_b32 v7, v3, v5
	s_waitcnt lgkmcnt(0)
	v_dual_add_f32 v7, v5, v7 :: v_dual_lshlrev_b32 v4, 2, v4
	s_delay_alu instid0(VALU_DEP_1)
	v_add_lshl_u32 v4, v4, v8, 2
	v_cndmask_b32_e64 v5, 0, 1, s0
	v_cmp_ne_u32_e64 s0, 31, v8
	ds_bpermute_b32 v9, v4, v7
	v_lshlrev_b32_e32 v5, 1, v5
	v_add_co_ci_u32_e64 v10, s0, 0, v8, s0
	s_delay_alu instid0(VALU_DEP_2)
	v_add_lshl_u32 v5, v5, v8, 2
	s_waitcnt lgkmcnt(0)
	v_add_f32_e32 v7, v7, v9
	ds_bpermute_b32 v9, v5, v7
	s_waitcnt lgkmcnt(0)
	v_dual_add_f32 v8, v7, v9 :: v_dual_lshlrev_b32 v7, 2, v10
	ds_bpermute_b32 v9, v7, v8
	v_cmpx_eq_u32_e32 0, v6
	s_cbranch_execz .LBB531_25
; %bb.24:
	v_lshrrev_b32_e32 v6, 3, v0
	s_waitcnt lgkmcnt(0)
	v_add_f32_e32 v8, v8, v9
	s_delay_alu instid0(VALU_DEP_2)
	v_and_b32_e32 v6, 0x7c, v6
	ds_store_b32 v6, v8
.LBB531_25:
	s_or_b32 exec_lo, exec_lo, s2
	v_mov_b32_e32 v6, 0
	s_waitcnt lgkmcnt(0)
	s_barrier
	buffer_gl0_inv
	s_and_saveexec_b32 s0, vcc_lo
	s_cbranch_execz .LBB531_27
; %bb.26:
	ds_load_b32 v6, v1
.LBB531_27:
	s_or_b32 exec_lo, exec_lo, s0
	s_and_saveexec_b32 s0, vcc_lo
	s_cbranch_execz .LBB531_29
; %bb.28:
	s_waitcnt lgkmcnt(0)
	ds_bpermute_b32 v1, v2, v6
	s_waitcnt lgkmcnt(0)
	v_add_f32_e32 v1, v6, v1
	ds_bpermute_b32 v2, v3, v1
	s_waitcnt lgkmcnt(0)
	v_add_f32_e32 v1, v1, v2
	;; [unrolled: 3-line block ×5, first 2 shown]
.LBB531_29:
	s_or_b32 exec_lo, exec_lo, s0
	s_delay_alu instid0(SALU_CYCLE_1)
	s_mov_b32 s0, exec_lo
                                        ; implicit-def: $vgpr1
                                        ; implicit-def: $sgpr16_sgpr17
	v_cmpx_eq_u32_e32 0, v0
	s_cbranch_execz .LBB531_33
; %bb.30:
	s_mul_i32 s2, s14, s5
	v_cmp_eq_f32_e64 s5, s15, 0
	s_mul_hi_u32 s3, s14, s4
	s_waitcnt lgkmcnt(0)
	v_mul_f32_e32 v1, s18, v6
	s_add_i32 s2, s3, s2
	s_mul_i32 s1, s1, s4
	s_and_b32 vcc_lo, exec_lo, s5
	s_add_i32 s17, s2, s1
	s_mul_i32 s16, s14, s4
	s_cbranch_vccnz .LBB531_32
; %bb.31:
	s_lshl_b64 s[2:3], s[16:17], 2
	s_delay_alu instid0(SALU_CYCLE_1)
	s_add_u32 s2, s19, s2
	s_addc_u32 s3, s20, s3
	s_load_b32 s1, s[2:3], 0x0
	s_waitcnt lgkmcnt(0)
	v_fmac_f32_e64 v1, s1, s15
.LBB531_32:
	s_or_b32 s21, s21, exec_lo
.LBB531_33:
	s_or_b32 exec_lo, exec_lo, s0
.LBB531_34:
	s_and_saveexec_b32 s0, s21
	s_cbranch_execz .LBB531_36
; %bb.35:
	s_lshl_b64 s[0:1], s[16:17], 2
	v_mov_b32_e32 v0, 0
	s_add_u32 s0, s19, s0
	s_addc_u32 s1, s20, s1
	global_store_b32 v0, v1, s[0:1]
.LBB531_36:
	s_nop 0
	s_sendmsg sendmsg(MSG_DEALLOC_VGPRS)
	s_endpgm
	.section	.rodata,"a",@progbits
	.p2align	6, 0x0
	.amdhsa_kernel _ZL32rocblas_gemvt_warp_reduce_kernelILb0ELi1024ElPKDF16_fKPfEviiT3_lPKT2_lT1_lS7_lS8_lS4_lPT4_lS8_li
		.amdhsa_group_segment_fixed_size 128
		.amdhsa_private_segment_fixed_size 0
		.amdhsa_kernarg_size 140
		.amdhsa_user_sgpr_count 14
		.amdhsa_user_sgpr_dispatch_ptr 0
		.amdhsa_user_sgpr_queue_ptr 0
		.amdhsa_user_sgpr_kernarg_segment_ptr 1
		.amdhsa_user_sgpr_dispatch_id 0
		.amdhsa_user_sgpr_private_segment_size 0
		.amdhsa_wavefront_size32 1
		.amdhsa_uses_dynamic_stack 0
		.amdhsa_enable_private_segment 0
		.amdhsa_system_sgpr_workgroup_id_x 1
		.amdhsa_system_sgpr_workgroup_id_y 0
		.amdhsa_system_sgpr_workgroup_id_z 1
		.amdhsa_system_sgpr_workgroup_info 0
		.amdhsa_system_vgpr_workitem_id 0
		.amdhsa_next_free_vgpr 11
		.amdhsa_next_free_sgpr 26
		.amdhsa_reserve_vcc 1
		.amdhsa_float_round_mode_32 0
		.amdhsa_float_round_mode_16_64 0
		.amdhsa_float_denorm_mode_32 3
		.amdhsa_float_denorm_mode_16_64 3
		.amdhsa_dx10_clamp 1
		.amdhsa_ieee_mode 1
		.amdhsa_fp16_overflow 0
		.amdhsa_workgroup_processor_mode 1
		.amdhsa_memory_ordered 1
		.amdhsa_forward_progress 0
		.amdhsa_shared_vgpr_count 0
		.amdhsa_exception_fp_ieee_invalid_op 0
		.amdhsa_exception_fp_denorm_src 0
		.amdhsa_exception_fp_ieee_div_zero 0
		.amdhsa_exception_fp_ieee_overflow 0
		.amdhsa_exception_fp_ieee_underflow 0
		.amdhsa_exception_fp_ieee_inexact 0
		.amdhsa_exception_int_div_zero 0
	.end_amdhsa_kernel
	.section	.text._ZL32rocblas_gemvt_warp_reduce_kernelILb0ELi1024ElPKDF16_fKPfEviiT3_lPKT2_lT1_lS7_lS8_lS4_lPT4_lS8_li,"axG",@progbits,_ZL32rocblas_gemvt_warp_reduce_kernelILb0ELi1024ElPKDF16_fKPfEviiT3_lPKT2_lT1_lS7_lS8_lS4_lPT4_lS8_li,comdat
.Lfunc_end531:
	.size	_ZL32rocblas_gemvt_warp_reduce_kernelILb0ELi1024ElPKDF16_fKPfEviiT3_lPKT2_lT1_lS7_lS8_lS4_lPT4_lS8_li, .Lfunc_end531-_ZL32rocblas_gemvt_warp_reduce_kernelILb0ELi1024ElPKDF16_fKPfEviiT3_lPKT2_lT1_lS7_lS8_lS4_lPT4_lS8_li
                                        ; -- End function
	.section	.AMDGPU.csdata,"",@progbits
; Kernel info:
; codeLenInByte = 1576
; NumSgprs: 28
; NumVgprs: 11
; ScratchSize: 0
; MemoryBound: 0
; FloatMode: 240
; IeeeMode: 1
; LDSByteSize: 128 bytes/workgroup (compile time only)
; SGPRBlocks: 3
; VGPRBlocks: 1
; NumSGPRsForWavesPerEU: 28
; NumVGPRsForWavesPerEU: 11
; Occupancy: 16
; WaveLimiterHint : 1
; COMPUTE_PGM_RSRC2:SCRATCH_EN: 0
; COMPUTE_PGM_RSRC2:USER_SGPR: 14
; COMPUTE_PGM_RSRC2:TRAP_HANDLER: 0
; COMPUTE_PGM_RSRC2:TGID_X_EN: 1
; COMPUTE_PGM_RSRC2:TGID_Y_EN: 0
; COMPUTE_PGM_RSRC2:TGID_Z_EN: 1
; COMPUTE_PGM_RSRC2:TIDIG_COMP_CNT: 0
	.section	.text._ZL22rocblas_gemvtsm_kernelILb1ELi256EPKDF16_PKfKPfEviiT2_lPKT1_lilS9_lilS6_lPT3_lil,"axG",@progbits,_ZL22rocblas_gemvtsm_kernelILb1ELi256EPKDF16_PKfKPfEviiT2_lPKT1_lilS9_lilS6_lPT3_lil,comdat
	.globl	_ZL22rocblas_gemvtsm_kernelILb1ELi256EPKDF16_PKfKPfEviiT2_lPKT1_lilS9_lilS6_lPT3_lil ; -- Begin function _ZL22rocblas_gemvtsm_kernelILb1ELi256EPKDF16_PKfKPfEviiT2_lPKT1_lilS9_lilS6_lPT3_lil
	.p2align	8
	.type	_ZL22rocblas_gemvtsm_kernelILb1ELi256EPKDF16_PKfKPfEviiT2_lPKT1_lilS9_lilS6_lPT3_lil,@function
_ZL22rocblas_gemvtsm_kernelILb1ELi256EPKDF16_PKfKPfEviiT2_lPKT1_lilS9_lilS6_lPT3_lil: ; @_ZL22rocblas_gemvtsm_kernelILb1ELi256EPKDF16_PKfKPfEviiT2_lPKT1_lilS9_lilS6_lPT3_lil
; %bb.0:
	s_mov_b32 s2, s15
	s_clause 0x1
	s_load_b256 s[12:19], s[0:1], 0x8
	s_load_b256 s[4:11], s[0:1], 0x58
	s_waitcnt lgkmcnt(0)
	s_mul_i32 s3, s2, s15
	s_mul_hi_u32 s15, s2, s14
	s_mul_i32 s14, s2, s14
	s_add_i32 s15, s15, s3
	s_mul_i32 s3, s2, s7
	s_lshl_b64 s[14:15], s[14:15], 2
	s_mul_hi_u32 s7, s2, s6
	s_add_u32 s12, s12, s14
	s_addc_u32 s13, s13, s15
	s_add_i32 s7, s7, s3
	s_mul_i32 s6, s2, s6
	s_delay_alu instid0(SALU_CYCLE_1) | instskip(NEXT) | instid1(SALU_CYCLE_1)
	s_lshl_b64 s[6:7], s[6:7], 2
	s_add_u32 s4, s4, s6
	s_addc_u32 s5, s5, s7
	s_load_b32 s21, s[12:13], 0x0
	s_load_b32 s20, s[4:5], 0x0
	s_waitcnt lgkmcnt(0)
	v_cmp_eq_f32_e64 s7, s21, 0
	v_cmp_eq_f32_e64 s3, s20, 1.0
	s_delay_alu instid0(VALU_DEP_1) | instskip(NEXT) | instid1(SALU_CYCLE_1)
	s_and_b32 s3, s7, s3
	s_and_b32 vcc_lo, exec_lo, s3
	s_mov_b32 s3, 0
	s_cbranch_vccnz .LBB532_38
; %bb.1:
	v_cmp_neq_f32_e64 s4, s21, 0
	s_mov_b64 s[14:15], 0
	s_and_b32 vcc_lo, exec_lo, s7
	s_mov_b64 s[12:13], 0
	s_cbranch_vccnz .LBB532_3
; %bb.2:
	s_lshl_b64 s[12:13], s[2:3], 3
	s_delay_alu instid0(SALU_CYCLE_1)
	s_add_u32 s12, s16, s12
	s_addc_u32 s13, s17, s13
	s_lshl_b64 s[16:17], s[18:19], 1
	s_load_b64 s[12:13], s[12:13], 0x0
	s_waitcnt lgkmcnt(0)
	s_add_u32 s12, s12, s16
	s_addc_u32 s13, s13, s17
.LBB532_3:
	s_and_not1_b32 vcc_lo, exec_lo, s4
	s_cbranch_vccnz .LBB532_5
; %bb.4:
	s_load_b128 s[16:19], s[0:1], 0x38
	s_lshl_b64 s[4:5], s[2:3], 3
	s_waitcnt lgkmcnt(0)
	s_add_u32 s4, s16, s4
	s_addc_u32 s5, s17, s5
	s_lshl_b64 s[14:15], s[18:19], 1
	s_load_b64 s[4:5], s[4:5], 0x0
	s_waitcnt lgkmcnt(0)
	s_add_u32 s14, s4, s14
	s_addc_u32 s15, s5, s15
.LBB532_5:
	s_lshl_b64 s[2:3], s[2:3], 3
	s_delay_alu instid0(SALU_CYCLE_1)
	s_add_u32 s2, s8, s2
	s_addc_u32 s3, s9, s3
	s_clause 0x1
	s_load_b64 s[4:5], s[0:1], 0x0
	s_load_b32 s6, s[0:1], 0x78
	s_load_b64 s[8:9], s[2:3], 0x0
	s_and_not1_b32 vcc_lo, exec_lo, s7
	s_mov_b32 s2, -1
	s_cbranch_vccnz .LBB532_20
; %bb.6:
	s_waitcnt lgkmcnt(0)
	s_cmp_gt_i32 s5, 0
	v_cmp_neq_f32_e64 s2, s20, 0
	s_cselect_b32 s16, -1, 0
	s_delay_alu instid0(SALU_CYCLE_1) | instskip(NEXT) | instid1(VALU_DEP_2)
	v_cndmask_b32_e64 v1, 0, 1, s16
	s_and_b32 vcc_lo, exec_lo, s2
	s_delay_alu instid0(VALU_DEP_1)
	v_cmp_ne_u32_e64 s2, 1, v1
	s_cbranch_vccnz .LBB532_13
; %bb.7:
	s_delay_alu instid0(VALU_DEP_1)
	s_and_b32 vcc_lo, exec_lo, s2
	s_cbranch_vccnz .LBB532_12
; %bb.8:
	v_mad_i64_i32 v[1:2], null, s6, v0, 0
	s_lshl_b64 s[2:3], s[10:11], 2
	s_ashr_i32 s7, s6, 31
	s_add_u32 s2, s8, s2
	s_addc_u32 s3, s9, s3
	v_mov_b32_e32 v3, 0
	s_delay_alu instid0(VALU_DEP_2) | instskip(NEXT) | instid1(VALU_DEP_1)
	v_lshlrev_b64 v[1:2], 2, v[1:2]
	v_add_co_u32 v1, vcc_lo, s2, v1
	s_delay_alu instid0(VALU_DEP_2)
	v_add_co_ci_u32_e32 v2, vcc_lo, s3, v2, vcc_lo
	s_lshl_b64 s[2:3], s[6:7], 10
	s_mov_b32 s7, 0
	s_branch .LBB532_10
.LBB532_9:                              ;   in Loop: Header=BB532_10 Depth=1
	s_or_b32 exec_lo, exec_lo, s17
	v_add_co_u32 v1, vcc_lo, v1, s2
	v_add_co_ci_u32_e32 v2, vcc_lo, s3, v2, vcc_lo
	s_addk_i32 s7, 0x100
	s_delay_alu instid0(SALU_CYCLE_1)
	s_cmp_ge_i32 s7, s5
	s_cbranch_scc1 .LBB532_12
.LBB532_10:                             ; =>This Inner Loop Header: Depth=1
	v_add_nc_u32_e32 v4, s7, v0
	s_mov_b32 s17, exec_lo
	s_delay_alu instid0(VALU_DEP_1)
	v_cmpx_gt_i32_e64 s5, v4
	s_cbranch_execz .LBB532_9
; %bb.11:                               ;   in Loop: Header=BB532_10 Depth=1
	global_store_b32 v[1:2], v3, off
	s_branch .LBB532_9
.LBB532_12:
	s_cbranch_execz .LBB532_14
	s_branch .LBB532_19
.LBB532_13:
.LBB532_14:
	s_and_not1_b32 vcc_lo, exec_lo, s16
	s_cbranch_vccnz .LBB532_19
; %bb.15:
	v_mad_i64_i32 v[1:2], null, s6, v0, 0
	s_lshl_b64 s[2:3], s[10:11], 2
	s_ashr_i32 s7, s6, 31
	s_add_u32 s2, s8, s2
	s_addc_u32 s3, s9, s3
	s_delay_alu instid0(VALU_DEP_1) | instskip(NEXT) | instid1(VALU_DEP_1)
	v_lshlrev_b64 v[1:2], 2, v[1:2]
	v_add_co_u32 v1, vcc_lo, s2, v1
	s_delay_alu instid0(VALU_DEP_2)
	v_add_co_ci_u32_e32 v2, vcc_lo, s3, v2, vcc_lo
	s_lshl_b64 s[2:3], s[6:7], 10
	s_mov_b32 s7, 0
	s_branch .LBB532_17
	.p2align	6
.LBB532_16:                             ;   in Loop: Header=BB532_17 Depth=1
	s_or_b32 exec_lo, exec_lo, s16
	v_add_co_u32 v1, vcc_lo, v1, s2
	v_add_co_ci_u32_e32 v2, vcc_lo, s3, v2, vcc_lo
	s_addk_i32 s7, 0x100
	s_delay_alu instid0(SALU_CYCLE_1)
	s_cmp_ge_i32 s7, s5
	s_cbranch_scc1 .LBB532_19
.LBB532_17:                             ; =>This Inner Loop Header: Depth=1
	v_add_nc_u32_e32 v3, s7, v0
	s_mov_b32 s16, exec_lo
	s_delay_alu instid0(VALU_DEP_1)
	v_cmpx_gt_i32_e64 s5, v3
	s_cbranch_execz .LBB532_16
; %bb.18:                               ;   in Loop: Header=BB532_17 Depth=1
	global_load_b32 v3, v[1:2], off
	s_waitcnt vmcnt(0)
	v_mul_f32_e32 v3, s20, v3
	global_store_b32 v[1:2], v3, off
	s_branch .LBB532_16
.LBB532_19:
	s_mov_b32 s2, 0
.LBB532_20:
	s_delay_alu instid0(SALU_CYCLE_1)
	s_and_not1_b32 vcc_lo, exec_lo, s2
	s_cbranch_vccnz .LBB532_38
; %bb.21:
	s_mov_b32 s2, exec_lo
	s_waitcnt lgkmcnt(0)
	v_cmpx_gt_i32_e64 s4, v0
	s_cbranch_execz .LBB532_23
; %bb.22:
	s_load_b32 s3, s[0:1], 0x48
	s_waitcnt lgkmcnt(0)
	v_mad_i64_i32 v[1:2], null, s3, v0, 0
	s_delay_alu instid0(VALU_DEP_1) | instskip(NEXT) | instid1(VALU_DEP_1)
	v_lshlrev_b64 v[1:2], 1, v[1:2]
	v_add_co_u32 v1, vcc_lo, s14, v1
	s_delay_alu instid0(VALU_DEP_2) | instskip(SKIP_4) | instid1(VALU_DEP_1)
	v_add_co_ci_u32_e32 v2, vcc_lo, s15, v2, vcc_lo
	flat_load_u16 v1, v[1:2]
	v_lshlrev_b32_e32 v2, 2, v0
	s_waitcnt vmcnt(0) lgkmcnt(0)
	v_cvt_f32_f16_e32 v1, v1
	v_mul_f32_e32 v1, s21, v1
	ds_store_b32 v2, v1
.LBB532_23:
	s_or_b32 exec_lo, exec_lo, s2
	s_cmp_lt_i32 s5, 1
	s_waitcnt lgkmcnt(0)
	s_waitcnt_vscnt null, 0x0
	s_barrier
	buffer_gl0_inv
	s_cbranch_scc1 .LBB532_38
; %bb.24:
	s_load_b32 s0, s[0:1], 0x28
	s_lshl_b64 s[2:3], s[10:11], 2
	s_delay_alu instid0(SALU_CYCLE_1)
	s_add_u32 s2, s8, s2
	s_addc_u32 s3, s9, s3
	s_ashr_i32 s7, s6, 31
	v_cmp_neq_f32_e64 s8, s20, 0
	s_waitcnt lgkmcnt(0)
	v_mad_i64_i32 v[1:2], null, s0, v0, 0
	s_ashr_i32 s1, s0, 31
	s_cmp_gt_i32 s4, 0
	s_cselect_b32 s9, -1, 0
	s_and_b32 s10, s4, 7
	s_cmp_gt_u32 s4, 7
	s_delay_alu instid0(VALU_DEP_1) | instskip(SKIP_3) | instid1(VALU_DEP_1)
	v_lshlrev_b64 v[1:2], 1, v[1:2]
	s_cselect_b32 s11, -1, 0
	s_and_b32 s4, s4, 0x7ffffff8
	s_cmp_lg_u32 s10, 0
	v_add_co_u32 v1, vcc_lo, s12, v1
	s_delay_alu instid0(VALU_DEP_2)
	v_add_co_ci_u32_e32 v2, vcc_lo, s13, v2, vcc_lo
	s_cselect_b32 s12, -1, 0
	s_mov_b32 s13, 0
	s_lshl_b64 s[0:1], s[0:1], 9
	s_branch .LBB532_27
.LBB532_25:                             ;   in Loop: Header=BB532_27 Depth=1
	s_delay_alu instid0(VALU_DEP_2)
	v_add_co_u32 v3, vcc_lo, s2, v3
	v_add_co_ci_u32_e32 v4, vcc_lo, s3, v4, vcc_lo
	global_store_b32 v[3:4], v7, off
.LBB532_26:                             ;   in Loop: Header=BB532_27 Depth=1
	s_or_b32 exec_lo, exec_lo, s14
	v_add_co_u32 v1, vcc_lo, v1, s0
	v_add_co_ci_u32_e32 v2, vcc_lo, s1, v2, vcc_lo
	s_addk_i32 s13, 0x100
	s_delay_alu instid0(SALU_CYCLE_1)
	s_cmp_ge_i32 s13, s5
	s_cbranch_scc1 .LBB532_38
.LBB532_27:                             ; =>This Loop Header: Depth=1
                                        ;     Child Loop BB532_33 Depth 2
                                        ;     Child Loop BB532_37 Depth 2
	v_add_nc_u32_e32 v3, s13, v0
	s_mov_b32 s14, exec_lo
	s_delay_alu instid0(VALU_DEP_1)
	v_cmpx_gt_i32_e64 s5, v3
	s_cbranch_execz .LBB532_26
; %bb.28:                               ;   in Loop: Header=BB532_27 Depth=1
	v_mad_u64_u32 v[4:5], null, v3, s6, 0
	s_and_not1_b32 vcc_lo, exec_lo, s8
	s_delay_alu instid0(VALU_DEP_1) | instskip(NEXT) | instid1(VALU_DEP_1)
	v_mad_u64_u32 v[6:7], null, v3, s7, v[5:6]
	v_mov_b32_e32 v5, v6
	s_delay_alu instid0(VALU_DEP_1)
	v_lshlrev_b64 v[3:4], 2, v[4:5]
	s_cbranch_vccnz .LBB532_30
; %bb.29:                               ;   in Loop: Header=BB532_27 Depth=1
	s_delay_alu instid0(VALU_DEP_1) | instskip(NEXT) | instid1(VALU_DEP_2)
	v_add_co_u32 v5, vcc_lo, s2, v3
	v_add_co_ci_u32_e32 v6, vcc_lo, s3, v4, vcc_lo
	global_load_b32 v5, v[5:6], off
	s_waitcnt vmcnt(0)
	v_mul_f32_e32 v7, s20, v5
	s_and_not1_b32 vcc_lo, exec_lo, s9
	s_cbranch_vccz .LBB532_31
	s_branch .LBB532_25
.LBB532_30:                             ;   in Loop: Header=BB532_27 Depth=1
	v_mov_b32_e32 v7, 0
	s_and_not1_b32 vcc_lo, exec_lo, s9
	s_cbranch_vccnz .LBB532_25
.LBB532_31:                             ;   in Loop: Header=BB532_27 Depth=1
	s_and_not1_b32 vcc_lo, exec_lo, s11
	s_cbranch_vccnz .LBB532_35
; %bb.32:                               ;   in Loop: Header=BB532_27 Depth=1
	v_dual_mov_b32 v6, v2 :: v_dual_mov_b32 v5, v1
	s_mov_b32 s15, 0
	s_mov_b32 s16, 0
	.p2align	6
.LBB532_33:                             ;   Parent Loop BB532_27 Depth=1
                                        ; =>  This Inner Loop Header: Depth=2
	flat_load_b128 v[8:11], v[5:6]
	v_mov_b32_e32 v16, s15
	v_add_co_u32 v5, vcc_lo, v5, 16
	v_add_co_ci_u32_e32 v6, vcc_lo, 0, v6, vcc_lo
	ds_load_b128 v[12:15], v16
	ds_load_b128 v[16:19], v16 offset:16
	s_add_i32 s16, s16, 8
	s_add_i32 s15, s15, 32
	s_cmp_eq_u32 s4, s16
	s_waitcnt vmcnt(0) lgkmcnt(1)
	v_fma_mix_f32 v7, v12, v8, v7 op_sel_hi:[0,1,0]
	s_delay_alu instid0(VALU_DEP_1) | instskip(NEXT) | instid1(VALU_DEP_1)
	v_fma_mix_f32 v7, v13, v8, v7 op_sel:[0,1,0] op_sel_hi:[0,1,0]
	v_fma_mix_f32 v7, v14, v9, v7 op_sel_hi:[0,1,0]
	s_delay_alu instid0(VALU_DEP_1) | instskip(SKIP_1) | instid1(VALU_DEP_1)
	v_fma_mix_f32 v7, v15, v9, v7 op_sel:[0,1,0] op_sel_hi:[0,1,0]
	s_waitcnt lgkmcnt(0)
	v_fma_mix_f32 v7, v16, v10, v7 op_sel_hi:[0,1,0]
	s_delay_alu instid0(VALU_DEP_1) | instskip(NEXT) | instid1(VALU_DEP_1)
	v_fma_mix_f32 v7, v17, v10, v7 op_sel:[0,1,0] op_sel_hi:[0,1,0]
	v_fma_mix_f32 v7, v18, v11, v7 op_sel_hi:[0,1,0]
	s_delay_alu instid0(VALU_DEP_1)
	v_fma_mix_f32 v7, v19, v11, v7 op_sel:[0,1,0] op_sel_hi:[0,1,0]
	s_cbranch_scc0 .LBB532_33
; %bb.34:                               ;   in Loop: Header=BB532_27 Depth=1
	s_mov_b32 s15, s4
	s_and_not1_b32 vcc_lo, exec_lo, s12
	s_cbranch_vccz .LBB532_36
	s_branch .LBB532_25
.LBB532_35:                             ;   in Loop: Header=BB532_27 Depth=1
	s_mov_b32 s15, 0
	s_and_not1_b32 vcc_lo, exec_lo, s12
	s_cbranch_vccnz .LBB532_25
.LBB532_36:                             ;   in Loop: Header=BB532_27 Depth=1
	s_lshl_b32 s16, s15, 1
	s_lshl_b32 s15, s15, 2
	v_add_co_u32 v5, vcc_lo, v1, s16
	v_add_co_ci_u32_e32 v6, vcc_lo, 0, v2, vcc_lo
	s_mov_b32 s16, s10
.LBB532_37:                             ;   Parent Loop BB532_27 Depth=1
                                        ; =>  This Inner Loop Header: Depth=2
	flat_load_u16 v8, v[5:6]
	v_mov_b32_e32 v9, s15
	v_add_co_u32 v5, vcc_lo, v5, 2
	v_add_co_ci_u32_e32 v6, vcc_lo, 0, v6, vcc_lo
	ds_load_b32 v9, v9
	s_add_i32 s16, s16, -1
	s_add_i32 s15, s15, 4
	s_cmp_lg_u32 s16, 0
	s_waitcnt vmcnt(0) lgkmcnt(0)
	v_fma_mix_f32 v7, v9, v8, v7 op_sel_hi:[0,1,0]
	s_cbranch_scc1 .LBB532_37
	s_branch .LBB532_25
.LBB532_38:
	s_nop 0
	s_sendmsg sendmsg(MSG_DEALLOC_VGPRS)
	s_endpgm
	.section	.rodata,"a",@progbits
	.p2align	6, 0x0
	.amdhsa_kernel _ZL22rocblas_gemvtsm_kernelILb1ELi256EPKDF16_PKfKPfEviiT2_lPKT1_lilS9_lilS6_lPT3_lil
		.amdhsa_group_segment_fixed_size 256
		.amdhsa_private_segment_fixed_size 0
		.amdhsa_kernarg_size 136
		.amdhsa_user_sgpr_count 15
		.amdhsa_user_sgpr_dispatch_ptr 0
		.amdhsa_user_sgpr_queue_ptr 0
		.amdhsa_user_sgpr_kernarg_segment_ptr 1
		.amdhsa_user_sgpr_dispatch_id 0
		.amdhsa_user_sgpr_private_segment_size 0
		.amdhsa_wavefront_size32 1
		.amdhsa_uses_dynamic_stack 0
		.amdhsa_enable_private_segment 0
		.amdhsa_system_sgpr_workgroup_id_x 1
		.amdhsa_system_sgpr_workgroup_id_y 0
		.amdhsa_system_sgpr_workgroup_id_z 0
		.amdhsa_system_sgpr_workgroup_info 0
		.amdhsa_system_vgpr_workitem_id 0
		.amdhsa_next_free_vgpr 20
		.amdhsa_next_free_sgpr 22
		.amdhsa_reserve_vcc 1
		.amdhsa_float_round_mode_32 0
		.amdhsa_float_round_mode_16_64 0
		.amdhsa_float_denorm_mode_32 3
		.amdhsa_float_denorm_mode_16_64 3
		.amdhsa_dx10_clamp 1
		.amdhsa_ieee_mode 1
		.amdhsa_fp16_overflow 0
		.amdhsa_workgroup_processor_mode 1
		.amdhsa_memory_ordered 1
		.amdhsa_forward_progress 0
		.amdhsa_shared_vgpr_count 0
		.amdhsa_exception_fp_ieee_invalid_op 0
		.amdhsa_exception_fp_denorm_src 0
		.amdhsa_exception_fp_ieee_div_zero 0
		.amdhsa_exception_fp_ieee_overflow 0
		.amdhsa_exception_fp_ieee_underflow 0
		.amdhsa_exception_fp_ieee_inexact 0
		.amdhsa_exception_int_div_zero 0
	.end_amdhsa_kernel
	.section	.text._ZL22rocblas_gemvtsm_kernelILb1ELi256EPKDF16_PKfKPfEviiT2_lPKT1_lilS9_lilS6_lPT3_lil,"axG",@progbits,_ZL22rocblas_gemvtsm_kernelILb1ELi256EPKDF16_PKfKPfEviiT2_lPKT1_lilS9_lilS6_lPT3_lil,comdat
.Lfunc_end532:
	.size	_ZL22rocblas_gemvtsm_kernelILb1ELi256EPKDF16_PKfKPfEviiT2_lPKT1_lilS9_lilS6_lPT3_lil, .Lfunc_end532-_ZL22rocblas_gemvtsm_kernelILb1ELi256EPKDF16_PKfKPfEviiT2_lPKT1_lilS9_lilS6_lPT3_lil
                                        ; -- End function
	.section	.AMDGPU.csdata,"",@progbits
; Kernel info:
; codeLenInByte = 1436
; NumSgprs: 24
; NumVgprs: 20
; ScratchSize: 0
; MemoryBound: 0
; FloatMode: 240
; IeeeMode: 1
; LDSByteSize: 256 bytes/workgroup (compile time only)
; SGPRBlocks: 2
; VGPRBlocks: 2
; NumSGPRsForWavesPerEU: 24
; NumVGPRsForWavesPerEU: 20
; Occupancy: 16
; WaveLimiterHint : 1
; COMPUTE_PGM_RSRC2:SCRATCH_EN: 0
; COMPUTE_PGM_RSRC2:USER_SGPR: 15
; COMPUTE_PGM_RSRC2:TRAP_HANDLER: 0
; COMPUTE_PGM_RSRC2:TGID_X_EN: 1
; COMPUTE_PGM_RSRC2:TGID_Y_EN: 0
; COMPUTE_PGM_RSRC2:TGID_Z_EN: 0
; COMPUTE_PGM_RSRC2:TIDIG_COMP_CNT: 0
	.section	.text._ZL22rocblas_gemvtsm_kernelILb1ELi256EPKDF16_fKPfEviiT2_lPKT1_lilS7_lilS4_lPT3_lil,"axG",@progbits,_ZL22rocblas_gemvtsm_kernelILb1ELi256EPKDF16_fKPfEviiT2_lPKT1_lilS7_lilS4_lPT3_lil,comdat
	.globl	_ZL22rocblas_gemvtsm_kernelILb1ELi256EPKDF16_fKPfEviiT2_lPKT1_lilS7_lilS4_lPT3_lil ; -- Begin function _ZL22rocblas_gemvtsm_kernelILb1ELi256EPKDF16_fKPfEviiT2_lPKT1_lilS7_lilS4_lPT3_lil
	.p2align	8
	.type	_ZL22rocblas_gemvtsm_kernelILb1ELi256EPKDF16_fKPfEviiT2_lPKT1_lilS7_lilS4_lPT3_lil,@function
_ZL22rocblas_gemvtsm_kernelILb1ELi256EPKDF16_fKPfEviiT2_lPKT1_lilS7_lilS4_lPT3_lil: ; @_ZL22rocblas_gemvtsm_kernelILb1ELi256EPKDF16_fKPfEviiT2_lPKT1_lilS7_lilS4_lPT3_lil
; %bb.0:
	s_load_b128 s[4:7], s[0:1], 0x0
	s_waitcnt lgkmcnt(0)
	s_load_b32 s7, s[0:1], 0x58
	v_cmp_eq_f32_e64 s13, s6, 0
	s_waitcnt lgkmcnt(0)
	v_cmp_eq_f32_e64 s3, s7, 1.0
	s_delay_alu instid0(VALU_DEP_1) | instskip(NEXT) | instid1(SALU_CYCLE_1)
	s_and_b32 s3, s13, s3
	s_and_b32 vcc_lo, exec_lo, s3
	s_cbranch_vccnz .LBB533_41
; %bb.1:
	v_cmp_neq_f32_e64 s8, s6, 0
	s_mov_b32 s2, s15
	s_delay_alu instid0(VALU_DEP_1)
	s_and_b32 vcc_lo, exec_lo, s8
	s_cbranch_vccnz .LBB533_3
; %bb.2:
	s_mov_b32 s3, 0
	s_mov_b64 s[14:15], 0
	s_cbranch_execz .LBB533_4
	s_branch .LBB533_5
.LBB533_3:
	s_mov_b32 s3, -1
                                        ; implicit-def: $sgpr14_sgpr15
.LBB533_4:
	s_load_b128 s[16:19], s[0:1], 0x18
	s_mov_b32 s3, 0
	s_delay_alu instid0(SALU_CYCLE_1)
	s_lshl_b64 s[10:11], s[2:3], 3
	s_waitcnt lgkmcnt(0)
	s_add_u32 s10, s16, s10
	s_addc_u32 s11, s17, s11
	s_lshl_b64 s[14:15], s[18:19], 1
	s_load_b64 s[10:11], s[10:11], 0x0
	s_waitcnt lgkmcnt(0)
	s_add_u32 s14, s10, s14
	s_addc_u32 s15, s11, s15
.LBB533_5:
	s_and_not1_b32 vcc_lo, exec_lo, s8
	s_cbranch_vccnz .LBB533_7
; %bb.6:
	s_load_b128 s[8:11], s[0:1], 0x38
	s_lshl_b64 s[16:17], s[2:3], 3
	s_waitcnt lgkmcnt(0)
	s_add_u32 s8, s8, s16
	s_addc_u32 s9, s9, s17
	s_lshl_b64 s[10:11], s[10:11], 1
	s_load_b64 s[8:9], s[8:9], 0x0
	s_waitcnt lgkmcnt(0)
	s_add_u32 s16, s8, s10
	s_addc_u32 s17, s9, s11
	s_branch .LBB533_8
.LBB533_7:
	s_mov_b64 s[16:17], 0
.LBB533_8:
	s_clause 0x1
	s_load_b128 s[8:11], s[0:1], 0x68
	s_load_b32 s12, s[0:1], 0x78
	s_lshl_b64 s[2:3], s[2:3], 3
	s_waitcnt lgkmcnt(0)
	s_add_u32 s2, s8, s2
	s_addc_u32 s3, s9, s3
	s_and_not1_b32 vcc_lo, exec_lo, s13
	s_load_b64 s[8:9], s[2:3], 0x0
	s_mov_b32 s2, -1
	s_cbranch_vccnz .LBB533_23
; %bb.9:
	s_cmp_gt_i32 s5, 0
	v_cmp_neq_f32_e64 s2, s7, 0
	s_cselect_b32 s18, -1, 0
	s_delay_alu instid0(SALU_CYCLE_1) | instskip(NEXT) | instid1(VALU_DEP_2)
	v_cndmask_b32_e64 v1, 0, 1, s18
	s_and_b32 vcc_lo, exec_lo, s2
	s_delay_alu instid0(VALU_DEP_1)
	v_cmp_ne_u32_e64 s2, 1, v1
	s_cbranch_vccnz .LBB533_16
; %bb.10:
	s_delay_alu instid0(VALU_DEP_1)
	s_and_b32 vcc_lo, exec_lo, s2
	s_cbranch_vccnz .LBB533_15
; %bb.11:
	v_mad_i64_i32 v[1:2], null, s12, v0, 0
	s_lshl_b64 s[2:3], s[10:11], 2
	s_ashr_i32 s13, s12, 31
	s_waitcnt lgkmcnt(0)
	s_add_u32 s2, s8, s2
	s_addc_u32 s3, s9, s3
	v_mov_b32_e32 v3, 0
	s_delay_alu instid0(VALU_DEP_2) | instskip(NEXT) | instid1(VALU_DEP_1)
	v_lshlrev_b64 v[1:2], 2, v[1:2]
	v_add_co_u32 v1, vcc_lo, s2, v1
	s_delay_alu instid0(VALU_DEP_2)
	v_add_co_ci_u32_e32 v2, vcc_lo, s3, v2, vcc_lo
	s_lshl_b64 s[2:3], s[12:13], 10
	s_mov_b32 s13, 0
	s_branch .LBB533_13
.LBB533_12:                             ;   in Loop: Header=BB533_13 Depth=1
	s_or_b32 exec_lo, exec_lo, s19
	v_add_co_u32 v1, vcc_lo, v1, s2
	v_add_co_ci_u32_e32 v2, vcc_lo, s3, v2, vcc_lo
	s_addk_i32 s13, 0x100
	s_delay_alu instid0(SALU_CYCLE_1)
	s_cmp_ge_i32 s13, s5
	s_cbranch_scc1 .LBB533_15
.LBB533_13:                             ; =>This Inner Loop Header: Depth=1
	v_add_nc_u32_e32 v4, s13, v0
	s_mov_b32 s19, exec_lo
	s_delay_alu instid0(VALU_DEP_1)
	v_cmpx_gt_i32_e64 s5, v4
	s_cbranch_execz .LBB533_12
; %bb.14:                               ;   in Loop: Header=BB533_13 Depth=1
	global_store_b32 v[1:2], v3, off
	s_branch .LBB533_12
.LBB533_15:
	s_cbranch_execz .LBB533_17
	s_branch .LBB533_22
.LBB533_16:
.LBB533_17:
	s_and_not1_b32 vcc_lo, exec_lo, s18
	s_cbranch_vccnz .LBB533_22
; %bb.18:
	v_mad_i64_i32 v[1:2], null, s12, v0, 0
	s_lshl_b64 s[2:3], s[10:11], 2
	s_ashr_i32 s13, s12, 31
	s_waitcnt lgkmcnt(0)
	s_add_u32 s2, s8, s2
	s_addc_u32 s3, s9, s3
	s_delay_alu instid0(VALU_DEP_1) | instskip(NEXT) | instid1(VALU_DEP_1)
	v_lshlrev_b64 v[1:2], 2, v[1:2]
	v_add_co_u32 v1, vcc_lo, s2, v1
	s_delay_alu instid0(VALU_DEP_2)
	v_add_co_ci_u32_e32 v2, vcc_lo, s3, v2, vcc_lo
	s_lshl_b64 s[2:3], s[12:13], 10
	s_mov_b32 s13, 0
	s_branch .LBB533_20
	.p2align	6
.LBB533_19:                             ;   in Loop: Header=BB533_20 Depth=1
	s_or_b32 exec_lo, exec_lo, s18
	v_add_co_u32 v1, vcc_lo, v1, s2
	v_add_co_ci_u32_e32 v2, vcc_lo, s3, v2, vcc_lo
	s_addk_i32 s13, 0x100
	s_delay_alu instid0(SALU_CYCLE_1)
	s_cmp_ge_i32 s13, s5
	s_cbranch_scc1 .LBB533_22
.LBB533_20:                             ; =>This Inner Loop Header: Depth=1
	v_add_nc_u32_e32 v3, s13, v0
	s_mov_b32 s18, exec_lo
	s_delay_alu instid0(VALU_DEP_1)
	v_cmpx_gt_i32_e64 s5, v3
	s_cbranch_execz .LBB533_19
; %bb.21:                               ;   in Loop: Header=BB533_20 Depth=1
	global_load_b32 v3, v[1:2], off
	s_waitcnt vmcnt(0)
	v_mul_f32_e32 v3, s7, v3
	global_store_b32 v[1:2], v3, off
	s_branch .LBB533_19
.LBB533_22:
	s_mov_b32 s2, 0
.LBB533_23:
	s_delay_alu instid0(SALU_CYCLE_1)
	s_and_not1_b32 vcc_lo, exec_lo, s2
	s_cbranch_vccnz .LBB533_41
; %bb.24:
	s_mov_b32 s2, exec_lo
	v_cmpx_gt_i32_e64 s4, v0
	s_cbranch_execz .LBB533_26
; %bb.25:
	s_load_b32 s3, s[0:1], 0x48
	s_waitcnt lgkmcnt(0)
	v_mad_i64_i32 v[1:2], null, s3, v0, 0
	s_delay_alu instid0(VALU_DEP_1) | instskip(NEXT) | instid1(VALU_DEP_1)
	v_lshlrev_b64 v[1:2], 1, v[1:2]
	v_add_co_u32 v1, vcc_lo, s16, v1
	s_delay_alu instid0(VALU_DEP_2) | instskip(SKIP_4) | instid1(VALU_DEP_1)
	v_add_co_ci_u32_e32 v2, vcc_lo, s17, v2, vcc_lo
	flat_load_u16 v1, v[1:2]
	v_lshlrev_b32_e32 v2, 2, v0
	s_waitcnt vmcnt(0) lgkmcnt(0)
	v_cvt_f32_f16_e32 v1, v1
	v_mul_f32_e32 v1, s6, v1
	ds_store_b32 v2, v1
.LBB533_26:
	s_or_b32 exec_lo, exec_lo, s2
	s_cmp_lt_i32 s5, 1
	s_waitcnt lgkmcnt(0)
	s_waitcnt_vscnt null, 0x0
	s_barrier
	buffer_gl0_inv
	s_cbranch_scc1 .LBB533_41
; %bb.27:
	s_load_b32 s0, s[0:1], 0x28
	s_lshl_b64 s[2:3], s[10:11], 2
	s_delay_alu instid0(SALU_CYCLE_1)
	s_add_u32 s2, s8, s2
	s_addc_u32 s3, s9, s3
	s_ashr_i32 s6, s12, 31
	v_cmp_neq_f32_e64 s8, s7, 0
	s_waitcnt lgkmcnt(0)
	v_mad_i64_i32 v[1:2], null, s0, v0, 0
	s_ashr_i32 s1, s0, 31
	s_cmp_gt_i32 s4, 0
	s_cselect_b32 s9, -1, 0
	s_and_b32 s10, s4, 7
	s_cmp_gt_u32 s4, 7
	s_delay_alu instid0(VALU_DEP_1) | instskip(SKIP_4) | instid1(VALU_DEP_1)
	v_lshlrev_b64 v[1:2], 1, v[1:2]
	s_cselect_b32 s11, -1, 0
	s_and_b32 s4, s4, 0x7ffffff8
	s_cmp_lg_u32 s10, 0
	s_cselect_b32 s13, -1, 0
	v_add_co_u32 v1, vcc_lo, s14, v1
	v_add_co_ci_u32_e32 v2, vcc_lo, s15, v2, vcc_lo
	s_mov_b32 s14, 0
	s_lshl_b64 s[0:1], s[0:1], 9
	s_branch .LBB533_30
.LBB533_28:                             ;   in Loop: Header=BB533_30 Depth=1
	s_delay_alu instid0(VALU_DEP_2)
	v_add_co_u32 v3, vcc_lo, s2, v3
	v_add_co_ci_u32_e32 v4, vcc_lo, s3, v4, vcc_lo
	global_store_b32 v[3:4], v7, off
.LBB533_29:                             ;   in Loop: Header=BB533_30 Depth=1
	s_or_b32 exec_lo, exec_lo, s15
	v_add_co_u32 v1, vcc_lo, v1, s0
	v_add_co_ci_u32_e32 v2, vcc_lo, s1, v2, vcc_lo
	s_addk_i32 s14, 0x100
	s_delay_alu instid0(SALU_CYCLE_1)
	s_cmp_ge_i32 s14, s5
	s_cbranch_scc1 .LBB533_41
.LBB533_30:                             ; =>This Loop Header: Depth=1
                                        ;     Child Loop BB533_36 Depth 2
                                        ;     Child Loop BB533_40 Depth 2
	v_add_nc_u32_e32 v3, s14, v0
	s_mov_b32 s15, exec_lo
	s_delay_alu instid0(VALU_DEP_1)
	v_cmpx_gt_i32_e64 s5, v3
	s_cbranch_execz .LBB533_29
; %bb.31:                               ;   in Loop: Header=BB533_30 Depth=1
	v_mad_u64_u32 v[4:5], null, v3, s12, 0
	s_and_not1_b32 vcc_lo, exec_lo, s8
	s_delay_alu instid0(VALU_DEP_1) | instskip(NEXT) | instid1(VALU_DEP_1)
	v_mad_u64_u32 v[6:7], null, v3, s6, v[5:6]
	v_mov_b32_e32 v5, v6
	s_delay_alu instid0(VALU_DEP_1)
	v_lshlrev_b64 v[3:4], 2, v[4:5]
	s_cbranch_vccnz .LBB533_33
; %bb.32:                               ;   in Loop: Header=BB533_30 Depth=1
	s_delay_alu instid0(VALU_DEP_1) | instskip(NEXT) | instid1(VALU_DEP_2)
	v_add_co_u32 v5, vcc_lo, s2, v3
	v_add_co_ci_u32_e32 v6, vcc_lo, s3, v4, vcc_lo
	global_load_b32 v5, v[5:6], off
	s_waitcnt vmcnt(0)
	v_mul_f32_e32 v7, s7, v5
	s_and_not1_b32 vcc_lo, exec_lo, s9
	s_cbranch_vccz .LBB533_34
	s_branch .LBB533_28
.LBB533_33:                             ;   in Loop: Header=BB533_30 Depth=1
	v_mov_b32_e32 v7, 0
	s_and_not1_b32 vcc_lo, exec_lo, s9
	s_cbranch_vccnz .LBB533_28
.LBB533_34:                             ;   in Loop: Header=BB533_30 Depth=1
	s_and_not1_b32 vcc_lo, exec_lo, s11
	s_cbranch_vccnz .LBB533_38
; %bb.35:                               ;   in Loop: Header=BB533_30 Depth=1
	v_dual_mov_b32 v6, v2 :: v_dual_mov_b32 v5, v1
	s_mov_b32 s16, 0
	s_mov_b32 s17, 0
	.p2align	6
.LBB533_36:                             ;   Parent Loop BB533_30 Depth=1
                                        ; =>  This Inner Loop Header: Depth=2
	flat_load_b128 v[8:11], v[5:6]
	v_mov_b32_e32 v16, s16
	v_add_co_u32 v5, vcc_lo, v5, 16
	v_add_co_ci_u32_e32 v6, vcc_lo, 0, v6, vcc_lo
	ds_load_b128 v[12:15], v16
	ds_load_b128 v[16:19], v16 offset:16
	s_add_i32 s17, s17, 8
	s_add_i32 s16, s16, 32
	s_cmp_eq_u32 s4, s17
	s_waitcnt vmcnt(0) lgkmcnt(1)
	v_fma_mix_f32 v7, v12, v8, v7 op_sel_hi:[0,1,0]
	s_delay_alu instid0(VALU_DEP_1) | instskip(NEXT) | instid1(VALU_DEP_1)
	v_fma_mix_f32 v7, v13, v8, v7 op_sel:[0,1,0] op_sel_hi:[0,1,0]
	v_fma_mix_f32 v7, v14, v9, v7 op_sel_hi:[0,1,0]
	s_delay_alu instid0(VALU_DEP_1) | instskip(SKIP_1) | instid1(VALU_DEP_1)
	v_fma_mix_f32 v7, v15, v9, v7 op_sel:[0,1,0] op_sel_hi:[0,1,0]
	s_waitcnt lgkmcnt(0)
	v_fma_mix_f32 v7, v16, v10, v7 op_sel_hi:[0,1,0]
	s_delay_alu instid0(VALU_DEP_1) | instskip(NEXT) | instid1(VALU_DEP_1)
	v_fma_mix_f32 v7, v17, v10, v7 op_sel:[0,1,0] op_sel_hi:[0,1,0]
	v_fma_mix_f32 v7, v18, v11, v7 op_sel_hi:[0,1,0]
	s_delay_alu instid0(VALU_DEP_1)
	v_fma_mix_f32 v7, v19, v11, v7 op_sel:[0,1,0] op_sel_hi:[0,1,0]
	s_cbranch_scc0 .LBB533_36
; %bb.37:                               ;   in Loop: Header=BB533_30 Depth=1
	s_mov_b32 s16, s4
	s_and_not1_b32 vcc_lo, exec_lo, s13
	s_cbranch_vccz .LBB533_39
	s_branch .LBB533_28
.LBB533_38:                             ;   in Loop: Header=BB533_30 Depth=1
	s_mov_b32 s16, 0
	s_and_not1_b32 vcc_lo, exec_lo, s13
	s_cbranch_vccnz .LBB533_28
.LBB533_39:                             ;   in Loop: Header=BB533_30 Depth=1
	s_lshl_b32 s17, s16, 1
	s_lshl_b32 s16, s16, 2
	v_add_co_u32 v5, vcc_lo, v1, s17
	v_add_co_ci_u32_e32 v6, vcc_lo, 0, v2, vcc_lo
	s_mov_b32 s17, s10
.LBB533_40:                             ;   Parent Loop BB533_30 Depth=1
                                        ; =>  This Inner Loop Header: Depth=2
	flat_load_u16 v8, v[5:6]
	v_mov_b32_e32 v9, s16
	v_add_co_u32 v5, vcc_lo, v5, 2
	v_add_co_ci_u32_e32 v6, vcc_lo, 0, v6, vcc_lo
	ds_load_b32 v9, v9
	s_add_i32 s17, s17, -1
	s_add_i32 s16, s16, 4
	s_cmp_lg_u32 s17, 0
	s_waitcnt vmcnt(0) lgkmcnt(0)
	v_fma_mix_f32 v7, v9, v8, v7 op_sel_hi:[0,1,0]
	s_cbranch_scc1 .LBB533_40
	s_branch .LBB533_28
.LBB533_41:
	s_nop 0
	s_sendmsg sendmsg(MSG_DEALLOC_VGPRS)
	s_endpgm
	.section	.rodata,"a",@progbits
	.p2align	6, 0x0
	.amdhsa_kernel _ZL22rocblas_gemvtsm_kernelILb1ELi256EPKDF16_fKPfEviiT2_lPKT1_lilS7_lilS4_lPT3_lil
		.amdhsa_group_segment_fixed_size 256
		.amdhsa_private_segment_fixed_size 0
		.amdhsa_kernarg_size 136
		.amdhsa_user_sgpr_count 15
		.amdhsa_user_sgpr_dispatch_ptr 0
		.amdhsa_user_sgpr_queue_ptr 0
		.amdhsa_user_sgpr_kernarg_segment_ptr 1
		.amdhsa_user_sgpr_dispatch_id 0
		.amdhsa_user_sgpr_private_segment_size 0
		.amdhsa_wavefront_size32 1
		.amdhsa_uses_dynamic_stack 0
		.amdhsa_enable_private_segment 0
		.amdhsa_system_sgpr_workgroup_id_x 1
		.amdhsa_system_sgpr_workgroup_id_y 0
		.amdhsa_system_sgpr_workgroup_id_z 0
		.amdhsa_system_sgpr_workgroup_info 0
		.amdhsa_system_vgpr_workitem_id 0
		.amdhsa_next_free_vgpr 20
		.amdhsa_next_free_sgpr 20
		.amdhsa_reserve_vcc 1
		.amdhsa_float_round_mode_32 0
		.amdhsa_float_round_mode_16_64 0
		.amdhsa_float_denorm_mode_32 3
		.amdhsa_float_denorm_mode_16_64 3
		.amdhsa_dx10_clamp 1
		.amdhsa_ieee_mode 1
		.amdhsa_fp16_overflow 0
		.amdhsa_workgroup_processor_mode 1
		.amdhsa_memory_ordered 1
		.amdhsa_forward_progress 0
		.amdhsa_shared_vgpr_count 0
		.amdhsa_exception_fp_ieee_invalid_op 0
		.amdhsa_exception_fp_denorm_src 0
		.amdhsa_exception_fp_ieee_div_zero 0
		.amdhsa_exception_fp_ieee_overflow 0
		.amdhsa_exception_fp_ieee_underflow 0
		.amdhsa_exception_fp_ieee_inexact 0
		.amdhsa_exception_int_div_zero 0
	.end_amdhsa_kernel
	.section	.text._ZL22rocblas_gemvtsm_kernelILb1ELi256EPKDF16_fKPfEviiT2_lPKT1_lilS7_lilS4_lPT3_lil,"axG",@progbits,_ZL22rocblas_gemvtsm_kernelILb1ELi256EPKDF16_fKPfEviiT2_lPKT1_lilS7_lilS4_lPT3_lil,comdat
.Lfunc_end533:
	.size	_ZL22rocblas_gemvtsm_kernelILb1ELi256EPKDF16_fKPfEviiT2_lPKT1_lilS7_lilS4_lPT3_lil, .Lfunc_end533-_ZL22rocblas_gemvtsm_kernelILb1ELi256EPKDF16_fKPfEviiT2_lPKT1_lilS7_lilS4_lPT3_lil
                                        ; -- End function
	.section	.AMDGPU.csdata,"",@progbits
; Kernel info:
; codeLenInByte = 1388
; NumSgprs: 22
; NumVgprs: 20
; ScratchSize: 0
; MemoryBound: 0
; FloatMode: 240
; IeeeMode: 1
; LDSByteSize: 256 bytes/workgroup (compile time only)
; SGPRBlocks: 2
; VGPRBlocks: 2
; NumSGPRsForWavesPerEU: 22
; NumVGPRsForWavesPerEU: 20
; Occupancy: 16
; WaveLimiterHint : 1
; COMPUTE_PGM_RSRC2:SCRATCH_EN: 0
; COMPUTE_PGM_RSRC2:USER_SGPR: 15
; COMPUTE_PGM_RSRC2:TRAP_HANDLER: 0
; COMPUTE_PGM_RSRC2:TGID_X_EN: 1
; COMPUTE_PGM_RSRC2:TGID_Y_EN: 0
; COMPUTE_PGM_RSRC2:TGID_Z_EN: 0
; COMPUTE_PGM_RSRC2:TIDIG_COMP_CNT: 0
	.section	.text._ZL20rocblas_gemvt_kernelILb1ELi256EPKDF16_PKfKPfEviiT2_lPKT1_lilS9_lilS6_lPT3_lili,"axG",@progbits,_ZL20rocblas_gemvt_kernelILb1ELi256EPKDF16_PKfKPfEviiT2_lPKT1_lilS9_lilS6_lPT3_lili,comdat
	.globl	_ZL20rocblas_gemvt_kernelILb1ELi256EPKDF16_PKfKPfEviiT2_lPKT1_lilS9_lilS6_lPT3_lili ; -- Begin function _ZL20rocblas_gemvt_kernelILb1ELi256EPKDF16_PKfKPfEviiT2_lPKT1_lilS9_lilS6_lPT3_lili
	.p2align	8
	.type	_ZL20rocblas_gemvt_kernelILb1ELi256EPKDF16_PKfKPfEviiT2_lPKT1_lilS9_lilS6_lPT3_lili,@function
_ZL20rocblas_gemvt_kernelILb1ELi256EPKDF16_PKfKPfEviiT2_lPKT1_lilS9_lilS6_lPT3_lili: ; @_ZL20rocblas_gemvt_kernelILb1ELi256EPKDF16_PKfKPfEviiT2_lPKT1_lilS9_lilS6_lPT3_lili
; %bb.0:
	s_clause 0x1
	s_load_b256 s[16:23], s[0:1], 0x8
	s_load_b256 s[4:11], s[0:1], 0x58
	s_waitcnt lgkmcnt(0)
	s_mul_i32 s3, s15, s19
	s_mul_hi_u32 s13, s15, s18
	s_mul_i32 s12, s15, s18
	s_add_i32 s13, s13, s3
	s_mul_i32 s3, s15, s7
	s_lshl_b64 s[12:13], s[12:13], 2
	s_mul_hi_u32 s7, s15, s6
	s_add_u32 s12, s16, s12
	s_addc_u32 s13, s17, s13
	s_add_i32 s7, s7, s3
	s_mul_i32 s6, s15, s6
	s_delay_alu instid0(SALU_CYCLE_1) | instskip(NEXT) | instid1(SALU_CYCLE_1)
	s_lshl_b64 s[6:7], s[6:7], 2
	s_add_u32 s4, s4, s6
	s_addc_u32 s5, s5, s7
	s_load_b32 s13, s[12:13], 0x0
	s_load_b32 s12, s[4:5], 0x0
	s_waitcnt lgkmcnt(0)
	v_cmp_eq_f32_e64 s16, s13, 0
	v_cmp_eq_f32_e64 s3, s12, 1.0
	s_delay_alu instid0(VALU_DEP_1) | instskip(NEXT) | instid1(SALU_CYCLE_1)
	s_and_b32 s3, s16, s3
	s_and_b32 vcc_lo, exec_lo, s3
	s_mov_b32 s3, 0
	s_cbranch_vccnz .LBB534_40
; %bb.1:
	s_mov_b32 s2, s15
	v_cmp_neq_f32_e64 s15, s13, 0
	s_mov_b64 s[4:5], 0
	s_and_b32 vcc_lo, exec_lo, s16
	s_mov_b64 s[6:7], 0
	s_cbranch_vccnz .LBB534_3
; %bb.2:
	s_lshl_b64 s[6:7], s[2:3], 3
	s_delay_alu instid0(SALU_CYCLE_1)
	s_add_u32 s6, s20, s6
	s_addc_u32 s7, s21, s7
	s_lshl_b64 s[18:19], s[22:23], 1
	s_load_b64 s[6:7], s[6:7], 0x0
	s_waitcnt lgkmcnt(0)
	s_add_u32 s6, s6, s18
	s_addc_u32 s7, s7, s19
.LBB534_3:
	s_and_not1_b32 vcc_lo, exec_lo, s15
	s_cbranch_vccnz .LBB534_5
; %bb.4:
	s_load_b128 s[20:23], s[0:1], 0x38
	s_lshl_b64 s[4:5], s[2:3], 3
	s_waitcnt lgkmcnt(0)
	s_add_u32 s4, s20, s4
	s_addc_u32 s5, s21, s5
	s_lshl_b64 s[18:19], s[22:23], 1
	s_load_b64 s[4:5], s[4:5], 0x0
	s_waitcnt lgkmcnt(0)
	s_add_u32 s4, s4, s18
	s_addc_u32 s5, s5, s19
.LBB534_5:
	s_lshl_b64 s[2:3], s[2:3], 3
	s_delay_alu instid0(SALU_CYCLE_1)
	s_add_u32 s2, s8, s2
	s_addc_u32 s3, s9, s3
	s_lshl_b64 s[10:11], s[10:11], 2
	s_load_b64 s[8:9], s[2:3], 0x0
	s_load_b32 s15, s[0:1], 0x78
	v_cmp_eq_u32_e64 s2, 0, v0
	s_waitcnt lgkmcnt(0)
	s_add_u32 s10, s8, s10
	s_addc_u32 s11, s9, s11
	s_and_not1_b32 vcc_lo, exec_lo, s16
	s_cbranch_vccnz .LBB534_10
; %bb.6:
	s_mov_b32 s3, 0
	s_mov_b32 s16, 0
                                        ; implicit-def: $vgpr1
                                        ; implicit-def: $sgpr8_sgpr9
	s_and_saveexec_b32 s17, s2
	s_cbranch_execz .LBB534_11
; %bb.7:
	v_cmp_eq_f32_e64 s2, s12, 0
	v_mov_b32_e32 v1, 0
	s_mul_hi_i32 s9, s15, s14
	s_mul_i32 s8, s15, s14
	s_delay_alu instid0(VALU_DEP_2)
	s_and_b32 vcc_lo, exec_lo, s2
	s_cbranch_vccnz .LBB534_9
; %bb.8:
	s_lshl_b64 s[18:19], s[8:9], 2
	s_delay_alu instid0(SALU_CYCLE_1)
	s_add_u32 s18, s10, s18
	s_addc_u32 s19, s11, s19
	s_load_b32 s2, s[18:19], 0x0
	s_waitcnt lgkmcnt(0)
	v_mul_f32_e64 v1, s12, s2
.LBB534_9:
	s_mov_b32 s16, exec_lo
	s_or_b32 exec_lo, exec_lo, s17
	s_delay_alu instid0(SALU_CYCLE_1)
	s_and_b32 vcc_lo, exec_lo, s3
	s_cbranch_vccnz .LBB534_12
	s_branch .LBB534_38
.LBB534_10:
	s_mov_b32 s16, 0
                                        ; implicit-def: $vgpr1
                                        ; implicit-def: $sgpr8_sgpr9
	s_cbranch_execnz .LBB534_12
	s_branch .LBB534_38
.LBB534_11:
	s_or_b32 exec_lo, exec_lo, s17
	s_delay_alu instid0(SALU_CYCLE_1)
	s_and_b32 vcc_lo, exec_lo, s3
	s_cbranch_vccz .LBB534_38
.LBB534_12:
	s_clause 0x2
	s_load_b32 s2, s[0:1], 0x28
	s_load_b32 s3, s[0:1], 0x0
	;; [unrolled: 1-line block ×3, first 2 shown]
	v_mov_b32_e32 v7, 0
	s_waitcnt lgkmcnt(0)
	s_mul_hi_i32 s9, s2, s14
	v_cmp_gt_i32_e32 vcc_lo, s3, v0
	s_mul_i32 s8, s2, s14
	s_delay_alu instid0(SALU_CYCLE_1) | instskip(NEXT) | instid1(SALU_CYCLE_1)
	s_lshl_b64 s[8:9], s[8:9], 1
	s_add_u32 s1, s8, s6
	v_cndmask_b32_e32 v1, 0, v0, vcc_lo
	s_addc_u32 s2, s9, s7
	s_ashr_i32 s6, s3, 31
	s_mov_b32 s8, 0
	s_lshr_b32 s6, s6, 24
	v_lshlrev_b32_e32 v1, 1, v1
	s_add_i32 s6, s3, s6
	s_delay_alu instid0(VALU_DEP_1) | instskip(NEXT) | instid1(VALU_DEP_1)
	v_add_co_u32 v1, s1, s1, v1
	v_add_co_ci_u32_e64 v2, null, s2, 0, s1
	s_and_b32 s2, s6, 0xffffff00
	s_cmpk_lt_i32 s3, 0x100
	s_cbranch_scc1 .LBB534_15
; %bb.13:
	v_mad_i64_i32 v[3:4], null, s0, v0, 0
	v_dual_mov_b32 v7, 0 :: v_dual_mov_b32 v6, v2
	v_mov_b32_e32 v5, v1
	s_ashr_i32 s1, s0, 31
	s_delay_alu instid0(SALU_CYCLE_1) | instskip(NEXT) | instid1(VALU_DEP_3)
	s_lshl_b64 s[6:7], s[0:1], 9
	v_lshlrev_b64 v[3:4], 1, v[3:4]
	s_delay_alu instid0(VALU_DEP_1) | instskip(NEXT) | instid1(VALU_DEP_2)
	v_add_co_u32 v3, vcc_lo, s4, v3
	v_add_co_ci_u32_e32 v4, vcc_lo, s5, v4, vcc_lo
	.p2align	6
.LBB534_14:                             ; =>This Inner Loop Header: Depth=1
	flat_load_u16 v8, v[5:6]
	flat_load_u16 v9, v[3:4]
	v_add_co_u32 v3, vcc_lo, v3, s6
	v_add_co_ci_u32_e32 v4, vcc_lo, s7, v4, vcc_lo
	v_add_co_u32 v5, vcc_lo, 0x200, v5
	v_add_co_ci_u32_e32 v6, vcc_lo, 0, v6, vcc_lo
	s_addk_i32 s8, 0x100
	s_delay_alu instid0(SALU_CYCLE_1) | instskip(SKIP_2) | instid1(VALU_DEP_1)
	s_cmp_ge_i32 s8, s2
	s_waitcnt vmcnt(0) lgkmcnt(0)
	v_mul_f16_e32 v8, v8, v9
	v_cvt_f32_f16_e32 v8, v8
	s_delay_alu instid0(VALU_DEP_1)
	v_add_f32_e32 v7, v7, v8
	s_cbranch_scc0 .LBB534_14
.LBB534_15:
	v_add_nc_u32_e32 v3, s2, v0
	s_mov_b32 s1, exec_lo
	s_delay_alu instid0(VALU_DEP_1)
	v_cmpx_gt_i32_e64 s3, v3
	s_cbranch_execz .LBB534_17
; %bb.16:
	v_mad_i64_i32 v[4:5], null, s0, v3, 0
	s_ashr_i32 s3, s2, 31
	s_delay_alu instid0(SALU_CYCLE_1) | instskip(NEXT) | instid1(SALU_CYCLE_1)
	s_lshl_b64 s[2:3], s[2:3], 1
	v_add_co_u32 v1, vcc_lo, v1, s2
	s_delay_alu instid0(VALU_DEP_2) | instskip(SKIP_1) | instid1(VALU_DEP_2)
	v_lshlrev_b64 v[3:4], 1, v[4:5]
	v_add_co_ci_u32_e32 v2, vcc_lo, s3, v2, vcc_lo
	v_add_co_u32 v3, vcc_lo, s4, v3
	s_delay_alu instid0(VALU_DEP_3) | instskip(SKIP_4) | instid1(VALU_DEP_1)
	v_add_co_ci_u32_e32 v4, vcc_lo, s5, v4, vcc_lo
	flat_load_u16 v1, v[1:2]
	flat_load_u16 v2, v[3:4]
	s_waitcnt vmcnt(0) lgkmcnt(0)
	v_mul_f16_e32 v1, v1, v2
	v_cvt_f32_f16_e32 v1, v1
	s_delay_alu instid0(VALU_DEP_1)
	v_add_f32_e32 v7, v7, v1
.LBB534_17:
	s_or_b32 exec_lo, exec_lo, s1
	v_lshlrev_b32_e32 v1, 2, v0
	s_mov_b32 s0, exec_lo
	ds_store_b32 v1, v7
	s_waitcnt lgkmcnt(0)
	s_barrier
	buffer_gl0_inv
	v_cmpx_gt_u32_e32 0x80, v0
	s_cbranch_execz .LBB534_19
; %bb.18:
	ds_load_2addr_stride64_b32 v[2:3], v1 offset1:2
	s_waitcnt lgkmcnt(0)
	v_add_f32_e32 v2, v3, v2
	ds_store_b32 v1, v2
.LBB534_19:
	s_or_b32 exec_lo, exec_lo, s0
	s_delay_alu instid0(SALU_CYCLE_1)
	s_mov_b32 s0, exec_lo
	s_waitcnt lgkmcnt(0)
	s_barrier
	buffer_gl0_inv
	v_cmpx_gt_u32_e32 64, v0
	s_cbranch_execz .LBB534_21
; %bb.20:
	ds_load_2addr_stride64_b32 v[2:3], v1 offset1:1
	s_waitcnt lgkmcnt(0)
	v_add_f32_e32 v2, v3, v2
	ds_store_b32 v1, v2
.LBB534_21:
	s_or_b32 exec_lo, exec_lo, s0
	s_delay_alu instid0(SALU_CYCLE_1)
	s_mov_b32 s0, exec_lo
	s_waitcnt lgkmcnt(0)
	s_barrier
	buffer_gl0_inv
	v_cmpx_gt_u32_e32 32, v0
	s_cbranch_execz .LBB534_23
; %bb.22:
	ds_load_2addr_b32 v[2:3], v1 offset1:32
	s_waitcnt lgkmcnt(0)
	v_add_f32_e32 v2, v3, v2
	ds_store_b32 v1, v2
.LBB534_23:
	s_or_b32 exec_lo, exec_lo, s0
	s_delay_alu instid0(SALU_CYCLE_1)
	s_mov_b32 s0, exec_lo
	s_waitcnt lgkmcnt(0)
	s_barrier
	buffer_gl0_inv
	v_cmpx_gt_u32_e32 16, v0
	s_cbranch_execz .LBB534_25
; %bb.24:
	ds_load_2addr_b32 v[2:3], v1 offset1:16
	s_waitcnt lgkmcnt(0)
	v_add_f32_e32 v2, v3, v2
	ds_store_b32 v1, v2
.LBB534_25:
	;; [unrolled: 14-line block ×5, first 2 shown]
	s_or_b32 exec_lo, exec_lo, s0
	v_cmp_eq_u32_e32 vcc_lo, 0, v0
	s_waitcnt lgkmcnt(0)
	s_barrier
	buffer_gl0_inv
	s_and_saveexec_b32 s0, vcc_lo
	s_cbranch_execz .LBB534_33
; %bb.32:
	v_mov_b32_e32 v2, 0
	ds_load_b64 v[0:1], v2
	s_waitcnt lgkmcnt(0)
	v_add_f32_e32 v0, v1, v0
	ds_store_b32 v2, v0
.LBB534_33:
	s_or_b32 exec_lo, exec_lo, s0
	s_waitcnt lgkmcnt(0)
	s_barrier
	buffer_gl0_inv
                                        ; implicit-def: $vgpr1
                                        ; implicit-def: $sgpr8_sgpr9
	s_and_saveexec_b32 s0, vcc_lo
	s_cbranch_execz .LBB534_37
; %bb.34:
	v_mov_b32_e32 v0, 0
	v_cmp_eq_f32_e64 s1, s12, 0
	s_mul_hi_i32 s9, s15, s14
	s_mul_i32 s8, s15, s14
	ds_load_b32 v0, v0
	s_and_b32 vcc_lo, exec_lo, s1
	s_waitcnt lgkmcnt(0)
	v_mul_f32_e32 v1, s13, v0
	s_cbranch_vccnz .LBB534_36
; %bb.35:
	s_lshl_b64 s[2:3], s[8:9], 2
	s_delay_alu instid0(SALU_CYCLE_1)
	s_add_u32 s2, s10, s2
	s_addc_u32 s3, s11, s3
	s_load_b32 s1, s[2:3], 0x0
	s_waitcnt lgkmcnt(0)
	v_fmac_f32_e64 v1, s12, s1
.LBB534_36:
	s_or_b32 s16, s16, exec_lo
.LBB534_37:
	s_or_b32 exec_lo, exec_lo, s0
.LBB534_38:
	s_and_saveexec_b32 s0, s16
	s_cbranch_execz .LBB534_40
; %bb.39:
	s_lshl_b64 s[0:1], s[8:9], 2
	v_mov_b32_e32 v0, 0
	s_add_u32 s0, s10, s0
	s_addc_u32 s1, s11, s1
	global_store_b32 v0, v1, s[0:1]
.LBB534_40:
	s_nop 0
	s_sendmsg sendmsg(MSG_DEALLOC_VGPRS)
	s_endpgm
	.section	.rodata,"a",@progbits
	.p2align	6, 0x0
	.amdhsa_kernel _ZL20rocblas_gemvt_kernelILb1ELi256EPKDF16_PKfKPfEviiT2_lPKT1_lilS9_lilS6_lPT3_lili
		.amdhsa_group_segment_fixed_size 1024
		.amdhsa_private_segment_fixed_size 0
		.amdhsa_kernarg_size 140
		.amdhsa_user_sgpr_count 14
		.amdhsa_user_sgpr_dispatch_ptr 0
		.amdhsa_user_sgpr_queue_ptr 0
		.amdhsa_user_sgpr_kernarg_segment_ptr 1
		.amdhsa_user_sgpr_dispatch_id 0
		.amdhsa_user_sgpr_private_segment_size 0
		.amdhsa_wavefront_size32 1
		.amdhsa_uses_dynamic_stack 0
		.amdhsa_enable_private_segment 0
		.amdhsa_system_sgpr_workgroup_id_x 1
		.amdhsa_system_sgpr_workgroup_id_y 0
		.amdhsa_system_sgpr_workgroup_id_z 1
		.amdhsa_system_sgpr_workgroup_info 0
		.amdhsa_system_vgpr_workitem_id 0
		.amdhsa_next_free_vgpr 10
		.amdhsa_next_free_sgpr 24
		.amdhsa_reserve_vcc 1
		.amdhsa_float_round_mode_32 0
		.amdhsa_float_round_mode_16_64 0
		.amdhsa_float_denorm_mode_32 3
		.amdhsa_float_denorm_mode_16_64 3
		.amdhsa_dx10_clamp 1
		.amdhsa_ieee_mode 1
		.amdhsa_fp16_overflow 0
		.amdhsa_workgroup_processor_mode 1
		.amdhsa_memory_ordered 1
		.amdhsa_forward_progress 0
		.amdhsa_shared_vgpr_count 0
		.amdhsa_exception_fp_ieee_invalid_op 0
		.amdhsa_exception_fp_denorm_src 0
		.amdhsa_exception_fp_ieee_div_zero 0
		.amdhsa_exception_fp_ieee_overflow 0
		.amdhsa_exception_fp_ieee_underflow 0
		.amdhsa_exception_fp_ieee_inexact 0
		.amdhsa_exception_int_div_zero 0
	.end_amdhsa_kernel
	.section	.text._ZL20rocblas_gemvt_kernelILb1ELi256EPKDF16_PKfKPfEviiT2_lPKT1_lilS9_lilS6_lPT3_lili,"axG",@progbits,_ZL20rocblas_gemvt_kernelILb1ELi256EPKDF16_PKfKPfEviiT2_lPKT1_lilS9_lilS6_lPT3_lili,comdat
.Lfunc_end534:
	.size	_ZL20rocblas_gemvt_kernelILb1ELi256EPKDF16_PKfKPfEviiT2_lPKT1_lilS9_lilS6_lPT3_lili, .Lfunc_end534-_ZL20rocblas_gemvt_kernelILb1ELi256EPKDF16_PKfKPfEviiT2_lPKT1_lilS9_lilS6_lPT3_lili
                                        ; -- End function
	.section	.AMDGPU.csdata,"",@progbits
; Kernel info:
; codeLenInByte = 1496
; NumSgprs: 26
; NumVgprs: 10
; ScratchSize: 0
; MemoryBound: 0
; FloatMode: 240
; IeeeMode: 1
; LDSByteSize: 1024 bytes/workgroup (compile time only)
; SGPRBlocks: 3
; VGPRBlocks: 1
; NumSGPRsForWavesPerEU: 26
; NumVGPRsForWavesPerEU: 10
; Occupancy: 16
; WaveLimiterHint : 1
; COMPUTE_PGM_RSRC2:SCRATCH_EN: 0
; COMPUTE_PGM_RSRC2:USER_SGPR: 14
; COMPUTE_PGM_RSRC2:TRAP_HANDLER: 0
; COMPUTE_PGM_RSRC2:TGID_X_EN: 1
; COMPUTE_PGM_RSRC2:TGID_Y_EN: 0
; COMPUTE_PGM_RSRC2:TGID_Z_EN: 1
; COMPUTE_PGM_RSRC2:TIDIG_COMP_CNT: 0
	.section	.text._ZL20rocblas_gemvt_kernelILb1ELi256EPKDF16_fKPfEviiT2_lPKT1_lilS7_lilS4_lPT3_lili,"axG",@progbits,_ZL20rocblas_gemvt_kernelILb1ELi256EPKDF16_fKPfEviiT2_lPKT1_lilS7_lilS4_lPT3_lili,comdat
	.globl	_ZL20rocblas_gemvt_kernelILb1ELi256EPKDF16_fKPfEviiT2_lPKT1_lilS7_lilS4_lPT3_lili ; -- Begin function _ZL20rocblas_gemvt_kernelILb1ELi256EPKDF16_fKPfEviiT2_lPKT1_lilS7_lilS4_lPT3_lili
	.p2align	8
	.type	_ZL20rocblas_gemvt_kernelILb1ELi256EPKDF16_fKPfEviiT2_lPKT1_lilS7_lilS4_lPT3_lili,@function
_ZL20rocblas_gemvt_kernelILb1ELi256EPKDF16_fKPfEviiT2_lPKT1_lilS7_lilS4_lPT3_lili: ; @_ZL20rocblas_gemvt_kernelILb1ELi256EPKDF16_fKPfEviiT2_lPKT1_lilS7_lilS4_lPT3_lili
; %bb.0:
	s_clause 0x1
	s_load_b32 s11, s[0:1], 0x8
	s_load_b32 s10, s[0:1], 0x58
	s_waitcnt lgkmcnt(0)
	v_cmp_eq_f32_e64 s8, s11, 0
	v_cmp_eq_f32_e64 s3, s10, 1.0
	s_delay_alu instid0(VALU_DEP_1) | instskip(NEXT) | instid1(SALU_CYCLE_1)
	s_and_b32 s3, s8, s3
	s_and_b32 vcc_lo, exec_lo, s3
	s_cbranch_vccnz .LBB535_43
; %bb.1:
	v_cmp_neq_f32_e64 s4, s11, 0
	s_mov_b32 s2, s15
	s_delay_alu instid0(VALU_DEP_1)
	s_and_b32 vcc_lo, exec_lo, s4
	s_cbranch_vccnz .LBB535_3
; %bb.2:
	s_mov_b32 s3, 0
	s_mov_b64 s[6:7], 0
	s_cbranch_execz .LBB535_4
	s_branch .LBB535_5
.LBB535_3:
	s_mov_b32 s3, -1
                                        ; implicit-def: $sgpr6_sgpr7
.LBB535_4:
	s_load_b128 s[16:19], s[0:1], 0x18
	s_mov_b32 s3, 0
	s_delay_alu instid0(SALU_CYCLE_1)
	s_lshl_b64 s[6:7], s[2:3], 3
	s_waitcnt lgkmcnt(0)
	s_add_u32 s6, s16, s6
	s_addc_u32 s7, s17, s7
	s_lshl_b64 s[12:13], s[18:19], 1
	s_load_b64 s[6:7], s[6:7], 0x0
	s_waitcnt lgkmcnt(0)
	s_add_u32 s6, s6, s12
	s_addc_u32 s7, s7, s13
.LBB535_5:
	s_and_not1_b32 vcc_lo, exec_lo, s4
	s_cbranch_vccnz .LBB535_7
; %bb.6:
	s_load_b128 s[16:19], s[0:1], 0x38
	s_lshl_b64 s[4:5], s[2:3], 3
	s_waitcnt lgkmcnt(0)
	s_add_u32 s4, s16, s4
	s_addc_u32 s5, s17, s5
	s_lshl_b64 s[12:13], s[18:19], 1
	s_load_b64 s[4:5], s[4:5], 0x0
	s_waitcnt lgkmcnt(0)
	s_add_u32 s4, s4, s12
	s_addc_u32 s5, s5, s13
	s_branch .LBB535_8
.LBB535_7:
	s_mov_b64 s[4:5], 0
.LBB535_8:
	s_clause 0x1
	s_load_b128 s[16:19], s[0:1], 0x68
	s_load_b32 s15, s[0:1], 0x78
	s_lshl_b64 s[2:3], s[2:3], 3
	s_waitcnt lgkmcnt(0)
	s_add_u32 s2, s16, s2
	s_addc_u32 s3, s17, s3
	s_lshl_b64 s[16:17], s[18:19], 2
	s_load_b64 s[12:13], s[2:3], 0x0
	v_cmp_eq_u32_e64 s2, 0, v0
	s_waitcnt lgkmcnt(0)
	s_add_u32 s12, s12, s16
	s_addc_u32 s13, s13, s17
	s_and_not1_b32 vcc_lo, exec_lo, s8
	s_cbranch_vccnz .LBB535_13
; %bb.9:
	s_mov_b32 s3, 0
	s_mov_b32 s16, 0
                                        ; implicit-def: $vgpr1
                                        ; implicit-def: $sgpr8_sgpr9
	s_and_saveexec_b32 s17, s2
	s_cbranch_execz .LBB535_14
; %bb.10:
	v_cmp_eq_f32_e64 s2, s10, 0
	v_mov_b32_e32 v1, 0
	s_mul_hi_i32 s9, s15, s14
	s_mul_i32 s8, s15, s14
	s_delay_alu instid0(VALU_DEP_2)
	s_and_b32 vcc_lo, exec_lo, s2
	s_cbranch_vccnz .LBB535_12
; %bb.11:
	s_lshl_b64 s[18:19], s[8:9], 2
	s_delay_alu instid0(SALU_CYCLE_1)
	s_add_u32 s18, s12, s18
	s_addc_u32 s19, s13, s19
	s_load_b32 s2, s[18:19], 0x0
	s_waitcnt lgkmcnt(0)
	v_mul_f32_e64 v1, s2, s10
.LBB535_12:
	s_mov_b32 s16, exec_lo
	s_or_b32 exec_lo, exec_lo, s17
	s_delay_alu instid0(SALU_CYCLE_1)
	s_and_b32 vcc_lo, exec_lo, s3
	s_cbranch_vccnz .LBB535_15
	s_branch .LBB535_41
.LBB535_13:
	s_mov_b32 s16, 0
                                        ; implicit-def: $vgpr1
                                        ; implicit-def: $sgpr8_sgpr9
	s_cbranch_execnz .LBB535_15
	s_branch .LBB535_41
.LBB535_14:
	s_or_b32 exec_lo, exec_lo, s17
	s_delay_alu instid0(SALU_CYCLE_1)
	s_and_b32 vcc_lo, exec_lo, s3
	s_cbranch_vccz .LBB535_41
.LBB535_15:
	s_clause 0x2
	s_load_b32 s2, s[0:1], 0x28
	s_load_b32 s3, s[0:1], 0x0
	;; [unrolled: 1-line block ×3, first 2 shown]
	v_mov_b32_e32 v7, 0
	s_waitcnt lgkmcnt(0)
	s_mul_hi_i32 s9, s2, s14
	v_cmp_gt_i32_e32 vcc_lo, s3, v0
	s_mul_i32 s8, s2, s14
	s_delay_alu instid0(SALU_CYCLE_1) | instskip(NEXT) | instid1(SALU_CYCLE_1)
	s_lshl_b64 s[8:9], s[8:9], 1
	s_add_u32 s1, s8, s6
	v_cndmask_b32_e32 v1, 0, v0, vcc_lo
	s_addc_u32 s2, s9, s7
	s_ashr_i32 s6, s3, 31
	s_mov_b32 s8, 0
	s_lshr_b32 s6, s6, 24
	v_lshlrev_b32_e32 v1, 1, v1
	s_add_i32 s6, s3, s6
	s_delay_alu instid0(VALU_DEP_1) | instskip(NEXT) | instid1(VALU_DEP_1)
	v_add_co_u32 v1, s1, s1, v1
	v_add_co_ci_u32_e64 v2, null, s2, 0, s1
	s_and_b32 s2, s6, 0xffffff00
	s_cmpk_lt_i32 s3, 0x100
	s_cbranch_scc1 .LBB535_18
; %bb.16:
	v_mad_i64_i32 v[3:4], null, s0, v0, 0
	v_dual_mov_b32 v7, 0 :: v_dual_mov_b32 v6, v2
	v_mov_b32_e32 v5, v1
	s_ashr_i32 s1, s0, 31
	s_delay_alu instid0(SALU_CYCLE_1) | instskip(NEXT) | instid1(VALU_DEP_3)
	s_lshl_b64 s[6:7], s[0:1], 9
	v_lshlrev_b64 v[3:4], 1, v[3:4]
	s_delay_alu instid0(VALU_DEP_1) | instskip(NEXT) | instid1(VALU_DEP_2)
	v_add_co_u32 v3, vcc_lo, s4, v3
	v_add_co_ci_u32_e32 v4, vcc_lo, s5, v4, vcc_lo
	.p2align	6
.LBB535_17:                             ; =>This Inner Loop Header: Depth=1
	flat_load_u16 v8, v[5:6]
	flat_load_u16 v9, v[3:4]
	v_add_co_u32 v3, vcc_lo, v3, s6
	v_add_co_ci_u32_e32 v4, vcc_lo, s7, v4, vcc_lo
	v_add_co_u32 v5, vcc_lo, 0x200, v5
	v_add_co_ci_u32_e32 v6, vcc_lo, 0, v6, vcc_lo
	s_addk_i32 s8, 0x100
	s_delay_alu instid0(SALU_CYCLE_1) | instskip(SKIP_2) | instid1(VALU_DEP_1)
	s_cmp_ge_i32 s8, s2
	s_waitcnt vmcnt(0) lgkmcnt(0)
	v_mul_f16_e32 v8, v8, v9
	v_cvt_f32_f16_e32 v8, v8
	s_delay_alu instid0(VALU_DEP_1)
	v_add_f32_e32 v7, v7, v8
	s_cbranch_scc0 .LBB535_17
.LBB535_18:
	v_add_nc_u32_e32 v3, s2, v0
	s_mov_b32 s1, exec_lo
	s_delay_alu instid0(VALU_DEP_1)
	v_cmpx_gt_i32_e64 s3, v3
	s_cbranch_execz .LBB535_20
; %bb.19:
	v_mad_i64_i32 v[4:5], null, s0, v3, 0
	s_ashr_i32 s3, s2, 31
	s_delay_alu instid0(SALU_CYCLE_1) | instskip(NEXT) | instid1(SALU_CYCLE_1)
	s_lshl_b64 s[2:3], s[2:3], 1
	v_add_co_u32 v1, vcc_lo, v1, s2
	s_delay_alu instid0(VALU_DEP_2) | instskip(SKIP_1) | instid1(VALU_DEP_2)
	v_lshlrev_b64 v[3:4], 1, v[4:5]
	v_add_co_ci_u32_e32 v2, vcc_lo, s3, v2, vcc_lo
	v_add_co_u32 v3, vcc_lo, s4, v3
	s_delay_alu instid0(VALU_DEP_3) | instskip(SKIP_4) | instid1(VALU_DEP_1)
	v_add_co_ci_u32_e32 v4, vcc_lo, s5, v4, vcc_lo
	flat_load_u16 v1, v[1:2]
	flat_load_u16 v2, v[3:4]
	s_waitcnt vmcnt(0) lgkmcnt(0)
	v_mul_f16_e32 v1, v1, v2
	v_cvt_f32_f16_e32 v1, v1
	s_delay_alu instid0(VALU_DEP_1)
	v_add_f32_e32 v7, v7, v1
.LBB535_20:
	s_or_b32 exec_lo, exec_lo, s1
	v_lshlrev_b32_e32 v1, 2, v0
	s_mov_b32 s0, exec_lo
	ds_store_b32 v1, v7
	s_waitcnt lgkmcnt(0)
	s_barrier
	buffer_gl0_inv
	v_cmpx_gt_u32_e32 0x80, v0
	s_cbranch_execz .LBB535_22
; %bb.21:
	ds_load_2addr_stride64_b32 v[2:3], v1 offset1:2
	s_waitcnt lgkmcnt(0)
	v_add_f32_e32 v2, v3, v2
	ds_store_b32 v1, v2
.LBB535_22:
	s_or_b32 exec_lo, exec_lo, s0
	s_delay_alu instid0(SALU_CYCLE_1)
	s_mov_b32 s0, exec_lo
	s_waitcnt lgkmcnt(0)
	s_barrier
	buffer_gl0_inv
	v_cmpx_gt_u32_e32 64, v0
	s_cbranch_execz .LBB535_24
; %bb.23:
	ds_load_2addr_stride64_b32 v[2:3], v1 offset1:1
	s_waitcnt lgkmcnt(0)
	v_add_f32_e32 v2, v3, v2
	ds_store_b32 v1, v2
.LBB535_24:
	s_or_b32 exec_lo, exec_lo, s0
	s_delay_alu instid0(SALU_CYCLE_1)
	s_mov_b32 s0, exec_lo
	s_waitcnt lgkmcnt(0)
	s_barrier
	buffer_gl0_inv
	v_cmpx_gt_u32_e32 32, v0
	s_cbranch_execz .LBB535_26
; %bb.25:
	ds_load_2addr_b32 v[2:3], v1 offset1:32
	s_waitcnt lgkmcnt(0)
	v_add_f32_e32 v2, v3, v2
	ds_store_b32 v1, v2
.LBB535_26:
	s_or_b32 exec_lo, exec_lo, s0
	s_delay_alu instid0(SALU_CYCLE_1)
	s_mov_b32 s0, exec_lo
	s_waitcnt lgkmcnt(0)
	s_barrier
	buffer_gl0_inv
	v_cmpx_gt_u32_e32 16, v0
	s_cbranch_execz .LBB535_28
; %bb.27:
	ds_load_2addr_b32 v[2:3], v1 offset1:16
	s_waitcnt lgkmcnt(0)
	v_add_f32_e32 v2, v3, v2
	ds_store_b32 v1, v2
.LBB535_28:
	;; [unrolled: 14-line block ×5, first 2 shown]
	s_or_b32 exec_lo, exec_lo, s0
	v_cmp_eq_u32_e32 vcc_lo, 0, v0
	s_waitcnt lgkmcnt(0)
	s_barrier
	buffer_gl0_inv
	s_and_saveexec_b32 s0, vcc_lo
	s_cbranch_execz .LBB535_36
; %bb.35:
	v_mov_b32_e32 v2, 0
	ds_load_b64 v[0:1], v2
	s_waitcnt lgkmcnt(0)
	v_add_f32_e32 v0, v1, v0
	ds_store_b32 v2, v0
.LBB535_36:
	s_or_b32 exec_lo, exec_lo, s0
	s_waitcnt lgkmcnt(0)
	s_barrier
	buffer_gl0_inv
                                        ; implicit-def: $vgpr1
                                        ; implicit-def: $sgpr8_sgpr9
	s_and_saveexec_b32 s0, vcc_lo
	s_cbranch_execz .LBB535_40
; %bb.37:
	v_mov_b32_e32 v0, 0
	v_cmp_eq_f32_e64 s1, s10, 0
	s_mul_hi_i32 s9, s15, s14
	s_mul_i32 s8, s15, s14
	ds_load_b32 v0, v0
	s_and_b32 vcc_lo, exec_lo, s1
	s_waitcnt lgkmcnt(0)
	v_mul_f32_e32 v1, s11, v0
	s_cbranch_vccnz .LBB535_39
; %bb.38:
	s_lshl_b64 s[2:3], s[8:9], 2
	s_delay_alu instid0(SALU_CYCLE_1)
	s_add_u32 s2, s12, s2
	s_addc_u32 s3, s13, s3
	s_load_b32 s1, s[2:3], 0x0
	s_waitcnt lgkmcnt(0)
	v_fmac_f32_e64 v1, s1, s10
.LBB535_39:
	s_or_b32 s16, s16, exec_lo
.LBB535_40:
	s_or_b32 exec_lo, exec_lo, s0
.LBB535_41:
	s_and_saveexec_b32 s0, s16
	s_cbranch_execz .LBB535_43
; %bb.42:
	s_lshl_b64 s[0:1], s[8:9], 2
	v_mov_b32_e32 v0, 0
	s_add_u32 s0, s12, s0
	s_addc_u32 s1, s13, s1
	global_store_b32 v0, v1, s[0:1]
.LBB535_43:
	s_nop 0
	s_sendmsg sendmsg(MSG_DEALLOC_VGPRS)
	s_endpgm
	.section	.rodata,"a",@progbits
	.p2align	6, 0x0
	.amdhsa_kernel _ZL20rocblas_gemvt_kernelILb1ELi256EPKDF16_fKPfEviiT2_lPKT1_lilS7_lilS4_lPT3_lili
		.amdhsa_group_segment_fixed_size 1024
		.amdhsa_private_segment_fixed_size 0
		.amdhsa_kernarg_size 140
		.amdhsa_user_sgpr_count 14
		.amdhsa_user_sgpr_dispatch_ptr 0
		.amdhsa_user_sgpr_queue_ptr 0
		.amdhsa_user_sgpr_kernarg_segment_ptr 1
		.amdhsa_user_sgpr_dispatch_id 0
		.amdhsa_user_sgpr_private_segment_size 0
		.amdhsa_wavefront_size32 1
		.amdhsa_uses_dynamic_stack 0
		.amdhsa_enable_private_segment 0
		.amdhsa_system_sgpr_workgroup_id_x 1
		.amdhsa_system_sgpr_workgroup_id_y 0
		.amdhsa_system_sgpr_workgroup_id_z 1
		.amdhsa_system_sgpr_workgroup_info 0
		.amdhsa_system_vgpr_workitem_id 0
		.amdhsa_next_free_vgpr 10
		.amdhsa_next_free_sgpr 20
		.amdhsa_reserve_vcc 1
		.amdhsa_float_round_mode_32 0
		.amdhsa_float_round_mode_16_64 0
		.amdhsa_float_denorm_mode_32 3
		.amdhsa_float_denorm_mode_16_64 3
		.amdhsa_dx10_clamp 1
		.amdhsa_ieee_mode 1
		.amdhsa_fp16_overflow 0
		.amdhsa_workgroup_processor_mode 1
		.amdhsa_memory_ordered 1
		.amdhsa_forward_progress 0
		.amdhsa_shared_vgpr_count 0
		.amdhsa_exception_fp_ieee_invalid_op 0
		.amdhsa_exception_fp_denorm_src 0
		.amdhsa_exception_fp_ieee_div_zero 0
		.amdhsa_exception_fp_ieee_overflow 0
		.amdhsa_exception_fp_ieee_underflow 0
		.amdhsa_exception_fp_ieee_inexact 0
		.amdhsa_exception_int_div_zero 0
	.end_amdhsa_kernel
	.section	.text._ZL20rocblas_gemvt_kernelILb1ELi256EPKDF16_fKPfEviiT2_lPKT1_lilS7_lilS4_lPT3_lili,"axG",@progbits,_ZL20rocblas_gemvt_kernelILb1ELi256EPKDF16_fKPfEviiT2_lPKT1_lilS7_lilS4_lPT3_lili,comdat
.Lfunc_end535:
	.size	_ZL20rocblas_gemvt_kernelILb1ELi256EPKDF16_fKPfEviiT2_lPKT1_lilS7_lilS4_lPT3_lili, .Lfunc_end535-_ZL20rocblas_gemvt_kernelILb1ELi256EPKDF16_fKPfEviiT2_lPKT1_lilS7_lilS4_lPT3_lili
                                        ; -- End function
	.section	.AMDGPU.csdata,"",@progbits
; Kernel info:
; codeLenInByte = 1464
; NumSgprs: 22
; NumVgprs: 10
; ScratchSize: 0
; MemoryBound: 0
; FloatMode: 240
; IeeeMode: 1
; LDSByteSize: 1024 bytes/workgroup (compile time only)
; SGPRBlocks: 2
; VGPRBlocks: 1
; NumSGPRsForWavesPerEU: 22
; NumVGPRsForWavesPerEU: 10
; Occupancy: 16
; WaveLimiterHint : 1
; COMPUTE_PGM_RSRC2:SCRATCH_EN: 0
; COMPUTE_PGM_RSRC2:USER_SGPR: 14
; COMPUTE_PGM_RSRC2:TRAP_HANDLER: 0
; COMPUTE_PGM_RSRC2:TGID_X_EN: 1
; COMPUTE_PGM_RSRC2:TGID_Y_EN: 0
; COMPUTE_PGM_RSRC2:TGID_Z_EN: 1
; COMPUTE_PGM_RSRC2:TIDIG_COMP_CNT: 0
	.section	.text._ZL32rocblas_gemvt_warp_reduce_kernelILb1ELi1024EiPKDF16_PKfKPfEviiT3_lPKT2_lT1_lS9_lSA_lS6_lPT4_lSA_li,"axG",@progbits,_ZL32rocblas_gemvt_warp_reduce_kernelILb1ELi1024EiPKDF16_PKfKPfEviiT3_lPKT2_lT1_lS9_lSA_lS6_lPT4_lSA_li,comdat
	.globl	_ZL32rocblas_gemvt_warp_reduce_kernelILb1ELi1024EiPKDF16_PKfKPfEviiT3_lPKT2_lT1_lS9_lSA_lS6_lPT4_lSA_li ; -- Begin function _ZL32rocblas_gemvt_warp_reduce_kernelILb1ELi1024EiPKDF16_PKfKPfEviiT3_lPKT2_lT1_lS9_lSA_lS6_lPT4_lSA_li
	.p2align	8
	.type	_ZL32rocblas_gemvt_warp_reduce_kernelILb1ELi1024EiPKDF16_PKfKPfEviiT3_lPKT2_lT1_lS9_lSA_lS6_lPT4_lSA_li,@function
_ZL32rocblas_gemvt_warp_reduce_kernelILb1ELi1024EiPKDF16_PKfKPfEviiT3_lPKT2_lT1_lS9_lSA_lS6_lPT4_lSA_li: ; @_ZL32rocblas_gemvt_warp_reduce_kernelILb1ELi1024EiPKDF16_PKfKPfEviiT3_lPKT2_lT1_lS9_lSA_lS6_lPT4_lSA_li
; %bb.0:
	s_clause 0x1
	s_load_b256 s[16:23], s[0:1], 0x8
	s_load_b256 s[4:11], s[0:1], 0x58
	s_mov_b32 s2, s15
	s_waitcnt lgkmcnt(0)
	s_mul_i32 s3, s15, s19
	s_mul_hi_u32 s13, s15, s18
	s_mul_i32 s12, s15, s18
	s_add_i32 s13, s13, s3
	s_mul_i32 s3, s15, s7
	s_lshl_b64 s[12:13], s[12:13], 2
	s_mul_hi_u32 s7, s15, s6
	s_add_u32 s12, s16, s12
	s_addc_u32 s13, s17, s13
	s_add_i32 s7, s7, s3
	s_mul_i32 s6, s15, s6
	s_delay_alu instid0(SALU_CYCLE_1) | instskip(NEXT) | instid1(SALU_CYCLE_1)
	s_lshl_b64 s[6:7], s[6:7], 2
	s_add_u32 s4, s4, s6
	s_addc_u32 s5, s5, s7
	s_load_b32 s13, s[12:13], 0x0
	s_load_b32 s12, s[4:5], 0x0
	s_waitcnt lgkmcnt(0)
	v_cmp_eq_f32_e64 s15, s13, 0
	v_cmp_eq_f32_e64 s3, s12, 1.0
	s_delay_alu instid0(VALU_DEP_1) | instskip(NEXT) | instid1(SALU_CYCLE_1)
	s_and_b32 s3, s15, s3
	s_and_b32 vcc_lo, exec_lo, s3
	s_mov_b32 s3, 0
	s_cbranch_vccnz .LBB536_33
; %bb.1:
	v_cmp_neq_f32_e64 s16, s13, 0
	s_mov_b64 s[4:5], 0
	s_and_b32 vcc_lo, exec_lo, s15
	s_mov_b64 s[6:7], 0
	s_cbranch_vccnz .LBB536_3
; %bb.2:
	s_lshl_b64 s[6:7], s[2:3], 3
	s_delay_alu instid0(SALU_CYCLE_1)
	s_add_u32 s6, s20, s6
	s_addc_u32 s7, s21, s7
	s_lshl_b64 s[18:19], s[22:23], 1
	s_load_b64 s[6:7], s[6:7], 0x0
	s_waitcnt lgkmcnt(0)
	s_add_u32 s6, s6, s18
	s_addc_u32 s7, s7, s19
.LBB536_3:
	s_and_not1_b32 vcc_lo, exec_lo, s16
	s_cbranch_vccnz .LBB536_5
; %bb.4:
	s_load_b128 s[16:19], s[0:1], 0x38
	s_lshl_b64 s[4:5], s[2:3], 3
	s_waitcnt lgkmcnt(0)
	s_add_u32 s4, s16, s4
	s_addc_u32 s5, s17, s5
	s_lshl_b64 s[16:17], s[18:19], 1
	s_load_b64 s[4:5], s[4:5], 0x0
	s_waitcnt lgkmcnt(0)
	s_add_u32 s4, s4, s16
	s_addc_u32 s5, s5, s17
.LBB536_5:
	s_lshl_b64 s[2:3], s[2:3], 3
	s_delay_alu instid0(SALU_CYCLE_1)
	s_add_u32 s2, s8, s2
	s_addc_u32 s3, s9, s3
	s_lshl_b64 s[10:11], s[10:11], 2
	s_load_b64 s[8:9], s[2:3], 0x0
	s_load_b32 s16, s[0:1], 0x78
	v_cmp_eq_u32_e64 s2, 0, v0
	s_waitcnt lgkmcnt(0)
	s_add_u32 s10, s8, s10
	s_addc_u32 s11, s9, s11
	s_and_not1_b32 vcc_lo, exec_lo, s15
	s_cbranch_vccnz .LBB536_10
; %bb.6:
	s_mov_b32 s3, 0
	s_mov_b32 s15, 0
                                        ; implicit-def: $vgpr1
                                        ; implicit-def: $sgpr8_sgpr9
	s_and_saveexec_b32 s17, s2
	s_cbranch_execz .LBB536_11
; %bb.7:
	v_cmp_eq_f32_e64 s2, s12, 0
	v_mov_b32_e32 v1, 0
	s_mul_i32 s8, s14, s16
	s_delay_alu instid0(SALU_CYCLE_1) | instskip(NEXT) | instid1(VALU_DEP_2)
	s_ashr_i32 s9, s8, 31
	s_and_b32 vcc_lo, exec_lo, s2
	s_cbranch_vccnz .LBB536_9
; %bb.8:
	s_lshl_b64 s[18:19], s[8:9], 2
	s_delay_alu instid0(SALU_CYCLE_1)
	s_add_u32 s18, s10, s18
	s_addc_u32 s19, s11, s19
	s_load_b32 s2, s[18:19], 0x0
	s_waitcnt lgkmcnt(0)
	v_mul_f32_e64 v1, s12, s2
.LBB536_9:
	s_mov_b32 s15, exec_lo
	s_or_b32 exec_lo, exec_lo, s17
	s_delay_alu instid0(SALU_CYCLE_1)
	s_and_b32 vcc_lo, exec_lo, s3
	s_cbranch_vccnz .LBB536_12
	s_branch .LBB536_31
.LBB536_10:
	s_mov_b32 s15, 0
                                        ; implicit-def: $vgpr1
                                        ; implicit-def: $sgpr8_sgpr9
	s_cbranch_execnz .LBB536_12
	s_branch .LBB536_31
.LBB536_11:
	s_or_b32 exec_lo, exec_lo, s17
	s_delay_alu instid0(SALU_CYCLE_1)
	s_and_b32 vcc_lo, exec_lo, s3
	s_cbranch_vccz .LBB536_31
.LBB536_12:
	s_clause 0x2
	s_load_b32 s2, s[0:1], 0x28
	s_load_b32 s3, s[0:1], 0x0
	;; [unrolled: 1-line block ×3, first 2 shown]
	v_mov_b32_e32 v7, 0
	s_waitcnt lgkmcnt(0)
	s_mul_i32 s8, s14, s2
	v_cmp_gt_i32_e32 vcc_lo, s3, v0
	s_ashr_i32 s9, s8, 31
	s_delay_alu instid0(SALU_CYCLE_1)
	s_lshl_b64 s[8:9], s[8:9], 1
	v_cndmask_b32_e32 v1, 0, v0, vcc_lo
	s_add_u32 s0, s8, s6
	s_addc_u32 s6, s9, s7
	s_ashr_i32 s2, s3, 31
	s_mov_b32 s7, 0
	v_lshlrev_b32_e32 v1, 1, v1
	s_lshr_b32 s2, s2, 22
	s_delay_alu instid0(SALU_CYCLE_1) | instskip(NEXT) | instid1(SALU_CYCLE_1)
	s_add_i32 s2, s3, s2
	s_and_b32 s2, s2, 0xfffffc00
	s_delay_alu instid0(VALU_DEP_1) | instskip(NEXT) | instid1(VALU_DEP_1)
	v_add_co_u32 v1, s0, s0, v1
	v_add_co_ci_u32_e64 v2, null, s6, 0, s0
	s_mov_b32 s6, exec_lo
	v_cmpx_gt_i32_e64 s2, v0
	s_cbranch_execz .LBB536_16
; %bb.13:
	v_mul_lo_u32 v3, v0, s1
	v_dual_mov_b32 v7, 0 :: v_dual_mov_b32 v6, v2
	v_dual_mov_b32 v5, v1 :: v_dual_mov_b32 v8, v0
	s_lshl_b32 s8, s1, 10
	.p2align	6
.LBB536_14:                             ; =>This Inner Loop Header: Depth=1
	s_delay_alu instid0(VALU_DEP_3) | instskip(NEXT) | instid1(VALU_DEP_2)
	v_ashrrev_i32_e32 v4, 31, v3
	v_add_nc_u32_e32 v8, 0x400, v8
	s_delay_alu instid0(VALU_DEP_2) | instskip(NEXT) | instid1(VALU_DEP_2)
	v_lshlrev_b64 v[9:10], 1, v[3:4]
	v_cmp_le_i32_e64 s0, s2, v8
	v_add_nc_u32_e32 v3, s8, v3
	s_delay_alu instid0(VALU_DEP_2) | instskip(NEXT) | instid1(VALU_DEP_3)
	s_or_b32 s7, s0, s7
	v_add_co_u32 v9, vcc_lo, s4, v9
	s_delay_alu instid0(VALU_DEP_4)
	v_add_co_ci_u32_e32 v10, vcc_lo, s5, v10, vcc_lo
	flat_load_u16 v4, v[5:6]
	flat_load_u16 v9, v[9:10]
	v_add_co_u32 v5, vcc_lo, 0x800, v5
	v_add_co_ci_u32_e32 v6, vcc_lo, 0, v6, vcc_lo
	s_waitcnt vmcnt(0) lgkmcnt(0)
	v_mul_f16_e32 v4, v4, v9
	s_delay_alu instid0(VALU_DEP_1) | instskip(NEXT) | instid1(VALU_DEP_1)
	v_cvt_f32_f16_e32 v4, v4
	v_add_f32_e32 v7, v7, v4
	s_and_not1_b32 exec_lo, exec_lo, s7
	s_cbranch_execnz .LBB536_14
; %bb.15:
	s_or_b32 exec_lo, exec_lo, s7
.LBB536_16:
	s_delay_alu instid0(SALU_CYCLE_1) | instskip(SKIP_2) | instid1(VALU_DEP_1)
	s_or_b32 exec_lo, exec_lo, s6
	v_or_b32_e32 v3, s2, v0
	s_mov_b32 s0, exec_lo
	v_cmpx_gt_i32_e64 s3, v3
	s_cbranch_execz .LBB536_18
; %bb.17:
	v_mul_lo_u32 v3, v3, s1
	s_ashr_i32 s3, s2, 31
	s_delay_alu instid0(SALU_CYCLE_1) | instskip(NEXT) | instid1(SALU_CYCLE_1)
	s_lshl_b64 s[2:3], s[2:3], 1
	v_add_co_u32 v1, vcc_lo, v1, s2
	v_add_co_ci_u32_e32 v2, vcc_lo, s3, v2, vcc_lo
	s_delay_alu instid0(VALU_DEP_3) | instskip(NEXT) | instid1(VALU_DEP_1)
	v_ashrrev_i32_e32 v4, 31, v3
	v_lshlrev_b64 v[3:4], 1, v[3:4]
	s_delay_alu instid0(VALU_DEP_1) | instskip(NEXT) | instid1(VALU_DEP_2)
	v_add_co_u32 v3, vcc_lo, s4, v3
	v_add_co_ci_u32_e32 v4, vcc_lo, s5, v4, vcc_lo
	flat_load_u16 v1, v[1:2]
	flat_load_u16 v2, v[3:4]
	s_waitcnt vmcnt(0) lgkmcnt(0)
	v_mul_f16_e32 v1, v1, v2
	s_delay_alu instid0(VALU_DEP_1) | instskip(NEXT) | instid1(VALU_DEP_1)
	v_cvt_f32_f16_e32 v1, v1
	v_add_f32_e32 v7, v7, v1
.LBB536_18:
	s_or_b32 exec_lo, exec_lo, s0
	v_and_b32_e32 v6, 31, v0
	v_cmp_gt_u32_e32 vcc_lo, 32, v0
	s_delay_alu instid0(VALU_DEP_2)
	v_lshlrev_b32_e32 v1, 2, v6
	s_and_saveexec_b32 s0, vcc_lo
	s_cbranch_execz .LBB536_20
; %bb.19:
	v_mov_b32_e32 v2, 0
	ds_store_b32 v1, v2
.LBB536_20:
	s_or_b32 exec_lo, exec_lo, s0
	v_mbcnt_lo_u32_b32 v8, -1, 0
	s_mov_b32 s1, exec_lo
	s_waitcnt lgkmcnt(0)
	s_barrier
	buffer_gl0_inv
	v_cmp_gt_u32_e64 s0, 16, v8
	s_delay_alu instid0(VALU_DEP_1) | instskip(SKIP_1) | instid1(VALU_DEP_2)
	v_cndmask_b32_e64 v2, 0, 1, s0
	v_cmp_gt_u32_e64 s0, 24, v8
	v_lshlrev_b32_e32 v2, 4, v2
	s_delay_alu instid0(VALU_DEP_2) | instskip(SKIP_1) | instid1(VALU_DEP_3)
	v_cndmask_b32_e64 v3, 0, 1, s0
	v_cmp_gt_u32_e64 s0, 28, v8
	v_add_lshl_u32 v2, v2, v8, 2
	s_delay_alu instid0(VALU_DEP_3)
	v_lshlrev_b32_e32 v3, 3, v3
	ds_bpermute_b32 v4, v2, v7
	v_add_lshl_u32 v3, v3, v8, 2
	s_waitcnt lgkmcnt(0)
	v_add_f32_e32 v5, v7, v4
	v_cndmask_b32_e64 v4, 0, 1, s0
	v_cmp_gt_u32_e64 s0, 30, v8
	ds_bpermute_b32 v7, v3, v5
	s_waitcnt lgkmcnt(0)
	v_dual_add_f32 v7, v5, v7 :: v_dual_lshlrev_b32 v4, 2, v4
	s_delay_alu instid0(VALU_DEP_1)
	v_add_lshl_u32 v4, v4, v8, 2
	v_cndmask_b32_e64 v5, 0, 1, s0
	v_cmp_ne_u32_e64 s0, 31, v8
	ds_bpermute_b32 v9, v4, v7
	v_lshlrev_b32_e32 v5, 1, v5
	v_add_co_ci_u32_e64 v10, s0, 0, v8, s0
	s_delay_alu instid0(VALU_DEP_2)
	v_add_lshl_u32 v5, v5, v8, 2
	s_waitcnt lgkmcnt(0)
	v_add_f32_e32 v7, v7, v9
	ds_bpermute_b32 v9, v5, v7
	s_waitcnt lgkmcnt(0)
	v_dual_add_f32 v8, v7, v9 :: v_dual_lshlrev_b32 v7, 2, v10
	ds_bpermute_b32 v9, v7, v8
	v_cmpx_eq_u32_e32 0, v6
	s_cbranch_execz .LBB536_22
; %bb.21:
	v_lshrrev_b32_e32 v6, 3, v0
	s_waitcnt lgkmcnt(0)
	v_add_f32_e32 v8, v8, v9
	s_delay_alu instid0(VALU_DEP_2)
	v_and_b32_e32 v6, 0x7c, v6
	ds_store_b32 v6, v8
.LBB536_22:
	s_or_b32 exec_lo, exec_lo, s1
	v_mov_b32_e32 v6, 0
	s_waitcnt lgkmcnt(0)
	s_barrier
	buffer_gl0_inv
	s_and_saveexec_b32 s0, vcc_lo
	s_cbranch_execz .LBB536_24
; %bb.23:
	ds_load_b32 v6, v1
.LBB536_24:
	s_or_b32 exec_lo, exec_lo, s0
	s_and_saveexec_b32 s0, vcc_lo
	s_cbranch_execz .LBB536_26
; %bb.25:
	s_waitcnt lgkmcnt(0)
	ds_bpermute_b32 v1, v2, v6
	s_waitcnt lgkmcnt(0)
	v_add_f32_e32 v1, v6, v1
	ds_bpermute_b32 v2, v3, v1
	s_waitcnt lgkmcnt(0)
	v_add_f32_e32 v1, v1, v2
	;; [unrolled: 3-line block ×5, first 2 shown]
.LBB536_26:
	s_or_b32 exec_lo, exec_lo, s0
	s_delay_alu instid0(SALU_CYCLE_1)
	s_mov_b32 s0, exec_lo
                                        ; implicit-def: $vgpr1
                                        ; implicit-def: $sgpr8_sgpr9
	v_cmpx_eq_u32_e32 0, v0
	s_cbranch_execz .LBB536_30
; %bb.27:
	v_cmp_eq_f32_e64 s1, s12, 0
	s_waitcnt lgkmcnt(0)
	v_mul_f32_e32 v1, s13, v6
	s_mul_i32 s8, s14, s16
	s_delay_alu instid0(SALU_CYCLE_1)
	s_ashr_i32 s9, s8, 31
	s_and_b32 vcc_lo, exec_lo, s1
	s_cbranch_vccnz .LBB536_29
; %bb.28:
	s_lshl_b64 s[2:3], s[8:9], 2
	s_delay_alu instid0(SALU_CYCLE_1)
	s_add_u32 s2, s10, s2
	s_addc_u32 s3, s11, s3
	s_load_b32 s1, s[2:3], 0x0
	s_waitcnt lgkmcnt(0)
	v_fmac_f32_e64 v1, s12, s1
.LBB536_29:
	s_or_b32 s15, s15, exec_lo
.LBB536_30:
	s_or_b32 exec_lo, exec_lo, s0
.LBB536_31:
	s_and_saveexec_b32 s0, s15
	s_cbranch_execz .LBB536_33
; %bb.32:
	s_lshl_b64 s[0:1], s[8:9], 2
	v_mov_b32_e32 v0, 0
	s_add_u32 s0, s10, s0
	s_addc_u32 s1, s11, s1
	global_store_b32 v0, v1, s[0:1]
.LBB536_33:
	s_nop 0
	s_sendmsg sendmsg(MSG_DEALLOC_VGPRS)
	s_endpgm
	.section	.rodata,"a",@progbits
	.p2align	6, 0x0
	.amdhsa_kernel _ZL32rocblas_gemvt_warp_reduce_kernelILb1ELi1024EiPKDF16_PKfKPfEviiT3_lPKT2_lT1_lS9_lSA_lS6_lPT4_lSA_li
		.amdhsa_group_segment_fixed_size 128
		.amdhsa_private_segment_fixed_size 0
		.amdhsa_kernarg_size 140
		.amdhsa_user_sgpr_count 14
		.amdhsa_user_sgpr_dispatch_ptr 0
		.amdhsa_user_sgpr_queue_ptr 0
		.amdhsa_user_sgpr_kernarg_segment_ptr 1
		.amdhsa_user_sgpr_dispatch_id 0
		.amdhsa_user_sgpr_private_segment_size 0
		.amdhsa_wavefront_size32 1
		.amdhsa_uses_dynamic_stack 0
		.amdhsa_enable_private_segment 0
		.amdhsa_system_sgpr_workgroup_id_x 1
		.amdhsa_system_sgpr_workgroup_id_y 0
		.amdhsa_system_sgpr_workgroup_id_z 1
		.amdhsa_system_sgpr_workgroup_info 0
		.amdhsa_system_vgpr_workitem_id 0
		.amdhsa_next_free_vgpr 11
		.amdhsa_next_free_sgpr 24
		.amdhsa_reserve_vcc 1
		.amdhsa_float_round_mode_32 0
		.amdhsa_float_round_mode_16_64 0
		.amdhsa_float_denorm_mode_32 3
		.amdhsa_float_denorm_mode_16_64 3
		.amdhsa_dx10_clamp 1
		.amdhsa_ieee_mode 1
		.amdhsa_fp16_overflow 0
		.amdhsa_workgroup_processor_mode 1
		.amdhsa_memory_ordered 1
		.amdhsa_forward_progress 0
		.amdhsa_shared_vgpr_count 0
		.amdhsa_exception_fp_ieee_invalid_op 0
		.amdhsa_exception_fp_denorm_src 0
		.amdhsa_exception_fp_ieee_div_zero 0
		.amdhsa_exception_fp_ieee_overflow 0
		.amdhsa_exception_fp_ieee_underflow 0
		.amdhsa_exception_fp_ieee_inexact 0
		.amdhsa_exception_int_div_zero 0
	.end_amdhsa_kernel
	.section	.text._ZL32rocblas_gemvt_warp_reduce_kernelILb1ELi1024EiPKDF16_PKfKPfEviiT3_lPKT2_lT1_lS9_lSA_lS6_lPT4_lSA_li,"axG",@progbits,_ZL32rocblas_gemvt_warp_reduce_kernelILb1ELi1024EiPKDF16_PKfKPfEviiT3_lPKT2_lT1_lS9_lSA_lS6_lPT4_lSA_li,comdat
.Lfunc_end536:
	.size	_ZL32rocblas_gemvt_warp_reduce_kernelILb1ELi1024EiPKDF16_PKfKPfEviiT3_lPKT2_lT1_lS9_lSA_lS6_lPT4_lSA_li, .Lfunc_end536-_ZL32rocblas_gemvt_warp_reduce_kernelILb1ELi1024EiPKDF16_PKfKPfEviiT3_lPKT2_lT1_lS9_lSA_lS6_lPT4_lSA_li
                                        ; -- End function
	.section	.AMDGPU.csdata,"",@progbits
; Kernel info:
; codeLenInByte = 1500
; NumSgprs: 26
; NumVgprs: 11
; ScratchSize: 0
; MemoryBound: 0
; FloatMode: 240
; IeeeMode: 1
; LDSByteSize: 128 bytes/workgroup (compile time only)
; SGPRBlocks: 3
; VGPRBlocks: 1
; NumSGPRsForWavesPerEU: 26
; NumVGPRsForWavesPerEU: 11
; Occupancy: 16
; WaveLimiterHint : 1
; COMPUTE_PGM_RSRC2:SCRATCH_EN: 0
; COMPUTE_PGM_RSRC2:USER_SGPR: 14
; COMPUTE_PGM_RSRC2:TRAP_HANDLER: 0
; COMPUTE_PGM_RSRC2:TGID_X_EN: 1
; COMPUTE_PGM_RSRC2:TGID_Y_EN: 0
; COMPUTE_PGM_RSRC2:TGID_Z_EN: 1
; COMPUTE_PGM_RSRC2:TIDIG_COMP_CNT: 0
	.section	.text._ZL32rocblas_gemvt_warp_reduce_kernelILb1ELi1024ElPKDF16_PKfKPfEviiT3_lPKT2_lT1_lS9_lSA_lS6_lPT4_lSA_li,"axG",@progbits,_ZL32rocblas_gemvt_warp_reduce_kernelILb1ELi1024ElPKDF16_PKfKPfEviiT3_lPKT2_lT1_lS9_lSA_lS6_lPT4_lSA_li,comdat
	.globl	_ZL32rocblas_gemvt_warp_reduce_kernelILb1ELi1024ElPKDF16_PKfKPfEviiT3_lPKT2_lT1_lS9_lSA_lS6_lPT4_lSA_li ; -- Begin function _ZL32rocblas_gemvt_warp_reduce_kernelILb1ELi1024ElPKDF16_PKfKPfEviiT3_lPKT2_lT1_lS9_lSA_lS6_lPT4_lSA_li
	.p2align	8
	.type	_ZL32rocblas_gemvt_warp_reduce_kernelILb1ELi1024ElPKDF16_PKfKPfEviiT3_lPKT2_lT1_lS9_lSA_lS6_lPT4_lSA_li,@function
_ZL32rocblas_gemvt_warp_reduce_kernelILb1ELi1024ElPKDF16_PKfKPfEviiT3_lPKT2_lT1_lS9_lSA_lS6_lPT4_lSA_li: ; @_ZL32rocblas_gemvt_warp_reduce_kernelILb1ELi1024ElPKDF16_PKfKPfEviiT3_lPKT2_lT1_lS9_lSA_lS6_lPT4_lSA_li
; %bb.0:
	s_clause 0x1
	s_load_b256 s[16:23], s[0:1], 0x8
	s_load_b256 s[4:11], s[0:1], 0x58
	s_mov_b32 s2, s15
	s_waitcnt lgkmcnt(0)
	s_mul_i32 s3, s15, s19
	s_mul_hi_u32 s13, s15, s18
	s_mul_i32 s12, s15, s18
	s_add_i32 s13, s13, s3
	s_mul_i32 s3, s15, s7
	s_lshl_b64 s[12:13], s[12:13], 2
	s_mul_hi_u32 s7, s15, s6
	s_add_u32 s12, s16, s12
	s_addc_u32 s13, s17, s13
	s_add_i32 s7, s7, s3
	s_mul_i32 s6, s15, s6
	s_delay_alu instid0(SALU_CYCLE_1) | instskip(NEXT) | instid1(SALU_CYCLE_1)
	s_lshl_b64 s[6:7], s[6:7], 2
	s_add_u32 s4, s4, s6
	s_addc_u32 s5, s5, s7
	s_load_b32 s28, s[12:13], 0x0
	s_load_b32 s15, s[4:5], 0x0
	s_waitcnt lgkmcnt(0)
	v_cmp_eq_f32_e64 s29, s28, 0
	v_cmp_eq_f32_e64 s3, s15, 1.0
	s_delay_alu instid0(VALU_DEP_1) | instskip(NEXT) | instid1(SALU_CYCLE_1)
	s_and_b32 s3, s29, s3
	s_and_b32 vcc_lo, exec_lo, s3
	s_mov_b32 s3, 0
	s_cbranch_vccnz .LBB537_33
; %bb.1:
	s_clause 0x1
	s_load_b64 s[24:25], s[0:1], 0x28
	s_load_b64 s[12:13], s[0:1], 0x78
	v_cmp_neq_f32_e64 s30, s28, 0
	s_mov_b64 s[16:17], 0
	s_and_b32 vcc_lo, exec_lo, s29
	s_mov_b64 s[26:27], 0
	s_cbranch_vccnz .LBB537_3
; %bb.2:
	s_lshl_b64 s[4:5], s[2:3], 3
	s_delay_alu instid0(SALU_CYCLE_1)
	s_add_u32 s4, s20, s4
	s_addc_u32 s5, s21, s5
	s_lshl_b64 s[6:7], s[22:23], 1
	s_load_b64 s[4:5], s[4:5], 0x0
	s_waitcnt lgkmcnt(0)
	s_add_u32 s26, s4, s6
	s_addc_u32 s27, s5, s7
.LBB537_3:
	s_clause 0x1
	s_load_b128 s[4:7], s[0:1], 0x38
	s_load_b64 s[18:19], s[0:1], 0x48
	s_and_not1_b32 vcc_lo, exec_lo, s30
	s_cbranch_vccnz .LBB537_5
; %bb.4:
	s_lshl_b64 s[16:17], s[2:3], 3
	s_waitcnt lgkmcnt(0)
	s_add_u32 s4, s4, s16
	s_addc_u32 s5, s5, s17
	s_lshl_b64 s[6:7], s[6:7], 1
	s_load_b64 s[4:5], s[4:5], 0x0
	s_waitcnt lgkmcnt(0)
	s_add_u32 s16, s4, s6
	s_addc_u32 s17, s5, s7
.LBB537_5:
	s_lshl_b64 s[2:3], s[2:3], 3
	s_delay_alu instid0(SALU_CYCLE_1)
	s_add_u32 s2, s8, s2
	s_addc_u32 s3, s9, s3
	s_waitcnt lgkmcnt(0)
	s_lshl_b64 s[6:7], s[10:11], 2
	s_load_b64 s[4:5], s[2:3], 0x0
	v_cmp_eq_u32_e64 s2, 0, v0
	s_waitcnt lgkmcnt(0)
	s_add_u32 s6, s4, s6
	s_addc_u32 s7, s5, s7
	s_and_not1_b32 vcc_lo, exec_lo, s29
	s_cbranch_vccnz .LBB537_10
; %bb.6:
	s_mov_b32 s3, 0
	s_mov_b32 s8, 0
                                        ; implicit-def: $vgpr1
                                        ; implicit-def: $sgpr4_sgpr5
	s_and_saveexec_b32 s9, s2
	s_cbranch_execz .LBB537_11
; %bb.7:
	v_cmp_eq_f32_e64 s2, s15, 0
	s_mul_i32 s4, s14, s13
	s_mul_hi_u32 s5, s14, s12
	s_ashr_i32 s8, s14, 31
	v_mov_b32_e32 v1, 0
	s_add_i32 s4, s5, s4
	s_mul_i32 s8, s8, s12
	s_and_b32 vcc_lo, exec_lo, s2
	s_add_i32 s5, s4, s8
	s_mul_i32 s4, s14, s12
	s_cbranch_vccnz .LBB537_9
; %bb.8:
	s_lshl_b64 s[10:11], s[4:5], 2
	s_delay_alu instid0(SALU_CYCLE_1)
	s_add_u32 s10, s6, s10
	s_addc_u32 s11, s7, s11
	s_load_b32 s2, s[10:11], 0x0
	s_waitcnt lgkmcnt(0)
	v_mul_f32_e64 v1, s15, s2
.LBB537_9:
	s_mov_b32 s8, exec_lo
	s_or_b32 exec_lo, exec_lo, s9
	s_delay_alu instid0(SALU_CYCLE_1)
	s_and_b32 vcc_lo, exec_lo, s3
	s_cbranch_vccnz .LBB537_12
	s_branch .LBB537_31
.LBB537_10:
	s_mov_b32 s8, 0
                                        ; implicit-def: $vgpr1
                                        ; implicit-def: $sgpr4_sgpr5
	s_cbranch_execnz .LBB537_12
	s_branch .LBB537_31
.LBB537_11:
	s_or_b32 exec_lo, exec_lo, s9
	s_delay_alu instid0(SALU_CYCLE_1)
	s_and_b32 vcc_lo, exec_lo, s3
	s_cbranch_vccz .LBB537_31
.LBB537_12:
	s_load_b32 s3, s[0:1], 0x0
	s_mul_i32 s0, s14, s25
	s_mul_hi_u32 s2, s14, s24
	s_ashr_i32 s1, s14, 31
	s_add_i32 s0, s2, s0
	s_mul_i32 s2, s1, s24
	s_mul_i32 s4, s14, s24
	s_add_i32 s5, s0, s2
	v_mov_b32_e32 v7, 0
	s_lshl_b64 s[4:5], s[4:5], 1
	s_mov_b32 s10, 0
	s_add_u32 s0, s4, s26
	s_addc_u32 s4, s5, s27
	s_mov_b32 s9, exec_lo
	s_waitcnt lgkmcnt(0)
	v_cmp_gt_i32_e32 vcc_lo, s3, v0
	s_ashr_i32 s2, s3, 31
	s_delay_alu instid0(SALU_CYCLE_1) | instskip(NEXT) | instid1(SALU_CYCLE_1)
	s_lshr_b32 s2, s2, 22
	s_add_i32 s2, s3, s2
	v_cndmask_b32_e32 v1, 0, v0, vcc_lo
	s_and_b32 s2, s2, 0xfffffc00
	s_delay_alu instid0(VALU_DEP_1) | instskip(NEXT) | instid1(VALU_DEP_1)
	v_lshlrev_b32_e32 v1, 1, v1
	v_add_co_u32 v1, s0, s0, v1
	s_delay_alu instid0(VALU_DEP_1)
	v_add_co_ci_u32_e64 v2, null, s4, 0, s0
	v_cmpx_gt_i32_e64 s2, v0
	s_cbranch_execz .LBB537_16
; %bb.13:
	v_mad_u64_u32 v[3:4], null, s18, v0, 0
	v_mov_b32_e32 v8, v0
	s_lshl_b64 s[4:5], s[18:19], 11
	v_mov_b32_e32 v7, 0
	s_delay_alu instid0(VALU_DEP_3) | instskip(NEXT) | instid1(VALU_DEP_1)
	v_mad_u64_u32 v[5:6], null, s19, v0, v[4:5]
	v_mov_b32_e32 v4, v5
	s_delay_alu instid0(VALU_DEP_1) | instskip(SKIP_1) | instid1(VALU_DEP_2)
	v_lshlrev_b64 v[5:6], 1, v[3:4]
	v_dual_mov_b32 v4, v2 :: v_dual_mov_b32 v3, v1
	v_add_co_u32 v5, vcc_lo, s16, v5
	s_delay_alu instid0(VALU_DEP_3)
	v_add_co_ci_u32_e32 v6, vcc_lo, s17, v6, vcc_lo
	.p2align	6
.LBB537_14:                             ; =>This Inner Loop Header: Depth=1
	flat_load_u16 v9, v[3:4]
	flat_load_u16 v10, v[5:6]
	v_add_co_u32 v3, vcc_lo, 0x800, v3
	v_add_co_ci_u32_e32 v4, vcc_lo, 0, v4, vcc_lo
	v_add_co_u32 v5, vcc_lo, v5, s4
	v_add_co_ci_u32_e32 v6, vcc_lo, s5, v6, vcc_lo
	s_waitcnt vmcnt(0) lgkmcnt(0)
	v_mul_f16_e32 v9, v9, v10
	s_delay_alu instid0(VALU_DEP_1) | instskip(NEXT) | instid1(VALU_DEP_1)
	v_cvt_f32_f16_e32 v9, v9
	v_dual_add_f32 v7, v7, v9 :: v_dual_add_nc_u32 v8, 0x400, v8
	s_delay_alu instid0(VALU_DEP_1) | instskip(NEXT) | instid1(VALU_DEP_1)
	v_cmp_le_i32_e64 s0, s2, v8
	s_or_b32 s10, s0, s10
	s_delay_alu instid0(SALU_CYCLE_1)
	s_and_not1_b32 exec_lo, exec_lo, s10
	s_cbranch_execnz .LBB537_14
; %bb.15:
	s_or_b32 exec_lo, exec_lo, s10
.LBB537_16:
	s_delay_alu instid0(SALU_CYCLE_1) | instskip(SKIP_2) | instid1(VALU_DEP_1)
	s_or_b32 exec_lo, exec_lo, s9
	v_or_b32_e32 v3, s2, v0
	s_mov_b32 s0, exec_lo
	v_cmpx_gt_i32_e64 s3, v3
	s_cbranch_execz .LBB537_18
; %bb.17:
	v_ashrrev_i32_e32 v6, 31, v3
	v_mul_lo_u32 v8, v3, s19
	v_mad_u64_u32 v[4:5], null, v3, s18, 0
	s_ashr_i32 s3, s2, 31
	s_delay_alu instid0(VALU_DEP_3) | instskip(SKIP_1) | instid1(SALU_CYCLE_1)
	v_mul_lo_u32 v3, v6, s18
	s_lshl_b64 s[2:3], s[2:3], 1
	v_add_co_u32 v1, vcc_lo, v1, s2
	v_add_co_ci_u32_e32 v2, vcc_lo, s3, v2, vcc_lo
	s_delay_alu instid0(VALU_DEP_3) | instskip(NEXT) | instid1(VALU_DEP_1)
	v_add3_u32 v5, v5, v8, v3
	v_lshlrev_b64 v[3:4], 1, v[4:5]
	s_delay_alu instid0(VALU_DEP_1) | instskip(NEXT) | instid1(VALU_DEP_2)
	v_add_co_u32 v3, vcc_lo, s16, v3
	v_add_co_ci_u32_e32 v4, vcc_lo, s17, v4, vcc_lo
	flat_load_u16 v1, v[1:2]
	flat_load_u16 v2, v[3:4]
	s_waitcnt vmcnt(0) lgkmcnt(0)
	v_mul_f16_e32 v1, v1, v2
	s_delay_alu instid0(VALU_DEP_1) | instskip(NEXT) | instid1(VALU_DEP_1)
	v_cvt_f32_f16_e32 v1, v1
	v_add_f32_e32 v7, v7, v1
.LBB537_18:
	s_or_b32 exec_lo, exec_lo, s0
	v_and_b32_e32 v6, 31, v0
	v_cmp_gt_u32_e32 vcc_lo, 32, v0
	s_delay_alu instid0(VALU_DEP_2)
	v_lshlrev_b32_e32 v1, 2, v6
	s_and_saveexec_b32 s0, vcc_lo
	s_cbranch_execz .LBB537_20
; %bb.19:
	v_mov_b32_e32 v2, 0
	ds_store_b32 v1, v2
.LBB537_20:
	s_or_b32 exec_lo, exec_lo, s0
	v_mbcnt_lo_u32_b32 v8, -1, 0
	s_mov_b32 s2, exec_lo
	s_waitcnt lgkmcnt(0)
	s_barrier
	buffer_gl0_inv
	v_cmp_gt_u32_e64 s0, 16, v8
	s_delay_alu instid0(VALU_DEP_1) | instskip(SKIP_1) | instid1(VALU_DEP_2)
	v_cndmask_b32_e64 v2, 0, 1, s0
	v_cmp_gt_u32_e64 s0, 24, v8
	v_lshlrev_b32_e32 v2, 4, v2
	s_delay_alu instid0(VALU_DEP_2) | instskip(SKIP_1) | instid1(VALU_DEP_3)
	v_cndmask_b32_e64 v3, 0, 1, s0
	v_cmp_gt_u32_e64 s0, 28, v8
	v_add_lshl_u32 v2, v2, v8, 2
	s_delay_alu instid0(VALU_DEP_3)
	v_lshlrev_b32_e32 v3, 3, v3
	ds_bpermute_b32 v4, v2, v7
	v_add_lshl_u32 v3, v3, v8, 2
	s_waitcnt lgkmcnt(0)
	v_add_f32_e32 v5, v7, v4
	v_cndmask_b32_e64 v4, 0, 1, s0
	v_cmp_gt_u32_e64 s0, 30, v8
	ds_bpermute_b32 v7, v3, v5
	s_waitcnt lgkmcnt(0)
	v_dual_add_f32 v7, v5, v7 :: v_dual_lshlrev_b32 v4, 2, v4
	s_delay_alu instid0(VALU_DEP_1)
	v_add_lshl_u32 v4, v4, v8, 2
	v_cndmask_b32_e64 v5, 0, 1, s0
	v_cmp_ne_u32_e64 s0, 31, v8
	ds_bpermute_b32 v9, v4, v7
	v_lshlrev_b32_e32 v5, 1, v5
	v_add_co_ci_u32_e64 v10, s0, 0, v8, s0
	s_delay_alu instid0(VALU_DEP_2)
	v_add_lshl_u32 v5, v5, v8, 2
	s_waitcnt lgkmcnt(0)
	v_add_f32_e32 v7, v7, v9
	ds_bpermute_b32 v9, v5, v7
	s_waitcnt lgkmcnt(0)
	v_dual_add_f32 v8, v7, v9 :: v_dual_lshlrev_b32 v7, 2, v10
	ds_bpermute_b32 v9, v7, v8
	v_cmpx_eq_u32_e32 0, v6
	s_cbranch_execz .LBB537_22
; %bb.21:
	v_lshrrev_b32_e32 v6, 3, v0
	s_waitcnt lgkmcnt(0)
	v_add_f32_e32 v8, v8, v9
	s_delay_alu instid0(VALU_DEP_2)
	v_and_b32_e32 v6, 0x7c, v6
	ds_store_b32 v6, v8
.LBB537_22:
	s_or_b32 exec_lo, exec_lo, s2
	v_mov_b32_e32 v6, 0
	s_waitcnt lgkmcnt(0)
	s_barrier
	buffer_gl0_inv
	s_and_saveexec_b32 s0, vcc_lo
	s_cbranch_execz .LBB537_24
; %bb.23:
	ds_load_b32 v6, v1
.LBB537_24:
	s_or_b32 exec_lo, exec_lo, s0
	s_and_saveexec_b32 s0, vcc_lo
	s_cbranch_execz .LBB537_26
; %bb.25:
	s_waitcnt lgkmcnt(0)
	ds_bpermute_b32 v1, v2, v6
	s_waitcnt lgkmcnt(0)
	v_add_f32_e32 v1, v6, v1
	ds_bpermute_b32 v2, v3, v1
	s_waitcnt lgkmcnt(0)
	v_add_f32_e32 v1, v1, v2
	;; [unrolled: 3-line block ×5, first 2 shown]
.LBB537_26:
	s_or_b32 exec_lo, exec_lo, s0
	s_delay_alu instid0(SALU_CYCLE_1)
	s_mov_b32 s0, exec_lo
                                        ; implicit-def: $vgpr1
                                        ; implicit-def: $sgpr4_sgpr5
	v_cmpx_eq_u32_e32 0, v0
	s_cbranch_execz .LBB537_30
; %bb.27:
	v_cmp_eq_f32_e64 s4, s15, 0
	s_mul_i32 s2, s14, s13
	s_mul_hi_u32 s3, s14, s12
	s_waitcnt lgkmcnt(0)
	v_mul_f32_e32 v1, s28, v6
	s_add_i32 s2, s3, s2
	s_mul_i32 s1, s1, s12
	s_and_b32 vcc_lo, exec_lo, s4
	s_add_i32 s5, s2, s1
	s_mul_i32 s4, s14, s12
	s_cbranch_vccnz .LBB537_29
; %bb.28:
	s_lshl_b64 s[2:3], s[4:5], 2
	s_delay_alu instid0(SALU_CYCLE_1)
	s_add_u32 s2, s6, s2
	s_addc_u32 s3, s7, s3
	s_load_b32 s1, s[2:3], 0x0
	s_waitcnt lgkmcnt(0)
	v_fmac_f32_e64 v1, s15, s1
.LBB537_29:
	s_or_b32 s8, s8, exec_lo
.LBB537_30:
	s_or_b32 exec_lo, exec_lo, s0
.LBB537_31:
	s_and_saveexec_b32 s0, s8
	s_cbranch_execz .LBB537_33
; %bb.32:
	s_lshl_b64 s[0:1], s[4:5], 2
	v_mov_b32_e32 v0, 0
	s_add_u32 s0, s6, s0
	s_addc_u32 s1, s7, s1
	global_store_b32 v0, v1, s[0:1]
.LBB537_33:
	s_nop 0
	s_sendmsg sendmsg(MSG_DEALLOC_VGPRS)
	s_endpgm
	.section	.rodata,"a",@progbits
	.p2align	6, 0x0
	.amdhsa_kernel _ZL32rocblas_gemvt_warp_reduce_kernelILb1ELi1024ElPKDF16_PKfKPfEviiT3_lPKT2_lT1_lS9_lSA_lS6_lPT4_lSA_li
		.amdhsa_group_segment_fixed_size 128
		.amdhsa_private_segment_fixed_size 0
		.amdhsa_kernarg_size 140
		.amdhsa_user_sgpr_count 14
		.amdhsa_user_sgpr_dispatch_ptr 0
		.amdhsa_user_sgpr_queue_ptr 0
		.amdhsa_user_sgpr_kernarg_segment_ptr 1
		.amdhsa_user_sgpr_dispatch_id 0
		.amdhsa_user_sgpr_private_segment_size 0
		.amdhsa_wavefront_size32 1
		.amdhsa_uses_dynamic_stack 0
		.amdhsa_enable_private_segment 0
		.amdhsa_system_sgpr_workgroup_id_x 1
		.amdhsa_system_sgpr_workgroup_id_y 0
		.amdhsa_system_sgpr_workgroup_id_z 1
		.amdhsa_system_sgpr_workgroup_info 0
		.amdhsa_system_vgpr_workitem_id 0
		.amdhsa_next_free_vgpr 11
		.amdhsa_next_free_sgpr 31
		.amdhsa_reserve_vcc 1
		.amdhsa_float_round_mode_32 0
		.amdhsa_float_round_mode_16_64 0
		.amdhsa_float_denorm_mode_32 3
		.amdhsa_float_denorm_mode_16_64 3
		.amdhsa_dx10_clamp 1
		.amdhsa_ieee_mode 1
		.amdhsa_fp16_overflow 0
		.amdhsa_workgroup_processor_mode 1
		.amdhsa_memory_ordered 1
		.amdhsa_forward_progress 0
		.amdhsa_shared_vgpr_count 0
		.amdhsa_exception_fp_ieee_invalid_op 0
		.amdhsa_exception_fp_denorm_src 0
		.amdhsa_exception_fp_ieee_div_zero 0
		.amdhsa_exception_fp_ieee_overflow 0
		.amdhsa_exception_fp_ieee_underflow 0
		.amdhsa_exception_fp_ieee_inexact 0
		.amdhsa_exception_int_div_zero 0
	.end_amdhsa_kernel
	.section	.text._ZL32rocblas_gemvt_warp_reduce_kernelILb1ELi1024ElPKDF16_PKfKPfEviiT3_lPKT2_lT1_lS9_lSA_lS6_lPT4_lSA_li,"axG",@progbits,_ZL32rocblas_gemvt_warp_reduce_kernelILb1ELi1024ElPKDF16_PKfKPfEviiT3_lPKT2_lT1_lS9_lSA_lS6_lPT4_lSA_li,comdat
.Lfunc_end537:
	.size	_ZL32rocblas_gemvt_warp_reduce_kernelILb1ELi1024ElPKDF16_PKfKPfEviiT3_lPKT2_lT1_lS9_lSA_lS6_lPT4_lSA_li, .Lfunc_end537-_ZL32rocblas_gemvt_warp_reduce_kernelILb1ELi1024ElPKDF16_PKfKPfEviiT3_lPKT2_lT1_lS9_lSA_lS6_lPT4_lSA_li
                                        ; -- End function
	.section	.AMDGPU.csdata,"",@progbits
; Kernel info:
; codeLenInByte = 1600
; NumSgprs: 33
; NumVgprs: 11
; ScratchSize: 0
; MemoryBound: 0
; FloatMode: 240
; IeeeMode: 1
; LDSByteSize: 128 bytes/workgroup (compile time only)
; SGPRBlocks: 4
; VGPRBlocks: 1
; NumSGPRsForWavesPerEU: 33
; NumVGPRsForWavesPerEU: 11
; Occupancy: 16
; WaveLimiterHint : 1
; COMPUTE_PGM_RSRC2:SCRATCH_EN: 0
; COMPUTE_PGM_RSRC2:USER_SGPR: 14
; COMPUTE_PGM_RSRC2:TRAP_HANDLER: 0
; COMPUTE_PGM_RSRC2:TGID_X_EN: 1
; COMPUTE_PGM_RSRC2:TGID_Y_EN: 0
; COMPUTE_PGM_RSRC2:TGID_Z_EN: 1
; COMPUTE_PGM_RSRC2:TIDIG_COMP_CNT: 0
	.section	.text._ZL32rocblas_gemvt_warp_reduce_kernelILb1ELi1024EiPKDF16_fKPfEviiT3_lPKT2_lT1_lS7_lS8_lS4_lPT4_lS8_li,"axG",@progbits,_ZL32rocblas_gemvt_warp_reduce_kernelILb1ELi1024EiPKDF16_fKPfEviiT3_lPKT2_lT1_lS7_lS8_lS4_lPT4_lS8_li,comdat
	.globl	_ZL32rocblas_gemvt_warp_reduce_kernelILb1ELi1024EiPKDF16_fKPfEviiT3_lPKT2_lT1_lS7_lS8_lS4_lPT4_lS8_li ; -- Begin function _ZL32rocblas_gemvt_warp_reduce_kernelILb1ELi1024EiPKDF16_fKPfEviiT3_lPKT2_lT1_lS7_lS8_lS4_lPT4_lS8_li
	.p2align	8
	.type	_ZL32rocblas_gemvt_warp_reduce_kernelILb1ELi1024EiPKDF16_fKPfEviiT3_lPKT2_lT1_lS7_lS8_lS4_lPT4_lS8_li,@function
_ZL32rocblas_gemvt_warp_reduce_kernelILb1ELi1024EiPKDF16_fKPfEviiT3_lPKT2_lT1_lS7_lS8_lS4_lPT4_lS8_li: ; @_ZL32rocblas_gemvt_warp_reduce_kernelILb1ELi1024EiPKDF16_fKPfEviiT3_lPKT2_lT1_lS7_lS8_lS4_lPT4_lS8_li
; %bb.0:
	s_clause 0x1
	s_load_b32 s11, s[0:1], 0x8
	s_load_b32 s10, s[0:1], 0x58
	s_waitcnt lgkmcnt(0)
	v_cmp_eq_f32_e64 s8, s11, 0
	v_cmp_eq_f32_e64 s3, s10, 1.0
	s_delay_alu instid0(VALU_DEP_1) | instskip(NEXT) | instid1(SALU_CYCLE_1)
	s_and_b32 s3, s8, s3
	s_and_b32 vcc_lo, exec_lo, s3
	s_cbranch_vccnz .LBB538_36
; %bb.1:
	v_cmp_neq_f32_e64 s4, s11, 0
	s_mov_b32 s2, s15
	s_delay_alu instid0(VALU_DEP_1)
	s_and_b32 vcc_lo, exec_lo, s4
	s_cbranch_vccnz .LBB538_3
; %bb.2:
	s_mov_b32 s3, 0
	s_mov_b64 s[6:7], 0
	s_cbranch_execz .LBB538_4
	s_branch .LBB538_5
.LBB538_3:
	s_mov_b32 s3, -1
                                        ; implicit-def: $sgpr6_sgpr7
.LBB538_4:
	s_load_b128 s[16:19], s[0:1], 0x18
	s_mov_b32 s3, 0
	s_delay_alu instid0(SALU_CYCLE_1)
	s_lshl_b64 s[6:7], s[2:3], 3
	s_waitcnt lgkmcnt(0)
	s_add_u32 s6, s16, s6
	s_addc_u32 s7, s17, s7
	s_lshl_b64 s[12:13], s[18:19], 1
	s_load_b64 s[6:7], s[6:7], 0x0
	s_waitcnt lgkmcnt(0)
	s_add_u32 s6, s6, s12
	s_addc_u32 s7, s7, s13
.LBB538_5:
	s_and_not1_b32 vcc_lo, exec_lo, s4
	s_cbranch_vccnz .LBB538_7
; %bb.6:
	s_load_b128 s[16:19], s[0:1], 0x38
	s_lshl_b64 s[4:5], s[2:3], 3
	s_waitcnt lgkmcnt(0)
	s_add_u32 s4, s16, s4
	s_addc_u32 s5, s17, s5
	s_lshl_b64 s[12:13], s[18:19], 1
	s_load_b64 s[4:5], s[4:5], 0x0
	s_waitcnt lgkmcnt(0)
	s_add_u32 s4, s4, s12
	s_addc_u32 s5, s5, s13
	s_branch .LBB538_8
.LBB538_7:
	s_mov_b64 s[4:5], 0
.LBB538_8:
	s_clause 0x1
	s_load_b128 s[16:19], s[0:1], 0x68
	s_load_b32 s15, s[0:1], 0x78
	s_lshl_b64 s[2:3], s[2:3], 3
	s_waitcnt lgkmcnt(0)
	s_add_u32 s2, s16, s2
	s_addc_u32 s3, s17, s3
	s_lshl_b64 s[16:17], s[18:19], 2
	s_load_b64 s[12:13], s[2:3], 0x0
	v_cmp_eq_u32_e64 s2, 0, v0
	s_waitcnt lgkmcnt(0)
	s_add_u32 s12, s12, s16
	s_addc_u32 s13, s13, s17
	s_and_not1_b32 vcc_lo, exec_lo, s8
	s_cbranch_vccnz .LBB538_13
; %bb.9:
	s_mov_b32 s3, 0
	s_mov_b32 s16, 0
                                        ; implicit-def: $vgpr1
                                        ; implicit-def: $sgpr8_sgpr9
	s_and_saveexec_b32 s17, s2
	s_cbranch_execz .LBB538_14
; %bb.10:
	v_cmp_eq_f32_e64 s2, s10, 0
	v_mov_b32_e32 v1, 0
	s_mul_i32 s8, s14, s15
	s_delay_alu instid0(SALU_CYCLE_1) | instskip(NEXT) | instid1(VALU_DEP_2)
	s_ashr_i32 s9, s8, 31
	s_and_b32 vcc_lo, exec_lo, s2
	s_cbranch_vccnz .LBB538_12
; %bb.11:
	s_lshl_b64 s[18:19], s[8:9], 2
	s_delay_alu instid0(SALU_CYCLE_1)
	s_add_u32 s18, s12, s18
	s_addc_u32 s19, s13, s19
	s_load_b32 s2, s[18:19], 0x0
	s_waitcnt lgkmcnt(0)
	v_mul_f32_e64 v1, s2, s10
.LBB538_12:
	s_mov_b32 s16, exec_lo
	s_or_b32 exec_lo, exec_lo, s17
	s_delay_alu instid0(SALU_CYCLE_1)
	s_and_b32 vcc_lo, exec_lo, s3
	s_cbranch_vccnz .LBB538_15
	s_branch .LBB538_34
.LBB538_13:
	s_mov_b32 s16, 0
                                        ; implicit-def: $vgpr1
                                        ; implicit-def: $sgpr8_sgpr9
	s_cbranch_execnz .LBB538_15
	s_branch .LBB538_34
.LBB538_14:
	s_or_b32 exec_lo, exec_lo, s17
	s_delay_alu instid0(SALU_CYCLE_1)
	s_and_b32 vcc_lo, exec_lo, s3
	s_cbranch_vccz .LBB538_34
.LBB538_15:
	s_clause 0x2
	s_load_b32 s2, s[0:1], 0x28
	s_load_b32 s3, s[0:1], 0x0
	;; [unrolled: 1-line block ×3, first 2 shown]
	v_mov_b32_e32 v7, 0
	s_waitcnt lgkmcnt(0)
	s_mul_i32 s8, s14, s2
	v_cmp_gt_i32_e32 vcc_lo, s3, v0
	s_ashr_i32 s9, s8, 31
	s_delay_alu instid0(SALU_CYCLE_1)
	s_lshl_b64 s[8:9], s[8:9], 1
	v_cndmask_b32_e32 v1, 0, v0, vcc_lo
	s_add_u32 s0, s8, s6
	s_addc_u32 s6, s9, s7
	s_ashr_i32 s2, s3, 31
	s_mov_b32 s7, 0
	v_lshlrev_b32_e32 v1, 1, v1
	s_lshr_b32 s2, s2, 22
	s_delay_alu instid0(SALU_CYCLE_1) | instskip(NEXT) | instid1(SALU_CYCLE_1)
	s_add_i32 s2, s3, s2
	s_and_b32 s2, s2, 0xfffffc00
	s_delay_alu instid0(VALU_DEP_1) | instskip(NEXT) | instid1(VALU_DEP_1)
	v_add_co_u32 v1, s0, s0, v1
	v_add_co_ci_u32_e64 v2, null, s6, 0, s0
	s_mov_b32 s6, exec_lo
	v_cmpx_gt_i32_e64 s2, v0
	s_cbranch_execz .LBB538_19
; %bb.16:
	v_mul_lo_u32 v3, v0, s1
	v_dual_mov_b32 v7, 0 :: v_dual_mov_b32 v6, v2
	v_dual_mov_b32 v5, v1 :: v_dual_mov_b32 v8, v0
	s_lshl_b32 s8, s1, 10
	.p2align	6
.LBB538_17:                             ; =>This Inner Loop Header: Depth=1
	s_delay_alu instid0(VALU_DEP_3) | instskip(NEXT) | instid1(VALU_DEP_2)
	v_ashrrev_i32_e32 v4, 31, v3
	v_add_nc_u32_e32 v8, 0x400, v8
	s_delay_alu instid0(VALU_DEP_2) | instskip(NEXT) | instid1(VALU_DEP_2)
	v_lshlrev_b64 v[9:10], 1, v[3:4]
	v_cmp_le_i32_e64 s0, s2, v8
	v_add_nc_u32_e32 v3, s8, v3
	s_delay_alu instid0(VALU_DEP_2) | instskip(NEXT) | instid1(VALU_DEP_3)
	s_or_b32 s7, s0, s7
	v_add_co_u32 v9, vcc_lo, s4, v9
	s_delay_alu instid0(VALU_DEP_4)
	v_add_co_ci_u32_e32 v10, vcc_lo, s5, v10, vcc_lo
	flat_load_u16 v4, v[5:6]
	flat_load_u16 v9, v[9:10]
	v_add_co_u32 v5, vcc_lo, 0x800, v5
	v_add_co_ci_u32_e32 v6, vcc_lo, 0, v6, vcc_lo
	s_waitcnt vmcnt(0) lgkmcnt(0)
	v_mul_f16_e32 v4, v4, v9
	s_delay_alu instid0(VALU_DEP_1) | instskip(NEXT) | instid1(VALU_DEP_1)
	v_cvt_f32_f16_e32 v4, v4
	v_add_f32_e32 v7, v7, v4
	s_and_not1_b32 exec_lo, exec_lo, s7
	s_cbranch_execnz .LBB538_17
; %bb.18:
	s_or_b32 exec_lo, exec_lo, s7
.LBB538_19:
	s_delay_alu instid0(SALU_CYCLE_1) | instskip(SKIP_2) | instid1(VALU_DEP_1)
	s_or_b32 exec_lo, exec_lo, s6
	v_or_b32_e32 v3, s2, v0
	s_mov_b32 s0, exec_lo
	v_cmpx_gt_i32_e64 s3, v3
	s_cbranch_execz .LBB538_21
; %bb.20:
	v_mul_lo_u32 v3, v3, s1
	s_ashr_i32 s3, s2, 31
	s_delay_alu instid0(SALU_CYCLE_1) | instskip(NEXT) | instid1(SALU_CYCLE_1)
	s_lshl_b64 s[2:3], s[2:3], 1
	v_add_co_u32 v1, vcc_lo, v1, s2
	v_add_co_ci_u32_e32 v2, vcc_lo, s3, v2, vcc_lo
	s_delay_alu instid0(VALU_DEP_3) | instskip(NEXT) | instid1(VALU_DEP_1)
	v_ashrrev_i32_e32 v4, 31, v3
	v_lshlrev_b64 v[3:4], 1, v[3:4]
	s_delay_alu instid0(VALU_DEP_1) | instskip(NEXT) | instid1(VALU_DEP_2)
	v_add_co_u32 v3, vcc_lo, s4, v3
	v_add_co_ci_u32_e32 v4, vcc_lo, s5, v4, vcc_lo
	flat_load_u16 v1, v[1:2]
	flat_load_u16 v2, v[3:4]
	s_waitcnt vmcnt(0) lgkmcnt(0)
	v_mul_f16_e32 v1, v1, v2
	s_delay_alu instid0(VALU_DEP_1) | instskip(NEXT) | instid1(VALU_DEP_1)
	v_cvt_f32_f16_e32 v1, v1
	v_add_f32_e32 v7, v7, v1
.LBB538_21:
	s_or_b32 exec_lo, exec_lo, s0
	v_and_b32_e32 v6, 31, v0
	v_cmp_gt_u32_e32 vcc_lo, 32, v0
	s_delay_alu instid0(VALU_DEP_2)
	v_lshlrev_b32_e32 v1, 2, v6
	s_and_saveexec_b32 s0, vcc_lo
	s_cbranch_execz .LBB538_23
; %bb.22:
	v_mov_b32_e32 v2, 0
	ds_store_b32 v1, v2
.LBB538_23:
	s_or_b32 exec_lo, exec_lo, s0
	v_mbcnt_lo_u32_b32 v8, -1, 0
	s_mov_b32 s1, exec_lo
	s_waitcnt lgkmcnt(0)
	s_barrier
	buffer_gl0_inv
	v_cmp_gt_u32_e64 s0, 16, v8
	s_delay_alu instid0(VALU_DEP_1) | instskip(SKIP_1) | instid1(VALU_DEP_2)
	v_cndmask_b32_e64 v2, 0, 1, s0
	v_cmp_gt_u32_e64 s0, 24, v8
	v_lshlrev_b32_e32 v2, 4, v2
	s_delay_alu instid0(VALU_DEP_2) | instskip(SKIP_1) | instid1(VALU_DEP_3)
	v_cndmask_b32_e64 v3, 0, 1, s0
	v_cmp_gt_u32_e64 s0, 28, v8
	v_add_lshl_u32 v2, v2, v8, 2
	s_delay_alu instid0(VALU_DEP_3)
	v_lshlrev_b32_e32 v3, 3, v3
	ds_bpermute_b32 v4, v2, v7
	v_add_lshl_u32 v3, v3, v8, 2
	s_waitcnt lgkmcnt(0)
	v_add_f32_e32 v5, v7, v4
	v_cndmask_b32_e64 v4, 0, 1, s0
	v_cmp_gt_u32_e64 s0, 30, v8
	ds_bpermute_b32 v7, v3, v5
	s_waitcnt lgkmcnt(0)
	v_dual_add_f32 v7, v5, v7 :: v_dual_lshlrev_b32 v4, 2, v4
	s_delay_alu instid0(VALU_DEP_1)
	v_add_lshl_u32 v4, v4, v8, 2
	v_cndmask_b32_e64 v5, 0, 1, s0
	v_cmp_ne_u32_e64 s0, 31, v8
	ds_bpermute_b32 v9, v4, v7
	v_lshlrev_b32_e32 v5, 1, v5
	v_add_co_ci_u32_e64 v10, s0, 0, v8, s0
	s_delay_alu instid0(VALU_DEP_2)
	v_add_lshl_u32 v5, v5, v8, 2
	s_waitcnt lgkmcnt(0)
	v_add_f32_e32 v7, v7, v9
	ds_bpermute_b32 v9, v5, v7
	s_waitcnt lgkmcnt(0)
	v_dual_add_f32 v8, v7, v9 :: v_dual_lshlrev_b32 v7, 2, v10
	ds_bpermute_b32 v9, v7, v8
	v_cmpx_eq_u32_e32 0, v6
	s_cbranch_execz .LBB538_25
; %bb.24:
	v_lshrrev_b32_e32 v6, 3, v0
	s_waitcnt lgkmcnt(0)
	v_add_f32_e32 v8, v8, v9
	s_delay_alu instid0(VALU_DEP_2)
	v_and_b32_e32 v6, 0x7c, v6
	ds_store_b32 v6, v8
.LBB538_25:
	s_or_b32 exec_lo, exec_lo, s1
	v_mov_b32_e32 v6, 0
	s_waitcnt lgkmcnt(0)
	s_barrier
	buffer_gl0_inv
	s_and_saveexec_b32 s0, vcc_lo
	s_cbranch_execz .LBB538_27
; %bb.26:
	ds_load_b32 v6, v1
.LBB538_27:
	s_or_b32 exec_lo, exec_lo, s0
	s_and_saveexec_b32 s0, vcc_lo
	s_cbranch_execz .LBB538_29
; %bb.28:
	s_waitcnt lgkmcnt(0)
	ds_bpermute_b32 v1, v2, v6
	s_waitcnt lgkmcnt(0)
	v_add_f32_e32 v1, v6, v1
	ds_bpermute_b32 v2, v3, v1
	s_waitcnt lgkmcnt(0)
	v_add_f32_e32 v1, v1, v2
	;; [unrolled: 3-line block ×5, first 2 shown]
.LBB538_29:
	s_or_b32 exec_lo, exec_lo, s0
	s_delay_alu instid0(SALU_CYCLE_1)
	s_mov_b32 s0, exec_lo
                                        ; implicit-def: $vgpr1
                                        ; implicit-def: $sgpr8_sgpr9
	v_cmpx_eq_u32_e32 0, v0
	s_cbranch_execz .LBB538_33
; %bb.30:
	v_cmp_eq_f32_e64 s1, s10, 0
	s_waitcnt lgkmcnt(0)
	v_mul_f32_e32 v1, s11, v6
	s_mul_i32 s8, s14, s15
	s_delay_alu instid0(SALU_CYCLE_1)
	s_ashr_i32 s9, s8, 31
	s_and_b32 vcc_lo, exec_lo, s1
	s_cbranch_vccnz .LBB538_32
; %bb.31:
	s_lshl_b64 s[2:3], s[8:9], 2
	s_delay_alu instid0(SALU_CYCLE_1)
	s_add_u32 s2, s12, s2
	s_addc_u32 s3, s13, s3
	s_load_b32 s1, s[2:3], 0x0
	s_waitcnt lgkmcnt(0)
	v_fmac_f32_e64 v1, s1, s10
.LBB538_32:
	s_or_b32 s16, s16, exec_lo
.LBB538_33:
	s_or_b32 exec_lo, exec_lo, s0
.LBB538_34:
	s_and_saveexec_b32 s0, s16
	s_cbranch_execz .LBB538_36
; %bb.35:
	s_lshl_b64 s[0:1], s[8:9], 2
	v_mov_b32_e32 v0, 0
	s_add_u32 s0, s12, s0
	s_addc_u32 s1, s13, s1
	global_store_b32 v0, v1, s[0:1]
.LBB538_36:
	s_nop 0
	s_sendmsg sendmsg(MSG_DEALLOC_VGPRS)
	s_endpgm
	.section	.rodata,"a",@progbits
	.p2align	6, 0x0
	.amdhsa_kernel _ZL32rocblas_gemvt_warp_reduce_kernelILb1ELi1024EiPKDF16_fKPfEviiT3_lPKT2_lT1_lS7_lS8_lS4_lPT4_lS8_li
		.amdhsa_group_segment_fixed_size 128
		.amdhsa_private_segment_fixed_size 0
		.amdhsa_kernarg_size 140
		.amdhsa_user_sgpr_count 14
		.amdhsa_user_sgpr_dispatch_ptr 0
		.amdhsa_user_sgpr_queue_ptr 0
		.amdhsa_user_sgpr_kernarg_segment_ptr 1
		.amdhsa_user_sgpr_dispatch_id 0
		.amdhsa_user_sgpr_private_segment_size 0
		.amdhsa_wavefront_size32 1
		.amdhsa_uses_dynamic_stack 0
		.amdhsa_enable_private_segment 0
		.amdhsa_system_sgpr_workgroup_id_x 1
		.amdhsa_system_sgpr_workgroup_id_y 0
		.amdhsa_system_sgpr_workgroup_id_z 1
		.amdhsa_system_sgpr_workgroup_info 0
		.amdhsa_system_vgpr_workitem_id 0
		.amdhsa_next_free_vgpr 11
		.amdhsa_next_free_sgpr 20
		.amdhsa_reserve_vcc 1
		.amdhsa_float_round_mode_32 0
		.amdhsa_float_round_mode_16_64 0
		.amdhsa_float_denorm_mode_32 3
		.amdhsa_float_denorm_mode_16_64 3
		.amdhsa_dx10_clamp 1
		.amdhsa_ieee_mode 1
		.amdhsa_fp16_overflow 0
		.amdhsa_workgroup_processor_mode 1
		.amdhsa_memory_ordered 1
		.amdhsa_forward_progress 0
		.amdhsa_shared_vgpr_count 0
		.amdhsa_exception_fp_ieee_invalid_op 0
		.amdhsa_exception_fp_denorm_src 0
		.amdhsa_exception_fp_ieee_div_zero 0
		.amdhsa_exception_fp_ieee_overflow 0
		.amdhsa_exception_fp_ieee_underflow 0
		.amdhsa_exception_fp_ieee_inexact 0
		.amdhsa_exception_int_div_zero 0
	.end_amdhsa_kernel
	.section	.text._ZL32rocblas_gemvt_warp_reduce_kernelILb1ELi1024EiPKDF16_fKPfEviiT3_lPKT2_lT1_lS7_lS8_lS4_lPT4_lS8_li,"axG",@progbits,_ZL32rocblas_gemvt_warp_reduce_kernelILb1ELi1024EiPKDF16_fKPfEviiT3_lPKT2_lT1_lS7_lS8_lS4_lPT4_lS8_li,comdat
.Lfunc_end538:
	.size	_ZL32rocblas_gemvt_warp_reduce_kernelILb1ELi1024EiPKDF16_fKPfEviiT3_lPKT2_lT1_lS7_lS8_lS4_lPT4_lS8_li, .Lfunc_end538-_ZL32rocblas_gemvt_warp_reduce_kernelILb1ELi1024EiPKDF16_fKPfEviiT3_lPKT2_lT1_lS7_lS8_lS4_lPT4_lS8_li
                                        ; -- End function
	.section	.AMDGPU.csdata,"",@progbits
; Kernel info:
; codeLenInByte = 1468
; NumSgprs: 22
; NumVgprs: 11
; ScratchSize: 0
; MemoryBound: 0
; FloatMode: 240
; IeeeMode: 1
; LDSByteSize: 128 bytes/workgroup (compile time only)
; SGPRBlocks: 2
; VGPRBlocks: 1
; NumSGPRsForWavesPerEU: 22
; NumVGPRsForWavesPerEU: 11
; Occupancy: 16
; WaveLimiterHint : 1
; COMPUTE_PGM_RSRC2:SCRATCH_EN: 0
; COMPUTE_PGM_RSRC2:USER_SGPR: 14
; COMPUTE_PGM_RSRC2:TRAP_HANDLER: 0
; COMPUTE_PGM_RSRC2:TGID_X_EN: 1
; COMPUTE_PGM_RSRC2:TGID_Y_EN: 0
; COMPUTE_PGM_RSRC2:TGID_Z_EN: 1
; COMPUTE_PGM_RSRC2:TIDIG_COMP_CNT: 0
	.section	.text._ZL32rocblas_gemvt_warp_reduce_kernelILb1ELi1024ElPKDF16_fKPfEviiT3_lPKT2_lT1_lS7_lS8_lS4_lPT4_lS8_li,"axG",@progbits,_ZL32rocblas_gemvt_warp_reduce_kernelILb1ELi1024ElPKDF16_fKPfEviiT3_lPKT2_lT1_lS7_lS8_lS4_lPT4_lS8_li,comdat
	.globl	_ZL32rocblas_gemvt_warp_reduce_kernelILb1ELi1024ElPKDF16_fKPfEviiT3_lPKT2_lT1_lS7_lS8_lS4_lPT4_lS8_li ; -- Begin function _ZL32rocblas_gemvt_warp_reduce_kernelILb1ELi1024ElPKDF16_fKPfEviiT3_lPKT2_lT1_lS7_lS8_lS4_lPT4_lS8_li
	.p2align	8
	.type	_ZL32rocblas_gemvt_warp_reduce_kernelILb1ELi1024ElPKDF16_fKPfEviiT3_lPKT2_lT1_lS7_lS8_lS4_lPT4_lS8_li,@function
_ZL32rocblas_gemvt_warp_reduce_kernelILb1ELi1024ElPKDF16_fKPfEviiT3_lPKT2_lT1_lS7_lS8_lS4_lPT4_lS8_li: ; @_ZL32rocblas_gemvt_warp_reduce_kernelILb1ELi1024ElPKDF16_fKPfEviiT3_lPKT2_lT1_lS7_lS8_lS4_lPT4_lS8_li
; %bb.0:
	s_mov_b32 s2, s15
	s_clause 0x1
	s_load_b32 s18, s[0:1], 0x8
	s_load_b32 s15, s[0:1], 0x58
	s_waitcnt lgkmcnt(0)
	v_cmp_eq_f32_e64 s16, s18, 0
	v_cmp_eq_f32_e64 s3, s15, 1.0
	s_delay_alu instid0(VALU_DEP_1) | instskip(NEXT) | instid1(SALU_CYCLE_1)
	s_and_b32 s3, s16, s3
	s_and_b32 vcc_lo, exec_lo, s3
	s_cbranch_vccnz .LBB539_36
; %bb.1:
	s_clause 0x1
	s_load_b128 s[4:7], s[0:1], 0x18
	s_load_b64 s[10:11], s[0:1], 0x28
	v_cmp_neq_f32_e64 s17, s18, 0
	s_delay_alu instid0(VALU_DEP_1)
	s_and_b32 vcc_lo, exec_lo, s17
	s_cbranch_vccnz .LBB539_3
; %bb.2:
	s_mov_b32 s3, 0
	s_mov_b64 s[12:13], 0
	s_cbranch_execz .LBB539_4
	s_branch .LBB539_5
.LBB539_3:
	s_mov_b32 s3, -1
                                        ; implicit-def: $sgpr12_sgpr13
.LBB539_4:
	s_mov_b32 s3, 0
	s_delay_alu instid0(SALU_CYCLE_1)
	s_lshl_b64 s[8:9], s[2:3], 3
	s_waitcnt lgkmcnt(0)
	s_add_u32 s4, s4, s8
	s_addc_u32 s5, s5, s9
	s_lshl_b64 s[6:7], s[6:7], 1
	s_load_b64 s[4:5], s[4:5], 0x0
	s_waitcnt lgkmcnt(0)
	s_add_u32 s12, s4, s6
	s_addc_u32 s13, s5, s7
.LBB539_5:
	s_waitcnt lgkmcnt(0)
	s_clause 0x1
	s_load_b128 s[4:7], s[0:1], 0x38
	s_load_b64 s[8:9], s[0:1], 0x48
	s_and_not1_b32 vcc_lo, exec_lo, s17
	s_cbranch_vccnz .LBB539_7
; %bb.6:
	s_lshl_b64 s[20:21], s[2:3], 3
	s_waitcnt lgkmcnt(0)
	s_add_u32 s4, s4, s20
	s_addc_u32 s5, s5, s21
	s_lshl_b64 s[6:7], s[6:7], 1
	s_load_b64 s[4:5], s[4:5], 0x0
	s_waitcnt lgkmcnt(0)
	s_add_u32 s6, s4, s6
	s_addc_u32 s7, s5, s7
	s_branch .LBB539_8
.LBB539_7:
	s_waitcnt lgkmcnt(0)
	s_mov_b64 s[6:7], 0
.LBB539_8:
	s_clause 0x1
	s_load_b128 s[20:23], s[0:1], 0x68
	s_load_b64 s[4:5], s[0:1], 0x78
	s_lshl_b64 s[2:3], s[2:3], 3
	s_waitcnt lgkmcnt(0)
	s_add_u32 s2, s20, s2
	s_addc_u32 s3, s21, s3
	s_lshl_b64 s[22:23], s[22:23], 2
	s_load_b64 s[20:21], s[2:3], 0x0
	v_cmp_eq_u32_e64 s2, 0, v0
	s_waitcnt lgkmcnt(0)
	s_add_u32 s19, s20, s22
	s_addc_u32 s20, s21, s23
	s_and_not1_b32 vcc_lo, exec_lo, s16
	s_cbranch_vccnz .LBB539_13
; %bb.9:
	s_mov_b32 s3, 0
	s_mov_b32 s21, 0
                                        ; implicit-def: $vgpr1
                                        ; implicit-def: $sgpr16_sgpr17
	s_and_saveexec_b32 s22, s2
	s_cbranch_execz .LBB539_14
; %bb.10:
	v_cmp_eq_f32_e64 s2, s15, 0
	s_mul_i32 s16, s14, s5
	s_mul_hi_u32 s17, s14, s4
	s_ashr_i32 s21, s14, 31
	v_mov_b32_e32 v1, 0
	s_add_i32 s16, s17, s16
	s_mul_i32 s21, s21, s4
	s_and_b32 vcc_lo, exec_lo, s2
	s_add_i32 s17, s16, s21
	s_mul_i32 s16, s14, s4
	s_cbranch_vccnz .LBB539_12
; %bb.11:
	s_lshl_b64 s[24:25], s[16:17], 2
	s_delay_alu instid0(SALU_CYCLE_1)
	s_add_u32 s24, s19, s24
	s_addc_u32 s25, s20, s25
	s_load_b32 s2, s[24:25], 0x0
	s_waitcnt lgkmcnt(0)
	v_mul_f32_e64 v1, s2, s15
.LBB539_12:
	s_mov_b32 s21, exec_lo
	s_or_b32 exec_lo, exec_lo, s22
	s_delay_alu instid0(SALU_CYCLE_1)
	s_and_b32 vcc_lo, exec_lo, s3
	s_cbranch_vccnz .LBB539_15
	s_branch .LBB539_34
.LBB539_13:
	s_mov_b32 s21, 0
                                        ; implicit-def: $vgpr1
                                        ; implicit-def: $sgpr16_sgpr17
	s_cbranch_execnz .LBB539_15
	s_branch .LBB539_34
.LBB539_14:
	s_or_b32 exec_lo, exec_lo, s22
	s_delay_alu instid0(SALU_CYCLE_1)
	s_and_b32 vcc_lo, exec_lo, s3
	s_cbranch_vccz .LBB539_34
.LBB539_15:
	s_load_b32 s3, s[0:1], 0x0
	s_mul_i32 s0, s14, s11
	s_mul_hi_u32 s2, s14, s10
	s_ashr_i32 s1, s14, 31
	s_add_i32 s0, s2, s0
	s_mul_i32 s2, s1, s10
	s_mul_i32 s10, s14, s10
	s_add_i32 s11, s0, s2
	v_mov_b32_e32 v7, 0
	s_lshl_b64 s[10:11], s[10:11], 1
	s_delay_alu instid0(SALU_CYCLE_1)
	s_add_u32 s0, s10, s12
	s_addc_u32 s10, s11, s13
	s_mov_b32 s13, 0
	s_mov_b32 s12, exec_lo
	s_waitcnt lgkmcnt(0)
	v_cmp_gt_i32_e32 vcc_lo, s3, v0
	s_ashr_i32 s2, s3, 31
	s_delay_alu instid0(SALU_CYCLE_1) | instskip(NEXT) | instid1(SALU_CYCLE_1)
	s_lshr_b32 s2, s2, 22
	s_add_i32 s2, s3, s2
	v_cndmask_b32_e32 v1, 0, v0, vcc_lo
	s_and_b32 s2, s2, 0xfffffc00
	s_delay_alu instid0(VALU_DEP_1) | instskip(NEXT) | instid1(VALU_DEP_1)
	v_lshlrev_b32_e32 v1, 1, v1
	v_add_co_u32 v1, s0, s0, v1
	s_delay_alu instid0(VALU_DEP_1)
	v_add_co_ci_u32_e64 v2, null, s10, 0, s0
	v_cmpx_gt_i32_e64 s2, v0
	s_cbranch_execz .LBB539_19
; %bb.16:
	v_mad_u64_u32 v[3:4], null, s8, v0, 0
	v_mov_b32_e32 v8, v0
	s_lshl_b64 s[10:11], s[8:9], 11
	v_mov_b32_e32 v7, 0
	s_delay_alu instid0(VALU_DEP_3) | instskip(NEXT) | instid1(VALU_DEP_1)
	v_mad_u64_u32 v[5:6], null, s9, v0, v[4:5]
	v_mov_b32_e32 v4, v5
	s_delay_alu instid0(VALU_DEP_1) | instskip(SKIP_1) | instid1(VALU_DEP_2)
	v_lshlrev_b64 v[5:6], 1, v[3:4]
	v_dual_mov_b32 v4, v2 :: v_dual_mov_b32 v3, v1
	v_add_co_u32 v5, vcc_lo, s6, v5
	s_delay_alu instid0(VALU_DEP_3)
	v_add_co_ci_u32_e32 v6, vcc_lo, s7, v6, vcc_lo
	.p2align	6
.LBB539_17:                             ; =>This Inner Loop Header: Depth=1
	flat_load_u16 v9, v[3:4]
	flat_load_u16 v10, v[5:6]
	v_add_co_u32 v3, vcc_lo, 0x800, v3
	v_add_co_ci_u32_e32 v4, vcc_lo, 0, v4, vcc_lo
	v_add_co_u32 v5, vcc_lo, v5, s10
	v_add_co_ci_u32_e32 v6, vcc_lo, s11, v6, vcc_lo
	s_waitcnt vmcnt(0) lgkmcnt(0)
	v_mul_f16_e32 v9, v9, v10
	s_delay_alu instid0(VALU_DEP_1) | instskip(NEXT) | instid1(VALU_DEP_1)
	v_cvt_f32_f16_e32 v9, v9
	v_dual_add_f32 v7, v7, v9 :: v_dual_add_nc_u32 v8, 0x400, v8
	s_delay_alu instid0(VALU_DEP_1) | instskip(NEXT) | instid1(VALU_DEP_1)
	v_cmp_le_i32_e64 s0, s2, v8
	s_or_b32 s13, s0, s13
	s_delay_alu instid0(SALU_CYCLE_1)
	s_and_not1_b32 exec_lo, exec_lo, s13
	s_cbranch_execnz .LBB539_17
; %bb.18:
	s_or_b32 exec_lo, exec_lo, s13
.LBB539_19:
	s_delay_alu instid0(SALU_CYCLE_1) | instskip(SKIP_2) | instid1(VALU_DEP_1)
	s_or_b32 exec_lo, exec_lo, s12
	v_or_b32_e32 v3, s2, v0
	s_mov_b32 s0, exec_lo
	v_cmpx_gt_i32_e64 s3, v3
	s_cbranch_execz .LBB539_21
; %bb.20:
	v_ashrrev_i32_e32 v6, 31, v3
	v_mul_lo_u32 v8, v3, s9
	v_mad_u64_u32 v[4:5], null, v3, s8, 0
	s_ashr_i32 s3, s2, 31
	s_delay_alu instid0(VALU_DEP_3) | instskip(SKIP_1) | instid1(SALU_CYCLE_1)
	v_mul_lo_u32 v3, v6, s8
	s_lshl_b64 s[2:3], s[2:3], 1
	v_add_co_u32 v1, vcc_lo, v1, s2
	v_add_co_ci_u32_e32 v2, vcc_lo, s3, v2, vcc_lo
	s_delay_alu instid0(VALU_DEP_3) | instskip(NEXT) | instid1(VALU_DEP_1)
	v_add3_u32 v5, v5, v8, v3
	v_lshlrev_b64 v[3:4], 1, v[4:5]
	s_delay_alu instid0(VALU_DEP_1) | instskip(NEXT) | instid1(VALU_DEP_2)
	v_add_co_u32 v3, vcc_lo, s6, v3
	v_add_co_ci_u32_e32 v4, vcc_lo, s7, v4, vcc_lo
	flat_load_u16 v1, v[1:2]
	flat_load_u16 v2, v[3:4]
	s_waitcnt vmcnt(0) lgkmcnt(0)
	v_mul_f16_e32 v1, v1, v2
	s_delay_alu instid0(VALU_DEP_1) | instskip(NEXT) | instid1(VALU_DEP_1)
	v_cvt_f32_f16_e32 v1, v1
	v_add_f32_e32 v7, v7, v1
.LBB539_21:
	s_or_b32 exec_lo, exec_lo, s0
	v_and_b32_e32 v6, 31, v0
	v_cmp_gt_u32_e32 vcc_lo, 32, v0
	s_delay_alu instid0(VALU_DEP_2)
	v_lshlrev_b32_e32 v1, 2, v6
	s_and_saveexec_b32 s0, vcc_lo
	s_cbranch_execz .LBB539_23
; %bb.22:
	v_mov_b32_e32 v2, 0
	ds_store_b32 v1, v2
.LBB539_23:
	s_or_b32 exec_lo, exec_lo, s0
	v_mbcnt_lo_u32_b32 v8, -1, 0
	s_mov_b32 s2, exec_lo
	s_waitcnt lgkmcnt(0)
	s_barrier
	buffer_gl0_inv
	v_cmp_gt_u32_e64 s0, 16, v8
	s_delay_alu instid0(VALU_DEP_1) | instskip(SKIP_1) | instid1(VALU_DEP_2)
	v_cndmask_b32_e64 v2, 0, 1, s0
	v_cmp_gt_u32_e64 s0, 24, v8
	v_lshlrev_b32_e32 v2, 4, v2
	s_delay_alu instid0(VALU_DEP_2) | instskip(SKIP_1) | instid1(VALU_DEP_3)
	v_cndmask_b32_e64 v3, 0, 1, s0
	v_cmp_gt_u32_e64 s0, 28, v8
	v_add_lshl_u32 v2, v2, v8, 2
	s_delay_alu instid0(VALU_DEP_3)
	v_lshlrev_b32_e32 v3, 3, v3
	ds_bpermute_b32 v4, v2, v7
	v_add_lshl_u32 v3, v3, v8, 2
	s_waitcnt lgkmcnt(0)
	v_add_f32_e32 v5, v7, v4
	v_cndmask_b32_e64 v4, 0, 1, s0
	v_cmp_gt_u32_e64 s0, 30, v8
	ds_bpermute_b32 v7, v3, v5
	s_waitcnt lgkmcnt(0)
	v_dual_add_f32 v7, v5, v7 :: v_dual_lshlrev_b32 v4, 2, v4
	s_delay_alu instid0(VALU_DEP_1)
	v_add_lshl_u32 v4, v4, v8, 2
	v_cndmask_b32_e64 v5, 0, 1, s0
	v_cmp_ne_u32_e64 s0, 31, v8
	ds_bpermute_b32 v9, v4, v7
	v_lshlrev_b32_e32 v5, 1, v5
	v_add_co_ci_u32_e64 v10, s0, 0, v8, s0
	s_delay_alu instid0(VALU_DEP_2)
	v_add_lshl_u32 v5, v5, v8, 2
	s_waitcnt lgkmcnt(0)
	v_add_f32_e32 v7, v7, v9
	ds_bpermute_b32 v9, v5, v7
	s_waitcnt lgkmcnt(0)
	v_dual_add_f32 v8, v7, v9 :: v_dual_lshlrev_b32 v7, 2, v10
	ds_bpermute_b32 v9, v7, v8
	v_cmpx_eq_u32_e32 0, v6
	s_cbranch_execz .LBB539_25
; %bb.24:
	v_lshrrev_b32_e32 v6, 3, v0
	s_waitcnt lgkmcnt(0)
	v_add_f32_e32 v8, v8, v9
	s_delay_alu instid0(VALU_DEP_2)
	v_and_b32_e32 v6, 0x7c, v6
	ds_store_b32 v6, v8
.LBB539_25:
	s_or_b32 exec_lo, exec_lo, s2
	v_mov_b32_e32 v6, 0
	s_waitcnt lgkmcnt(0)
	s_barrier
	buffer_gl0_inv
	s_and_saveexec_b32 s0, vcc_lo
	s_cbranch_execz .LBB539_27
; %bb.26:
	ds_load_b32 v6, v1
.LBB539_27:
	s_or_b32 exec_lo, exec_lo, s0
	s_and_saveexec_b32 s0, vcc_lo
	s_cbranch_execz .LBB539_29
; %bb.28:
	s_waitcnt lgkmcnt(0)
	ds_bpermute_b32 v1, v2, v6
	s_waitcnt lgkmcnt(0)
	v_add_f32_e32 v1, v6, v1
	ds_bpermute_b32 v2, v3, v1
	s_waitcnt lgkmcnt(0)
	v_add_f32_e32 v1, v1, v2
	;; [unrolled: 3-line block ×5, first 2 shown]
.LBB539_29:
	s_or_b32 exec_lo, exec_lo, s0
	s_delay_alu instid0(SALU_CYCLE_1)
	s_mov_b32 s0, exec_lo
                                        ; implicit-def: $vgpr1
                                        ; implicit-def: $sgpr16_sgpr17
	v_cmpx_eq_u32_e32 0, v0
	s_cbranch_execz .LBB539_33
; %bb.30:
	s_mul_i32 s2, s14, s5
	v_cmp_eq_f32_e64 s5, s15, 0
	s_mul_hi_u32 s3, s14, s4
	s_waitcnt lgkmcnt(0)
	v_mul_f32_e32 v1, s18, v6
	s_add_i32 s2, s3, s2
	s_mul_i32 s1, s1, s4
	s_and_b32 vcc_lo, exec_lo, s5
	s_add_i32 s17, s2, s1
	s_mul_i32 s16, s14, s4
	s_cbranch_vccnz .LBB539_32
; %bb.31:
	s_lshl_b64 s[2:3], s[16:17], 2
	s_delay_alu instid0(SALU_CYCLE_1)
	s_add_u32 s2, s19, s2
	s_addc_u32 s3, s20, s3
	s_load_b32 s1, s[2:3], 0x0
	s_waitcnt lgkmcnt(0)
	v_fmac_f32_e64 v1, s1, s15
.LBB539_32:
	s_or_b32 s21, s21, exec_lo
.LBB539_33:
	s_or_b32 exec_lo, exec_lo, s0
.LBB539_34:
	s_and_saveexec_b32 s0, s21
	s_cbranch_execz .LBB539_36
; %bb.35:
	s_lshl_b64 s[0:1], s[16:17], 2
	v_mov_b32_e32 v0, 0
	s_add_u32 s0, s19, s0
	s_addc_u32 s1, s20, s1
	global_store_b32 v0, v1, s[0:1]
.LBB539_36:
	s_nop 0
	s_sendmsg sendmsg(MSG_DEALLOC_VGPRS)
	s_endpgm
	.section	.rodata,"a",@progbits
	.p2align	6, 0x0
	.amdhsa_kernel _ZL32rocblas_gemvt_warp_reduce_kernelILb1ELi1024ElPKDF16_fKPfEviiT3_lPKT2_lT1_lS7_lS8_lS4_lPT4_lS8_li
		.amdhsa_group_segment_fixed_size 128
		.amdhsa_private_segment_fixed_size 0
		.amdhsa_kernarg_size 140
		.amdhsa_user_sgpr_count 14
		.amdhsa_user_sgpr_dispatch_ptr 0
		.amdhsa_user_sgpr_queue_ptr 0
		.amdhsa_user_sgpr_kernarg_segment_ptr 1
		.amdhsa_user_sgpr_dispatch_id 0
		.amdhsa_user_sgpr_private_segment_size 0
		.amdhsa_wavefront_size32 1
		.amdhsa_uses_dynamic_stack 0
		.amdhsa_enable_private_segment 0
		.amdhsa_system_sgpr_workgroup_id_x 1
		.amdhsa_system_sgpr_workgroup_id_y 0
		.amdhsa_system_sgpr_workgroup_id_z 1
		.amdhsa_system_sgpr_workgroup_info 0
		.amdhsa_system_vgpr_workitem_id 0
		.amdhsa_next_free_vgpr 11
		.amdhsa_next_free_sgpr 26
		.amdhsa_reserve_vcc 1
		.amdhsa_float_round_mode_32 0
		.amdhsa_float_round_mode_16_64 0
		.amdhsa_float_denorm_mode_32 3
		.amdhsa_float_denorm_mode_16_64 3
		.amdhsa_dx10_clamp 1
		.amdhsa_ieee_mode 1
		.amdhsa_fp16_overflow 0
		.amdhsa_workgroup_processor_mode 1
		.amdhsa_memory_ordered 1
		.amdhsa_forward_progress 0
		.amdhsa_shared_vgpr_count 0
		.amdhsa_exception_fp_ieee_invalid_op 0
		.amdhsa_exception_fp_denorm_src 0
		.amdhsa_exception_fp_ieee_div_zero 0
		.amdhsa_exception_fp_ieee_overflow 0
		.amdhsa_exception_fp_ieee_underflow 0
		.amdhsa_exception_fp_ieee_inexact 0
		.amdhsa_exception_int_div_zero 0
	.end_amdhsa_kernel
	.section	.text._ZL32rocblas_gemvt_warp_reduce_kernelILb1ELi1024ElPKDF16_fKPfEviiT3_lPKT2_lT1_lS7_lS8_lS4_lPT4_lS8_li,"axG",@progbits,_ZL32rocblas_gemvt_warp_reduce_kernelILb1ELi1024ElPKDF16_fKPfEviiT3_lPKT2_lT1_lS7_lS8_lS4_lPT4_lS8_li,comdat
.Lfunc_end539:
	.size	_ZL32rocblas_gemvt_warp_reduce_kernelILb1ELi1024ElPKDF16_fKPfEviiT3_lPKT2_lT1_lS7_lS8_lS4_lPT4_lS8_li, .Lfunc_end539-_ZL32rocblas_gemvt_warp_reduce_kernelILb1ELi1024ElPKDF16_fKPfEviiT3_lPKT2_lT1_lS7_lS8_lS4_lPT4_lS8_li
                                        ; -- End function
	.section	.AMDGPU.csdata,"",@progbits
; Kernel info:
; codeLenInByte = 1576
; NumSgprs: 28
; NumVgprs: 11
; ScratchSize: 0
; MemoryBound: 0
; FloatMode: 240
; IeeeMode: 1
; LDSByteSize: 128 bytes/workgroup (compile time only)
; SGPRBlocks: 3
; VGPRBlocks: 1
; NumSGPRsForWavesPerEU: 28
; NumVGPRsForWavesPerEU: 11
; Occupancy: 16
; WaveLimiterHint : 1
; COMPUTE_PGM_RSRC2:SCRATCH_EN: 0
; COMPUTE_PGM_RSRC2:USER_SGPR: 14
; COMPUTE_PGM_RSRC2:TRAP_HANDLER: 0
; COMPUTE_PGM_RSRC2:TGID_X_EN: 1
; COMPUTE_PGM_RSRC2:TGID_Y_EN: 0
; COMPUTE_PGM_RSRC2:TGID_Z_EN: 1
; COMPUTE_PGM_RSRC2:TIDIG_COMP_CNT: 0
	.section	.text._ZL34rocblas_gemvn_sm_mn_batched_kernelILi32ELi24E16rocblas_bfloat16PKfS0_EviiT2_lPKT1_lilS6_lilS3_lPT3_lili,"axG",@progbits,_ZL34rocblas_gemvn_sm_mn_batched_kernelILi32ELi24E16rocblas_bfloat16PKfS0_EviiT2_lPKT1_lilS6_lilS3_lPT3_lili,comdat
	.globl	_ZL34rocblas_gemvn_sm_mn_batched_kernelILi32ELi24E16rocblas_bfloat16PKfS0_EviiT2_lPKT1_lilS6_lilS3_lPT3_lili ; -- Begin function _ZL34rocblas_gemvn_sm_mn_batched_kernelILi32ELi24E16rocblas_bfloat16PKfS0_EviiT2_lPKT1_lilS6_lilS3_lPT3_lili
	.p2align	8
	.type	_ZL34rocblas_gemvn_sm_mn_batched_kernelILi32ELi24E16rocblas_bfloat16PKfS0_EviiT2_lPKT1_lilS6_lilS3_lPT3_lili,@function
_ZL34rocblas_gemvn_sm_mn_batched_kernelILi32ELi24E16rocblas_bfloat16PKfS0_EviiT2_lPKT1_lilS6_lilS3_lPT3_lili: ; @_ZL34rocblas_gemvn_sm_mn_batched_kernelILi32ELi24E16rocblas_bfloat16PKfS0_EviiT2_lPKT1_lilS6_lilS3_lPT3_lili
; %bb.0:
	s_endpgm
	.section	.rodata,"a",@progbits
	.p2align	6, 0x0
	.amdhsa_kernel _ZL34rocblas_gemvn_sm_mn_batched_kernelILi32ELi24E16rocblas_bfloat16PKfS0_EviiT2_lPKT1_lilS6_lilS3_lPT3_lili
		.amdhsa_group_segment_fixed_size 0
		.amdhsa_private_segment_fixed_size 0
		.amdhsa_kernarg_size 140
		.amdhsa_user_sgpr_count 15
		.amdhsa_user_sgpr_dispatch_ptr 0
		.amdhsa_user_sgpr_queue_ptr 0
		.amdhsa_user_sgpr_kernarg_segment_ptr 1
		.amdhsa_user_sgpr_dispatch_id 0
		.amdhsa_user_sgpr_private_segment_size 0
		.amdhsa_wavefront_size32 1
		.amdhsa_uses_dynamic_stack 0
		.amdhsa_enable_private_segment 0
		.amdhsa_system_sgpr_workgroup_id_x 1
		.amdhsa_system_sgpr_workgroup_id_y 0
		.amdhsa_system_sgpr_workgroup_id_z 0
		.amdhsa_system_sgpr_workgroup_info 0
		.amdhsa_system_vgpr_workitem_id 0
		.amdhsa_next_free_vgpr 1
		.amdhsa_next_free_sgpr 1
		.amdhsa_reserve_vcc 0
		.amdhsa_float_round_mode_32 0
		.amdhsa_float_round_mode_16_64 0
		.amdhsa_float_denorm_mode_32 3
		.amdhsa_float_denorm_mode_16_64 3
		.amdhsa_dx10_clamp 1
		.amdhsa_ieee_mode 1
		.amdhsa_fp16_overflow 0
		.amdhsa_workgroup_processor_mode 1
		.amdhsa_memory_ordered 1
		.amdhsa_forward_progress 0
		.amdhsa_shared_vgpr_count 0
		.amdhsa_exception_fp_ieee_invalid_op 0
		.amdhsa_exception_fp_denorm_src 0
		.amdhsa_exception_fp_ieee_div_zero 0
		.amdhsa_exception_fp_ieee_overflow 0
		.amdhsa_exception_fp_ieee_underflow 0
		.amdhsa_exception_fp_ieee_inexact 0
		.amdhsa_exception_int_div_zero 0
	.end_amdhsa_kernel
	.section	.text._ZL34rocblas_gemvn_sm_mn_batched_kernelILi32ELi24E16rocblas_bfloat16PKfS0_EviiT2_lPKT1_lilS6_lilS3_lPT3_lili,"axG",@progbits,_ZL34rocblas_gemvn_sm_mn_batched_kernelILi32ELi24E16rocblas_bfloat16PKfS0_EviiT2_lPKT1_lilS6_lilS3_lPT3_lili,comdat
.Lfunc_end540:
	.size	_ZL34rocblas_gemvn_sm_mn_batched_kernelILi32ELi24E16rocblas_bfloat16PKfS0_EviiT2_lPKT1_lilS6_lilS3_lPT3_lili, .Lfunc_end540-_ZL34rocblas_gemvn_sm_mn_batched_kernelILi32ELi24E16rocblas_bfloat16PKfS0_EviiT2_lPKT1_lilS6_lilS3_lPT3_lili
                                        ; -- End function
	.section	.AMDGPU.csdata,"",@progbits
; Kernel info:
; codeLenInByte = 4
; NumSgprs: 0
; NumVgprs: 0
; ScratchSize: 0
; MemoryBound: 0
; FloatMode: 240
; IeeeMode: 1
; LDSByteSize: 0 bytes/workgroup (compile time only)
; SGPRBlocks: 0
; VGPRBlocks: 0
; NumSGPRsForWavesPerEU: 1
; NumVGPRsForWavesPerEU: 1
; Occupancy: 12
; WaveLimiterHint : 0
; COMPUTE_PGM_RSRC2:SCRATCH_EN: 0
; COMPUTE_PGM_RSRC2:USER_SGPR: 15
; COMPUTE_PGM_RSRC2:TRAP_HANDLER: 0
; COMPUTE_PGM_RSRC2:TGID_X_EN: 1
; COMPUTE_PGM_RSRC2:TGID_Y_EN: 0
; COMPUTE_PGM_RSRC2:TGID_Z_EN: 0
; COMPUTE_PGM_RSRC2:TIDIG_COMP_CNT: 0
	.section	.text._ZL34rocblas_gemvn_sm_mn_batched_kernelILi32ELi24E16rocblas_bfloat16fS0_EviiT2_lPKT1_lilS4_lilS1_lPT3_lili,"axG",@progbits,_ZL34rocblas_gemvn_sm_mn_batched_kernelILi32ELi24E16rocblas_bfloat16fS0_EviiT2_lPKT1_lilS4_lilS1_lPT3_lili,comdat
	.globl	_ZL34rocblas_gemvn_sm_mn_batched_kernelILi32ELi24E16rocblas_bfloat16fS0_EviiT2_lPKT1_lilS4_lilS1_lPT3_lili ; -- Begin function _ZL34rocblas_gemvn_sm_mn_batched_kernelILi32ELi24E16rocblas_bfloat16fS0_EviiT2_lPKT1_lilS4_lilS1_lPT3_lili
	.p2align	8
	.type	_ZL34rocblas_gemvn_sm_mn_batched_kernelILi32ELi24E16rocblas_bfloat16fS0_EviiT2_lPKT1_lilS4_lilS1_lPT3_lili,@function
_ZL34rocblas_gemvn_sm_mn_batched_kernelILi32ELi24E16rocblas_bfloat16fS0_EviiT2_lPKT1_lilS4_lilS1_lPT3_lili: ; @_ZL34rocblas_gemvn_sm_mn_batched_kernelILi32ELi24E16rocblas_bfloat16fS0_EviiT2_lPKT1_lilS4_lilS1_lPT3_lili
; %bb.0:
	s_endpgm
	.section	.rodata,"a",@progbits
	.p2align	6, 0x0
	.amdhsa_kernel _ZL34rocblas_gemvn_sm_mn_batched_kernelILi32ELi24E16rocblas_bfloat16fS0_EviiT2_lPKT1_lilS4_lilS1_lPT3_lili
		.amdhsa_group_segment_fixed_size 0
		.amdhsa_private_segment_fixed_size 0
		.amdhsa_kernarg_size 140
		.amdhsa_user_sgpr_count 15
		.amdhsa_user_sgpr_dispatch_ptr 0
		.amdhsa_user_sgpr_queue_ptr 0
		.amdhsa_user_sgpr_kernarg_segment_ptr 1
		.amdhsa_user_sgpr_dispatch_id 0
		.amdhsa_user_sgpr_private_segment_size 0
		.amdhsa_wavefront_size32 1
		.amdhsa_uses_dynamic_stack 0
		.amdhsa_enable_private_segment 0
		.amdhsa_system_sgpr_workgroup_id_x 1
		.amdhsa_system_sgpr_workgroup_id_y 0
		.amdhsa_system_sgpr_workgroup_id_z 0
		.amdhsa_system_sgpr_workgroup_info 0
		.amdhsa_system_vgpr_workitem_id 0
		.amdhsa_next_free_vgpr 1
		.amdhsa_next_free_sgpr 1
		.amdhsa_reserve_vcc 0
		.amdhsa_float_round_mode_32 0
		.amdhsa_float_round_mode_16_64 0
		.amdhsa_float_denorm_mode_32 3
		.amdhsa_float_denorm_mode_16_64 3
		.amdhsa_dx10_clamp 1
		.amdhsa_ieee_mode 1
		.amdhsa_fp16_overflow 0
		.amdhsa_workgroup_processor_mode 1
		.amdhsa_memory_ordered 1
		.amdhsa_forward_progress 0
		.amdhsa_shared_vgpr_count 0
		.amdhsa_exception_fp_ieee_invalid_op 0
		.amdhsa_exception_fp_denorm_src 0
		.amdhsa_exception_fp_ieee_div_zero 0
		.amdhsa_exception_fp_ieee_overflow 0
		.amdhsa_exception_fp_ieee_underflow 0
		.amdhsa_exception_fp_ieee_inexact 0
		.amdhsa_exception_int_div_zero 0
	.end_amdhsa_kernel
	.section	.text._ZL34rocblas_gemvn_sm_mn_batched_kernelILi32ELi24E16rocblas_bfloat16fS0_EviiT2_lPKT1_lilS4_lilS1_lPT3_lili,"axG",@progbits,_ZL34rocblas_gemvn_sm_mn_batched_kernelILi32ELi24E16rocblas_bfloat16fS0_EviiT2_lPKT1_lilS4_lilS1_lPT3_lili,comdat
.Lfunc_end541:
	.size	_ZL34rocblas_gemvn_sm_mn_batched_kernelILi32ELi24E16rocblas_bfloat16fS0_EviiT2_lPKT1_lilS4_lilS1_lPT3_lili, .Lfunc_end541-_ZL34rocblas_gemvn_sm_mn_batched_kernelILi32ELi24E16rocblas_bfloat16fS0_EviiT2_lPKT1_lilS4_lilS1_lPT3_lili
                                        ; -- End function
	.section	.AMDGPU.csdata,"",@progbits
; Kernel info:
; codeLenInByte = 4
; NumSgprs: 0
; NumVgprs: 0
; ScratchSize: 0
; MemoryBound: 0
; FloatMode: 240
; IeeeMode: 1
; LDSByteSize: 0 bytes/workgroup (compile time only)
; SGPRBlocks: 0
; VGPRBlocks: 0
; NumSGPRsForWavesPerEU: 1
; NumVGPRsForWavesPerEU: 1
; Occupancy: 12
; WaveLimiterHint : 0
; COMPUTE_PGM_RSRC2:SCRATCH_EN: 0
; COMPUTE_PGM_RSRC2:USER_SGPR: 15
; COMPUTE_PGM_RSRC2:TRAP_HANDLER: 0
; COMPUTE_PGM_RSRC2:TGID_X_EN: 1
; COMPUTE_PGM_RSRC2:TGID_Y_EN: 0
; COMPUTE_PGM_RSRC2:TGID_Z_EN: 0
; COMPUTE_PGM_RSRC2:TIDIG_COMP_CNT: 0
	.section	.text._ZL20rocblas_gemvn_kernelILi64ELi4Ei16rocblas_bfloat16PKfS0_EviiT3_lPKT2_lT1_lS6_lS7_lS3_lPT4_lS7_li,"axG",@progbits,_ZL20rocblas_gemvn_kernelILi64ELi4Ei16rocblas_bfloat16PKfS0_EviiT3_lPKT2_lT1_lS6_lS7_lS3_lPT4_lS7_li,comdat
	.globl	_ZL20rocblas_gemvn_kernelILi64ELi4Ei16rocblas_bfloat16PKfS0_EviiT3_lPKT2_lT1_lS6_lS7_lS3_lPT4_lS7_li ; -- Begin function _ZL20rocblas_gemvn_kernelILi64ELi4Ei16rocblas_bfloat16PKfS0_EviiT3_lPKT2_lT1_lS6_lS7_lS3_lPT4_lS7_li
	.p2align	8
	.type	_ZL20rocblas_gemvn_kernelILi64ELi4Ei16rocblas_bfloat16PKfS0_EviiT3_lPKT2_lT1_lS6_lS7_lS3_lPT4_lS7_li,@function
_ZL20rocblas_gemvn_kernelILi64ELi4Ei16rocblas_bfloat16PKfS0_EviiT3_lPKT2_lT1_lS6_lS7_lS3_lPT4_lS7_li: ; @_ZL20rocblas_gemvn_kernelILi64ELi4Ei16rocblas_bfloat16PKfS0_EviiT3_lPKT2_lT1_lS6_lS7_lS3_lPT4_lS7_li
; %bb.0:
	s_load_b64 s[2:3], s[0:1], 0x9c
	s_waitcnt lgkmcnt(0)
	s_lshr_b32 s4, s2, 16
	s_and_b32 s2, s2, 0xffff
	s_and_b32 s3, s3, 0xffff
	s_mul_i32 s2, s4, s2
	s_delay_alu instid0(SALU_CYCLE_1) | instskip(NEXT) | instid1(SALU_CYCLE_1)
	s_mul_i32 s2, s2, s3
	s_cmpk_lg_i32 s2, 0x100
	s_cbranch_scc1 .LBB542_70
; %bb.1:
	s_clause 0x1
	s_load_b256 s[16:23], s[0:1], 0x8
	s_load_b256 s[4:11], s[0:1], 0x50
	s_waitcnt lgkmcnt(0)
	s_mul_i32 s3, s15, s19
	s_mul_hi_u32 s12, s15, s18
	s_mul_i32 s2, s15, s18
	s_add_i32 s3, s12, s3
	s_mul_i32 s9, s15, s9
	s_lshl_b64 s[2:3], s[2:3], 2
	s_mul_hi_u32 s12, s15, s8
	s_add_u32 s2, s16, s2
	s_addc_u32 s3, s17, s3
	s_add_i32 s9, s12, s9
	s_mul_i32 s8, s15, s8
	s_mov_b32 s12, 0
	s_lshl_b64 s[8:9], s[8:9], 2
	s_delay_alu instid0(SALU_CYCLE_1)
	s_add_u32 s6, s6, s8
	s_addc_u32 s7, s7, s9
	s_load_b32 s17, s[2:3], 0x0
	s_load_b32 s13, s[6:7], 0x0
	s_waitcnt lgkmcnt(0)
	v_cmp_eq_f32_e64 s2, s17, 0
	v_cmp_eq_f32_e64 s3, s13, 1.0
	s_delay_alu instid0(VALU_DEP_1) | instskip(NEXT) | instid1(SALU_CYCLE_1)
	s_and_b32 s2, s2, s3
	s_and_b32 vcc_lo, exec_lo, s2
	s_cbranch_vccnz .LBB542_70
; %bb.2:
	s_clause 0x3
	s_load_b64 s[2:3], s[0:1], 0x80
	s_load_b64 s[8:9], s[0:1], 0x70
	s_load_b32 s16, s[0:1], 0x78
	s_load_b64 s[6:7], s[0:1], 0x0
	v_and_b32_e32 v1, 0x3ff, v0
	v_bfe_u32 v13, v0, 10, 10
	s_delay_alu instid0(VALU_DEP_1)
	v_lshl_add_u32 v0, v13, 6, v1
	s_waitcnt lgkmcnt(0)
	s_mul_i32 s3, s15, s3
	s_mul_hi_u32 s18, s15, s2
	s_mul_i32 s2, s15, s2
	s_add_i32 s3, s18, s3
	v_cmp_neq_f32_e64 s18, s17, 0
	s_lshl_b64 s[2:3], s[2:3], 1
	s_delay_alu instid0(SALU_CYCLE_1) | instskip(SKIP_2) | instid1(SALU_CYCLE_1)
	s_add_u32 s10, s10, s2
	s_addc_u32 s11, s11, s3
	s_lshl_b64 s[2:3], s[8:9], 1
	s_add_u32 s8, s10, s2
	v_cmp_gt_u32_e64 s2, 0x100, v0
	s_addc_u32 s9, s11, s3
	s_and_b32 vcc_lo, exec_lo, s18
	s_cbranch_vccnz .LBB542_11
; %bb.3:
	s_mov_b32 s3, 0
                                        ; implicit-def: $vgpr5
                                        ; implicit-def: $vgpr2_vgpr3
	s_and_saveexec_b32 s10, s2
	s_cbranch_execz .LBB542_12
; %bb.4:
	v_lshl_or_b32 v4, s14, 8, v0
	v_mov_b32_e32 v5, 0
	s_ashr_i32 s19, s6, 31
	s_mov_b32 s18, s6
	s_mov_b32 s11, 0
                                        ; implicit-def: $vgpr2_vgpr3
	s_delay_alu instid0(VALU_DEP_1)
	v_cmp_gt_i64_e32 vcc_lo, s[18:19], v[4:5]
                                        ; implicit-def: $vgpr5
	s_and_saveexec_b32 s2, vcc_lo
	s_cbranch_execz .LBB542_15
; %bb.5:
	v_mad_u64_u32 v[2:3], null, s16, v4, 0
	s_ashr_i32 s11, s16, 31
	s_delay_alu instid0(VALU_DEP_1) | instid1(SALU_CYCLE_1)
	v_mad_u64_u32 v[5:6], null, s11, v4, v[3:4]
	v_cmp_eq_f32_e64 s11, s13, 0
	s_delay_alu instid0(VALU_DEP_1) | instskip(NEXT) | instid1(VALU_DEP_2)
	s_and_b32 vcc_lo, exec_lo, s11
	v_mov_b32_e32 v3, v5
	s_cbranch_vccnz .LBB542_13
; %bb.6:
	s_delay_alu instid0(VALU_DEP_1) | instskip(NEXT) | instid1(VALU_DEP_1)
	v_lshlrev_b64 v[4:5], 1, v[2:3]
	v_add_co_u32 v4, vcc_lo, s8, v4
	s_delay_alu instid0(VALU_DEP_2) | instskip(SKIP_3) | instid1(VALU_DEP_1)
	v_add_co_ci_u32_e32 v5, vcc_lo, s9, v5, vcc_lo
	global_load_u16 v4, v[4:5], off
	s_waitcnt vmcnt(0)
	v_lshlrev_b32_e32 v4, 16, v4
	v_mul_f32_e32 v4, s13, v4
	s_delay_alu instid0(VALU_DEP_1) | instskip(NEXT) | instid1(VALU_DEP_1)
	v_and_b32_e32 v5, 0x7f800000, v4
	v_cmp_ne_u32_e32 vcc_lo, 0x7f800000, v5
                                        ; implicit-def: $vgpr5
	s_and_saveexec_b32 s11, vcc_lo
	s_delay_alu instid0(SALU_CYCLE_1)
	s_xor_b32 s11, exec_lo, s11
; %bb.7:
	v_bfe_u32 v5, v4, 16, 1
	s_delay_alu instid0(VALU_DEP_1)
	v_add3_u32 v5, v4, v5, 0x7fff
                                        ; implicit-def: $vgpr4
; %bb.8:
	s_and_not1_saveexec_b32 s11, s11
; %bb.9:
	v_and_b32_e32 v5, 0xffff, v4
	v_or_b32_e32 v6, 0x10000, v4
	s_delay_alu instid0(VALU_DEP_2) | instskip(NEXT) | instid1(VALU_DEP_2)
	v_cmp_eq_u32_e32 vcc_lo, 0, v5
	v_cndmask_b32_e32 v5, v6, v4, vcc_lo
; %bb.10:
	s_or_b32 exec_lo, exec_lo, s11
	s_delay_alu instid0(VALU_DEP_1)
	v_lshrrev_b32_e32 v5, 16, v5
	s_branch .LBB542_14
.LBB542_11:
                                        ; implicit-def: $vgpr5
                                        ; implicit-def: $vgpr2_vgpr3
	s_cbranch_execnz .LBB542_16
	s_branch .LBB542_68
.LBB542_12:
	s_or_b32 exec_lo, exec_lo, s10
	s_delay_alu instid0(SALU_CYCLE_1)
	s_and_b32 vcc_lo, exec_lo, s3
	s_cbranch_vccnz .LBB542_16
	s_branch .LBB542_68
.LBB542_13:
	v_mov_b32_e32 v5, 0
.LBB542_14:
	s_mov_b32 s11, exec_lo
.LBB542_15:
	s_or_b32 exec_lo, exec_lo, s2
	s_delay_alu instid0(SALU_CYCLE_1) | instskip(SKIP_1) | instid1(SALU_CYCLE_1)
	s_and_b32 s12, s11, exec_lo
	s_or_b32 exec_lo, exec_lo, s10
	s_and_b32 vcc_lo, exec_lo, s3
	s_cbranch_vccz .LBB542_68
.LBB542_16:
	s_clause 0x2
	s_load_b128 s[24:27], s[0:1], 0x30
	s_load_b32 s18, s[0:1], 0x28
	s_load_b64 s[2:3], s[0:1], 0x40
	s_mul_i32 s5, s15, s5
	v_dual_mov_b32 v14, 0 :: v_dual_lshlrev_b32 v19, 2, v13
	v_dual_mov_b32 v15, 0 :: v_dual_mov_b32 v16, 0
	v_mov_b32_e32 v17, 0
	s_waitcnt lgkmcnt(0)
	s_mul_i32 s11, s15, s25
	s_mul_hi_u32 s19, s15, s24
	s_mul_i32 s10, s15, s24
	s_add_i32 s11, s19, s11
	s_mul_hi_u32 s19, s15, s4
	s_lshl_b64 s[10:11], s[10:11], 1
	s_delay_alu instid0(SALU_CYCLE_1) | instskip(SKIP_4) | instid1(SALU_CYCLE_1)
	s_add_u32 s24, s20, s10
	s_mul_i32 s20, s15, s4
	s_load_b32 s4, s[0:1], 0x48
	s_addc_u32 s21, s21, s11
	s_lshl_b64 s[10:11], s[22:23], 1
	s_add_u32 s10, s24, s10
	s_addc_u32 s11, s21, s11
	s_add_i32 s21, s19, s5
	s_delay_alu instid0(SALU_CYCLE_1) | instskip(SKIP_4) | instid1(SALU_CYCLE_1)
	s_lshl_b64 s[0:1], s[20:21], 1
	s_mov_b32 s20, exec_lo
	s_add_u32 s5, s26, s0
	s_addc_u32 s19, s27, s1
	s_lshl_b64 s[0:1], s[2:3], 1
	s_add_u32 s15, s5, s0
	s_addc_u32 s19, s19, s1
	s_ashr_i32 s0, s7, 31
	s_lshl_b32 s5, s14, 8
	s_lshr_b32 s0, s0, 28
	v_add_nc_u32_e32 v18, s5, v1
	s_add_i32 s0, s7, s0
	s_delay_alu instid0(SALU_CYCLE_1) | instskip(NEXT) | instid1(SALU_CYCLE_1)
	s_and_b32 s14, s0, -16
	v_cmpx_gt_i32_e64 s14, v19
	s_cbranch_execz .LBB542_28
; %bb.17:
	v_mul_lo_u32 v3, s18, v19
	v_dual_mov_b32 v15, 0 :: v_dual_add_nc_u32 v2, 64, v18
	v_add_nc_u32_e32 v6, 2, v19
	v_dual_mov_b32 v14, 0 :: v_dual_add_nc_u32 v5, 0xc0, v18
	s_delay_alu instid0(VALU_DEP_3)
	v_cmp_gt_i32_e64 s0, s6, v2
	v_dual_mov_b32 v17, 0 :: v_dual_add_nc_u32 v4, 0x80, v18
	v_add3_u32 v20, v3, s18, v1
	v_mad_u64_u32 v[2:3], null, s18, v6, v[1:2]
	v_cmp_gt_i32_e64 s2, s6, v5
	v_mul_lo_u32 v5, v13, s18
	v_dual_mov_b32 v16, 0 :: v_dual_add_nc_u32 v7, 3, v19
	s_waitcnt lgkmcnt(0)
	v_mul_lo_u32 v8, v13, s4
	v_cmp_gt_i32_e64 s1, s6, v4
	v_mul_lo_u32 v22, s4, v6
	v_mad_u64_u32 v[3:4], null, s18, v7, v[1:2]
	v_lshl_add_u32 v21, v5, 2, v1
	v_mad_u64_u32 v[4:5], null, s4, v19, s[4:5]
	v_mul_lo_u32 v23, s4, v7
	v_cmp_gt_i32_e32 vcc_lo, s6, v18
	v_lshlrev_b32_e32 v24, 2, v8
	s_lshl_b32 s21, s18, 4
	s_lshl_b32 s23, s4, 4
	s_mov_b32 s22, 0
	s_mov_b32 s24, 0
	s_branch .LBB542_22
.LBB542_18:                             ;   in Loop: Header=BB542_22 Depth=1
	s_or_b32 exec_lo, exec_lo, s27
	s_waitcnt vmcnt(2)
	v_lshlrev_b32_e32 v6, 16, v39
	v_lshlrev_b32_e32 v5, 16, v40
	s_waitcnt vmcnt(1)
	s_delay_alu instid0(VALU_DEP_1) | instskip(NEXT) | instid1(VALU_DEP_1)
	v_dual_fmac_f32 v16, v32, v5 :: v_dual_lshlrev_b32 v5, 16, v38
	v_fmac_f32_e32 v16, v30, v6
	s_delay_alu instid0(VALU_DEP_1) | instskip(SKIP_2) | instid1(VALU_DEP_1)
	v_fmac_f32_e32 v16, v28, v5
	s_waitcnt vmcnt(0)
	v_lshlrev_b32_e32 v5, 16, v37
	v_fmac_f32_e32 v16, v27, v5
.LBB542_19:                             ;   in Loop: Header=BB542_22 Depth=1
	s_or_b32 exec_lo, exec_lo, s26
	s_waitcnt vmcnt(3)
	v_lshlrev_b32_e32 v5, 16, v36
	s_waitcnt vmcnt(2)
	s_delay_alu instid0(VALU_DEP_1) | instskip(SKIP_2) | instid1(VALU_DEP_2)
	v_dual_fmac_f32 v15, v32, v5 :: v_dual_lshlrev_b32 v6, 16, v35
	s_waitcnt vmcnt(1)
	v_lshlrev_b32_e32 v5, 16, v34
	v_fmac_f32_e32 v15, v30, v6
	s_delay_alu instid0(VALU_DEP_1) | instskip(SKIP_2) | instid1(VALU_DEP_1)
	v_fmac_f32_e32 v15, v28, v5
	s_waitcnt vmcnt(0)
	v_lshlrev_b32_e32 v5, 16, v33
	v_fmac_f32_e32 v15, v27, v5
.LBB542_20:                             ;   in Loop: Header=BB542_22 Depth=1
	s_or_b32 exec_lo, exec_lo, s3
	s_waitcnt vmcnt(2)
	v_lshlrev_b32_e32 v6, 16, v29
	v_lshlrev_b32_e32 v5, 16, v31
	s_waitcnt vmcnt(1)
	s_delay_alu instid0(VALU_DEP_1) | instskip(NEXT) | instid1(VALU_DEP_1)
	v_dual_fmac_f32 v14, v32, v5 :: v_dual_lshlrev_b32 v5, 16, v26
	v_fmac_f32_e32 v14, v30, v6
	s_delay_alu instid0(VALU_DEP_1) | instskip(SKIP_2) | instid1(VALU_DEP_1)
	v_fmac_f32_e32 v14, v28, v5
	s_waitcnt vmcnt(0)
	v_lshlrev_b32_e32 v5, 16, v25
	v_fmac_f32_e32 v14, v27, v5
.LBB542_21:                             ;   in Loop: Header=BB542_22 Depth=1
	s_or_b32 exec_lo, exec_lo, s25
	v_add_nc_u32_e32 v19, 16, v19
	v_add_nc_u32_e32 v20, s21, v20
	;; [unrolled: 1-line block ×5, first 2 shown]
	v_cmp_le_i32_e64 s3, s14, v19
	s_add_i32 s24, s24, s23
	s_delay_alu instid0(VALU_DEP_1) | instskip(NEXT) | instid1(SALU_CYCLE_1)
	s_or_b32 s22, s3, s22
	s_and_not1_b32 exec_lo, exec_lo, s22
	s_cbranch_execz .LBB542_27
.LBB542_22:                             ; =>This Inner Loop Header: Depth=1
	s_and_saveexec_b32 s25, vcc_lo
	s_cbranch_execz .LBB542_21
; %bb.23:                               ;   in Loop: Header=BB542_22 Depth=1
	v_add_nc_u32_e32 v5, s24, v24
	v_add_nc_u32_e32 v7, s24, v4
	;; [unrolled: 1-line block ×5, first 2 shown]
	v_ashrrev_i32_e32 v6, 31, v5
	v_ashrrev_i32_e32 v8, 31, v7
	;; [unrolled: 1-line block ×4, first 2 shown]
	v_add_nc_u32_e32 v27, s5, v20
	v_lshlrev_b64 v[5:6], 1, v[5:6]
	v_lshlrev_b64 v[7:8], 1, v[7:8]
	;; [unrolled: 1-line block ×4, first 2 shown]
	v_ashrrev_i32_e32 v26, 31, v25
	v_ashrrev_i32_e32 v28, 31, v27
	v_add_co_u32 v5, s3, s15, v5
	s_delay_alu instid0(VALU_DEP_1) | instskip(SKIP_1) | instid1(VALU_DEP_1)
	v_add_co_ci_u32_e64 v6, s3, s19, v6, s3
	v_add_co_u32 v7, s3, s15, v7
	v_add_co_ci_u32_e64 v8, s3, s19, v8, s3
	v_add_co_u32 v9, s3, s15, v9
	s_delay_alu instid0(VALU_DEP_1)
	v_add_co_ci_u32_e64 v10, s3, s19, v10, s3
	v_add_co_u32 v11, s3, s15, v11
	v_add_nc_u32_e32 v29, s5, v2
	v_add_co_ci_u32_e64 v12, s3, s19, v12, s3
	v_lshlrev_b64 v[25:26], 1, v[25:26]
	s_clause 0x3
	global_load_u16 v32, v[5:6], off
	global_load_u16 v33, v[7:8], off
	;; [unrolled: 1-line block ×4, first 2 shown]
	v_add_nc_u32_e32 v11, s5, v3
	v_lshlrev_b64 v[5:6], 1, v[27:28]
	v_ashrrev_i32_e32 v30, 31, v29
	v_add_co_u32 v7, s3, s10, v25
	s_delay_alu instid0(VALU_DEP_4) | instskip(SKIP_1) | instid1(VALU_DEP_4)
	v_ashrrev_i32_e32 v12, 31, v11
	v_add_co_ci_u32_e64 v8, s3, s11, v26, s3
	v_lshlrev_b64 v[25:26], 1, v[29:30]
	v_add_co_u32 v9, s3, s10, v5
	s_delay_alu instid0(VALU_DEP_1) | instskip(SKIP_1) | instid1(VALU_DEP_4)
	v_add_co_ci_u32_e64 v10, s3, s11, v6, s3
	v_lshlrev_b64 v[5:6], 1, v[11:12]
	v_add_co_u32 v11, s3, s10, v25
	s_delay_alu instid0(VALU_DEP_1) | instskip(NEXT) | instid1(VALU_DEP_3)
	v_add_co_ci_u32_e64 v12, s3, s11, v26, s3
	v_add_co_u32 v5, s3, s10, v5
	s_delay_alu instid0(VALU_DEP_1)
	v_add_co_ci_u32_e64 v6, s3, s11, v6, s3
	s_clause 0x3
	global_load_u16 v31, v[7:8], off
	global_load_u16 v29, v[9:10], off
	;; [unrolled: 1-line block ×4, first 2 shown]
	s_waitcnt vmcnt(7)
	v_lshlrev_b32_e32 v32, 16, v32
	s_waitcnt vmcnt(6)
	v_lshlrev_b32_e32 v30, 16, v33
	;; [unrolled: 2-line block ×4, first 2 shown]
	s_and_saveexec_b32 s3, s0
	s_cbranch_execz .LBB542_20
; %bb.24:                               ;   in Loop: Header=BB542_22 Depth=1
	s_clause 0x3
	global_load_u16 v36, v[7:8], off offset:128
	global_load_u16 v35, v[9:10], off offset:128
	global_load_u16 v34, v[11:12], off offset:128
	global_load_u16 v33, v[5:6], off offset:128
	s_and_saveexec_b32 s26, s1
	s_cbranch_execz .LBB542_19
; %bb.25:                               ;   in Loop: Header=BB542_22 Depth=1
	s_clause 0x3
	global_load_u16 v40, v[7:8], off offset:256
	global_load_u16 v39, v[9:10], off offset:256
	global_load_u16 v38, v[11:12], off offset:256
	global_load_u16 v37, v[5:6], off offset:256
	;; [unrolled: 8-line block ×3, first 2 shown]
	s_waitcnt vmcnt(0)
	v_lshlrev_b32_e32 v5, 16, v5
	v_lshlrev_b32_e32 v6, 16, v7
	;; [unrolled: 1-line block ×3, first 2 shown]
	s_delay_alu instid0(VALU_DEP_2) | instskip(NEXT) | instid1(VALU_DEP_1)
	v_dual_fmac_f32 v17, v32, v6 :: v_dual_lshlrev_b32 v6, 16, v9
	v_fmac_f32_e32 v17, v30, v7
	s_delay_alu instid0(VALU_DEP_1) | instskip(NEXT) | instid1(VALU_DEP_1)
	v_fmac_f32_e32 v17, v28, v6
	v_fmac_f32_e32 v17, v27, v5
	s_branch .LBB542_18
.LBB542_27:
	s_or_b32 exec_lo, exec_lo, s22
.LBB542_28:
	s_delay_alu instid0(SALU_CYCLE_1) | instskip(SKIP_1) | instid1(SALU_CYCLE_1)
	s_or_b32 exec_lo, exec_lo, s20
	s_sub_i32 s0, s7, s14
	s_cmp_lt_i32 s0, 1
	s_cbranch_scc1 .LBB542_46
; %bb.29:
	v_cmp_gt_i32_e32 vcc_lo, s7, v19
	v_dual_mov_b32 v10, 0 :: v_dual_mov_b32 v11, 0
	v_or_b32_e32 v2, 1, v19
	v_mov_b32_e32 v12, 0
	v_mov_b32_e32 v20, 0
	s_and_saveexec_b32 s1, vcc_lo
	s_cbranch_execz .LBB542_37
; %bb.30:
	s_waitcnt lgkmcnt(0)
	v_mul_lo_u32 v3, v19, s4
	v_dual_mov_b32 v12, 0 :: v_dual_mov_b32 v11, 0
	v_mov_b32_e32 v10, 0
	s_mov_b32 s2, exec_lo
	s_delay_alu instid0(VALU_DEP_3) | instskip(NEXT) | instid1(VALU_DEP_1)
	v_ashrrev_i32_e32 v4, 31, v3
	v_lshlrev_b64 v[3:4], 1, v[3:4]
	s_delay_alu instid0(VALU_DEP_1) | instskip(NEXT) | instid1(VALU_DEP_1)
	v_add_co_u32 v3, s0, s15, v3
	v_add_co_ci_u32_e64 v4, s0, s19, v4, s0
	global_load_u16 v3, v[3:4], off
	v_cmpx_gt_i32_e64 s7, v2
	s_cbranch_execz .LBB542_36
; %bb.31:
	v_mul_lo_u32 v4, v2, s4
	v_dual_mov_b32 v11, 0 :: v_dual_mov_b32 v10, 0
	s_mov_b32 s3, exec_lo
	s_delay_alu instid0(VALU_DEP_2) | instskip(NEXT) | instid1(VALU_DEP_1)
	v_ashrrev_i32_e32 v5, 31, v4
	v_lshlrev_b64 v[4:5], 1, v[4:5]
	s_delay_alu instid0(VALU_DEP_1) | instskip(NEXT) | instid1(VALU_DEP_1)
	v_add_co_u32 v4, s0, s15, v4
	v_add_co_ci_u32_e64 v5, s0, s19, v5, s0
	global_load_u16 v4, v[4:5], off
	v_or_b32_e32 v5, 2, v19
	s_delay_alu instid0(VALU_DEP_1)
	v_cmpx_gt_i32_e64 s7, v5
	s_cbranch_execz .LBB542_35
; %bb.32:
	v_mul_lo_u32 v5, v5, s4
	v_mov_b32_e32 v10, 0
	s_mov_b32 s14, exec_lo
	s_delay_alu instid0(VALU_DEP_2) | instskip(NEXT) | instid1(VALU_DEP_1)
	v_ashrrev_i32_e32 v6, 31, v5
	v_lshlrev_b64 v[5:6], 1, v[5:6]
	s_delay_alu instid0(VALU_DEP_1) | instskip(NEXT) | instid1(VALU_DEP_1)
	v_add_co_u32 v5, s0, s15, v5
	v_add_co_ci_u32_e64 v6, s0, s19, v6, s0
	global_load_u16 v5, v[5:6], off
	v_or_b32_e32 v6, 3, v19
	s_delay_alu instid0(VALU_DEP_1)
	v_cmpx_gt_i32_e64 s7, v6
	s_cbranch_execz .LBB542_34
; %bb.33:
	v_mul_lo_u32 v6, v6, s4
	s_delay_alu instid0(VALU_DEP_1) | instskip(NEXT) | instid1(VALU_DEP_1)
	v_ashrrev_i32_e32 v7, 31, v6
	v_lshlrev_b64 v[6:7], 1, v[6:7]
	s_delay_alu instid0(VALU_DEP_1) | instskip(NEXT) | instid1(VALU_DEP_1)
	v_add_co_u32 v6, s0, s15, v6
	v_add_co_ci_u32_e64 v7, s0, s19, v7, s0
	global_load_u16 v6, v[6:7], off
	s_waitcnt vmcnt(0)
	v_lshlrev_b32_e32 v10, 16, v6
.LBB542_34:
	s_or_b32 exec_lo, exec_lo, s14
	s_waitcnt vmcnt(0)
	v_lshlrev_b32_e32 v11, 16, v5
.LBB542_35:
	s_or_b32 exec_lo, exec_lo, s3
	s_waitcnt vmcnt(0)
	v_lshlrev_b32_e32 v12, 16, v4
.LBB542_36:
	s_or_b32 exec_lo, exec_lo, s2
	s_waitcnt vmcnt(0)
	v_lshlrev_b32_e32 v20, 16, v3
.LBB542_37:
	s_or_b32 exec_lo, exec_lo, s1
	s_delay_alu instid0(SALU_CYCLE_1)
	s_mov_b32 s1, exec_lo
	v_cmpx_gt_i32_e64 s6, v18
	s_cbranch_execz .LBB542_45
; %bb.38:
	v_mul_lo_u32 v3, v19, s18
	v_mul_lo_u32 v4, v2, s18
	v_or_b32_e32 v5, 2, v19
	v_or_b32_e32 v6, 3, v19
	s_mov_b32 s0, exec_lo
	s_delay_alu instid0(VALU_DEP_2)
	v_mul_lo_u32 v7, v5, s18
	v_cndmask_b32_e32 v3, 0, v3, vcc_lo
	v_cmp_gt_i32_e32 vcc_lo, s7, v2
	v_mul_lo_u32 v8, v6, s18
	v_cndmask_b32_e32 v4, 0, v4, vcc_lo
	v_cmp_gt_i32_e32 vcc_lo, s7, v5
	v_add_nc_u32_e32 v2, v3, v18
	s_delay_alu instid0(VALU_DEP_3) | instskip(NEXT) | instid1(VALU_DEP_2)
	v_dual_cndmask_b32 v7, 0, v7 :: v_dual_add_nc_u32 v4, v4, v18
	v_ashrrev_i32_e32 v3, 31, v2
	v_cmp_gt_i32_e32 vcc_lo, s7, v6
	s_delay_alu instid0(VALU_DEP_3) | instskip(NEXT) | instid1(VALU_DEP_4)
	v_ashrrev_i32_e32 v5, 31, v4
	v_add_nc_u32_e32 v6, v7, v18
	s_delay_alu instid0(VALU_DEP_4) | instskip(SKIP_1) | instid1(VALU_DEP_4)
	v_lshlrev_b64 v[2:3], 1, v[2:3]
	v_cndmask_b32_e32 v8, 0, v8, vcc_lo
	v_lshlrev_b64 v[21:22], 1, v[4:5]
	s_delay_alu instid0(VALU_DEP_4) | instskip(NEXT) | instid1(VALU_DEP_4)
	v_ashrrev_i32_e32 v7, 31, v6
	v_add_co_u32 v4, vcc_lo, s10, v2
	v_add_co_ci_u32_e32 v5, vcc_lo, s11, v3, vcc_lo
	s_delay_alu instid0(VALU_DEP_4)
	v_add_co_u32 v2, vcc_lo, s10, v21
	v_add_co_ci_u32_e32 v3, vcc_lo, s11, v22, vcc_lo
	s_clause 0x1
	global_load_u16 v19, v[4:5], off
	global_load_u16 v23, v[2:3], off
	v_lshlrev_b64 v[6:7], 1, v[6:7]
	s_waitcnt vmcnt(1)
	v_lshlrev_b32_e32 v19, 16, v19
	v_add_nc_u32_e32 v8, v8, v18
	s_delay_alu instid0(VALU_DEP_1) | instskip(NEXT) | instid1(VALU_DEP_1)
	v_ashrrev_i32_e32 v9, 31, v8
	v_lshlrev_b64 v[21:22], 1, v[8:9]
	v_add_co_u32 v8, vcc_lo, s10, v6
	v_add_co_ci_u32_e32 v9, vcc_lo, s11, v7, vcc_lo
	s_delay_alu instid0(VALU_DEP_3) | instskip(NEXT) | instid1(VALU_DEP_4)
	v_add_co_u32 v6, vcc_lo, s10, v21
	v_add_co_ci_u32_e32 v7, vcc_lo, s11, v22, vcc_lo
	s_clause 0x1
	global_load_u16 v21, v[8:9], off
	global_load_u16 v22, v[6:7], off
	s_waitcnt vmcnt(1)
	v_dual_fmac_f32 v14, v20, v19 :: v_dual_lshlrev_b32 v21, 16, v21
	v_lshlrev_b32_e32 v23, 16, v23
	s_waitcnt vmcnt(0)
	s_delay_alu instid0(VALU_DEP_1) | instskip(NEXT) | instid1(VALU_DEP_1)
	v_dual_fmac_f32 v14, v12, v23 :: v_dual_lshlrev_b32 v19, 16, v22
	v_dual_fmac_f32 v14, v11, v21 :: v_dual_add_nc_u32 v23, 64, v18
	s_delay_alu instid0(VALU_DEP_1)
	v_cmpx_gt_i32_e64 s6, v23
	s_cbranch_execz .LBB542_44
; %bb.39:
	s_clause 0x3
	global_load_u16 v21, v[4:5], off offset:128
	global_load_u16 v22, v[2:3], off offset:128
	;; [unrolled: 1-line block ×4, first 2 shown]
	s_mov_b32 s2, exec_lo
	s_waitcnt vmcnt(3)
	v_lshlrev_b32_e32 v21, 16, v21
	s_waitcnt vmcnt(2)
	v_lshlrev_b32_e32 v22, 16, v22
	;; [unrolled: 2-line block ×3, first 2 shown]
	v_fmac_f32_e32 v15, v20, v21
	s_waitcnt vmcnt(0)
	v_lshlrev_b32_e32 v21, 16, v24
	s_delay_alu instid0(VALU_DEP_2) | instskip(NEXT) | instid1(VALU_DEP_1)
	v_fmac_f32_e32 v15, v12, v22
	v_dual_fmac_f32 v15, v11, v23 :: v_dual_add_nc_u32 v22, 0x80, v18
	s_delay_alu instid0(VALU_DEP_1)
	v_cmpx_gt_i32_e64 s6, v22
	s_cbranch_execz .LBB542_43
; %bb.40:
	s_clause 0x3
	global_load_u16 v22, v[4:5], off offset:256
	global_load_u16 v23, v[2:3], off offset:256
	;; [unrolled: 1-line block ×4, first 2 shown]
	s_mov_b32 s3, exec_lo
	s_waitcnt vmcnt(3)
	v_lshlrev_b32_e32 v22, 16, v22
	s_waitcnt vmcnt(2)
	s_delay_alu instid0(VALU_DEP_1) | instskip(SKIP_2) | instid1(VALU_DEP_2)
	v_dual_fmac_f32 v16, v20, v22 :: v_dual_lshlrev_b32 v23, 16, v23
	s_waitcnt vmcnt(1)
	v_lshlrev_b32_e32 v22, 16, v24
	v_dual_fmac_f32 v16, v12, v23 :: v_dual_add_nc_u32 v23, 0xc0, v18
	s_waitcnt vmcnt(0)
	v_lshlrev_b32_e32 v18, 16, v25
	s_delay_alu instid0(VALU_DEP_2) | instskip(NEXT) | instid1(VALU_DEP_3)
	v_fmac_f32_e32 v16, v11, v22
	v_cmpx_gt_i32_e64 s6, v23
	s_cbranch_execz .LBB542_42
; %bb.41:
	s_clause 0x3
	global_load_u16 v4, v[4:5], off offset:384
	global_load_u16 v2, v[2:3], off offset:384
	global_load_u16 v3, v[8:9], off offset:384
	global_load_u16 v5, v[6:7], off offset:384
	s_waitcnt vmcnt(2)
	v_lshlrev_b32_e32 v2, 16, v2
	v_lshlrev_b32_e32 v4, 16, v4
	s_waitcnt vmcnt(1)
	v_lshlrev_b32_e32 v3, 16, v3
	s_delay_alu instid0(VALU_DEP_2) | instskip(SKIP_1) | instid1(VALU_DEP_1)
	v_fmac_f32_e32 v17, v20, v4
	s_waitcnt vmcnt(0)
	v_dual_fmac_f32 v17, v12, v2 :: v_dual_lshlrev_b32 v2, 16, v5
	s_delay_alu instid0(VALU_DEP_1) | instskip(NEXT) | instid1(VALU_DEP_1)
	v_fmac_f32_e32 v17, v11, v3
	v_fmac_f32_e32 v17, v10, v2
.LBB542_42:
	s_or_b32 exec_lo, exec_lo, s3
	s_delay_alu instid0(VALU_DEP_2)
	v_fmac_f32_e32 v16, v10, v18
.LBB542_43:
	s_or_b32 exec_lo, exec_lo, s2
	s_delay_alu instid0(VALU_DEP_2)
	v_fmac_f32_e32 v15, v10, v21
.LBB542_44:
	s_or_b32 exec_lo, exec_lo, s0
	s_delay_alu instid0(VALU_DEP_2)
	v_fmac_f32_e32 v14, v10, v19
.LBB542_45:
	s_or_b32 exec_lo, exec_lo, s1
.LBB542_46:
	v_lshlrev_b32_e32 v2, 8, v13
	s_mov_b32 s0, exec_lo
                                        ; implicit-def: $vgpr5
	s_delay_alu instid0(VALU_DEP_1)
	v_add_lshl_u32 v1, v2, v1, 2
                                        ; implicit-def: $vgpr2_vgpr3
	ds_store_2addr_stride64_b32 v1, v14, v15 offset1:1
	ds_store_2addr_stride64_b32 v1, v16, v17 offset0:2 offset1:3
	s_waitcnt lgkmcnt(0)
	s_barrier
	buffer_gl0_inv
	v_cmpx_gt_u32_e32 0x100, v0
	s_cbranch_execz .LBB542_67
; %bb.47:
	v_lshlrev_b32_e32 v3, 2, v0
	s_mov_b32 s2, s12
	s_mov_b32 s1, exec_lo
	ds_load_2addr_stride64_b32 v[1:2], v3 offset1:4
	ds_load_2addr_stride64_b32 v[4:5], v3 offset0:8 offset1:12
	s_waitcnt lgkmcnt(1)
	v_add_f32_e32 v1, v1, v2
	s_waitcnt lgkmcnt(0)
	s_delay_alu instid0(VALU_DEP_1) | instskip(SKIP_1) | instid1(VALU_DEP_2)
	v_add_f32_e32 v1, v4, v1
	v_or_b32_e32 v4, s5, v0
	v_add_f32_e32 v0, v5, v1
                                        ; implicit-def: $vgpr5
	ds_store_b32 v3, v0
                                        ; implicit-def: $vgpr2_vgpr3
	v_cmpx_gt_i32_e64 s6, v4
	s_cbranch_execz .LBB542_66
; %bb.48:
	v_cmp_eq_f32_e64 s2, s13, 0
	v_mul_f32_e32 v0, s17, v0
	s_delay_alu instid0(VALU_DEP_2)
	s_and_b32 vcc_lo, exec_lo, s2
	s_cbranch_vccz .LBB542_54
; %bb.49:
	s_delay_alu instid0(VALU_DEP_1) | instskip(NEXT) | instid1(VALU_DEP_1)
	v_and_b32_e32 v1, 0x7f800000, v0
	v_cmp_ne_u32_e32 vcc_lo, 0x7f800000, v1
                                        ; implicit-def: $vgpr1
	s_and_saveexec_b32 s2, vcc_lo
	s_delay_alu instid0(SALU_CYCLE_1)
	s_xor_b32 s2, exec_lo, s2
; %bb.50:
	v_bfe_u32 v1, v0, 16, 1
	s_delay_alu instid0(VALU_DEP_1)
	v_add3_u32 v1, v0, v1, 0x7fff
; %bb.51:
	s_and_not1_saveexec_b32 s2, s2
; %bb.52:
	v_and_b32_e32 v1, 0xffff, v0
	v_or_b32_e32 v2, 0x10000, v0
	s_delay_alu instid0(VALU_DEP_2) | instskip(NEXT) | instid1(VALU_DEP_2)
	v_cmp_eq_u32_e32 vcc_lo, 0, v1
	v_cndmask_b32_e32 v1, v2, v0, vcc_lo
; %bb.53:
	s_or_b32 exec_lo, exec_lo, s2
	s_mov_b32 s2, 0
	s_branch .LBB542_55
.LBB542_54:
	s_mov_b32 s2, -1
                                        ; implicit-def: $vgpr1
.LBB542_55:
	v_mul_lo_u32 v2, v4, s16
	s_and_not1_b32 vcc_lo, exec_lo, s2
	s_delay_alu instid0(VALU_DEP_1)
	v_ashrrev_i32_e32 v3, 31, v2
	s_cbranch_vccnz .LBB542_65
; %bb.56:
	s_delay_alu instid0(VALU_DEP_1) | instskip(NEXT) | instid1(VALU_DEP_1)
	v_lshlrev_b64 v[4:5], 1, v[2:3]
	v_add_co_u32 v4, vcc_lo, s8, v4
	s_delay_alu instid0(VALU_DEP_2) | instskip(SKIP_3) | instid1(VALU_DEP_1)
	v_add_co_ci_u32_e32 v5, vcc_lo, s9, v5, vcc_lo
	global_load_u16 v1, v[4:5], off
	s_waitcnt vmcnt(0)
	v_lshlrev_b32_e32 v1, 16, v1
	v_mul_f32_e32 v1, s13, v1
	s_delay_alu instid0(VALU_DEP_1) | instskip(NEXT) | instid1(VALU_DEP_1)
	v_and_b32_e32 v4, 0x7f800000, v1
	v_cmp_ne_u32_e32 vcc_lo, 0x7f800000, v4
                                        ; implicit-def: $vgpr4
	s_and_saveexec_b32 s2, vcc_lo
	s_delay_alu instid0(SALU_CYCLE_1)
	s_xor_b32 s2, exec_lo, s2
; %bb.57:
	v_bfe_u32 v4, v1, 16, 1
	s_delay_alu instid0(VALU_DEP_1)
	v_add3_u32 v4, v1, v4, 0x7fff
                                        ; implicit-def: $vgpr1
; %bb.58:
	s_and_not1_saveexec_b32 s2, s2
; %bb.59:
	v_and_b32_e32 v4, 0xffff, v1
	v_or_b32_e32 v5, 0x10000, v1
	s_delay_alu instid0(VALU_DEP_2) | instskip(NEXT) | instid1(VALU_DEP_2)
	v_cmp_eq_u32_e32 vcc_lo, 0, v4
	v_cndmask_b32_e32 v4, v5, v1, vcc_lo
; %bb.60:
	s_or_b32 exec_lo, exec_lo, s2
	s_delay_alu instid0(VALU_DEP_1) | instskip(NEXT) | instid1(VALU_DEP_1)
	v_and_b32_e32 v1, 0xffff0000, v4
	v_add_f32_e32 v0, v0, v1
	s_delay_alu instid0(VALU_DEP_1) | instskip(NEXT) | instid1(VALU_DEP_1)
	v_and_b32_e32 v1, 0x7f800000, v0
	v_cmp_ne_u32_e32 vcc_lo, 0x7f800000, v1
                                        ; implicit-def: $vgpr1
	s_and_saveexec_b32 s2, vcc_lo
	s_delay_alu instid0(SALU_CYCLE_1)
	s_xor_b32 s2, exec_lo, s2
; %bb.61:
	v_bfe_u32 v1, v0, 16, 1
	s_delay_alu instid0(VALU_DEP_1)
	v_add3_u32 v1, v0, v1, 0x7fff
                                        ; implicit-def: $vgpr0
; %bb.62:
	s_and_not1_saveexec_b32 s2, s2
; %bb.63:
	v_and_b32_e32 v1, 0xffff, v0
	v_or_b32_e32 v4, 0x10000, v0
	s_delay_alu instid0(VALU_DEP_2) | instskip(NEXT) | instid1(VALU_DEP_2)
	v_cmp_eq_u32_e32 vcc_lo, 0, v1
	v_cndmask_b32_e32 v1, v4, v0, vcc_lo
; %bb.64:
	s_or_b32 exec_lo, exec_lo, s2
.LBB542_65:
	s_delay_alu instid0(VALU_DEP_1)
	v_lshrrev_b32_e32 v5, 16, v1
	s_or_b32 s2, s12, exec_lo
.LBB542_66:
	s_or_b32 exec_lo, exec_lo, s1
	s_delay_alu instid0(SALU_CYCLE_1) | instskip(SKIP_1) | instid1(SALU_CYCLE_1)
	s_and_not1_b32 s1, s12, exec_lo
	s_and_b32 s2, s2, exec_lo
	s_or_b32 s12, s1, s2
.LBB542_67:
	s_or_b32 exec_lo, exec_lo, s0
.LBB542_68:
	s_and_saveexec_b32 s0, s12
	s_cbranch_execz .LBB542_70
; %bb.69:
	v_lshlrev_b64 v[0:1], 1, v[2:3]
	s_delay_alu instid0(VALU_DEP_1) | instskip(NEXT) | instid1(VALU_DEP_2)
	v_add_co_u32 v0, vcc_lo, s8, v0
	v_add_co_ci_u32_e32 v1, vcc_lo, s9, v1, vcc_lo
	global_store_b16 v[0:1], v5, off
.LBB542_70:
	s_nop 0
	s_sendmsg sendmsg(MSG_DEALLOC_VGPRS)
	s_endpgm
	.section	.rodata,"a",@progbits
	.p2align	6, 0x0
	.amdhsa_kernel _ZL20rocblas_gemvn_kernelILi64ELi4Ei16rocblas_bfloat16PKfS0_EviiT3_lPKT2_lT1_lS6_lS7_lS3_lPT4_lS7_li
		.amdhsa_group_segment_fixed_size 4096
		.amdhsa_private_segment_fixed_size 0
		.amdhsa_kernarg_size 400
		.amdhsa_user_sgpr_count 14
		.amdhsa_user_sgpr_dispatch_ptr 0
		.amdhsa_user_sgpr_queue_ptr 0
		.amdhsa_user_sgpr_kernarg_segment_ptr 1
		.amdhsa_user_sgpr_dispatch_id 0
		.amdhsa_user_sgpr_private_segment_size 0
		.amdhsa_wavefront_size32 1
		.amdhsa_uses_dynamic_stack 0
		.amdhsa_enable_private_segment 0
		.amdhsa_system_sgpr_workgroup_id_x 1
		.amdhsa_system_sgpr_workgroup_id_y 0
		.amdhsa_system_sgpr_workgroup_id_z 1
		.amdhsa_system_sgpr_workgroup_info 0
		.amdhsa_system_vgpr_workitem_id 1
		.amdhsa_next_free_vgpr 41
		.amdhsa_next_free_sgpr 28
		.amdhsa_reserve_vcc 1
		.amdhsa_float_round_mode_32 0
		.amdhsa_float_round_mode_16_64 0
		.amdhsa_float_denorm_mode_32 3
		.amdhsa_float_denorm_mode_16_64 3
		.amdhsa_dx10_clamp 1
		.amdhsa_ieee_mode 1
		.amdhsa_fp16_overflow 0
		.amdhsa_workgroup_processor_mode 1
		.amdhsa_memory_ordered 1
		.amdhsa_forward_progress 0
		.amdhsa_shared_vgpr_count 0
		.amdhsa_exception_fp_ieee_invalid_op 0
		.amdhsa_exception_fp_denorm_src 0
		.amdhsa_exception_fp_ieee_div_zero 0
		.amdhsa_exception_fp_ieee_overflow 0
		.amdhsa_exception_fp_ieee_underflow 0
		.amdhsa_exception_fp_ieee_inexact 0
		.amdhsa_exception_int_div_zero 0
	.end_amdhsa_kernel
	.section	.text._ZL20rocblas_gemvn_kernelILi64ELi4Ei16rocblas_bfloat16PKfS0_EviiT3_lPKT2_lT1_lS6_lS7_lS3_lPT4_lS7_li,"axG",@progbits,_ZL20rocblas_gemvn_kernelILi64ELi4Ei16rocblas_bfloat16PKfS0_EviiT3_lPKT2_lT1_lS6_lS7_lS3_lPT4_lS7_li,comdat
.Lfunc_end542:
	.size	_ZL20rocblas_gemvn_kernelILi64ELi4Ei16rocblas_bfloat16PKfS0_EviiT3_lPKT2_lT1_lS6_lS7_lS3_lPT4_lS7_li, .Lfunc_end542-_ZL20rocblas_gemvn_kernelILi64ELi4Ei16rocblas_bfloat16PKfS0_EviiT3_lPKT2_lT1_lS6_lS7_lS3_lPT4_lS7_li
                                        ; -- End function
	.section	.AMDGPU.csdata,"",@progbits
; Kernel info:
; codeLenInByte = 3540
; NumSgprs: 30
; NumVgprs: 41
; ScratchSize: 0
; MemoryBound: 0
; FloatMode: 240
; IeeeMode: 1
; LDSByteSize: 4096 bytes/workgroup (compile time only)
; SGPRBlocks: 3
; VGPRBlocks: 5
; NumSGPRsForWavesPerEU: 30
; NumVGPRsForWavesPerEU: 41
; Occupancy: 16
; WaveLimiterHint : 1
; COMPUTE_PGM_RSRC2:SCRATCH_EN: 0
; COMPUTE_PGM_RSRC2:USER_SGPR: 14
; COMPUTE_PGM_RSRC2:TRAP_HANDLER: 0
; COMPUTE_PGM_RSRC2:TGID_X_EN: 1
; COMPUTE_PGM_RSRC2:TGID_Y_EN: 0
; COMPUTE_PGM_RSRC2:TGID_Z_EN: 1
; COMPUTE_PGM_RSRC2:TIDIG_COMP_CNT: 1
	.section	.text._ZL20rocblas_gemvn_kernelILi64ELi4El16rocblas_bfloat16PKfS0_EviiT3_lPKT2_lT1_lS6_lS7_lS3_lPT4_lS7_li,"axG",@progbits,_ZL20rocblas_gemvn_kernelILi64ELi4El16rocblas_bfloat16PKfS0_EviiT3_lPKT2_lT1_lS6_lS7_lS3_lPT4_lS7_li,comdat
	.globl	_ZL20rocblas_gemvn_kernelILi64ELi4El16rocblas_bfloat16PKfS0_EviiT3_lPKT2_lT1_lS6_lS7_lS3_lPT4_lS7_li ; -- Begin function _ZL20rocblas_gemvn_kernelILi64ELi4El16rocblas_bfloat16PKfS0_EviiT3_lPKT2_lT1_lS6_lS7_lS3_lPT4_lS7_li
	.p2align	8
	.type	_ZL20rocblas_gemvn_kernelILi64ELi4El16rocblas_bfloat16PKfS0_EviiT3_lPKT2_lT1_lS6_lS7_lS3_lPT4_lS7_li,@function
_ZL20rocblas_gemvn_kernelILi64ELi4El16rocblas_bfloat16PKfS0_EviiT3_lPKT2_lT1_lS6_lS7_lS3_lPT4_lS7_li: ; @_ZL20rocblas_gemvn_kernelILi64ELi4El16rocblas_bfloat16PKfS0_EviiT3_lPKT2_lT1_lS6_lS7_lS3_lPT4_lS7_li
; %bb.0:
	s_load_b64 s[2:3], s[0:1], 0x9c
	s_waitcnt lgkmcnt(0)
	s_lshr_b32 s4, s2, 16
	s_and_b32 s2, s2, 0xffff
	s_and_b32 s3, s3, 0xffff
	s_mul_i32 s2, s4, s2
	s_delay_alu instid0(SALU_CYCLE_1) | instskip(NEXT) | instid1(SALU_CYCLE_1)
	s_mul_i32 s2, s2, s3
	s_cmpk_lg_i32 s2, 0x100
	s_cbranch_scc1 .LBB543_70
; %bb.1:
	s_clause 0x1
	s_load_b512 s[36:51], s[0:1], 0x8
	s_load_b512 s[16:31], s[0:1], 0x48
	s_waitcnt lgkmcnt(0)
	s_mul_i32 s3, s15, s39
	s_mul_hi_u32 s4, s15, s38
	s_mul_i32 s2, s15, s38
	s_add_i32 s3, s4, s3
	s_mul_i32 s4, s15, s23
	s_lshl_b64 s[2:3], s[2:3], 2
	s_mul_hi_u32 s5, s15, s22
	s_add_u32 s2, s36, s2
	s_addc_u32 s3, s37, s3
	s_add_i32 s5, s5, s4
	s_mul_i32 s4, s15, s22
	s_delay_alu instid0(SALU_CYCLE_1) | instskip(NEXT) | instid1(SALU_CYCLE_1)
	s_lshl_b64 s[4:5], s[4:5], 2
	s_add_u32 s4, s20, s4
	s_addc_u32 s5, s21, s5
	s_load_b32 s23, s[2:3], 0x0
	s_load_b32 s22, s[4:5], 0x0
	s_mov_b32 s21, 0
	s_waitcnt lgkmcnt(0)
	v_cmp_eq_f32_e64 s2, s23, 0
	v_cmp_eq_f32_e64 s3, s22, 1.0
	s_delay_alu instid0(VALU_DEP_1) | instskip(NEXT) | instid1(SALU_CYCLE_1)
	s_and_b32 s2, s2, s3
	s_and_b32 vcc_lo, exec_lo, s2
	s_cbranch_vccnz .LBB543_70
; %bb.2:
	s_load_b64 s[6:7], s[0:1], 0x0
	v_and_b32_e32 v12, 0x3ff, v0
	v_bfe_u32 v13, v0, 10, 10
	s_mul_i32 s2, s15, s31
	s_mul_hi_u32 s3, s15, s30
	s_mul_i32 s0, s15, s30
	s_add_i32 s1, s3, s2
	v_lshl_add_u32 v11, v13, 6, v12
	s_lshl_b64 s[0:1], s[0:1], 1
	v_cmp_neq_f32_e64 s4, s23, 0
	s_add_u32 s2, s24, s0
	s_addc_u32 s3, s25, s1
	s_lshl_b64 s[0:1], s[26:27], 1
	s_delay_alu instid0(SALU_CYCLE_1)
	s_add_u32 s5, s2, s0
	v_cmp_gt_u32_e64 s0, 0x100, v11
	s_addc_u32 s20, s3, s1
	s_and_b32 vcc_lo, exec_lo, s4
	s_cbranch_vccnz .LBB543_11
; %bb.3:
	s_mov_b32 s1, 0
                                        ; implicit-def: $vgpr3
                                        ; implicit-def: $vgpr0_vgpr1
	s_and_saveexec_b32 s2, s0
	s_cbranch_execz .LBB543_12
; %bb.4:
	v_lshl_or_b32 v2, s14, 8, v11
	v_mov_b32_e32 v3, 0
	s_waitcnt lgkmcnt(0)
	s_ashr_i32 s9, s6, 31
	s_mov_b32 s8, s6
	s_mov_b32 s3, 0
                                        ; implicit-def: $vgpr0_vgpr1
	v_cmp_gt_i64_e32 vcc_lo, s[8:9], v[2:3]
                                        ; implicit-def: $vgpr3
	s_and_saveexec_b32 s0, vcc_lo
	s_cbranch_execz .LBB543_15
; %bb.5:
	v_mad_u64_u32 v[0:1], null, v2, s28, 0
	v_cmp_eq_f32_e64 s3, s22, 0
	s_delay_alu instid0(VALU_DEP_1) | instskip(NEXT) | instid1(VALU_DEP_2)
	s_and_b32 vcc_lo, exec_lo, s3
	v_mad_u64_u32 v[3:4], null, v2, s29, v[1:2]
	s_delay_alu instid0(VALU_DEP_1)
	v_mov_b32_e32 v1, v3
	s_cbranch_vccnz .LBB543_13
; %bb.6:
	s_delay_alu instid0(VALU_DEP_1) | instskip(NEXT) | instid1(VALU_DEP_1)
	v_lshlrev_b64 v[2:3], 1, v[0:1]
	v_add_co_u32 v2, vcc_lo, s5, v2
	s_delay_alu instid0(VALU_DEP_2) | instskip(SKIP_3) | instid1(VALU_DEP_1)
	v_add_co_ci_u32_e32 v3, vcc_lo, s20, v3, vcc_lo
	global_load_u16 v2, v[2:3], off
	s_waitcnt vmcnt(0)
	v_lshlrev_b32_e32 v2, 16, v2
	v_mul_f32_e32 v2, s22, v2
	s_delay_alu instid0(VALU_DEP_1) | instskip(NEXT) | instid1(VALU_DEP_1)
	v_and_b32_e32 v3, 0x7f800000, v2
	v_cmp_ne_u32_e32 vcc_lo, 0x7f800000, v3
                                        ; implicit-def: $vgpr3
	s_and_saveexec_b32 s3, vcc_lo
	s_delay_alu instid0(SALU_CYCLE_1)
	s_xor_b32 s3, exec_lo, s3
; %bb.7:
	v_bfe_u32 v3, v2, 16, 1
	s_delay_alu instid0(VALU_DEP_1)
	v_add3_u32 v3, v2, v3, 0x7fff
                                        ; implicit-def: $vgpr2
; %bb.8:
	s_and_not1_saveexec_b32 s3, s3
; %bb.9:
	v_and_b32_e32 v3, 0xffff, v2
	v_or_b32_e32 v4, 0x10000, v2
	s_delay_alu instid0(VALU_DEP_2) | instskip(NEXT) | instid1(VALU_DEP_2)
	v_cmp_eq_u32_e32 vcc_lo, 0, v3
	v_cndmask_b32_e32 v3, v4, v2, vcc_lo
; %bb.10:
	s_or_b32 exec_lo, exec_lo, s3
	s_delay_alu instid0(VALU_DEP_1)
	v_lshrrev_b32_e32 v3, 16, v3
	s_branch .LBB543_14
.LBB543_11:
                                        ; implicit-def: $vgpr3
                                        ; implicit-def: $vgpr0_vgpr1
	s_cbranch_execnz .LBB543_16
	s_branch .LBB543_68
.LBB543_12:
	s_or_b32 exec_lo, exec_lo, s2
	s_delay_alu instid0(SALU_CYCLE_1)
	s_and_b32 vcc_lo, exec_lo, s1
	s_cbranch_vccnz .LBB543_16
	s_branch .LBB543_68
.LBB543_13:
	v_mov_b32_e32 v3, 0
.LBB543_14:
	s_mov_b32 s3, exec_lo
.LBB543_15:
	s_or_b32 exec_lo, exec_lo, s0
	s_delay_alu instid0(SALU_CYCLE_1) | instskip(SKIP_1) | instid1(SALU_CYCLE_1)
	s_and_b32 s21, s3, exec_lo
	s_or_b32 exec_lo, exec_lo, s2
	s_and_b32 vcc_lo, exec_lo, s1
	s_cbranch_vccz .LBB543_68
.LBB543_16:
	s_mul_i32 s0, s15, s47
	s_mul_hi_u32 s1, s15, s46
	s_lshl_b32 s24, s14, 8
	s_add_i32 s9, s1, s0
	s_waitcnt lgkmcnt(0)
	s_ashr_i32 s1, s7, 31
	v_dual_mov_b32 v15, 0 :: v_dual_lshlrev_b32 v18, 2, v13
	s_lshr_b32 s1, s1, 28
	v_dual_mov_b32 v17, 0 :: v_dual_add_nc_u32 v0, s24, v12
	v_mov_b32_e32 v14, 0
	v_mov_b32_e32 v16, 0
	s_mul_i32 s0, s15, s19
	s_mul_hi_u32 s2, s15, s18
	s_add_i32 s1, s7, s1
	s_mul_i32 s8, s15, s46
	s_and_b32 s25, s1, -16
	s_add_i32 s11, s2, s0
	s_mul_i32 s10, s15, s18
	s_mov_b32 s26, exec_lo
	v_cmpx_gt_i32_e64 s25, v18
	s_cbranch_execz .LBB543_28
; %bb.17:
	v_lshlrev_b32_e32 v29, 2, v13
	v_mad_u64_u32 v[2:3], null, s16, v13, 0
	v_add_nc_u32_e32 v15, 0x80, v0
	s_lshl_b64 s[0:1], s[10:11], 1
	s_delay_alu instid0(VALU_DEP_3)
	v_or_b32_e32 v16, 3, v29
	s_lshl_b64 s[12:13], s[50:51], 1
	s_add_u32 s4, s48, s0
	s_addc_u32 s27, s49, s1
	v_cmp_gt_i32_e64 s1, s6, v15
	v_mad_u64_u32 v[4:5], null, s44, v16, 0
	s_lshl_b64 s[18:19], s[42:43], 1
	s_lshl_b64 s[14:15], s[16:17], 5
	;; [unrolled: 1-line block ×3, first 2 shown]
	v_ashrrev_i32_e32 v1, 31, v0
	v_cmp_gt_i32_e32 vcc_lo, s6, v0
	s_delay_alu instid0(VALU_DEP_3) | instskip(SKIP_2) | instid1(VALU_DEP_3)
	v_mad_u64_u32 v[6:7], null, s17, v13, v[3:4]
	v_add_nc_u32_e32 v14, 64, v0
	v_mad_u64_u32 v[7:8], null, s16, v16, 0
	v_mov_b32_e32 v3, v6
	v_mad_u64_u32 v[9:10], null, s45, v16, v[5:6]
	s_delay_alu instid0(VALU_DEP_4) | instskip(NEXT) | instid1(VALU_DEP_3)
	v_cmp_gt_i32_e64 s0, s6, v14
	v_lshlrev_b64 v[14:15], 3, v[2:3]
	v_mov_b32_e32 v3, v8
	v_lshlrev_b64 v[1:2], 1, v[0:1]
	v_mov_b32_e32 v5, v9
	v_mad_u64_u32 v[9:10], null, s44, v13, 0
	v_add_co_u32 v19, s3, s4, v14
	s_delay_alu instid0(VALU_DEP_3) | instskip(SKIP_4) | instid1(VALU_DEP_2)
	v_lshlrev_b64 v[4:5], 1, v[4:5]
	v_add_co_ci_u32_e64 v20, s3, s27, v15, s3
	s_add_u32 s3, s40, s18
	s_addc_u32 s18, s41, s19
	s_add_u32 s19, s3, s30
	v_mad_u64_u32 v[14:15], null, s17, v16, v[3:4]
	v_mov_b32_e32 v3, v10
	s_addc_u32 s18, s18, s31
	v_add_co_u32 v21, s3, s19, v4
	s_delay_alu instid0(VALU_DEP_1) | instskip(NEXT) | instid1(VALU_DEP_4)
	v_add_co_ci_u32_e64 v22, s3, s18, v5, s3
	v_mov_b32_e32 v8, v14
	v_or_b32_e32 v23, 2, v29
	v_mad_u64_u32 v[31:32], null, s44, v29, s[44:45]
	s_delay_alu instid0(VALU_DEP_2) | instskip(SKIP_1) | instid1(VALU_DEP_2)
	v_mad_u64_u32 v[27:28], null, s16, v23, 0
	v_mad_u64_u32 v[14:15], null, s44, v23, 0
	v_dual_mov_b32 v6, v28 :: v_dual_add_nc_u32 v17, 0xc0, v0
	s_delay_alu instid0(VALU_DEP_1) | instskip(SKIP_3) | instid1(VALU_DEP_1)
	v_cmp_gt_i32_e64 s2, s6, v17
	v_mad_u64_u32 v[16:17], null, s45, v13, v[3:4]
	v_lshlrev_b64 v[4:5], 1, v[7:8]
	v_mov_b32_e32 v3, v15
	v_mad_u64_u32 v[7:8], null, s45, v23, v[3:4]
	s_delay_alu instid0(VALU_DEP_4) | instskip(SKIP_1) | instid1(VALU_DEP_3)
	v_mov_b32_e32 v10, v16
	v_mad_u64_u32 v[16:17], null, s16, v29, s[16:17]
	v_mad_u64_u32 v[25:26], null, s17, v23, v[6:7]
	v_add_co_u32 v23, s3, s4, v4
	s_delay_alu instid0(VALU_DEP_1) | instskip(SKIP_3) | instid1(VALU_DEP_3)
	v_add_co_ci_u32_e64 v24, s3, s27, v5, s3
	v_lshlrev_b64 v[4:5], 3, v[9:10]
	v_mov_b32_e32 v3, v17
	v_dual_mov_b32 v15, v7 :: v_dual_mov_b32 v28, v25
	v_add_co_u32 v25, s3, s19, v4
	s_delay_alu instid0(VALU_DEP_3) | instskip(SKIP_1) | instid1(VALU_DEP_4)
	v_mad_u64_u32 v[6:7], null, s17, v29, v[3:4]
	v_add_co_ci_u32_e64 v26, s3, s18, v5, s3
	v_lshlrev_b64 v[4:5], 1, v[14:15]
	v_dual_mov_b32 v3, v32 :: v_dual_mov_b32 v14, 0
	v_mov_b32_e32 v15, 0
	v_mov_b32_e32 v17, v6
	s_delay_alu instid0(VALU_DEP_3) | instskip(SKIP_2) | instid1(VALU_DEP_4)
	v_mad_u64_u32 v[7:8], null, s45, v29, v[3:4]
	v_lshlrev_b64 v[8:9], 1, v[27:28]
	v_add_co_u32 v27, s3, s19, v4
	v_lshlrev_b64 v[3:4], 1, v[16:17]
	v_mov_b32_e32 v16, 0
	v_add_co_ci_u32_e64 v28, s3, s18, v5, s3
	v_mov_b32_e32 v32, v7
	v_add_co_u32 v29, s3, s4, v8
	s_delay_alu instid0(VALU_DEP_1) | instskip(NEXT) | instid1(VALU_DEP_3)
	v_add_co_ci_u32_e64 v30, s3, s27, v9, s3
	v_lshlrev_b64 v[5:6], 1, v[31:32]
	v_add_co_u32 v31, s3, s4, v3
	s_delay_alu instid0(VALU_DEP_1) | instskip(SKIP_1) | instid1(VALU_DEP_4)
	v_add_co_ci_u32_e64 v32, s3, s27, v4, s3
	v_mov_b32_e32 v17, 0
	v_add_co_u32 v33, s3, s19, v5
	s_delay_alu instid0(VALU_DEP_1)
	v_add_co_ci_u32_e64 v34, s3, s18, v6, s3
	s_lshl_b64 s[18:19], s[44:45], 5
	s_mov_b32 s27, 0
	s_branch .LBB543_22
.LBB543_18:                             ;   in Loop: Header=BB543_22 Depth=1
	s_or_b32 exec_lo, exec_lo, s31
	s_waitcnt vmcnt(2)
	v_lshlrev_b32_e32 v4, 16, v49
	v_lshlrev_b32_e32 v3, 16, v50
	s_waitcnt vmcnt(1)
	s_delay_alu instid0(VALU_DEP_1) | instskip(NEXT) | instid1(VALU_DEP_1)
	v_dual_fmac_f32 v16, v42, v3 :: v_dual_lshlrev_b32 v3, 16, v48
	v_fmac_f32_e32 v16, v40, v4
	s_delay_alu instid0(VALU_DEP_1) | instskip(SKIP_2) | instid1(VALU_DEP_1)
	v_fmac_f32_e32 v16, v38, v3
	s_waitcnt vmcnt(0)
	v_lshlrev_b32_e32 v3, 16, v47
	v_fmac_f32_e32 v16, v37, v3
.LBB543_19:                             ;   in Loop: Header=BB543_22 Depth=1
	s_or_b32 exec_lo, exec_lo, s30
	s_waitcnt vmcnt(3)
	v_lshlrev_b32_e32 v3, 16, v46
	s_waitcnt vmcnt(2)
	s_delay_alu instid0(VALU_DEP_1) | instskip(SKIP_2) | instid1(VALU_DEP_2)
	v_dual_fmac_f32 v15, v42, v3 :: v_dual_lshlrev_b32 v4, 16, v45
	s_waitcnt vmcnt(1)
	v_lshlrev_b32_e32 v3, 16, v44
	v_fmac_f32_e32 v15, v40, v4
	s_delay_alu instid0(VALU_DEP_1) | instskip(SKIP_2) | instid1(VALU_DEP_1)
	v_fmac_f32_e32 v15, v38, v3
	s_waitcnt vmcnt(0)
	v_lshlrev_b32_e32 v3, 16, v43
	v_fmac_f32_e32 v15, v37, v3
.LBB543_20:                             ;   in Loop: Header=BB543_22 Depth=1
	s_or_b32 exec_lo, exec_lo, s3
	s_waitcnt vmcnt(2)
	v_lshlrev_b32_e32 v4, 16, v39
	v_lshlrev_b32_e32 v3, 16, v41
	s_waitcnt vmcnt(1)
	s_delay_alu instid0(VALU_DEP_1) | instskip(NEXT) | instid1(VALU_DEP_1)
	v_dual_fmac_f32 v14, v42, v3 :: v_dual_lshlrev_b32 v3, 16, v36
	v_fmac_f32_e32 v14, v40, v4
	s_delay_alu instid0(VALU_DEP_1) | instskip(SKIP_2) | instid1(VALU_DEP_1)
	v_fmac_f32_e32 v14, v38, v3
	s_waitcnt vmcnt(0)
	v_lshlrev_b32_e32 v3, 16, v35
	v_fmac_f32_e32 v14, v37, v3
.LBB543_21:                             ;   in Loop: Header=BB543_22 Depth=1
	s_or_b32 exec_lo, exec_lo, s4
	v_add_co_u32 v19, s3, v19, s14
	s_delay_alu instid0(VALU_DEP_1) | instskip(SKIP_1) | instid1(VALU_DEP_1)
	v_add_co_ci_u32_e64 v20, s3, s15, v20, s3
	v_add_co_u32 v21, s3, v21, s18
	v_add_co_ci_u32_e64 v22, s3, s19, v22, s3
	v_add_co_u32 v23, s3, v23, s14
	s_delay_alu instid0(VALU_DEP_1) | instskip(SKIP_1) | instid1(VALU_DEP_1)
	v_add_co_ci_u32_e64 v24, s3, s15, v24, s3
	v_add_co_u32 v25, s3, v25, s18
	v_add_co_ci_u32_e64 v26, s3, s19, v26, s3
	v_add_co_u32 v27, s3, v27, s18
	s_delay_alu instid0(VALU_DEP_1) | instskip(SKIP_4) | instid1(VALU_DEP_1)
	v_add_co_ci_u32_e64 v28, s3, s19, v28, s3
	v_add_co_u32 v29, s3, v29, s14
	v_add_nc_u32_e32 v18, 16, v18
	v_add_co_ci_u32_e64 v30, s3, s15, v30, s3
	v_add_co_u32 v31, s3, v31, s14
	v_add_co_ci_u32_e64 v32, s3, s15, v32, s3
	s_delay_alu instid0(VALU_DEP_4) | instskip(SKIP_1) | instid1(VALU_DEP_1)
	v_cmp_le_i32_e64 s3, s25, v18
	v_add_co_u32 v33, s4, v33, s18
	v_add_co_ci_u32_e64 v34, s4, s19, v34, s4
	s_delay_alu instid0(VALU_DEP_3) | instskip(NEXT) | instid1(SALU_CYCLE_1)
	s_or_b32 s27, s3, s27
	s_and_not1_b32 exec_lo, exec_lo, s27
	s_cbranch_execz .LBB543_27
.LBB543_22:                             ; =>This Inner Loop Header: Depth=1
	s_and_saveexec_b32 s4, vcc_lo
	s_cbranch_execz .LBB543_21
; %bb.23:                               ;   in Loop: Header=BB543_22 Depth=1
	v_add_co_u32 v3, s3, v19, s12
	s_delay_alu instid0(VALU_DEP_1) | instskip(SKIP_1) | instid1(VALU_DEP_1)
	v_add_co_ci_u32_e64 v4, s3, s13, v20, s3
	v_add_co_u32 v5, s3, v31, s12
	v_add_co_ci_u32_e64 v6, s3, s13, v32, s3
	v_add_co_u32 v7, s3, v29, s12
	s_delay_alu instid0(VALU_DEP_1) | instskip(SKIP_1) | instid1(VALU_DEP_1)
	v_add_co_ci_u32_e64 v8, s3, s13, v30, s3
	v_add_co_u32 v9, s3, v23, s12
	v_add_co_ci_u32_e64 v10, s3, s13, v24, s3
	global_load_u16 v37, v[3:4], off
	global_load_u16 v38, v[5:6], off
	;; [unrolled: 1-line block ×4, first 2 shown]
	v_add_co_u32 v3, s3, v25, v1
	s_delay_alu instid0(VALU_DEP_1) | instskip(SKIP_1) | instid1(VALU_DEP_1)
	v_add_co_ci_u32_e64 v4, s3, v26, v2, s3
	v_add_co_u32 v5, s3, v33, v1
	v_add_co_ci_u32_e64 v6, s3, v34, v2, s3
	v_add_co_u32 v7, s3, v27, v1
	s_delay_alu instid0(VALU_DEP_1) | instskip(SKIP_1) | instid1(VALU_DEP_1)
	v_add_co_ci_u32_e64 v8, s3, v28, v2, s3
	v_add_co_u32 v9, s3, v21, v1
	v_add_co_ci_u32_e64 v10, s3, v22, v2, s3
	global_load_u16 v41, v[3:4], off
	global_load_u16 v39, v[5:6], off
	;; [unrolled: 1-line block ×4, first 2 shown]
	s_waitcnt vmcnt(7)
	v_lshlrev_b32_e32 v42, 16, v37
	s_waitcnt vmcnt(6)
	v_lshlrev_b32_e32 v40, 16, v38
	;; [unrolled: 2-line block ×4, first 2 shown]
	s_and_saveexec_b32 s3, s0
	s_cbranch_execz .LBB543_20
; %bb.24:                               ;   in Loop: Header=BB543_22 Depth=1
	global_load_u16 v46, v[3:4], off offset:128
	global_load_u16 v45, v[5:6], off offset:128
	global_load_u16 v44, v[7:8], off offset:128
	global_load_u16 v43, v[9:10], off offset:128
	s_and_saveexec_b32 s30, s1
	s_cbranch_execz .LBB543_19
; %bb.25:                               ;   in Loop: Header=BB543_22 Depth=1
	global_load_u16 v50, v[3:4], off offset:256
	global_load_u16 v49, v[5:6], off offset:256
	global_load_u16 v48, v[7:8], off offset:256
	global_load_u16 v47, v[9:10], off offset:256
	;; [unrolled: 7-line block ×3, first 2 shown]
	s_waitcnt vmcnt(3)
	v_lshlrev_b32_e32 v3, 16, v3
	s_waitcnt vmcnt(2)
	s_delay_alu instid0(VALU_DEP_1) | instskip(SKIP_2) | instid1(VALU_DEP_2)
	v_dual_fmac_f32 v17, v42, v3 :: v_dual_lshlrev_b32 v4, 16, v4
	s_waitcnt vmcnt(1)
	v_lshlrev_b32_e32 v3, 16, v5
	v_fmac_f32_e32 v17, v40, v4
	s_delay_alu instid0(VALU_DEP_1) | instskip(SKIP_2) | instid1(VALU_DEP_1)
	v_fmac_f32_e32 v17, v38, v3
	s_waitcnt vmcnt(0)
	v_lshlrev_b32_e32 v3, 16, v6
	v_fmac_f32_e32 v17, v37, v3
	s_branch .LBB543_18
.LBB543_27:
	s_or_b32 exec_lo, exec_lo, s27
.LBB543_28:
	s_delay_alu instid0(SALU_CYCLE_1) | instskip(SKIP_1) | instid1(SALU_CYCLE_1)
	s_or_b32 exec_lo, exec_lo, s26
	s_sub_i32 s0, s7, s25
	s_cmp_lt_i32 s0, 1
	s_cbranch_scc1 .LBB543_46
; %bb.29:
	v_cmp_gt_i32_e32 vcc_lo, s7, v18
	v_dual_mov_b32 v9, 0 :: v_dual_mov_b32 v10, 0
	v_or_b32_e32 v2, 1, v18
	v_dual_mov_b32 v19, 0 :: v_dual_mov_b32 v20, 0
	s_and_saveexec_b32 s1, vcc_lo
	s_cbranch_execz .LBB543_37
; %bb.30:
	v_mad_u64_u32 v[3:4], null, v18, s16, 0
	s_lshl_b64 s[2:3], s[10:11], 1
	v_mov_b32_e32 v19, 0
	s_add_u32 s0, s48, s2
	s_addc_u32 s2, s49, s3
	s_lshl_b64 s[10:11], s[50:51], 1
	v_mov_b32_e32 v9, 0
	s_delay_alu instid0(VALU_DEP_3) | instskip(SKIP_3) | instid1(VALU_DEP_1)
	v_dual_mov_b32 v1, v4 :: v_dual_mov_b32 v10, 0
	s_add_u32 s3, s0, s10
	s_addc_u32 s4, s2, s11
	s_mov_b32 s2, exec_lo
	v_mad_u64_u32 v[4:5], null, v18, s17, v[1:2]
	s_delay_alu instid0(VALU_DEP_1) | instskip(NEXT) | instid1(VALU_DEP_1)
	v_lshlrev_b64 v[3:4], 1, v[3:4]
	v_add_co_u32 v3, s0, s3, v3
	s_delay_alu instid0(VALU_DEP_1)
	v_add_co_ci_u32_e64 v4, s0, s4, v4, s0
	global_load_u16 v1, v[3:4], off
	v_cmpx_gt_i32_e64 s7, v2
	s_cbranch_execz .LBB543_36
; %bb.31:
	v_mad_u64_u32 v[3:4], null, v2, s16, 0
	v_mov_b32_e32 v10, 0
	s_mov_b32 s10, exec_lo
	v_mov_b32_e32 v9, 0
	s_delay_alu instid0(VALU_DEP_3) | instskip(NEXT) | instid1(VALU_DEP_1)
	v_mad_u64_u32 v[5:6], null, v2, s17, v[4:5]
	v_mov_b32_e32 v4, v5
	s_delay_alu instid0(VALU_DEP_1) | instskip(NEXT) | instid1(VALU_DEP_1)
	v_lshlrev_b64 v[3:4], 1, v[3:4]
	v_add_co_u32 v3, s0, s3, v3
	s_delay_alu instid0(VALU_DEP_1) | instskip(SKIP_2) | instid1(VALU_DEP_1)
	v_add_co_ci_u32_e64 v4, s0, s4, v4, s0
	global_load_u16 v3, v[3:4], off
	v_or_b32_e32 v4, 2, v18
	v_cmpx_gt_i32_e64 s7, v4
	s_cbranch_execz .LBB543_35
; %bb.32:
	v_mad_u64_u32 v[5:6], null, v4, s16, 0
	s_mov_b32 s11, exec_lo
	v_mov_b32_e32 v9, 0
	s_delay_alu instid0(VALU_DEP_2) | instskip(NEXT) | instid1(VALU_DEP_1)
	v_mad_u64_u32 v[7:8], null, v4, s17, v[6:7]
	v_mov_b32_e32 v6, v7
	s_delay_alu instid0(VALU_DEP_1) | instskip(NEXT) | instid1(VALU_DEP_1)
	v_lshlrev_b64 v[4:5], 1, v[5:6]
	v_add_co_u32 v4, s0, s3, v4
	s_delay_alu instid0(VALU_DEP_1) | instskip(SKIP_2) | instid1(VALU_DEP_1)
	v_add_co_ci_u32_e64 v5, s0, s4, v5, s0
	global_load_u16 v4, v[4:5], off
	v_or_b32_e32 v5, 3, v18
	v_cmpx_gt_i32_e64 s7, v5
	s_cbranch_execz .LBB543_34
; %bb.33:
	v_mad_u64_u32 v[6:7], null, v5, s16, 0
	s_delay_alu instid0(VALU_DEP_1) | instskip(NEXT) | instid1(VALU_DEP_1)
	v_mad_u64_u32 v[8:9], null, v5, s17, v[7:8]
	v_mov_b32_e32 v7, v8
	s_delay_alu instid0(VALU_DEP_1) | instskip(NEXT) | instid1(VALU_DEP_1)
	v_lshlrev_b64 v[5:6], 1, v[6:7]
	v_add_co_u32 v5, s0, s3, v5
	s_delay_alu instid0(VALU_DEP_1)
	v_add_co_ci_u32_e64 v6, s0, s4, v6, s0
	global_load_u16 v5, v[5:6], off
	s_waitcnt vmcnt(0)
	v_lshlrev_b32_e32 v9, 16, v5
.LBB543_34:
	s_or_b32 exec_lo, exec_lo, s11
	s_waitcnt vmcnt(0)
	v_lshlrev_b32_e32 v10, 16, v4
.LBB543_35:
	s_or_b32 exec_lo, exec_lo, s10
	s_waitcnt vmcnt(0)
	v_lshlrev_b32_e32 v19, 16, v3
.LBB543_36:
	s_or_b32 exec_lo, exec_lo, s2
	s_waitcnt vmcnt(0)
	v_lshlrev_b32_e32 v20, 16, v1
.LBB543_37:
	s_or_b32 exec_lo, exec_lo, s1
	s_delay_alu instid0(SALU_CYCLE_1)
	s_mov_b32 s1, exec_lo
	v_cmpx_gt_i32_e64 s6, v0
	s_cbranch_execz .LBB543_45
; %bb.38:
	v_mad_u64_u32 v[3:4], null, v18, s44, 0
	v_mad_u64_u32 v[5:6], null, v2, s44, 0
	v_ashrrev_i32_e32 v1, 31, v0
	s_lshl_b64 s[2:3], s[8:9], 1
	v_or_b32_e32 v28, 2, v18
	s_add_u32 s0, s40, s2
	s_delay_alu instid0(VALU_DEP_4)
	v_cndmask_b32_e32 v3, 0, v3, vcc_lo
	v_lshlrev_b64 v[21:22], 1, v[0:1]
	v_mad_u64_u32 v[7:8], null, v18, s45, v[4:5]
	s_addc_u32 s4, s41, s3
	s_lshl_b64 s[2:3], s[42:43], 1
	v_or_b32_e32 v18, 3, v18
	s_add_u32 s2, s0, s2
	v_mov_b32_e32 v1, v6
	v_mad_u64_u32 v[23:24], null, v28, s44, 0
	s_delay_alu instid0(VALU_DEP_4) | instskip(SKIP_1) | instid1(VALU_DEP_4)
	v_cndmask_b32_e32 v4, 0, v7, vcc_lo
	v_cmp_gt_i32_e32 vcc_lo, s7, v2
	v_mad_u64_u32 v[25:26], null, v2, s45, v[1:2]
	s_addc_u32 s3, s4, s3
	v_mad_u64_u32 v[6:7], null, v18, s44, 0
	v_cndmask_b32_e32 v26, 0, v5, vcc_lo
	v_lshlrev_b64 v[3:4], 1, v[3:4]
	s_delay_alu instid0(VALU_DEP_4) | instskip(NEXT) | instid1(VALU_DEP_2)
	v_cndmask_b32_e32 v27, 0, v25, vcc_lo
	v_add_co_u32 v1, s0, s2, v3
	s_delay_alu instid0(VALU_DEP_1) | instskip(NEXT) | instid1(VALU_DEP_3)
	v_add_co_ci_u32_e64 v2, s0, s3, v4, s0
	v_lshlrev_b64 v[3:4], 1, v[26:27]
	s_delay_alu instid0(VALU_DEP_3) | instskip(NEXT) | instid1(VALU_DEP_3)
	v_add_co_u32 v1, vcc_lo, v1, v21
	v_add_co_ci_u32_e32 v2, vcc_lo, v2, v22, vcc_lo
	v_cmp_gt_i32_e32 vcc_lo, s7, v28
	v_mov_b32_e32 v5, v24
	v_add_co_u32 v3, s0, s2, v3
	s_delay_alu instid0(VALU_DEP_1) | instskip(NEXT) | instid1(VALU_DEP_3)
	v_add_co_ci_u32_e64 v4, s0, s3, v4, s0
	v_mad_u64_u32 v[24:25], null, v28, s45, v[5:6]
	s_delay_alu instid0(VALU_DEP_3) | instskip(SKIP_1) | instid1(VALU_DEP_4)
	v_add_co_u32 v3, s0, v3, v21
	v_mov_b32_e32 v5, v7
	v_add_co_ci_u32_e64 v4, s0, v4, v22, s0
	s_delay_alu instid0(VALU_DEP_4) | instskip(NEXT) | instid1(VALU_DEP_3)
	v_dual_cndmask_b32 v7, 0, v23 :: v_dual_cndmask_b32 v8, 0, v24
	v_mad_u64_u32 v[25:26], null, v18, s45, v[5:6]
	v_cmp_gt_i32_e32 vcc_lo, s7, v18
	s_clause 0x1
	global_load_u16 v18, v[1:2], off
	global_load_u16 v23, v[3:4], off
	s_mov_b32 s0, exec_lo
	s_waitcnt vmcnt(1)
	v_lshlrev_b32_e32 v18, 16, v18
	s_waitcnt vmcnt(0)
	s_delay_alu instid0(VALU_DEP_1) | instskip(SKIP_2) | instid1(VALU_DEP_3)
	v_dual_fmac_f32 v14, v20, v18 :: v_dual_lshlrev_b32 v23, 16, v23
	v_dual_cndmask_b32 v5, 0, v6 :: v_dual_cndmask_b32 v6, 0, v25
	v_lshlrev_b64 v[7:8], 1, v[7:8]
	v_dual_fmac_f32 v14, v19, v23 :: v_dual_add_nc_u32 v23, 64, v0
	s_delay_alu instid0(VALU_DEP_3) | instskip(NEXT) | instid1(VALU_DEP_3)
	v_lshlrev_b64 v[5:6], 1, v[5:6]
	v_add_co_u32 v7, vcc_lo, s2, v7
	s_delay_alu instid0(VALU_DEP_4) | instskip(NEXT) | instid1(VALU_DEP_3)
	v_add_co_ci_u32_e32 v8, vcc_lo, s3, v8, vcc_lo
	v_add_co_u32 v5, vcc_lo, s2, v5
	s_delay_alu instid0(VALU_DEP_4) | instskip(NEXT) | instid1(VALU_DEP_4)
	v_add_co_ci_u32_e32 v6, vcc_lo, s3, v6, vcc_lo
	v_add_co_u32 v7, vcc_lo, v7, v21
	s_delay_alu instid0(VALU_DEP_4) | instskip(NEXT) | instid1(VALU_DEP_4)
	v_add_co_ci_u32_e32 v8, vcc_lo, v8, v22, vcc_lo
	v_add_co_u32 v5, vcc_lo, v5, v21
	s_delay_alu instid0(VALU_DEP_4)
	v_add_co_ci_u32_e32 v6, vcc_lo, v6, v22, vcc_lo
	s_clause 0x1
	global_load_u16 v21, v[7:8], off
	global_load_u16 v22, v[5:6], off
	s_waitcnt vmcnt(1)
	v_lshlrev_b32_e32 v21, 16, v21
	s_waitcnt vmcnt(0)
	v_lshlrev_b32_e32 v18, 16, v22
	s_delay_alu instid0(VALU_DEP_2)
	v_fmac_f32_e32 v14, v10, v21
	v_cmpx_gt_i32_e64 s6, v23
	s_cbranch_execz .LBB543_44
; %bb.39:
	s_clause 0x3
	global_load_u16 v21, v[1:2], off offset:128
	global_load_u16 v22, v[3:4], off offset:128
	;; [unrolled: 1-line block ×4, first 2 shown]
	s_mov_b32 s2, exec_lo
	s_waitcnt vmcnt(3)
	v_lshlrev_b32_e32 v21, 16, v21
	s_waitcnt vmcnt(2)
	v_lshlrev_b32_e32 v22, 16, v22
	;; [unrolled: 2-line block ×3, first 2 shown]
	v_fmac_f32_e32 v15, v20, v21
	s_waitcnt vmcnt(0)
	v_lshlrev_b32_e32 v21, 16, v24
	s_delay_alu instid0(VALU_DEP_2) | instskip(NEXT) | instid1(VALU_DEP_1)
	v_dual_fmac_f32 v15, v19, v22 :: v_dual_add_nc_u32 v22, 0x80, v0
	v_fmac_f32_e32 v15, v10, v23
	s_delay_alu instid0(VALU_DEP_2)
	v_cmpx_gt_i32_e64 s6, v22
	s_cbranch_execz .LBB543_43
; %bb.40:
	s_clause 0x3
	global_load_u16 v22, v[1:2], off offset:256
	global_load_u16 v23, v[3:4], off offset:256
	;; [unrolled: 1-line block ×4, first 2 shown]
	s_mov_b32 s3, exec_lo
	s_waitcnt vmcnt(3)
	v_lshlrev_b32_e32 v22, 16, v22
	s_waitcnt vmcnt(2)
	s_delay_alu instid0(VALU_DEP_1) | instskip(SKIP_2) | instid1(VALU_DEP_2)
	v_dual_fmac_f32 v16, v20, v22 :: v_dual_lshlrev_b32 v23, 16, v23
	s_waitcnt vmcnt(1)
	v_lshlrev_b32_e32 v22, 16, v24
	v_dual_fmac_f32 v16, v19, v23 :: v_dual_add_nc_u32 v23, 0xc0, v0
	s_waitcnt vmcnt(0)
	v_lshlrev_b32_e32 v0, 16, v25
	s_delay_alu instid0(VALU_DEP_2) | instskip(NEXT) | instid1(VALU_DEP_3)
	v_fmac_f32_e32 v16, v10, v22
	v_cmpx_gt_i32_e64 s6, v23
	s_cbranch_execz .LBB543_42
; %bb.41:
	s_clause 0x3
	global_load_u16 v1, v[1:2], off offset:384
	global_load_u16 v2, v[3:4], off offset:384
	;; [unrolled: 1-line block ×4, first 2 shown]
	s_waitcnt vmcnt(3)
	v_lshlrev_b32_e32 v1, 16, v1
	s_waitcnt vmcnt(2)
	s_delay_alu instid0(VALU_DEP_1) | instskip(SKIP_2) | instid1(VALU_DEP_2)
	v_dual_fmac_f32 v17, v20, v1 :: v_dual_lshlrev_b32 v2, 16, v2
	s_waitcnt vmcnt(1)
	v_lshlrev_b32_e32 v1, 16, v3
	v_fmac_f32_e32 v17, v19, v2
	s_delay_alu instid0(VALU_DEP_1) | instskip(SKIP_2) | instid1(VALU_DEP_1)
	v_fmac_f32_e32 v17, v10, v1
	s_waitcnt vmcnt(0)
	v_lshlrev_b32_e32 v1, 16, v4
	v_fmac_f32_e32 v17, v9, v1
.LBB543_42:
	s_or_b32 exec_lo, exec_lo, s3
	s_delay_alu instid0(VALU_DEP_2)
	v_fmac_f32_e32 v16, v9, v0
.LBB543_43:
	s_or_b32 exec_lo, exec_lo, s2
	s_delay_alu instid0(VALU_DEP_2)
	v_fmac_f32_e32 v15, v9, v21
.LBB543_44:
	s_or_b32 exec_lo, exec_lo, s0
	s_delay_alu instid0(VALU_DEP_2)
	v_fmac_f32_e32 v14, v9, v18
.LBB543_45:
	s_or_b32 exec_lo, exec_lo, s1
.LBB543_46:
	v_lshlrev_b32_e32 v0, 8, v13
	s_mov_b32 s0, exec_lo
                                        ; implicit-def: $vgpr3
	s_delay_alu instid0(VALU_DEP_1)
	v_add_lshl_u32 v0, v0, v12, 2
	ds_store_2addr_stride64_b32 v0, v14, v15 offset1:1
	ds_store_2addr_stride64_b32 v0, v16, v17 offset0:2 offset1:3
	s_waitcnt lgkmcnt(0)
	s_barrier
	buffer_gl0_inv
                                        ; implicit-def: $vgpr0_vgpr1
	v_cmpx_gt_u32_e32 0x100, v11
	s_cbranch_execz .LBB543_67
; %bb.47:
	v_lshlrev_b32_e32 v5, 2, v11
	s_mov_b32 s2, s21
	s_mov_b32 s1, exec_lo
	ds_load_2addr_stride64_b32 v[0:1], v5 offset1:4
	ds_load_2addr_stride64_b32 v[2:3], v5 offset0:8 offset1:12
	s_waitcnt lgkmcnt(1)
	v_add_f32_e32 v0, v0, v1
	s_waitcnt lgkmcnt(0)
	s_delay_alu instid0(VALU_DEP_1) | instskip(SKIP_1) | instid1(VALU_DEP_2)
	v_add_f32_e32 v0, v2, v0
	v_or_b32_e32 v2, s24, v11
	v_add_f32_e32 v4, v3, v0
                                        ; implicit-def: $vgpr3
                                        ; implicit-def: $vgpr0_vgpr1
	ds_store_b32 v5, v4
	v_cmpx_gt_i32_e64 s6, v2
	s_cbranch_execz .LBB543_66
; %bb.48:
	v_cmp_eq_f32_e64 s2, s22, 0
	v_mul_f32_e32 v0, s23, v4
	s_delay_alu instid0(VALU_DEP_2)
	s_and_b32 vcc_lo, exec_lo, s2
	s_cbranch_vccz .LBB543_54
; %bb.49:
	s_delay_alu instid0(VALU_DEP_1) | instskip(SKIP_1) | instid1(VALU_DEP_1)
	v_and_b32_e32 v1, 0x7f800000, v0
	s_mov_b32 s2, exec_lo
                                        ; implicit-def: $vgpr3
	v_cmpx_ne_u32_e32 0x7f800000, v1
	s_xor_b32 s2, exec_lo, s2
; %bb.50:
	v_bfe_u32 v1, v0, 16, 1
	s_delay_alu instid0(VALU_DEP_1)
	v_add3_u32 v3, v0, v1, 0x7fff
; %bb.51:
	s_and_not1_saveexec_b32 s2, s2
; %bb.52:
	v_and_b32_e32 v1, 0xffff, v0
	v_or_b32_e32 v3, 0x10000, v0
	s_delay_alu instid0(VALU_DEP_2) | instskip(NEXT) | instid1(VALU_DEP_2)
	v_cmp_eq_u32_e32 vcc_lo, 0, v1
	v_cndmask_b32_e32 v3, v3, v0, vcc_lo
; %bb.53:
	s_or_b32 exec_lo, exec_lo, s2
	s_mov_b32 s2, 0
	s_branch .LBB543_55
.LBB543_54:
	s_mov_b32 s2, -1
                                        ; implicit-def: $vgpr3
.LBB543_55:
	v_ashrrev_i32_e32 v1, 31, v2
	v_mul_lo_u32 v4, v2, s29
	s_and_not1_b32 vcc_lo, exec_lo, s2
	s_delay_alu instid0(VALU_DEP_2)
	v_mul_lo_u32 v5, v1, s28
	s_cbranch_vccnz .LBB543_65
; %bb.56:
	v_mad_u64_u32 v[6:7], null, v2, s28, 0
	s_delay_alu instid0(VALU_DEP_1) | instskip(NEXT) | instid1(VALU_DEP_1)
	v_add3_u32 v7, v7, v4, v5
	v_lshlrev_b64 v[6:7], 1, v[6:7]
	s_delay_alu instid0(VALU_DEP_1) | instskip(NEXT) | instid1(VALU_DEP_2)
	v_add_co_u32 v6, vcc_lo, s5, v6
	v_add_co_ci_u32_e32 v7, vcc_lo, s20, v7, vcc_lo
	global_load_u16 v1, v[6:7], off
	s_waitcnt vmcnt(0)
	v_lshlrev_b32_e32 v1, 16, v1
	s_delay_alu instid0(VALU_DEP_1) | instskip(NEXT) | instid1(VALU_DEP_1)
	v_mul_f32_e32 v1, s22, v1
	v_and_b32_e32 v3, 0x7f800000, v1
	s_delay_alu instid0(VALU_DEP_1) | instskip(SKIP_1) | instid1(SALU_CYCLE_1)
	v_cmp_ne_u32_e32 vcc_lo, 0x7f800000, v3
                                        ; implicit-def: $vgpr3
	s_and_saveexec_b32 s2, vcc_lo
	s_xor_b32 s2, exec_lo, s2
; %bb.57:
	v_bfe_u32 v3, v1, 16, 1
	s_delay_alu instid0(VALU_DEP_1)
	v_add3_u32 v3, v1, v3, 0x7fff
                                        ; implicit-def: $vgpr1
; %bb.58:
	s_and_not1_saveexec_b32 s2, s2
; %bb.59:
	v_and_b32_e32 v3, 0xffff, v1
	v_or_b32_e32 v6, 0x10000, v1
	s_delay_alu instid0(VALU_DEP_2) | instskip(NEXT) | instid1(VALU_DEP_2)
	v_cmp_eq_u32_e32 vcc_lo, 0, v3
	v_cndmask_b32_e32 v3, v6, v1, vcc_lo
; %bb.60:
	s_or_b32 exec_lo, exec_lo, s2
	s_delay_alu instid0(VALU_DEP_1) | instskip(SKIP_1) | instid1(VALU_DEP_1)
	v_and_b32_e32 v1, 0xffff0000, v3
	s_mov_b32 s2, exec_lo
                                        ; implicit-def: $vgpr3
	v_add_f32_e32 v0, v0, v1
	s_delay_alu instid0(VALU_DEP_1) | instskip(NEXT) | instid1(VALU_DEP_1)
	v_and_b32_e32 v1, 0x7f800000, v0
	v_cmpx_ne_u32_e32 0x7f800000, v1
	s_xor_b32 s2, exec_lo, s2
; %bb.61:
	v_bfe_u32 v1, v0, 16, 1
	s_delay_alu instid0(VALU_DEP_1)
	v_add3_u32 v3, v0, v1, 0x7fff
                                        ; implicit-def: $vgpr0
; %bb.62:
	s_and_not1_saveexec_b32 s2, s2
; %bb.63:
	v_and_b32_e32 v1, 0xffff, v0
	v_or_b32_e32 v3, 0x10000, v0
	s_delay_alu instid0(VALU_DEP_2) | instskip(NEXT) | instid1(VALU_DEP_2)
	v_cmp_eq_u32_e32 vcc_lo, 0, v1
	v_cndmask_b32_e32 v3, v3, v0, vcc_lo
; %bb.64:
	s_or_b32 exec_lo, exec_lo, s2
.LBB543_65:
	v_mad_u64_u32 v[0:1], null, v2, s28, 0
	s_delay_alu instid0(VALU_DEP_2) | instskip(SKIP_1) | instid1(VALU_DEP_2)
	v_lshrrev_b32_e32 v3, 16, v3
	s_or_b32 s2, s21, exec_lo
	v_add3_u32 v1, v1, v4, v5
.LBB543_66:
	s_or_b32 exec_lo, exec_lo, s1
	s_delay_alu instid0(SALU_CYCLE_1) | instskip(SKIP_1) | instid1(SALU_CYCLE_1)
	s_and_not1_b32 s1, s21, exec_lo
	s_and_b32 s2, s2, exec_lo
	s_or_b32 s21, s1, s2
.LBB543_67:
	s_or_b32 exec_lo, exec_lo, s0
.LBB543_68:
	s_and_saveexec_b32 s0, s21
	s_cbranch_execz .LBB543_70
; %bb.69:
	v_lshlrev_b64 v[0:1], 1, v[0:1]
	s_delay_alu instid0(VALU_DEP_1) | instskip(NEXT) | instid1(VALU_DEP_2)
	v_add_co_u32 v0, vcc_lo, s5, v0
	v_add_co_ci_u32_e32 v1, vcc_lo, s20, v1, vcc_lo
	global_store_b16 v[0:1], v3, off
.LBB543_70:
	s_nop 0
	s_sendmsg sendmsg(MSG_DEALLOC_VGPRS)
	s_endpgm
	.section	.rodata,"a",@progbits
	.p2align	6, 0x0
	.amdhsa_kernel _ZL20rocblas_gemvn_kernelILi64ELi4El16rocblas_bfloat16PKfS0_EviiT3_lPKT2_lT1_lS6_lS7_lS3_lPT4_lS7_li
		.amdhsa_group_segment_fixed_size 4096
		.amdhsa_private_segment_fixed_size 0
		.amdhsa_kernarg_size 400
		.amdhsa_user_sgpr_count 14
		.amdhsa_user_sgpr_dispatch_ptr 0
		.amdhsa_user_sgpr_queue_ptr 0
		.amdhsa_user_sgpr_kernarg_segment_ptr 1
		.amdhsa_user_sgpr_dispatch_id 0
		.amdhsa_user_sgpr_private_segment_size 0
		.amdhsa_wavefront_size32 1
		.amdhsa_uses_dynamic_stack 0
		.amdhsa_enable_private_segment 0
		.amdhsa_system_sgpr_workgroup_id_x 1
		.amdhsa_system_sgpr_workgroup_id_y 0
		.amdhsa_system_sgpr_workgroup_id_z 1
		.amdhsa_system_sgpr_workgroup_info 0
		.amdhsa_system_vgpr_workitem_id 1
		.amdhsa_next_free_vgpr 51
		.amdhsa_next_free_sgpr 52
		.amdhsa_reserve_vcc 1
		.amdhsa_float_round_mode_32 0
		.amdhsa_float_round_mode_16_64 0
		.amdhsa_float_denorm_mode_32 3
		.amdhsa_float_denorm_mode_16_64 3
		.amdhsa_dx10_clamp 1
		.amdhsa_ieee_mode 1
		.amdhsa_fp16_overflow 0
		.amdhsa_workgroup_processor_mode 1
		.amdhsa_memory_ordered 1
		.amdhsa_forward_progress 0
		.amdhsa_shared_vgpr_count 0
		.amdhsa_exception_fp_ieee_invalid_op 0
		.amdhsa_exception_fp_denorm_src 0
		.amdhsa_exception_fp_ieee_div_zero 0
		.amdhsa_exception_fp_ieee_overflow 0
		.amdhsa_exception_fp_ieee_underflow 0
		.amdhsa_exception_fp_ieee_inexact 0
		.amdhsa_exception_int_div_zero 0
	.end_amdhsa_kernel
	.section	.text._ZL20rocblas_gemvn_kernelILi64ELi4El16rocblas_bfloat16PKfS0_EviiT3_lPKT2_lT1_lS6_lS7_lS3_lPT4_lS7_li,"axG",@progbits,_ZL20rocblas_gemvn_kernelILi64ELi4El16rocblas_bfloat16PKfS0_EviiT3_lPKT2_lT1_lS6_lS7_lS3_lPT4_lS7_li,comdat
.Lfunc_end543:
	.size	_ZL20rocblas_gemvn_kernelILi64ELi4El16rocblas_bfloat16PKfS0_EviiT3_lPKT2_lT1_lS6_lS7_lS3_lPT4_lS7_li, .Lfunc_end543-_ZL20rocblas_gemvn_kernelILi64ELi4El16rocblas_bfloat16PKfS0_EviiT3_lPKT2_lT1_lS6_lS7_lS3_lPT4_lS7_li
                                        ; -- End function
	.section	.AMDGPU.csdata,"",@progbits
; Kernel info:
; codeLenInByte = 4020
; NumSgprs: 54
; NumVgprs: 51
; ScratchSize: 0
; MemoryBound: 0
; FloatMode: 240
; IeeeMode: 1
; LDSByteSize: 4096 bytes/workgroup (compile time only)
; SGPRBlocks: 6
; VGPRBlocks: 6
; NumSGPRsForWavesPerEU: 54
; NumVGPRsForWavesPerEU: 51
; Occupancy: 16
; WaveLimiterHint : 0
; COMPUTE_PGM_RSRC2:SCRATCH_EN: 0
; COMPUTE_PGM_RSRC2:USER_SGPR: 14
; COMPUTE_PGM_RSRC2:TRAP_HANDLER: 0
; COMPUTE_PGM_RSRC2:TGID_X_EN: 1
; COMPUTE_PGM_RSRC2:TGID_Y_EN: 0
; COMPUTE_PGM_RSRC2:TGID_Z_EN: 1
; COMPUTE_PGM_RSRC2:TIDIG_COMP_CNT: 1
	.section	.text._ZL20rocblas_gemvn_kernelILi64ELi4Ei16rocblas_bfloat16fS0_EviiT3_lPKT2_lT1_lS4_lS5_lS1_lPT4_lS5_li,"axG",@progbits,_ZL20rocblas_gemvn_kernelILi64ELi4Ei16rocblas_bfloat16fS0_EviiT3_lPKT2_lT1_lS4_lS5_lS1_lPT4_lS5_li,comdat
	.globl	_ZL20rocblas_gemvn_kernelILi64ELi4Ei16rocblas_bfloat16fS0_EviiT3_lPKT2_lT1_lS4_lS5_lS1_lPT4_lS5_li ; -- Begin function _ZL20rocblas_gemvn_kernelILi64ELi4Ei16rocblas_bfloat16fS0_EviiT3_lPKT2_lT1_lS4_lS5_lS1_lPT4_lS5_li
	.p2align	8
	.type	_ZL20rocblas_gemvn_kernelILi64ELi4Ei16rocblas_bfloat16fS0_EviiT3_lPKT2_lT1_lS4_lS5_lS1_lPT4_lS5_li,@function
_ZL20rocblas_gemvn_kernelILi64ELi4Ei16rocblas_bfloat16fS0_EviiT3_lPKT2_lT1_lS4_lS5_lS1_lPT4_lS5_li: ; @_ZL20rocblas_gemvn_kernelILi64ELi4Ei16rocblas_bfloat16fS0_EviiT3_lPKT2_lT1_lS4_lS5_lS1_lPT4_lS5_li
; %bb.0:
	s_load_b64 s[2:3], s[0:1], 0x9c
	s_waitcnt lgkmcnt(0)
	s_lshr_b32 s4, s2, 16
	s_and_b32 s2, s2, 0xffff
	s_and_b32 s3, s3, 0xffff
	s_mul_i32 s2, s4, s2
	s_delay_alu instid0(SALU_CYCLE_1) | instskip(NEXT) | instid1(SALU_CYCLE_1)
	s_mul_i32 s2, s2, s3
	s_cmpk_lg_i32 s2, 0x100
	s_cbranch_scc1 .LBB544_70
; %bb.1:
	s_clause 0x1
	s_load_b128 s[4:7], s[0:1], 0x0
	s_load_b32 s16, s[0:1], 0x58
	s_mov_b32 s13, 0
	s_waitcnt lgkmcnt(0)
	v_cmp_eq_f32_e64 s2, s6, 0
	v_cmp_eq_f32_e64 s3, s16, 1.0
	s_delay_alu instid0(VALU_DEP_1) | instskip(NEXT) | instid1(SALU_CYCLE_1)
	s_and_b32 s2, s2, s3
	s_and_b32 vcc_lo, exec_lo, s2
	s_cbranch_vccnz .LBB544_70
; %bb.2:
	s_clause 0x2
	s_load_b64 s[2:3], s[0:1], 0x80
	s_load_b128 s[8:11], s[0:1], 0x68
	s_load_b32 s17, s[0:1], 0x78
	v_and_b32_e32 v1, 0x3ff, v0
	v_bfe_u32 v13, v0, 10, 10
	v_cmp_neq_f32_e64 s18, s6, 0
	s_delay_alu instid0(VALU_DEP_2)
	v_lshl_add_u32 v0, v13, 6, v1
	s_waitcnt lgkmcnt(0)
	s_mul_i32 s3, s15, s3
	s_mul_hi_u32 s7, s15, s2
	s_mul_i32 s2, s15, s2
	s_add_i32 s3, s7, s3
	s_delay_alu instid0(SALU_CYCLE_1) | instskip(NEXT) | instid1(SALU_CYCLE_1)
	s_lshl_b64 s[2:3], s[2:3], 1
	s_add_u32 s7, s8, s2
	s_addc_u32 s8, s9, s3
	s_lshl_b64 s[2:3], s[10:11], 1
	s_delay_alu instid0(SALU_CYCLE_1)
	s_add_u32 s7, s7, s2
	v_cmp_gt_u32_e64 s2, 0x100, v0
	s_addc_u32 s12, s8, s3
	s_and_b32 vcc_lo, exec_lo, s18
	s_cbranch_vccnz .LBB544_11
; %bb.3:
	s_mov_b32 s3, 0
                                        ; implicit-def: $vgpr5
                                        ; implicit-def: $vgpr2_vgpr3
	s_and_saveexec_b32 s8, s2
	s_cbranch_execz .LBB544_12
; %bb.4:
	v_lshl_or_b32 v4, s14, 8, v0
	v_mov_b32_e32 v5, 0
	s_ashr_i32 s11, s4, 31
	s_mov_b32 s10, s4
	s_mov_b32 s9, 0
                                        ; implicit-def: $vgpr2_vgpr3
	s_delay_alu instid0(VALU_DEP_1)
	v_cmp_gt_i64_e32 vcc_lo, s[10:11], v[4:5]
                                        ; implicit-def: $vgpr5
	s_and_saveexec_b32 s2, vcc_lo
	s_cbranch_execz .LBB544_15
; %bb.5:
	v_mad_u64_u32 v[2:3], null, s17, v4, 0
	s_ashr_i32 s9, s17, 31
	s_delay_alu instid0(VALU_DEP_1) | instid1(SALU_CYCLE_1)
	v_mad_u64_u32 v[5:6], null, s9, v4, v[3:4]
	v_cmp_eq_f32_e64 s9, s16, 0
	s_delay_alu instid0(VALU_DEP_1) | instskip(NEXT) | instid1(VALU_DEP_2)
	s_and_b32 vcc_lo, exec_lo, s9
	v_mov_b32_e32 v3, v5
	s_cbranch_vccnz .LBB544_13
; %bb.6:
	s_delay_alu instid0(VALU_DEP_1) | instskip(NEXT) | instid1(VALU_DEP_1)
	v_lshlrev_b64 v[4:5], 1, v[2:3]
	v_add_co_u32 v4, vcc_lo, s7, v4
	s_delay_alu instid0(VALU_DEP_2) | instskip(SKIP_3) | instid1(VALU_DEP_1)
	v_add_co_ci_u32_e32 v5, vcc_lo, s12, v5, vcc_lo
	global_load_u16 v4, v[4:5], off
	s_waitcnt vmcnt(0)
	v_lshlrev_b32_e32 v4, 16, v4
	v_mul_f32_e32 v4, s16, v4
	s_delay_alu instid0(VALU_DEP_1) | instskip(NEXT) | instid1(VALU_DEP_1)
	v_and_b32_e32 v5, 0x7f800000, v4
	v_cmp_ne_u32_e32 vcc_lo, 0x7f800000, v5
                                        ; implicit-def: $vgpr5
	s_and_saveexec_b32 s9, vcc_lo
	s_delay_alu instid0(SALU_CYCLE_1)
	s_xor_b32 s9, exec_lo, s9
; %bb.7:
	v_bfe_u32 v5, v4, 16, 1
	s_delay_alu instid0(VALU_DEP_1)
	v_add3_u32 v5, v4, v5, 0x7fff
                                        ; implicit-def: $vgpr4
; %bb.8:
	s_and_not1_saveexec_b32 s9, s9
; %bb.9:
	v_and_b32_e32 v5, 0xffff, v4
	v_or_b32_e32 v6, 0x10000, v4
	s_delay_alu instid0(VALU_DEP_2) | instskip(NEXT) | instid1(VALU_DEP_2)
	v_cmp_eq_u32_e32 vcc_lo, 0, v5
	v_cndmask_b32_e32 v5, v6, v4, vcc_lo
; %bb.10:
	s_or_b32 exec_lo, exec_lo, s9
	s_delay_alu instid0(VALU_DEP_1)
	v_lshrrev_b32_e32 v5, 16, v5
	s_branch .LBB544_14
.LBB544_11:
                                        ; implicit-def: $vgpr5
                                        ; implicit-def: $vgpr2_vgpr3
	s_cbranch_execnz .LBB544_16
	s_branch .LBB544_68
.LBB544_12:
	s_or_b32 exec_lo, exec_lo, s8
	s_delay_alu instid0(SALU_CYCLE_1)
	s_and_b32 vcc_lo, exec_lo, s3
	s_cbranch_vccnz .LBB544_16
	s_branch .LBB544_68
.LBB544_13:
	v_mov_b32_e32 v5, 0
.LBB544_14:
	s_mov_b32 s9, exec_lo
.LBB544_15:
	s_or_b32 exec_lo, exec_lo, s2
	s_delay_alu instid0(SALU_CYCLE_1) | instskip(SKIP_1) | instid1(SALU_CYCLE_1)
	s_and_b32 s13, s9, exec_lo
	s_or_b32 exec_lo, exec_lo, s8
	s_and_b32 vcc_lo, exec_lo, s3
	s_cbranch_vccz .LBB544_68
.LBB544_16:
	s_clause 0x4
	s_load_b128 s[8:11], s[0:1], 0x30
	s_load_b64 s[2:3], s[0:1], 0x50
	s_load_b128 s[20:23], s[0:1], 0x18
	s_load_b32 s18, s[0:1], 0x28
	s_load_b64 s[24:25], s[0:1], 0x40
	v_dual_mov_b32 v14, 0 :: v_dual_lshlrev_b32 v19, 2, v13
	v_dual_mov_b32 v15, 0 :: v_dual_mov_b32 v16, 0
	v_mov_b32_e32 v17, 0
	s_waitcnt lgkmcnt(0)
	s_mul_i32 s9, s15, s9
	s_mul_hi_u32 s19, s15, s8
	s_mul_i32 s8, s15, s8
	s_add_i32 s9, s19, s9
	s_mul_i32 s3, s15, s3
	s_lshl_b64 s[8:9], s[8:9], 1
	s_mul_hi_u32 s26, s15, s2
	s_add_u32 s19, s20, s8
	s_addc_u32 s20, s21, s9
	s_lshl_b64 s[8:9], s[22:23], 1
	s_mul_i32 s2, s15, s2
	s_add_u32 s15, s19, s8
	s_load_b32 s8, s[0:1], 0x48
	s_addc_u32 s19, s20, s9
	s_add_i32 s3, s26, s3
	s_mov_b32 s20, exec_lo
	s_lshl_b64 s[0:1], s[2:3], 1
	s_delay_alu instid0(SALU_CYCLE_1) | instskip(SKIP_2) | instid1(SALU_CYCLE_1)
	s_add_u32 s2, s10, s0
	s_addc_u32 s3, s11, s1
	s_lshl_b64 s[0:1], s[24:25], 1
	s_add_u32 s10, s2, s0
	s_addc_u32 s11, s3, s1
	s_ashr_i32 s0, s5, 31
	s_lshl_b32 s9, s14, 8
	s_lshr_b32 s0, s0, 28
	v_add_nc_u32_e32 v18, s9, v1
	s_add_i32 s0, s5, s0
	s_delay_alu instid0(SALU_CYCLE_1) | instskip(NEXT) | instid1(SALU_CYCLE_1)
	s_and_b32 s14, s0, -16
	v_cmpx_gt_i32_e64 s14, v19
	s_cbranch_execz .LBB544_28
; %bb.17:
	v_mul_lo_u32 v3, s18, v19
	v_dual_mov_b32 v15, 0 :: v_dual_add_nc_u32 v2, 64, v18
	v_add_nc_u32_e32 v6, 2, v19
	v_dual_mov_b32 v14, 0 :: v_dual_add_nc_u32 v5, 0xc0, v18
	s_delay_alu instid0(VALU_DEP_3)
	v_cmp_gt_i32_e64 s0, s4, v2
	v_dual_mov_b32 v17, 0 :: v_dual_add_nc_u32 v4, 0x80, v18
	v_add3_u32 v20, v3, s18, v1
	v_mad_u64_u32 v[2:3], null, s18, v6, v[1:2]
	v_cmp_gt_i32_e64 s2, s4, v5
	v_mul_lo_u32 v5, v13, s18
	v_dual_mov_b32 v16, 0 :: v_dual_add_nc_u32 v7, 3, v19
	s_waitcnt lgkmcnt(0)
	v_mul_lo_u32 v8, v13, s8
	v_cmp_gt_i32_e64 s1, s4, v4
	v_mul_lo_u32 v22, s8, v6
	v_mad_u64_u32 v[3:4], null, s18, v7, v[1:2]
	v_lshl_add_u32 v21, v5, 2, v1
	v_mad_u64_u32 v[4:5], null, s8, v19, s[8:9]
	v_mul_lo_u32 v23, s8, v7
	v_cmp_gt_i32_e32 vcc_lo, s4, v18
	v_lshlrev_b32_e32 v24, 2, v8
	s_lshl_b32 s21, s18, 4
	s_lshl_b32 s23, s8, 4
	s_mov_b32 s22, 0
	s_mov_b32 s24, 0
	s_branch .LBB544_22
.LBB544_18:                             ;   in Loop: Header=BB544_22 Depth=1
	s_or_b32 exec_lo, exec_lo, s27
	s_waitcnt vmcnt(2)
	v_lshlrev_b32_e32 v6, 16, v39
	v_lshlrev_b32_e32 v5, 16, v40
	s_waitcnt vmcnt(1)
	s_delay_alu instid0(VALU_DEP_1) | instskip(NEXT) | instid1(VALU_DEP_1)
	v_dual_fmac_f32 v16, v32, v5 :: v_dual_lshlrev_b32 v5, 16, v38
	v_fmac_f32_e32 v16, v30, v6
	s_delay_alu instid0(VALU_DEP_1) | instskip(SKIP_2) | instid1(VALU_DEP_1)
	v_fmac_f32_e32 v16, v28, v5
	s_waitcnt vmcnt(0)
	v_lshlrev_b32_e32 v5, 16, v37
	v_fmac_f32_e32 v16, v27, v5
.LBB544_19:                             ;   in Loop: Header=BB544_22 Depth=1
	s_or_b32 exec_lo, exec_lo, s26
	s_waitcnt vmcnt(3)
	v_lshlrev_b32_e32 v5, 16, v36
	s_waitcnt vmcnt(2)
	s_delay_alu instid0(VALU_DEP_1) | instskip(SKIP_2) | instid1(VALU_DEP_2)
	v_dual_fmac_f32 v15, v32, v5 :: v_dual_lshlrev_b32 v6, 16, v35
	s_waitcnt vmcnt(1)
	v_lshlrev_b32_e32 v5, 16, v34
	v_fmac_f32_e32 v15, v30, v6
	s_delay_alu instid0(VALU_DEP_1) | instskip(SKIP_2) | instid1(VALU_DEP_1)
	v_fmac_f32_e32 v15, v28, v5
	s_waitcnt vmcnt(0)
	v_lshlrev_b32_e32 v5, 16, v33
	v_fmac_f32_e32 v15, v27, v5
.LBB544_20:                             ;   in Loop: Header=BB544_22 Depth=1
	s_or_b32 exec_lo, exec_lo, s3
	s_waitcnt vmcnt(2)
	v_lshlrev_b32_e32 v6, 16, v29
	v_lshlrev_b32_e32 v5, 16, v31
	s_waitcnt vmcnt(1)
	s_delay_alu instid0(VALU_DEP_1) | instskip(NEXT) | instid1(VALU_DEP_1)
	v_dual_fmac_f32 v14, v32, v5 :: v_dual_lshlrev_b32 v5, 16, v26
	v_fmac_f32_e32 v14, v30, v6
	s_delay_alu instid0(VALU_DEP_1) | instskip(SKIP_2) | instid1(VALU_DEP_1)
	v_fmac_f32_e32 v14, v28, v5
	s_waitcnt vmcnt(0)
	v_lshlrev_b32_e32 v5, 16, v25
	v_fmac_f32_e32 v14, v27, v5
.LBB544_21:                             ;   in Loop: Header=BB544_22 Depth=1
	s_or_b32 exec_lo, exec_lo, s25
	v_add_nc_u32_e32 v19, 16, v19
	v_add_nc_u32_e32 v20, s21, v20
	;; [unrolled: 1-line block ×5, first 2 shown]
	v_cmp_le_i32_e64 s3, s14, v19
	s_add_i32 s24, s24, s23
	s_delay_alu instid0(VALU_DEP_1) | instskip(NEXT) | instid1(SALU_CYCLE_1)
	s_or_b32 s22, s3, s22
	s_and_not1_b32 exec_lo, exec_lo, s22
	s_cbranch_execz .LBB544_27
.LBB544_22:                             ; =>This Inner Loop Header: Depth=1
	s_and_saveexec_b32 s25, vcc_lo
	s_cbranch_execz .LBB544_21
; %bb.23:                               ;   in Loop: Header=BB544_22 Depth=1
	v_add_nc_u32_e32 v5, s24, v24
	v_add_nc_u32_e32 v7, s24, v4
	;; [unrolled: 1-line block ×5, first 2 shown]
	v_ashrrev_i32_e32 v6, 31, v5
	v_ashrrev_i32_e32 v8, 31, v7
	;; [unrolled: 1-line block ×4, first 2 shown]
	v_add_nc_u32_e32 v27, s9, v20
	v_lshlrev_b64 v[5:6], 1, v[5:6]
	v_lshlrev_b64 v[7:8], 1, v[7:8]
	;; [unrolled: 1-line block ×4, first 2 shown]
	v_ashrrev_i32_e32 v26, 31, v25
	v_ashrrev_i32_e32 v28, 31, v27
	v_add_co_u32 v5, s3, s10, v5
	s_delay_alu instid0(VALU_DEP_1) | instskip(SKIP_1) | instid1(VALU_DEP_1)
	v_add_co_ci_u32_e64 v6, s3, s11, v6, s3
	v_add_co_u32 v7, s3, s10, v7
	v_add_co_ci_u32_e64 v8, s3, s11, v8, s3
	v_add_co_u32 v9, s3, s10, v9
	s_delay_alu instid0(VALU_DEP_1)
	v_add_co_ci_u32_e64 v10, s3, s11, v10, s3
	v_add_co_u32 v11, s3, s10, v11
	v_add_nc_u32_e32 v29, s9, v2
	v_add_co_ci_u32_e64 v12, s3, s11, v12, s3
	v_lshlrev_b64 v[25:26], 1, v[25:26]
	s_clause 0x3
	global_load_u16 v32, v[5:6], off
	global_load_u16 v33, v[7:8], off
	;; [unrolled: 1-line block ×4, first 2 shown]
	v_add_nc_u32_e32 v11, s9, v3
	v_lshlrev_b64 v[5:6], 1, v[27:28]
	v_ashrrev_i32_e32 v30, 31, v29
	v_add_co_u32 v7, s3, s15, v25
	s_delay_alu instid0(VALU_DEP_4) | instskip(SKIP_1) | instid1(VALU_DEP_4)
	v_ashrrev_i32_e32 v12, 31, v11
	v_add_co_ci_u32_e64 v8, s3, s19, v26, s3
	v_lshlrev_b64 v[25:26], 1, v[29:30]
	v_add_co_u32 v9, s3, s15, v5
	s_delay_alu instid0(VALU_DEP_1) | instskip(SKIP_1) | instid1(VALU_DEP_4)
	v_add_co_ci_u32_e64 v10, s3, s19, v6, s3
	v_lshlrev_b64 v[5:6], 1, v[11:12]
	v_add_co_u32 v11, s3, s15, v25
	s_delay_alu instid0(VALU_DEP_1) | instskip(NEXT) | instid1(VALU_DEP_3)
	v_add_co_ci_u32_e64 v12, s3, s19, v26, s3
	v_add_co_u32 v5, s3, s15, v5
	s_delay_alu instid0(VALU_DEP_1)
	v_add_co_ci_u32_e64 v6, s3, s19, v6, s3
	s_clause 0x3
	global_load_u16 v31, v[7:8], off
	global_load_u16 v29, v[9:10], off
	;; [unrolled: 1-line block ×4, first 2 shown]
	s_waitcnt vmcnt(7)
	v_lshlrev_b32_e32 v32, 16, v32
	s_waitcnt vmcnt(6)
	v_lshlrev_b32_e32 v30, 16, v33
	;; [unrolled: 2-line block ×4, first 2 shown]
	s_and_saveexec_b32 s3, s0
	s_cbranch_execz .LBB544_20
; %bb.24:                               ;   in Loop: Header=BB544_22 Depth=1
	s_clause 0x3
	global_load_u16 v36, v[7:8], off offset:128
	global_load_u16 v35, v[9:10], off offset:128
	global_load_u16 v34, v[11:12], off offset:128
	global_load_u16 v33, v[5:6], off offset:128
	s_and_saveexec_b32 s26, s1
	s_cbranch_execz .LBB544_19
; %bb.25:                               ;   in Loop: Header=BB544_22 Depth=1
	s_clause 0x3
	global_load_u16 v40, v[7:8], off offset:256
	global_load_u16 v39, v[9:10], off offset:256
	global_load_u16 v38, v[11:12], off offset:256
	global_load_u16 v37, v[5:6], off offset:256
	;; [unrolled: 8-line block ×3, first 2 shown]
	s_waitcnt vmcnt(0)
	v_lshlrev_b32_e32 v5, 16, v5
	v_lshlrev_b32_e32 v6, 16, v7
	;; [unrolled: 1-line block ×3, first 2 shown]
	s_delay_alu instid0(VALU_DEP_2) | instskip(NEXT) | instid1(VALU_DEP_1)
	v_dual_fmac_f32 v17, v32, v6 :: v_dual_lshlrev_b32 v6, 16, v9
	v_fmac_f32_e32 v17, v30, v7
	s_delay_alu instid0(VALU_DEP_1) | instskip(NEXT) | instid1(VALU_DEP_1)
	v_fmac_f32_e32 v17, v28, v6
	v_fmac_f32_e32 v17, v27, v5
	s_branch .LBB544_18
.LBB544_27:
	s_or_b32 exec_lo, exec_lo, s22
.LBB544_28:
	s_delay_alu instid0(SALU_CYCLE_1) | instskip(SKIP_1) | instid1(SALU_CYCLE_1)
	s_or_b32 exec_lo, exec_lo, s20
	s_sub_i32 s0, s5, s14
	s_cmp_lt_i32 s0, 1
	s_cbranch_scc1 .LBB544_46
; %bb.29:
	v_cmp_gt_i32_e32 vcc_lo, s5, v19
	v_dual_mov_b32 v10, 0 :: v_dual_mov_b32 v11, 0
	v_or_b32_e32 v2, 1, v19
	v_mov_b32_e32 v12, 0
	v_mov_b32_e32 v20, 0
	s_and_saveexec_b32 s1, vcc_lo
	s_cbranch_execz .LBB544_37
; %bb.30:
	s_waitcnt lgkmcnt(0)
	v_mul_lo_u32 v3, v19, s8
	v_dual_mov_b32 v12, 0 :: v_dual_mov_b32 v11, 0
	v_mov_b32_e32 v10, 0
	s_mov_b32 s2, exec_lo
	s_delay_alu instid0(VALU_DEP_3) | instskip(NEXT) | instid1(VALU_DEP_1)
	v_ashrrev_i32_e32 v4, 31, v3
	v_lshlrev_b64 v[3:4], 1, v[3:4]
	s_delay_alu instid0(VALU_DEP_1) | instskip(NEXT) | instid1(VALU_DEP_1)
	v_add_co_u32 v3, s0, s10, v3
	v_add_co_ci_u32_e64 v4, s0, s11, v4, s0
	global_load_u16 v3, v[3:4], off
	v_cmpx_gt_i32_e64 s5, v2
	s_cbranch_execz .LBB544_36
; %bb.31:
	v_mul_lo_u32 v4, v2, s8
	v_dual_mov_b32 v11, 0 :: v_dual_mov_b32 v10, 0
	s_mov_b32 s3, exec_lo
	s_delay_alu instid0(VALU_DEP_2) | instskip(NEXT) | instid1(VALU_DEP_1)
	v_ashrrev_i32_e32 v5, 31, v4
	v_lshlrev_b64 v[4:5], 1, v[4:5]
	s_delay_alu instid0(VALU_DEP_1) | instskip(NEXT) | instid1(VALU_DEP_1)
	v_add_co_u32 v4, s0, s10, v4
	v_add_co_ci_u32_e64 v5, s0, s11, v5, s0
	global_load_u16 v4, v[4:5], off
	v_or_b32_e32 v5, 2, v19
	s_delay_alu instid0(VALU_DEP_1)
	v_cmpx_gt_i32_e64 s5, v5
	s_cbranch_execz .LBB544_35
; %bb.32:
	v_mul_lo_u32 v5, v5, s8
	v_mov_b32_e32 v10, 0
	s_mov_b32 s14, exec_lo
	s_delay_alu instid0(VALU_DEP_2) | instskip(NEXT) | instid1(VALU_DEP_1)
	v_ashrrev_i32_e32 v6, 31, v5
	v_lshlrev_b64 v[5:6], 1, v[5:6]
	s_delay_alu instid0(VALU_DEP_1) | instskip(NEXT) | instid1(VALU_DEP_1)
	v_add_co_u32 v5, s0, s10, v5
	v_add_co_ci_u32_e64 v6, s0, s11, v6, s0
	global_load_u16 v5, v[5:6], off
	v_or_b32_e32 v6, 3, v19
	s_delay_alu instid0(VALU_DEP_1)
	v_cmpx_gt_i32_e64 s5, v6
	s_cbranch_execz .LBB544_34
; %bb.33:
	v_mul_lo_u32 v6, v6, s8
	s_delay_alu instid0(VALU_DEP_1) | instskip(NEXT) | instid1(VALU_DEP_1)
	v_ashrrev_i32_e32 v7, 31, v6
	v_lshlrev_b64 v[6:7], 1, v[6:7]
	s_delay_alu instid0(VALU_DEP_1) | instskip(NEXT) | instid1(VALU_DEP_1)
	v_add_co_u32 v6, s0, s10, v6
	v_add_co_ci_u32_e64 v7, s0, s11, v7, s0
	global_load_u16 v6, v[6:7], off
	s_waitcnt vmcnt(0)
	v_lshlrev_b32_e32 v10, 16, v6
.LBB544_34:
	s_or_b32 exec_lo, exec_lo, s14
	s_waitcnt vmcnt(0)
	v_lshlrev_b32_e32 v11, 16, v5
.LBB544_35:
	s_or_b32 exec_lo, exec_lo, s3
	s_waitcnt vmcnt(0)
	v_lshlrev_b32_e32 v12, 16, v4
.LBB544_36:
	s_or_b32 exec_lo, exec_lo, s2
	s_waitcnt vmcnt(0)
	v_lshlrev_b32_e32 v20, 16, v3
.LBB544_37:
	s_or_b32 exec_lo, exec_lo, s1
	s_delay_alu instid0(SALU_CYCLE_1)
	s_mov_b32 s1, exec_lo
	v_cmpx_gt_i32_e64 s4, v18
	s_cbranch_execz .LBB544_45
; %bb.38:
	v_mul_lo_u32 v3, v19, s18
	v_mul_lo_u32 v4, v2, s18
	v_or_b32_e32 v5, 2, v19
	v_or_b32_e32 v6, 3, v19
	s_mov_b32 s0, exec_lo
	s_delay_alu instid0(VALU_DEP_2)
	v_mul_lo_u32 v7, v5, s18
	v_cndmask_b32_e32 v3, 0, v3, vcc_lo
	v_cmp_gt_i32_e32 vcc_lo, s5, v2
	v_mul_lo_u32 v8, v6, s18
	v_cndmask_b32_e32 v4, 0, v4, vcc_lo
	v_cmp_gt_i32_e32 vcc_lo, s5, v5
	v_add_nc_u32_e32 v2, v3, v18
	s_delay_alu instid0(VALU_DEP_3) | instskip(NEXT) | instid1(VALU_DEP_2)
	v_dual_cndmask_b32 v7, 0, v7 :: v_dual_add_nc_u32 v4, v4, v18
	v_ashrrev_i32_e32 v3, 31, v2
	v_cmp_gt_i32_e32 vcc_lo, s5, v6
	s_delay_alu instid0(VALU_DEP_3) | instskip(NEXT) | instid1(VALU_DEP_4)
	v_ashrrev_i32_e32 v5, 31, v4
	v_add_nc_u32_e32 v6, v7, v18
	s_delay_alu instid0(VALU_DEP_4) | instskip(SKIP_1) | instid1(VALU_DEP_4)
	v_lshlrev_b64 v[2:3], 1, v[2:3]
	v_cndmask_b32_e32 v8, 0, v8, vcc_lo
	v_lshlrev_b64 v[21:22], 1, v[4:5]
	s_delay_alu instid0(VALU_DEP_4) | instskip(NEXT) | instid1(VALU_DEP_4)
	v_ashrrev_i32_e32 v7, 31, v6
	v_add_co_u32 v4, vcc_lo, s15, v2
	v_add_co_ci_u32_e32 v5, vcc_lo, s19, v3, vcc_lo
	s_delay_alu instid0(VALU_DEP_4)
	v_add_co_u32 v2, vcc_lo, s15, v21
	v_add_co_ci_u32_e32 v3, vcc_lo, s19, v22, vcc_lo
	s_clause 0x1
	global_load_u16 v19, v[4:5], off
	global_load_u16 v23, v[2:3], off
	v_lshlrev_b64 v[6:7], 1, v[6:7]
	s_waitcnt vmcnt(1)
	v_lshlrev_b32_e32 v19, 16, v19
	v_add_nc_u32_e32 v8, v8, v18
	s_delay_alu instid0(VALU_DEP_1) | instskip(NEXT) | instid1(VALU_DEP_1)
	v_ashrrev_i32_e32 v9, 31, v8
	v_lshlrev_b64 v[21:22], 1, v[8:9]
	v_add_co_u32 v8, vcc_lo, s15, v6
	v_add_co_ci_u32_e32 v9, vcc_lo, s19, v7, vcc_lo
	s_delay_alu instid0(VALU_DEP_3) | instskip(NEXT) | instid1(VALU_DEP_4)
	v_add_co_u32 v6, vcc_lo, s15, v21
	v_add_co_ci_u32_e32 v7, vcc_lo, s19, v22, vcc_lo
	s_clause 0x1
	global_load_u16 v21, v[8:9], off
	global_load_u16 v22, v[6:7], off
	s_waitcnt vmcnt(1)
	v_dual_fmac_f32 v14, v20, v19 :: v_dual_lshlrev_b32 v21, 16, v21
	v_lshlrev_b32_e32 v23, 16, v23
	s_waitcnt vmcnt(0)
	s_delay_alu instid0(VALU_DEP_1) | instskip(NEXT) | instid1(VALU_DEP_1)
	v_dual_fmac_f32 v14, v12, v23 :: v_dual_lshlrev_b32 v19, 16, v22
	v_dual_fmac_f32 v14, v11, v21 :: v_dual_add_nc_u32 v23, 64, v18
	s_delay_alu instid0(VALU_DEP_1)
	v_cmpx_gt_i32_e64 s4, v23
	s_cbranch_execz .LBB544_44
; %bb.39:
	s_clause 0x3
	global_load_u16 v21, v[4:5], off offset:128
	global_load_u16 v22, v[2:3], off offset:128
	;; [unrolled: 1-line block ×4, first 2 shown]
	s_mov_b32 s2, exec_lo
	s_waitcnt vmcnt(3)
	v_lshlrev_b32_e32 v21, 16, v21
	s_waitcnt vmcnt(2)
	v_lshlrev_b32_e32 v22, 16, v22
	;; [unrolled: 2-line block ×3, first 2 shown]
	v_fmac_f32_e32 v15, v20, v21
	s_waitcnt vmcnt(0)
	v_lshlrev_b32_e32 v21, 16, v24
	s_delay_alu instid0(VALU_DEP_2) | instskip(NEXT) | instid1(VALU_DEP_1)
	v_fmac_f32_e32 v15, v12, v22
	v_dual_fmac_f32 v15, v11, v23 :: v_dual_add_nc_u32 v22, 0x80, v18
	s_delay_alu instid0(VALU_DEP_1)
	v_cmpx_gt_i32_e64 s4, v22
	s_cbranch_execz .LBB544_43
; %bb.40:
	s_clause 0x3
	global_load_u16 v22, v[4:5], off offset:256
	global_load_u16 v23, v[2:3], off offset:256
	;; [unrolled: 1-line block ×4, first 2 shown]
	s_mov_b32 s3, exec_lo
	s_waitcnt vmcnt(3)
	v_lshlrev_b32_e32 v22, 16, v22
	s_waitcnt vmcnt(2)
	s_delay_alu instid0(VALU_DEP_1) | instskip(SKIP_2) | instid1(VALU_DEP_2)
	v_dual_fmac_f32 v16, v20, v22 :: v_dual_lshlrev_b32 v23, 16, v23
	s_waitcnt vmcnt(1)
	v_lshlrev_b32_e32 v22, 16, v24
	v_dual_fmac_f32 v16, v12, v23 :: v_dual_add_nc_u32 v23, 0xc0, v18
	s_waitcnt vmcnt(0)
	v_lshlrev_b32_e32 v18, 16, v25
	s_delay_alu instid0(VALU_DEP_2) | instskip(NEXT) | instid1(VALU_DEP_3)
	v_fmac_f32_e32 v16, v11, v22
	v_cmpx_gt_i32_e64 s4, v23
	s_cbranch_execz .LBB544_42
; %bb.41:
	s_clause 0x3
	global_load_u16 v4, v[4:5], off offset:384
	global_load_u16 v2, v[2:3], off offset:384
	;; [unrolled: 1-line block ×4, first 2 shown]
	s_waitcnt vmcnt(2)
	v_lshlrev_b32_e32 v2, 16, v2
	v_lshlrev_b32_e32 v4, 16, v4
	s_waitcnt vmcnt(1)
	v_lshlrev_b32_e32 v3, 16, v3
	s_delay_alu instid0(VALU_DEP_2) | instskip(SKIP_1) | instid1(VALU_DEP_1)
	v_fmac_f32_e32 v17, v20, v4
	s_waitcnt vmcnt(0)
	v_dual_fmac_f32 v17, v12, v2 :: v_dual_lshlrev_b32 v2, 16, v5
	s_delay_alu instid0(VALU_DEP_1) | instskip(NEXT) | instid1(VALU_DEP_1)
	v_fmac_f32_e32 v17, v11, v3
	v_fmac_f32_e32 v17, v10, v2
.LBB544_42:
	s_or_b32 exec_lo, exec_lo, s3
	s_delay_alu instid0(VALU_DEP_2)
	v_fmac_f32_e32 v16, v10, v18
.LBB544_43:
	s_or_b32 exec_lo, exec_lo, s2
	s_delay_alu instid0(VALU_DEP_2)
	v_fmac_f32_e32 v15, v10, v21
.LBB544_44:
	s_or_b32 exec_lo, exec_lo, s0
	s_delay_alu instid0(VALU_DEP_2)
	v_fmac_f32_e32 v14, v10, v19
.LBB544_45:
	s_or_b32 exec_lo, exec_lo, s1
.LBB544_46:
	v_lshlrev_b32_e32 v2, 8, v13
	s_mov_b32 s0, exec_lo
                                        ; implicit-def: $vgpr5
	s_delay_alu instid0(VALU_DEP_1)
	v_add_lshl_u32 v1, v2, v1, 2
                                        ; implicit-def: $vgpr2_vgpr3
	ds_store_2addr_stride64_b32 v1, v14, v15 offset1:1
	ds_store_2addr_stride64_b32 v1, v16, v17 offset0:2 offset1:3
	s_waitcnt lgkmcnt(0)
	s_barrier
	buffer_gl0_inv
	v_cmpx_gt_u32_e32 0x100, v0
	s_cbranch_execz .LBB544_67
; %bb.47:
	v_lshlrev_b32_e32 v3, 2, v0
	s_mov_b32 s2, s13
	s_mov_b32 s1, exec_lo
	ds_load_2addr_stride64_b32 v[1:2], v3 offset1:4
	ds_load_2addr_stride64_b32 v[4:5], v3 offset0:8 offset1:12
	s_waitcnt lgkmcnt(1)
	v_add_f32_e32 v1, v1, v2
	s_waitcnt lgkmcnt(0)
	s_delay_alu instid0(VALU_DEP_1) | instskip(SKIP_1) | instid1(VALU_DEP_2)
	v_add_f32_e32 v1, v4, v1
	v_or_b32_e32 v4, s9, v0
	v_add_f32_e32 v0, v5, v1
                                        ; implicit-def: $vgpr5
	ds_store_b32 v3, v0
                                        ; implicit-def: $vgpr2_vgpr3
	v_cmpx_gt_i32_e64 s4, v4
	s_cbranch_execz .LBB544_66
; %bb.48:
	v_cmp_eq_f32_e64 s2, s16, 0
	v_mul_f32_e32 v0, s6, v0
	s_delay_alu instid0(VALU_DEP_2)
	s_and_b32 vcc_lo, exec_lo, s2
	s_cbranch_vccz .LBB544_54
; %bb.49:
	s_delay_alu instid0(VALU_DEP_1) | instskip(NEXT) | instid1(VALU_DEP_1)
	v_and_b32_e32 v1, 0x7f800000, v0
	v_cmp_ne_u32_e32 vcc_lo, 0x7f800000, v1
                                        ; implicit-def: $vgpr1
	s_and_saveexec_b32 s2, vcc_lo
	s_delay_alu instid0(SALU_CYCLE_1)
	s_xor_b32 s2, exec_lo, s2
; %bb.50:
	v_bfe_u32 v1, v0, 16, 1
	s_delay_alu instid0(VALU_DEP_1)
	v_add3_u32 v1, v0, v1, 0x7fff
; %bb.51:
	s_and_not1_saveexec_b32 s2, s2
; %bb.52:
	v_and_b32_e32 v1, 0xffff, v0
	v_or_b32_e32 v2, 0x10000, v0
	s_delay_alu instid0(VALU_DEP_2) | instskip(NEXT) | instid1(VALU_DEP_2)
	v_cmp_eq_u32_e32 vcc_lo, 0, v1
	v_cndmask_b32_e32 v1, v2, v0, vcc_lo
; %bb.53:
	s_or_b32 exec_lo, exec_lo, s2
	s_mov_b32 s2, 0
	s_branch .LBB544_55
.LBB544_54:
	s_mov_b32 s2, -1
                                        ; implicit-def: $vgpr1
.LBB544_55:
	v_mul_lo_u32 v2, v4, s17
	s_and_not1_b32 vcc_lo, exec_lo, s2
	s_delay_alu instid0(VALU_DEP_1)
	v_ashrrev_i32_e32 v3, 31, v2
	s_cbranch_vccnz .LBB544_65
; %bb.56:
	s_delay_alu instid0(VALU_DEP_1) | instskip(NEXT) | instid1(VALU_DEP_1)
	v_lshlrev_b64 v[4:5], 1, v[2:3]
	v_add_co_u32 v4, vcc_lo, s7, v4
	s_delay_alu instid0(VALU_DEP_2) | instskip(SKIP_3) | instid1(VALU_DEP_1)
	v_add_co_ci_u32_e32 v5, vcc_lo, s12, v5, vcc_lo
	global_load_u16 v1, v[4:5], off
	s_waitcnt vmcnt(0)
	v_lshlrev_b32_e32 v1, 16, v1
	v_mul_f32_e32 v1, s16, v1
	s_delay_alu instid0(VALU_DEP_1) | instskip(NEXT) | instid1(VALU_DEP_1)
	v_and_b32_e32 v4, 0x7f800000, v1
	v_cmp_ne_u32_e32 vcc_lo, 0x7f800000, v4
                                        ; implicit-def: $vgpr4
	s_and_saveexec_b32 s2, vcc_lo
	s_delay_alu instid0(SALU_CYCLE_1)
	s_xor_b32 s2, exec_lo, s2
; %bb.57:
	v_bfe_u32 v4, v1, 16, 1
	s_delay_alu instid0(VALU_DEP_1)
	v_add3_u32 v4, v1, v4, 0x7fff
                                        ; implicit-def: $vgpr1
; %bb.58:
	s_and_not1_saveexec_b32 s2, s2
; %bb.59:
	v_and_b32_e32 v4, 0xffff, v1
	v_or_b32_e32 v5, 0x10000, v1
	s_delay_alu instid0(VALU_DEP_2) | instskip(NEXT) | instid1(VALU_DEP_2)
	v_cmp_eq_u32_e32 vcc_lo, 0, v4
	v_cndmask_b32_e32 v4, v5, v1, vcc_lo
; %bb.60:
	s_or_b32 exec_lo, exec_lo, s2
	s_delay_alu instid0(VALU_DEP_1) | instskip(NEXT) | instid1(VALU_DEP_1)
	v_and_b32_e32 v1, 0xffff0000, v4
	v_add_f32_e32 v0, v0, v1
	s_delay_alu instid0(VALU_DEP_1) | instskip(NEXT) | instid1(VALU_DEP_1)
	v_and_b32_e32 v1, 0x7f800000, v0
	v_cmp_ne_u32_e32 vcc_lo, 0x7f800000, v1
                                        ; implicit-def: $vgpr1
	s_and_saveexec_b32 s2, vcc_lo
	s_delay_alu instid0(SALU_CYCLE_1)
	s_xor_b32 s2, exec_lo, s2
; %bb.61:
	v_bfe_u32 v1, v0, 16, 1
	s_delay_alu instid0(VALU_DEP_1)
	v_add3_u32 v1, v0, v1, 0x7fff
                                        ; implicit-def: $vgpr0
; %bb.62:
	s_and_not1_saveexec_b32 s2, s2
; %bb.63:
	v_and_b32_e32 v1, 0xffff, v0
	v_or_b32_e32 v4, 0x10000, v0
	s_delay_alu instid0(VALU_DEP_2) | instskip(NEXT) | instid1(VALU_DEP_2)
	v_cmp_eq_u32_e32 vcc_lo, 0, v1
	v_cndmask_b32_e32 v1, v4, v0, vcc_lo
; %bb.64:
	s_or_b32 exec_lo, exec_lo, s2
.LBB544_65:
	s_delay_alu instid0(VALU_DEP_1)
	v_lshrrev_b32_e32 v5, 16, v1
	s_or_b32 s2, s13, exec_lo
.LBB544_66:
	s_or_b32 exec_lo, exec_lo, s1
	s_delay_alu instid0(SALU_CYCLE_1) | instskip(SKIP_1) | instid1(SALU_CYCLE_1)
	s_and_not1_b32 s1, s13, exec_lo
	s_and_b32 s2, s2, exec_lo
	s_or_b32 s13, s1, s2
.LBB544_67:
	s_or_b32 exec_lo, exec_lo, s0
.LBB544_68:
	s_and_saveexec_b32 s0, s13
	s_cbranch_execz .LBB544_70
; %bb.69:
	v_lshlrev_b64 v[0:1], 1, v[2:3]
	s_delay_alu instid0(VALU_DEP_1) | instskip(NEXT) | instid1(VALU_DEP_2)
	v_add_co_u32 v0, vcc_lo, s7, v0
	v_add_co_ci_u32_e32 v1, vcc_lo, s12, v1, vcc_lo
	global_store_b16 v[0:1], v5, off
.LBB544_70:
	s_nop 0
	s_sendmsg sendmsg(MSG_DEALLOC_VGPRS)
	s_endpgm
	.section	.rodata,"a",@progbits
	.p2align	6, 0x0
	.amdhsa_kernel _ZL20rocblas_gemvn_kernelILi64ELi4Ei16rocblas_bfloat16fS0_EviiT3_lPKT2_lT1_lS4_lS5_lS1_lPT4_lS5_li
		.amdhsa_group_segment_fixed_size 4096
		.amdhsa_private_segment_fixed_size 0
		.amdhsa_kernarg_size 400
		.amdhsa_user_sgpr_count 14
		.amdhsa_user_sgpr_dispatch_ptr 0
		.amdhsa_user_sgpr_queue_ptr 0
		.amdhsa_user_sgpr_kernarg_segment_ptr 1
		.amdhsa_user_sgpr_dispatch_id 0
		.amdhsa_user_sgpr_private_segment_size 0
		.amdhsa_wavefront_size32 1
		.amdhsa_uses_dynamic_stack 0
		.amdhsa_enable_private_segment 0
		.amdhsa_system_sgpr_workgroup_id_x 1
		.amdhsa_system_sgpr_workgroup_id_y 0
		.amdhsa_system_sgpr_workgroup_id_z 1
		.amdhsa_system_sgpr_workgroup_info 0
		.amdhsa_system_vgpr_workitem_id 1
		.amdhsa_next_free_vgpr 41
		.amdhsa_next_free_sgpr 28
		.amdhsa_reserve_vcc 1
		.amdhsa_float_round_mode_32 0
		.amdhsa_float_round_mode_16_64 0
		.amdhsa_float_denorm_mode_32 3
		.amdhsa_float_denorm_mode_16_64 3
		.amdhsa_dx10_clamp 1
		.amdhsa_ieee_mode 1
		.amdhsa_fp16_overflow 0
		.amdhsa_workgroup_processor_mode 1
		.amdhsa_memory_ordered 1
		.amdhsa_forward_progress 0
		.amdhsa_shared_vgpr_count 0
		.amdhsa_exception_fp_ieee_invalid_op 0
		.amdhsa_exception_fp_denorm_src 0
		.amdhsa_exception_fp_ieee_div_zero 0
		.amdhsa_exception_fp_ieee_overflow 0
		.amdhsa_exception_fp_ieee_underflow 0
		.amdhsa_exception_fp_ieee_inexact 0
		.amdhsa_exception_int_div_zero 0
	.end_amdhsa_kernel
	.section	.text._ZL20rocblas_gemvn_kernelILi64ELi4Ei16rocblas_bfloat16fS0_EviiT3_lPKT2_lT1_lS4_lS5_lS1_lPT4_lS5_li,"axG",@progbits,_ZL20rocblas_gemvn_kernelILi64ELi4Ei16rocblas_bfloat16fS0_EviiT3_lPKT2_lT1_lS4_lS5_lS1_lPT4_lS5_li,comdat
.Lfunc_end544:
	.size	_ZL20rocblas_gemvn_kernelILi64ELi4Ei16rocblas_bfloat16fS0_EviiT3_lPKT2_lT1_lS4_lS5_lS1_lPT4_lS5_li, .Lfunc_end544-_ZL20rocblas_gemvn_kernelILi64ELi4Ei16rocblas_bfloat16fS0_EviiT3_lPKT2_lT1_lS4_lS5_lS1_lPT4_lS5_li
                                        ; -- End function
	.section	.AMDGPU.csdata,"",@progbits
; Kernel info:
; codeLenInByte = 3468
; NumSgprs: 30
; NumVgprs: 41
; ScratchSize: 0
; MemoryBound: 0
; FloatMode: 240
; IeeeMode: 1
; LDSByteSize: 4096 bytes/workgroup (compile time only)
; SGPRBlocks: 3
; VGPRBlocks: 5
; NumSGPRsForWavesPerEU: 30
; NumVGPRsForWavesPerEU: 41
; Occupancy: 16
; WaveLimiterHint : 1
; COMPUTE_PGM_RSRC2:SCRATCH_EN: 0
; COMPUTE_PGM_RSRC2:USER_SGPR: 14
; COMPUTE_PGM_RSRC2:TRAP_HANDLER: 0
; COMPUTE_PGM_RSRC2:TGID_X_EN: 1
; COMPUTE_PGM_RSRC2:TGID_Y_EN: 0
; COMPUTE_PGM_RSRC2:TGID_Z_EN: 1
; COMPUTE_PGM_RSRC2:TIDIG_COMP_CNT: 1
	.section	.text._ZL20rocblas_gemvn_kernelILi64ELi4El16rocblas_bfloat16fS0_EviiT3_lPKT2_lT1_lS4_lS5_lS1_lPT4_lS5_li,"axG",@progbits,_ZL20rocblas_gemvn_kernelILi64ELi4El16rocblas_bfloat16fS0_EviiT3_lPKT2_lT1_lS4_lS5_lS1_lPT4_lS5_li,comdat
	.globl	_ZL20rocblas_gemvn_kernelILi64ELi4El16rocblas_bfloat16fS0_EviiT3_lPKT2_lT1_lS4_lS5_lS1_lPT4_lS5_li ; -- Begin function _ZL20rocblas_gemvn_kernelILi64ELi4El16rocblas_bfloat16fS0_EviiT3_lPKT2_lT1_lS4_lS5_lS1_lPT4_lS5_li
	.p2align	8
	.type	_ZL20rocblas_gemvn_kernelILi64ELi4El16rocblas_bfloat16fS0_EviiT3_lPKT2_lT1_lS4_lS5_lS1_lPT4_lS5_li,@function
_ZL20rocblas_gemvn_kernelILi64ELi4El16rocblas_bfloat16fS0_EviiT3_lPKT2_lT1_lS4_lS5_lS1_lPT4_lS5_li: ; @_ZL20rocblas_gemvn_kernelILi64ELi4El16rocblas_bfloat16fS0_EviiT3_lPKT2_lT1_lS4_lS5_lS1_lPT4_lS5_li
; %bb.0:
	s_load_b64 s[2:3], s[0:1], 0x9c
	s_waitcnt lgkmcnt(0)
	s_lshr_b32 s4, s2, 16
	s_and_b32 s2, s2, 0xffff
	s_and_b32 s3, s3, 0xffff
	s_mul_i32 s2, s4, s2
	s_delay_alu instid0(SALU_CYCLE_1) | instskip(NEXT) | instid1(SALU_CYCLE_1)
	s_mul_i32 s2, s2, s3
	s_cmpk_lg_i32 s2, 0x100
	s_cbranch_scc1 .LBB545_70
; %bb.1:
	s_clause 0x1
	s_load_b128 s[36:39], s[0:1], 0x0
	s_load_b32 s35, s[0:1], 0x58
	s_mov_b32 s34, 0
	s_waitcnt lgkmcnt(0)
	v_cmp_eq_f32_e64 s2, s38, 0
	v_cmp_eq_f32_e64 s3, s35, 1.0
	s_delay_alu instid0(VALU_DEP_1) | instskip(NEXT) | instid1(SALU_CYCLE_1)
	s_and_b32 s2, s2, s3
	s_and_b32 vcc_lo, exec_lo, s2
	s_cbranch_vccnz .LBB545_70
; %bb.2:
	s_load_b256 s[4:11], s[0:1], 0x68
	v_and_b32_e32 v12, 0x3ff, v0
	v_bfe_u32 v13, v0, 10, 10
	s_delay_alu instid0(VALU_DEP_1)
	v_lshl_add_u32 v11, v13, 6, v12
	s_waitcnt lgkmcnt(0)
	s_mul_i32 s3, s15, s11
	s_mul_hi_u32 s11, s15, s10
	s_mul_i32 s2, s15, s10
	s_add_i32 s3, s11, s3
	v_cmp_neq_f32_e64 s10, s38, 0
	s_lshl_b64 s[2:3], s[2:3], 1
	s_delay_alu instid0(SALU_CYCLE_1) | instskip(SKIP_2) | instid1(SALU_CYCLE_1)
	s_add_u32 s4, s4, s2
	s_addc_u32 s11, s5, s3
	s_lshl_b64 s[2:3], s[6:7], 1
	s_add_u32 s5, s4, s2
	v_cmp_gt_u32_e64 s2, 0x100, v11
	s_addc_u32 s33, s11, s3
	s_and_b32 vcc_lo, exec_lo, s10
	s_cbranch_vccnz .LBB545_11
; %bb.3:
	s_mov_b32 s3, 0
                                        ; implicit-def: $vgpr3
                                        ; implicit-def: $vgpr0_vgpr1
	s_and_saveexec_b32 s4, s2
	s_cbranch_execz .LBB545_12
; %bb.4:
	v_lshl_or_b32 v2, s14, 8, v11
	v_mov_b32_e32 v3, 0
	s_ashr_i32 s7, s36, 31
	s_mov_b32 s6, s36
                                        ; implicit-def: $vgpr0_vgpr1
	s_delay_alu instid0(VALU_DEP_1) | instid1(SALU_CYCLE_1)
	v_cmp_gt_i64_e32 vcc_lo, s[6:7], v[2:3]
	s_mov_b32 s6, 0
                                        ; implicit-def: $vgpr3
	s_and_saveexec_b32 s2, vcc_lo
	s_cbranch_execz .LBB545_15
; %bb.5:
	v_mad_u64_u32 v[0:1], null, v2, s8, 0
	v_cmp_eq_f32_e64 s6, s35, 0
	s_delay_alu instid0(VALU_DEP_1) | instskip(NEXT) | instid1(VALU_DEP_2)
	s_and_b32 vcc_lo, exec_lo, s6
	v_mad_u64_u32 v[3:4], null, v2, s9, v[1:2]
	s_delay_alu instid0(VALU_DEP_1)
	v_mov_b32_e32 v1, v3
	s_cbranch_vccnz .LBB545_13
; %bb.6:
	s_delay_alu instid0(VALU_DEP_1) | instskip(NEXT) | instid1(VALU_DEP_1)
	v_lshlrev_b64 v[2:3], 1, v[0:1]
	v_add_co_u32 v2, vcc_lo, s5, v2
	s_delay_alu instid0(VALU_DEP_2) | instskip(SKIP_3) | instid1(VALU_DEP_1)
	v_add_co_ci_u32_e32 v3, vcc_lo, s33, v3, vcc_lo
	global_load_u16 v2, v[2:3], off
	s_waitcnt vmcnt(0)
	v_lshlrev_b32_e32 v2, 16, v2
	v_mul_f32_e32 v2, s35, v2
	s_delay_alu instid0(VALU_DEP_1) | instskip(NEXT) | instid1(VALU_DEP_1)
	v_and_b32_e32 v3, 0x7f800000, v2
	v_cmp_ne_u32_e32 vcc_lo, 0x7f800000, v3
                                        ; implicit-def: $vgpr3
	s_and_saveexec_b32 s6, vcc_lo
	s_delay_alu instid0(SALU_CYCLE_1)
	s_xor_b32 s6, exec_lo, s6
; %bb.7:
	v_bfe_u32 v3, v2, 16, 1
	s_delay_alu instid0(VALU_DEP_1)
	v_add3_u32 v3, v2, v3, 0x7fff
                                        ; implicit-def: $vgpr2
; %bb.8:
	s_and_not1_saveexec_b32 s6, s6
; %bb.9:
	v_and_b32_e32 v3, 0xffff, v2
	v_or_b32_e32 v4, 0x10000, v2
	s_delay_alu instid0(VALU_DEP_2) | instskip(NEXT) | instid1(VALU_DEP_2)
	v_cmp_eq_u32_e32 vcc_lo, 0, v3
	v_cndmask_b32_e32 v3, v4, v2, vcc_lo
; %bb.10:
	s_or_b32 exec_lo, exec_lo, s6
	s_delay_alu instid0(VALU_DEP_1)
	v_lshrrev_b32_e32 v3, 16, v3
	s_branch .LBB545_14
.LBB545_11:
                                        ; implicit-def: $vgpr3
                                        ; implicit-def: $vgpr0_vgpr1
	s_cbranch_execnz .LBB545_16
	s_branch .LBB545_68
.LBB545_12:
	s_or_b32 exec_lo, exec_lo, s4
	s_delay_alu instid0(SALU_CYCLE_1)
	s_and_b32 vcc_lo, exec_lo, s3
	s_cbranch_vccnz .LBB545_16
	s_branch .LBB545_68
.LBB545_13:
	v_mov_b32_e32 v3, 0
.LBB545_14:
	s_mov_b32 s6, exec_lo
.LBB545_15:
	s_or_b32 exec_lo, exec_lo, s2
	s_delay_alu instid0(SALU_CYCLE_1) | instskip(SKIP_1) | instid1(SALU_CYCLE_1)
	s_and_b32 s34, s6, exec_lo
	s_or_b32 exec_lo, exec_lo, s4
	s_and_b32 vcc_lo, exec_lo, s3
	s_cbranch_vccz .LBB545_68
.LBB545_16:
	s_load_b512 s[16:31], s[0:1], 0x18
	s_ashr_i32 s0, s37, 31
	s_lshl_b32 s39, s14, 8
	s_lshr_b32 s0, s0, 28
	v_dual_mov_b32 v15, 0 :: v_dual_lshlrev_b32 v18, 2, v13
	s_add_i32 s0, s37, s0
	v_dual_mov_b32 v14, 0 :: v_dual_mov_b32 v17, 0
	v_mov_b32_e32 v16, 0
	v_add_nc_u32_e32 v0, s39, v12
	s_and_b32 s40, s0, -16
	s_waitcnt lgkmcnt(0)
	s_mul_i32 s0, s15, s23
	s_mul_hi_u32 s1, s15, s22
	s_mul_i32 s2, s15, s31
	s_mul_hi_u32 s3, s15, s30
	s_mul_i32 s6, s15, s22
	s_add_i32 s7, s1, s0
	s_add_i32 s11, s3, s2
	s_mul_i32 s10, s15, s30
	s_mov_b32 s30, exec_lo
	v_cmpx_gt_i32_e64 s40, v18
	s_cbranch_execz .LBB545_28
; %bb.17:
	v_lshlrev_b32_e32 v29, 2, v13
	v_mad_u64_u32 v[2:3], null, s28, v13, 0
	v_add_nc_u32_e32 v15, 0x80, v0
	s_lshl_b64 s[0:1], s[10:11], 1
	s_delay_alu instid0(VALU_DEP_3)
	v_or_b32_e32 v16, 3, v29
	s_lshl_b64 s[12:13], s[26:27], 1
	s_add_u32 s4, s24, s0
	s_addc_u32 s31, s25, s1
	v_cmp_gt_i32_e64 s1, s36, v15
	v_mad_u64_u32 v[4:5], null, s20, v16, 0
	s_lshl_b64 s[22:23], s[18:19], 1
	s_lshl_b64 s[14:15], s[28:29], 5
	;; [unrolled: 1-line block ×3, first 2 shown]
	v_ashrrev_i32_e32 v1, 31, v0
	v_cmp_gt_i32_e32 vcc_lo, s36, v0
	s_delay_alu instid0(VALU_DEP_3) | instskip(SKIP_2) | instid1(VALU_DEP_3)
	v_mad_u64_u32 v[6:7], null, s29, v13, v[3:4]
	v_add_nc_u32_e32 v14, 64, v0
	v_mad_u64_u32 v[7:8], null, s28, v16, 0
	v_mov_b32_e32 v3, v6
	v_mad_u64_u32 v[9:10], null, s21, v16, v[5:6]
	s_delay_alu instid0(VALU_DEP_4) | instskip(NEXT) | instid1(VALU_DEP_3)
	v_cmp_gt_i32_e64 s0, s36, v14
	v_lshlrev_b64 v[14:15], 3, v[2:3]
	v_mov_b32_e32 v3, v8
	v_lshlrev_b64 v[1:2], 1, v[0:1]
	v_mov_b32_e32 v5, v9
	v_mad_u64_u32 v[9:10], null, s20, v13, 0
	v_add_co_u32 v19, s3, s4, v14
	s_delay_alu instid0(VALU_DEP_3) | instskip(SKIP_4) | instid1(VALU_DEP_2)
	v_lshlrev_b64 v[4:5], 1, v[4:5]
	v_add_co_ci_u32_e64 v20, s3, s31, v15, s3
	s_add_u32 s3, s16, s22
	s_addc_u32 s22, s17, s23
	s_add_u32 s23, s3, s42
	v_mad_u64_u32 v[14:15], null, s29, v16, v[3:4]
	v_mov_b32_e32 v3, v10
	s_addc_u32 s22, s22, s43
	v_add_co_u32 v21, s3, s23, v4
	s_delay_alu instid0(VALU_DEP_1) | instskip(NEXT) | instid1(VALU_DEP_4)
	v_add_co_ci_u32_e64 v22, s3, s22, v5, s3
	v_mov_b32_e32 v8, v14
	v_or_b32_e32 v23, 2, v29
	v_mad_u64_u32 v[31:32], null, s20, v29, s[20:21]
	s_delay_alu instid0(VALU_DEP_2) | instskip(SKIP_1) | instid1(VALU_DEP_2)
	v_mad_u64_u32 v[27:28], null, s28, v23, 0
	v_mad_u64_u32 v[14:15], null, s20, v23, 0
	v_dual_mov_b32 v6, v28 :: v_dual_add_nc_u32 v17, 0xc0, v0
	s_delay_alu instid0(VALU_DEP_1) | instskip(SKIP_3) | instid1(VALU_DEP_1)
	v_cmp_gt_i32_e64 s2, s36, v17
	v_mad_u64_u32 v[16:17], null, s21, v13, v[3:4]
	v_lshlrev_b64 v[4:5], 1, v[7:8]
	v_mov_b32_e32 v3, v15
	v_mad_u64_u32 v[7:8], null, s21, v23, v[3:4]
	s_delay_alu instid0(VALU_DEP_4) | instskip(SKIP_1) | instid1(VALU_DEP_3)
	v_mov_b32_e32 v10, v16
	v_mad_u64_u32 v[16:17], null, s28, v29, s[28:29]
	v_mad_u64_u32 v[25:26], null, s29, v23, v[6:7]
	v_add_co_u32 v23, s3, s4, v4
	s_delay_alu instid0(VALU_DEP_1) | instskip(SKIP_3) | instid1(VALU_DEP_3)
	v_add_co_ci_u32_e64 v24, s3, s31, v5, s3
	v_lshlrev_b64 v[4:5], 3, v[9:10]
	v_mov_b32_e32 v3, v17
	v_dual_mov_b32 v15, v7 :: v_dual_mov_b32 v28, v25
	v_add_co_u32 v25, s3, s23, v4
	s_delay_alu instid0(VALU_DEP_3) | instskip(SKIP_1) | instid1(VALU_DEP_4)
	v_mad_u64_u32 v[6:7], null, s29, v29, v[3:4]
	v_add_co_ci_u32_e64 v26, s3, s22, v5, s3
	v_lshlrev_b64 v[4:5], 1, v[14:15]
	v_dual_mov_b32 v3, v32 :: v_dual_mov_b32 v14, 0
	v_mov_b32_e32 v15, 0
	v_mov_b32_e32 v17, v6
	s_delay_alu instid0(VALU_DEP_3) | instskip(SKIP_2) | instid1(VALU_DEP_4)
	v_mad_u64_u32 v[7:8], null, s21, v29, v[3:4]
	v_lshlrev_b64 v[8:9], 1, v[27:28]
	v_add_co_u32 v27, s3, s23, v4
	v_lshlrev_b64 v[3:4], 1, v[16:17]
	v_mov_b32_e32 v16, 0
	v_add_co_ci_u32_e64 v28, s3, s22, v5, s3
	v_mov_b32_e32 v32, v7
	v_add_co_u32 v29, s3, s4, v8
	s_delay_alu instid0(VALU_DEP_1) | instskip(NEXT) | instid1(VALU_DEP_3)
	v_add_co_ci_u32_e64 v30, s3, s31, v9, s3
	v_lshlrev_b64 v[5:6], 1, v[31:32]
	v_add_co_u32 v31, s3, s4, v3
	s_delay_alu instid0(VALU_DEP_1) | instskip(SKIP_1) | instid1(VALU_DEP_4)
	v_add_co_ci_u32_e64 v32, s3, s31, v4, s3
	v_mov_b32_e32 v17, 0
	v_add_co_u32 v33, s3, s23, v5
	s_delay_alu instid0(VALU_DEP_1)
	v_add_co_ci_u32_e64 v34, s3, s22, v6, s3
	s_lshl_b64 s[22:23], s[20:21], 5
	s_mov_b32 s31, 0
	s_branch .LBB545_22
.LBB545_18:                             ;   in Loop: Header=BB545_22 Depth=1
	s_or_b32 exec_lo, exec_lo, s42
	s_waitcnt vmcnt(2)
	v_lshlrev_b32_e32 v4, 16, v49
	v_lshlrev_b32_e32 v3, 16, v50
	s_waitcnt vmcnt(1)
	s_delay_alu instid0(VALU_DEP_1) | instskip(NEXT) | instid1(VALU_DEP_1)
	v_dual_fmac_f32 v16, v42, v3 :: v_dual_lshlrev_b32 v3, 16, v48
	v_fmac_f32_e32 v16, v40, v4
	s_delay_alu instid0(VALU_DEP_1) | instskip(SKIP_2) | instid1(VALU_DEP_1)
	v_fmac_f32_e32 v16, v38, v3
	s_waitcnt vmcnt(0)
	v_lshlrev_b32_e32 v3, 16, v47
	v_fmac_f32_e32 v16, v37, v3
.LBB545_19:                             ;   in Loop: Header=BB545_22 Depth=1
	s_or_b32 exec_lo, exec_lo, s41
	s_waitcnt vmcnt(3)
	v_lshlrev_b32_e32 v3, 16, v46
	s_waitcnt vmcnt(2)
	s_delay_alu instid0(VALU_DEP_1) | instskip(SKIP_2) | instid1(VALU_DEP_2)
	v_dual_fmac_f32 v15, v42, v3 :: v_dual_lshlrev_b32 v4, 16, v45
	s_waitcnt vmcnt(1)
	v_lshlrev_b32_e32 v3, 16, v44
	v_fmac_f32_e32 v15, v40, v4
	s_delay_alu instid0(VALU_DEP_1) | instskip(SKIP_2) | instid1(VALU_DEP_1)
	v_fmac_f32_e32 v15, v38, v3
	s_waitcnt vmcnt(0)
	v_lshlrev_b32_e32 v3, 16, v43
	v_fmac_f32_e32 v15, v37, v3
.LBB545_20:                             ;   in Loop: Header=BB545_22 Depth=1
	s_or_b32 exec_lo, exec_lo, s3
	s_waitcnt vmcnt(2)
	v_lshlrev_b32_e32 v4, 16, v39
	v_lshlrev_b32_e32 v3, 16, v41
	s_waitcnt vmcnt(1)
	s_delay_alu instid0(VALU_DEP_1) | instskip(NEXT) | instid1(VALU_DEP_1)
	v_dual_fmac_f32 v14, v42, v3 :: v_dual_lshlrev_b32 v3, 16, v36
	v_fmac_f32_e32 v14, v40, v4
	s_delay_alu instid0(VALU_DEP_1) | instskip(SKIP_2) | instid1(VALU_DEP_1)
	v_fmac_f32_e32 v14, v38, v3
	s_waitcnt vmcnt(0)
	v_lshlrev_b32_e32 v3, 16, v35
	v_fmac_f32_e32 v14, v37, v3
.LBB545_21:                             ;   in Loop: Header=BB545_22 Depth=1
	s_or_b32 exec_lo, exec_lo, s4
	v_add_co_u32 v19, s3, v19, s14
	s_delay_alu instid0(VALU_DEP_1) | instskip(SKIP_1) | instid1(VALU_DEP_1)
	v_add_co_ci_u32_e64 v20, s3, s15, v20, s3
	v_add_co_u32 v21, s3, v21, s22
	v_add_co_ci_u32_e64 v22, s3, s23, v22, s3
	v_add_co_u32 v23, s3, v23, s14
	s_delay_alu instid0(VALU_DEP_1) | instskip(SKIP_1) | instid1(VALU_DEP_1)
	v_add_co_ci_u32_e64 v24, s3, s15, v24, s3
	v_add_co_u32 v25, s3, v25, s22
	v_add_co_ci_u32_e64 v26, s3, s23, v26, s3
	v_add_co_u32 v27, s3, v27, s22
	s_delay_alu instid0(VALU_DEP_1) | instskip(SKIP_4) | instid1(VALU_DEP_1)
	v_add_co_ci_u32_e64 v28, s3, s23, v28, s3
	v_add_co_u32 v29, s3, v29, s14
	v_add_nc_u32_e32 v18, 16, v18
	v_add_co_ci_u32_e64 v30, s3, s15, v30, s3
	v_add_co_u32 v31, s3, v31, s14
	v_add_co_ci_u32_e64 v32, s3, s15, v32, s3
	s_delay_alu instid0(VALU_DEP_4) | instskip(SKIP_1) | instid1(VALU_DEP_1)
	v_cmp_le_i32_e64 s3, s40, v18
	v_add_co_u32 v33, s4, v33, s22
	v_add_co_ci_u32_e64 v34, s4, s23, v34, s4
	s_delay_alu instid0(VALU_DEP_3) | instskip(NEXT) | instid1(SALU_CYCLE_1)
	s_or_b32 s31, s3, s31
	s_and_not1_b32 exec_lo, exec_lo, s31
	s_cbranch_execz .LBB545_27
.LBB545_22:                             ; =>This Inner Loop Header: Depth=1
	s_and_saveexec_b32 s4, vcc_lo
	s_cbranch_execz .LBB545_21
; %bb.23:                               ;   in Loop: Header=BB545_22 Depth=1
	v_add_co_u32 v3, s3, v19, s12
	s_delay_alu instid0(VALU_DEP_1) | instskip(SKIP_1) | instid1(VALU_DEP_1)
	v_add_co_ci_u32_e64 v4, s3, s13, v20, s3
	v_add_co_u32 v5, s3, v31, s12
	v_add_co_ci_u32_e64 v6, s3, s13, v32, s3
	v_add_co_u32 v7, s3, v29, s12
	s_delay_alu instid0(VALU_DEP_1) | instskip(SKIP_1) | instid1(VALU_DEP_1)
	v_add_co_ci_u32_e64 v8, s3, s13, v30, s3
	v_add_co_u32 v9, s3, v23, s12
	v_add_co_ci_u32_e64 v10, s3, s13, v24, s3
	global_load_u16 v37, v[3:4], off
	global_load_u16 v38, v[5:6], off
	;; [unrolled: 1-line block ×4, first 2 shown]
	v_add_co_u32 v3, s3, v25, v1
	s_delay_alu instid0(VALU_DEP_1) | instskip(SKIP_1) | instid1(VALU_DEP_1)
	v_add_co_ci_u32_e64 v4, s3, v26, v2, s3
	v_add_co_u32 v5, s3, v33, v1
	v_add_co_ci_u32_e64 v6, s3, v34, v2, s3
	v_add_co_u32 v7, s3, v27, v1
	s_delay_alu instid0(VALU_DEP_1) | instskip(SKIP_1) | instid1(VALU_DEP_1)
	v_add_co_ci_u32_e64 v8, s3, v28, v2, s3
	v_add_co_u32 v9, s3, v21, v1
	v_add_co_ci_u32_e64 v10, s3, v22, v2, s3
	global_load_u16 v41, v[3:4], off
	global_load_u16 v39, v[5:6], off
	;; [unrolled: 1-line block ×4, first 2 shown]
	s_waitcnt vmcnt(7)
	v_lshlrev_b32_e32 v42, 16, v37
	s_waitcnt vmcnt(6)
	v_lshlrev_b32_e32 v40, 16, v38
	;; [unrolled: 2-line block ×4, first 2 shown]
	s_and_saveexec_b32 s3, s0
	s_cbranch_execz .LBB545_20
; %bb.24:                               ;   in Loop: Header=BB545_22 Depth=1
	global_load_u16 v46, v[3:4], off offset:128
	global_load_u16 v45, v[5:6], off offset:128
	global_load_u16 v44, v[7:8], off offset:128
	global_load_u16 v43, v[9:10], off offset:128
	s_and_saveexec_b32 s41, s1
	s_cbranch_execz .LBB545_19
; %bb.25:                               ;   in Loop: Header=BB545_22 Depth=1
	global_load_u16 v50, v[3:4], off offset:256
	global_load_u16 v49, v[5:6], off offset:256
	global_load_u16 v48, v[7:8], off offset:256
	global_load_u16 v47, v[9:10], off offset:256
	;; [unrolled: 7-line block ×3, first 2 shown]
	s_waitcnt vmcnt(3)
	v_lshlrev_b32_e32 v3, 16, v3
	s_waitcnt vmcnt(2)
	s_delay_alu instid0(VALU_DEP_1) | instskip(SKIP_2) | instid1(VALU_DEP_2)
	v_dual_fmac_f32 v17, v42, v3 :: v_dual_lshlrev_b32 v4, 16, v4
	s_waitcnt vmcnt(1)
	v_lshlrev_b32_e32 v3, 16, v5
	v_fmac_f32_e32 v17, v40, v4
	s_delay_alu instid0(VALU_DEP_1) | instskip(SKIP_2) | instid1(VALU_DEP_1)
	v_fmac_f32_e32 v17, v38, v3
	s_waitcnt vmcnt(0)
	v_lshlrev_b32_e32 v3, 16, v6
	v_fmac_f32_e32 v17, v37, v3
	s_branch .LBB545_18
.LBB545_27:
	s_or_b32 exec_lo, exec_lo, s31
.LBB545_28:
	s_delay_alu instid0(SALU_CYCLE_1) | instskip(SKIP_1) | instid1(SALU_CYCLE_1)
	s_or_b32 exec_lo, exec_lo, s30
	s_sub_i32 s0, s37, s40
	s_cmp_lt_i32 s0, 1
	s_cbranch_scc1 .LBB545_46
; %bb.29:
	v_cmp_gt_i32_e32 vcc_lo, s37, v18
	v_dual_mov_b32 v9, 0 :: v_dual_mov_b32 v10, 0
	v_or_b32_e32 v2, 1, v18
	v_dual_mov_b32 v19, 0 :: v_dual_mov_b32 v20, 0
	s_and_saveexec_b32 s1, vcc_lo
	s_cbranch_execz .LBB545_37
; %bb.30:
	v_mad_u64_u32 v[3:4], null, v18, s28, 0
	s_lshl_b64 s[2:3], s[10:11], 1
	v_mov_b32_e32 v19, 0
	s_add_u32 s0, s24, s2
	s_addc_u32 s2, s25, s3
	s_lshl_b64 s[10:11], s[26:27], 1
	v_mov_b32_e32 v9, 0
	s_delay_alu instid0(VALU_DEP_3) | instskip(SKIP_3) | instid1(VALU_DEP_1)
	v_dual_mov_b32 v1, v4 :: v_dual_mov_b32 v10, 0
	s_add_u32 s3, s0, s10
	s_addc_u32 s4, s2, s11
	s_mov_b32 s2, exec_lo
	v_mad_u64_u32 v[4:5], null, v18, s29, v[1:2]
	s_delay_alu instid0(VALU_DEP_1) | instskip(NEXT) | instid1(VALU_DEP_1)
	v_lshlrev_b64 v[3:4], 1, v[3:4]
	v_add_co_u32 v3, s0, s3, v3
	s_delay_alu instid0(VALU_DEP_1)
	v_add_co_ci_u32_e64 v4, s0, s4, v4, s0
	global_load_u16 v1, v[3:4], off
	v_cmpx_gt_i32_e64 s37, v2
	s_cbranch_execz .LBB545_36
; %bb.31:
	v_mad_u64_u32 v[3:4], null, v2, s28, 0
	v_mov_b32_e32 v10, 0
	s_mov_b32 s10, exec_lo
	v_mov_b32_e32 v9, 0
	s_delay_alu instid0(VALU_DEP_3) | instskip(NEXT) | instid1(VALU_DEP_1)
	v_mad_u64_u32 v[5:6], null, v2, s29, v[4:5]
	v_mov_b32_e32 v4, v5
	s_delay_alu instid0(VALU_DEP_1) | instskip(NEXT) | instid1(VALU_DEP_1)
	v_lshlrev_b64 v[3:4], 1, v[3:4]
	v_add_co_u32 v3, s0, s3, v3
	s_delay_alu instid0(VALU_DEP_1) | instskip(SKIP_2) | instid1(VALU_DEP_1)
	v_add_co_ci_u32_e64 v4, s0, s4, v4, s0
	global_load_u16 v3, v[3:4], off
	v_or_b32_e32 v4, 2, v18
	v_cmpx_gt_i32_e64 s37, v4
	s_cbranch_execz .LBB545_35
; %bb.32:
	v_mad_u64_u32 v[5:6], null, v4, s28, 0
	s_mov_b32 s11, exec_lo
	v_mov_b32_e32 v9, 0
	s_delay_alu instid0(VALU_DEP_2) | instskip(NEXT) | instid1(VALU_DEP_1)
	v_mad_u64_u32 v[7:8], null, v4, s29, v[6:7]
	v_mov_b32_e32 v6, v7
	s_delay_alu instid0(VALU_DEP_1) | instskip(NEXT) | instid1(VALU_DEP_1)
	v_lshlrev_b64 v[4:5], 1, v[5:6]
	v_add_co_u32 v4, s0, s3, v4
	s_delay_alu instid0(VALU_DEP_1) | instskip(SKIP_2) | instid1(VALU_DEP_1)
	v_add_co_ci_u32_e64 v5, s0, s4, v5, s0
	global_load_u16 v4, v[4:5], off
	v_or_b32_e32 v5, 3, v18
	v_cmpx_gt_i32_e64 s37, v5
	s_cbranch_execz .LBB545_34
; %bb.33:
	v_mad_u64_u32 v[6:7], null, v5, s28, 0
	s_delay_alu instid0(VALU_DEP_1) | instskip(NEXT) | instid1(VALU_DEP_1)
	v_mad_u64_u32 v[8:9], null, v5, s29, v[7:8]
	v_mov_b32_e32 v7, v8
	s_delay_alu instid0(VALU_DEP_1) | instskip(NEXT) | instid1(VALU_DEP_1)
	v_lshlrev_b64 v[5:6], 1, v[6:7]
	v_add_co_u32 v5, s0, s3, v5
	s_delay_alu instid0(VALU_DEP_1)
	v_add_co_ci_u32_e64 v6, s0, s4, v6, s0
	global_load_u16 v5, v[5:6], off
	s_waitcnt vmcnt(0)
	v_lshlrev_b32_e32 v9, 16, v5
.LBB545_34:
	s_or_b32 exec_lo, exec_lo, s11
	s_waitcnt vmcnt(0)
	v_lshlrev_b32_e32 v10, 16, v4
.LBB545_35:
	s_or_b32 exec_lo, exec_lo, s10
	s_waitcnt vmcnt(0)
	v_lshlrev_b32_e32 v19, 16, v3
.LBB545_36:
	s_or_b32 exec_lo, exec_lo, s2
	s_waitcnt vmcnt(0)
	v_lshlrev_b32_e32 v20, 16, v1
.LBB545_37:
	s_or_b32 exec_lo, exec_lo, s1
	s_delay_alu instid0(SALU_CYCLE_1)
	s_mov_b32 s1, exec_lo
	v_cmpx_gt_i32_e64 s36, v0
	s_cbranch_execz .LBB545_45
; %bb.38:
	v_mad_u64_u32 v[3:4], null, v18, s20, 0
	v_mad_u64_u32 v[5:6], null, v2, s20, 0
	v_ashrrev_i32_e32 v1, 31, v0
	s_lshl_b64 s[2:3], s[6:7], 1
	v_or_b32_e32 v28, 2, v18
	s_add_u32 s0, s16, s2
	s_delay_alu instid0(VALU_DEP_4)
	v_cndmask_b32_e32 v3, 0, v3, vcc_lo
	v_lshlrev_b64 v[21:22], 1, v[0:1]
	v_mad_u64_u32 v[7:8], null, v18, s21, v[4:5]
	s_addc_u32 s4, s17, s3
	s_lshl_b64 s[2:3], s[18:19], 1
	v_or_b32_e32 v18, 3, v18
	s_add_u32 s2, s0, s2
	v_mov_b32_e32 v1, v6
	v_mad_u64_u32 v[23:24], null, v28, s20, 0
	s_delay_alu instid0(VALU_DEP_4) | instskip(SKIP_1) | instid1(VALU_DEP_4)
	v_cndmask_b32_e32 v4, 0, v7, vcc_lo
	v_cmp_gt_i32_e32 vcc_lo, s37, v2
	v_mad_u64_u32 v[25:26], null, v2, s21, v[1:2]
	s_addc_u32 s3, s4, s3
	v_mad_u64_u32 v[6:7], null, v18, s20, 0
	v_cndmask_b32_e32 v26, 0, v5, vcc_lo
	v_lshlrev_b64 v[3:4], 1, v[3:4]
	s_delay_alu instid0(VALU_DEP_4) | instskip(NEXT) | instid1(VALU_DEP_2)
	v_cndmask_b32_e32 v27, 0, v25, vcc_lo
	v_add_co_u32 v1, s0, s2, v3
	s_delay_alu instid0(VALU_DEP_1) | instskip(NEXT) | instid1(VALU_DEP_3)
	v_add_co_ci_u32_e64 v2, s0, s3, v4, s0
	v_lshlrev_b64 v[3:4], 1, v[26:27]
	s_delay_alu instid0(VALU_DEP_3) | instskip(NEXT) | instid1(VALU_DEP_3)
	v_add_co_u32 v1, vcc_lo, v1, v21
	v_add_co_ci_u32_e32 v2, vcc_lo, v2, v22, vcc_lo
	v_cmp_gt_i32_e32 vcc_lo, s37, v28
	v_mov_b32_e32 v5, v24
	v_add_co_u32 v3, s0, s2, v3
	s_delay_alu instid0(VALU_DEP_1) | instskip(NEXT) | instid1(VALU_DEP_3)
	v_add_co_ci_u32_e64 v4, s0, s3, v4, s0
	v_mad_u64_u32 v[24:25], null, v28, s21, v[5:6]
	s_delay_alu instid0(VALU_DEP_3) | instskip(SKIP_1) | instid1(VALU_DEP_4)
	v_add_co_u32 v3, s0, v3, v21
	v_mov_b32_e32 v5, v7
	v_add_co_ci_u32_e64 v4, s0, v4, v22, s0
	s_delay_alu instid0(VALU_DEP_4) | instskip(NEXT) | instid1(VALU_DEP_3)
	v_dual_cndmask_b32 v7, 0, v23 :: v_dual_cndmask_b32 v8, 0, v24
	v_mad_u64_u32 v[25:26], null, v18, s21, v[5:6]
	v_cmp_gt_i32_e32 vcc_lo, s37, v18
	s_clause 0x1
	global_load_u16 v18, v[1:2], off
	global_load_u16 v23, v[3:4], off
	s_mov_b32 s0, exec_lo
	s_waitcnt vmcnt(1)
	v_lshlrev_b32_e32 v18, 16, v18
	s_waitcnt vmcnt(0)
	s_delay_alu instid0(VALU_DEP_1) | instskip(SKIP_2) | instid1(VALU_DEP_3)
	v_dual_fmac_f32 v14, v20, v18 :: v_dual_lshlrev_b32 v23, 16, v23
	v_dual_cndmask_b32 v5, 0, v6 :: v_dual_cndmask_b32 v6, 0, v25
	v_lshlrev_b64 v[7:8], 1, v[7:8]
	v_dual_fmac_f32 v14, v19, v23 :: v_dual_add_nc_u32 v23, 64, v0
	s_delay_alu instid0(VALU_DEP_3) | instskip(NEXT) | instid1(VALU_DEP_3)
	v_lshlrev_b64 v[5:6], 1, v[5:6]
	v_add_co_u32 v7, vcc_lo, s2, v7
	s_delay_alu instid0(VALU_DEP_4) | instskip(NEXT) | instid1(VALU_DEP_3)
	v_add_co_ci_u32_e32 v8, vcc_lo, s3, v8, vcc_lo
	v_add_co_u32 v5, vcc_lo, s2, v5
	s_delay_alu instid0(VALU_DEP_4) | instskip(NEXT) | instid1(VALU_DEP_4)
	v_add_co_ci_u32_e32 v6, vcc_lo, s3, v6, vcc_lo
	v_add_co_u32 v7, vcc_lo, v7, v21
	s_delay_alu instid0(VALU_DEP_4) | instskip(NEXT) | instid1(VALU_DEP_4)
	v_add_co_ci_u32_e32 v8, vcc_lo, v8, v22, vcc_lo
	v_add_co_u32 v5, vcc_lo, v5, v21
	s_delay_alu instid0(VALU_DEP_4)
	v_add_co_ci_u32_e32 v6, vcc_lo, v6, v22, vcc_lo
	s_clause 0x1
	global_load_u16 v21, v[7:8], off
	global_load_u16 v22, v[5:6], off
	s_waitcnt vmcnt(1)
	v_lshlrev_b32_e32 v21, 16, v21
	s_waitcnt vmcnt(0)
	v_lshlrev_b32_e32 v18, 16, v22
	s_delay_alu instid0(VALU_DEP_2)
	v_fmac_f32_e32 v14, v10, v21
	v_cmpx_gt_i32_e64 s36, v23
	s_cbranch_execz .LBB545_44
; %bb.39:
	s_clause 0x3
	global_load_u16 v21, v[1:2], off offset:128
	global_load_u16 v22, v[3:4], off offset:128
	;; [unrolled: 1-line block ×4, first 2 shown]
	s_mov_b32 s2, exec_lo
	s_waitcnt vmcnt(3)
	v_lshlrev_b32_e32 v21, 16, v21
	s_waitcnt vmcnt(2)
	v_lshlrev_b32_e32 v22, 16, v22
	;; [unrolled: 2-line block ×3, first 2 shown]
	v_fmac_f32_e32 v15, v20, v21
	s_waitcnt vmcnt(0)
	v_lshlrev_b32_e32 v21, 16, v24
	s_delay_alu instid0(VALU_DEP_2) | instskip(NEXT) | instid1(VALU_DEP_1)
	v_dual_fmac_f32 v15, v19, v22 :: v_dual_add_nc_u32 v22, 0x80, v0
	v_fmac_f32_e32 v15, v10, v23
	s_delay_alu instid0(VALU_DEP_2)
	v_cmpx_gt_i32_e64 s36, v22
	s_cbranch_execz .LBB545_43
; %bb.40:
	s_clause 0x3
	global_load_u16 v22, v[1:2], off offset:256
	global_load_u16 v23, v[3:4], off offset:256
	global_load_u16 v24, v[7:8], off offset:256
	global_load_u16 v25, v[5:6], off offset:256
	s_mov_b32 s3, exec_lo
	s_waitcnt vmcnt(3)
	v_lshlrev_b32_e32 v22, 16, v22
	s_waitcnt vmcnt(2)
	s_delay_alu instid0(VALU_DEP_1) | instskip(SKIP_2) | instid1(VALU_DEP_2)
	v_dual_fmac_f32 v16, v20, v22 :: v_dual_lshlrev_b32 v23, 16, v23
	s_waitcnt vmcnt(1)
	v_lshlrev_b32_e32 v22, 16, v24
	v_dual_fmac_f32 v16, v19, v23 :: v_dual_add_nc_u32 v23, 0xc0, v0
	s_waitcnt vmcnt(0)
	v_lshlrev_b32_e32 v0, 16, v25
	s_delay_alu instid0(VALU_DEP_2) | instskip(NEXT) | instid1(VALU_DEP_3)
	v_fmac_f32_e32 v16, v10, v22
	v_cmpx_gt_i32_e64 s36, v23
	s_cbranch_execz .LBB545_42
; %bb.41:
	s_clause 0x3
	global_load_u16 v1, v[1:2], off offset:384
	global_load_u16 v2, v[3:4], off offset:384
	;; [unrolled: 1-line block ×4, first 2 shown]
	s_waitcnt vmcnt(3)
	v_lshlrev_b32_e32 v1, 16, v1
	s_waitcnt vmcnt(2)
	s_delay_alu instid0(VALU_DEP_1) | instskip(SKIP_2) | instid1(VALU_DEP_2)
	v_dual_fmac_f32 v17, v20, v1 :: v_dual_lshlrev_b32 v2, 16, v2
	s_waitcnt vmcnt(1)
	v_lshlrev_b32_e32 v1, 16, v3
	v_fmac_f32_e32 v17, v19, v2
	s_delay_alu instid0(VALU_DEP_1) | instskip(SKIP_2) | instid1(VALU_DEP_1)
	v_fmac_f32_e32 v17, v10, v1
	s_waitcnt vmcnt(0)
	v_lshlrev_b32_e32 v1, 16, v4
	v_fmac_f32_e32 v17, v9, v1
.LBB545_42:
	s_or_b32 exec_lo, exec_lo, s3
	s_delay_alu instid0(VALU_DEP_2)
	v_fmac_f32_e32 v16, v9, v0
.LBB545_43:
	s_or_b32 exec_lo, exec_lo, s2
	s_delay_alu instid0(VALU_DEP_2)
	v_fmac_f32_e32 v15, v9, v21
.LBB545_44:
	s_or_b32 exec_lo, exec_lo, s0
	s_delay_alu instid0(VALU_DEP_2)
	v_fmac_f32_e32 v14, v9, v18
.LBB545_45:
	s_or_b32 exec_lo, exec_lo, s1
.LBB545_46:
	v_lshlrev_b32_e32 v0, 8, v13
	s_mov_b32 s0, exec_lo
                                        ; implicit-def: $vgpr3
	s_delay_alu instid0(VALU_DEP_1)
	v_add_lshl_u32 v0, v0, v12, 2
	ds_store_2addr_stride64_b32 v0, v14, v15 offset1:1
	ds_store_2addr_stride64_b32 v0, v16, v17 offset0:2 offset1:3
	s_waitcnt lgkmcnt(0)
	s_barrier
	buffer_gl0_inv
                                        ; implicit-def: $vgpr0_vgpr1
	v_cmpx_gt_u32_e32 0x100, v11
	s_cbranch_execz .LBB545_67
; %bb.47:
	v_lshlrev_b32_e32 v5, 2, v11
	s_mov_b32 s2, s34
	s_mov_b32 s1, exec_lo
	ds_load_2addr_stride64_b32 v[0:1], v5 offset1:4
	ds_load_2addr_stride64_b32 v[2:3], v5 offset0:8 offset1:12
	s_waitcnt lgkmcnt(1)
	v_add_f32_e32 v0, v0, v1
	s_waitcnt lgkmcnt(0)
	s_delay_alu instid0(VALU_DEP_1) | instskip(SKIP_1) | instid1(VALU_DEP_2)
	v_add_f32_e32 v0, v2, v0
	v_or_b32_e32 v2, s39, v11
	v_add_f32_e32 v4, v3, v0
                                        ; implicit-def: $vgpr3
                                        ; implicit-def: $vgpr0_vgpr1
	ds_store_b32 v5, v4
	v_cmpx_gt_i32_e64 s36, v2
	s_cbranch_execz .LBB545_66
; %bb.48:
	v_cmp_eq_f32_e64 s2, s35, 0
	v_mul_f32_e32 v0, s38, v4
	s_delay_alu instid0(VALU_DEP_2)
	s_and_b32 vcc_lo, exec_lo, s2
	s_cbranch_vccz .LBB545_54
; %bb.49:
	s_delay_alu instid0(VALU_DEP_1) | instskip(SKIP_1) | instid1(VALU_DEP_1)
	v_and_b32_e32 v1, 0x7f800000, v0
	s_mov_b32 s2, exec_lo
                                        ; implicit-def: $vgpr3
	v_cmpx_ne_u32_e32 0x7f800000, v1
	s_xor_b32 s2, exec_lo, s2
; %bb.50:
	v_bfe_u32 v1, v0, 16, 1
	s_delay_alu instid0(VALU_DEP_1)
	v_add3_u32 v3, v0, v1, 0x7fff
; %bb.51:
	s_and_not1_saveexec_b32 s2, s2
; %bb.52:
	v_and_b32_e32 v1, 0xffff, v0
	v_or_b32_e32 v3, 0x10000, v0
	s_delay_alu instid0(VALU_DEP_2) | instskip(NEXT) | instid1(VALU_DEP_2)
	v_cmp_eq_u32_e32 vcc_lo, 0, v1
	v_cndmask_b32_e32 v3, v3, v0, vcc_lo
; %bb.53:
	s_or_b32 exec_lo, exec_lo, s2
	s_mov_b32 s2, 0
	s_branch .LBB545_55
.LBB545_54:
	s_mov_b32 s2, -1
                                        ; implicit-def: $vgpr3
.LBB545_55:
	v_ashrrev_i32_e32 v1, 31, v2
	v_mul_lo_u32 v4, v2, s9
	s_and_not1_b32 vcc_lo, exec_lo, s2
	s_delay_alu instid0(VALU_DEP_2)
	v_mul_lo_u32 v5, v1, s8
	s_cbranch_vccnz .LBB545_65
; %bb.56:
	v_mad_u64_u32 v[6:7], null, v2, s8, 0
	s_delay_alu instid0(VALU_DEP_1) | instskip(NEXT) | instid1(VALU_DEP_1)
	v_add3_u32 v7, v7, v4, v5
	v_lshlrev_b64 v[6:7], 1, v[6:7]
	s_delay_alu instid0(VALU_DEP_1) | instskip(NEXT) | instid1(VALU_DEP_2)
	v_add_co_u32 v6, vcc_lo, s5, v6
	v_add_co_ci_u32_e32 v7, vcc_lo, s33, v7, vcc_lo
	global_load_u16 v1, v[6:7], off
	s_waitcnt vmcnt(0)
	v_lshlrev_b32_e32 v1, 16, v1
	s_delay_alu instid0(VALU_DEP_1) | instskip(NEXT) | instid1(VALU_DEP_1)
	v_mul_f32_e32 v1, s35, v1
	v_and_b32_e32 v3, 0x7f800000, v1
	s_delay_alu instid0(VALU_DEP_1) | instskip(SKIP_1) | instid1(SALU_CYCLE_1)
	v_cmp_ne_u32_e32 vcc_lo, 0x7f800000, v3
                                        ; implicit-def: $vgpr3
	s_and_saveexec_b32 s2, vcc_lo
	s_xor_b32 s2, exec_lo, s2
; %bb.57:
	v_bfe_u32 v3, v1, 16, 1
	s_delay_alu instid0(VALU_DEP_1)
	v_add3_u32 v3, v1, v3, 0x7fff
                                        ; implicit-def: $vgpr1
; %bb.58:
	s_and_not1_saveexec_b32 s2, s2
; %bb.59:
	v_and_b32_e32 v3, 0xffff, v1
	v_or_b32_e32 v6, 0x10000, v1
	s_delay_alu instid0(VALU_DEP_2) | instskip(NEXT) | instid1(VALU_DEP_2)
	v_cmp_eq_u32_e32 vcc_lo, 0, v3
	v_cndmask_b32_e32 v3, v6, v1, vcc_lo
; %bb.60:
	s_or_b32 exec_lo, exec_lo, s2
	s_delay_alu instid0(VALU_DEP_1) | instskip(SKIP_1) | instid1(VALU_DEP_1)
	v_and_b32_e32 v1, 0xffff0000, v3
	s_mov_b32 s2, exec_lo
                                        ; implicit-def: $vgpr3
	v_add_f32_e32 v0, v0, v1
	s_delay_alu instid0(VALU_DEP_1) | instskip(NEXT) | instid1(VALU_DEP_1)
	v_and_b32_e32 v1, 0x7f800000, v0
	v_cmpx_ne_u32_e32 0x7f800000, v1
	s_xor_b32 s2, exec_lo, s2
; %bb.61:
	v_bfe_u32 v1, v0, 16, 1
	s_delay_alu instid0(VALU_DEP_1)
	v_add3_u32 v3, v0, v1, 0x7fff
                                        ; implicit-def: $vgpr0
; %bb.62:
	s_and_not1_saveexec_b32 s2, s2
; %bb.63:
	v_and_b32_e32 v1, 0xffff, v0
	v_or_b32_e32 v3, 0x10000, v0
	s_delay_alu instid0(VALU_DEP_2) | instskip(NEXT) | instid1(VALU_DEP_2)
	v_cmp_eq_u32_e32 vcc_lo, 0, v1
	v_cndmask_b32_e32 v3, v3, v0, vcc_lo
; %bb.64:
	s_or_b32 exec_lo, exec_lo, s2
.LBB545_65:
	v_mad_u64_u32 v[0:1], null, v2, s8, 0
	s_delay_alu instid0(VALU_DEP_2) | instskip(SKIP_1) | instid1(VALU_DEP_2)
	v_lshrrev_b32_e32 v3, 16, v3
	s_or_b32 s2, s34, exec_lo
	v_add3_u32 v1, v1, v4, v5
.LBB545_66:
	s_or_b32 exec_lo, exec_lo, s1
	s_delay_alu instid0(SALU_CYCLE_1) | instskip(SKIP_1) | instid1(SALU_CYCLE_1)
	s_and_not1_b32 s1, s34, exec_lo
	s_and_b32 s2, s2, exec_lo
	s_or_b32 s34, s1, s2
.LBB545_67:
	s_or_b32 exec_lo, exec_lo, s0
.LBB545_68:
	s_and_saveexec_b32 s0, s34
	s_cbranch_execz .LBB545_70
; %bb.69:
	v_lshlrev_b64 v[0:1], 1, v[0:1]
	s_delay_alu instid0(VALU_DEP_1) | instskip(NEXT) | instid1(VALU_DEP_2)
	v_add_co_u32 v0, vcc_lo, s5, v0
	v_add_co_ci_u32_e32 v1, vcc_lo, s33, v1, vcc_lo
	global_store_b16 v[0:1], v3, off
.LBB545_70:
	s_nop 0
	s_sendmsg sendmsg(MSG_DEALLOC_VGPRS)
	s_endpgm
	.section	.rodata,"a",@progbits
	.p2align	6, 0x0
	.amdhsa_kernel _ZL20rocblas_gemvn_kernelILi64ELi4El16rocblas_bfloat16fS0_EviiT3_lPKT2_lT1_lS4_lS5_lS1_lPT4_lS5_li
		.amdhsa_group_segment_fixed_size 4096
		.amdhsa_private_segment_fixed_size 0
		.amdhsa_kernarg_size 400
		.amdhsa_user_sgpr_count 14
		.amdhsa_user_sgpr_dispatch_ptr 0
		.amdhsa_user_sgpr_queue_ptr 0
		.amdhsa_user_sgpr_kernarg_segment_ptr 1
		.amdhsa_user_sgpr_dispatch_id 0
		.amdhsa_user_sgpr_private_segment_size 0
		.amdhsa_wavefront_size32 1
		.amdhsa_uses_dynamic_stack 0
		.amdhsa_enable_private_segment 0
		.amdhsa_system_sgpr_workgroup_id_x 1
		.amdhsa_system_sgpr_workgroup_id_y 0
		.amdhsa_system_sgpr_workgroup_id_z 1
		.amdhsa_system_sgpr_workgroup_info 0
		.amdhsa_system_vgpr_workitem_id 1
		.amdhsa_next_free_vgpr 51
		.amdhsa_next_free_sgpr 44
		.amdhsa_reserve_vcc 1
		.amdhsa_float_round_mode_32 0
		.amdhsa_float_round_mode_16_64 0
		.amdhsa_float_denorm_mode_32 3
		.amdhsa_float_denorm_mode_16_64 3
		.amdhsa_dx10_clamp 1
		.amdhsa_ieee_mode 1
		.amdhsa_fp16_overflow 0
		.amdhsa_workgroup_processor_mode 1
		.amdhsa_memory_ordered 1
		.amdhsa_forward_progress 0
		.amdhsa_shared_vgpr_count 0
		.amdhsa_exception_fp_ieee_invalid_op 0
		.amdhsa_exception_fp_denorm_src 0
		.amdhsa_exception_fp_ieee_div_zero 0
		.amdhsa_exception_fp_ieee_overflow 0
		.amdhsa_exception_fp_ieee_underflow 0
		.amdhsa_exception_fp_ieee_inexact 0
		.amdhsa_exception_int_div_zero 0
	.end_amdhsa_kernel
	.section	.text._ZL20rocblas_gemvn_kernelILi64ELi4El16rocblas_bfloat16fS0_EviiT3_lPKT2_lT1_lS4_lS5_lS1_lPT4_lS5_li,"axG",@progbits,_ZL20rocblas_gemvn_kernelILi64ELi4El16rocblas_bfloat16fS0_EviiT3_lPKT2_lT1_lS4_lS5_lS1_lPT4_lS5_li,comdat
.Lfunc_end545:
	.size	_ZL20rocblas_gemvn_kernelILi64ELi4El16rocblas_bfloat16fS0_EviiT3_lPKT2_lT1_lS4_lS5_lS1_lPT4_lS5_li, .Lfunc_end545-_ZL20rocblas_gemvn_kernelILi64ELi4El16rocblas_bfloat16fS0_EviiT3_lPKT2_lT1_lS4_lS5_lS1_lPT4_lS5_li
                                        ; -- End function
	.section	.AMDGPU.csdata,"",@progbits
; Kernel info:
; codeLenInByte = 3956
; NumSgprs: 46
; NumVgprs: 51
; ScratchSize: 0
; MemoryBound: 0
; FloatMode: 240
; IeeeMode: 1
; LDSByteSize: 4096 bytes/workgroup (compile time only)
; SGPRBlocks: 5
; VGPRBlocks: 6
; NumSGPRsForWavesPerEU: 46
; NumVGPRsForWavesPerEU: 51
; Occupancy: 16
; WaveLimiterHint : 1
; COMPUTE_PGM_RSRC2:SCRATCH_EN: 0
; COMPUTE_PGM_RSRC2:USER_SGPR: 14
; COMPUTE_PGM_RSRC2:TRAP_HANDLER: 0
; COMPUTE_PGM_RSRC2:TGID_X_EN: 1
; COMPUTE_PGM_RSRC2:TGID_Y_EN: 0
; COMPUTE_PGM_RSRC2:TGID_Z_EN: 1
; COMPUTE_PGM_RSRC2:TIDIG_COMP_CNT: 1
	.section	.text._ZL20rocblas_gemvn_kernelILi32ELi16Ei16rocblas_bfloat16PKfS0_EviiT3_lPKT2_lT1_lS6_lS7_lS3_lPT4_lS7_li,"axG",@progbits,_ZL20rocblas_gemvn_kernelILi32ELi16Ei16rocblas_bfloat16PKfS0_EviiT3_lPKT2_lT1_lS6_lS7_lS3_lPT4_lS7_li,comdat
	.globl	_ZL20rocblas_gemvn_kernelILi32ELi16Ei16rocblas_bfloat16PKfS0_EviiT3_lPKT2_lT1_lS6_lS7_lS3_lPT4_lS7_li ; -- Begin function _ZL20rocblas_gemvn_kernelILi32ELi16Ei16rocblas_bfloat16PKfS0_EviiT3_lPKT2_lT1_lS6_lS7_lS3_lPT4_lS7_li
	.p2align	8
	.type	_ZL20rocblas_gemvn_kernelILi32ELi16Ei16rocblas_bfloat16PKfS0_EviiT3_lPKT2_lT1_lS6_lS7_lS3_lPT4_lS7_li,@function
_ZL20rocblas_gemvn_kernelILi32ELi16Ei16rocblas_bfloat16PKfS0_EviiT3_lPKT2_lT1_lS6_lS7_lS3_lPT4_lS7_li: ; @_ZL20rocblas_gemvn_kernelILi32ELi16Ei16rocblas_bfloat16PKfS0_EviiT3_lPKT2_lT1_lS6_lS7_lS3_lPT4_lS7_li
; %bb.0:
	s_load_b64 s[2:3], s[0:1], 0x9c
	s_waitcnt lgkmcnt(0)
	s_lshr_b32 s4, s2, 16
	s_and_b32 s2, s2, 0xffff
	s_and_b32 s3, s3, 0xffff
	s_mul_i32 s2, s4, s2
	s_delay_alu instid0(SALU_CYCLE_1) | instskip(NEXT) | instid1(SALU_CYCLE_1)
	s_mul_i32 s2, s2, s3
	s_cmpk_lg_i32 s2, 0x200
	s_cbranch_scc1 .LBB546_70
; %bb.1:
	s_clause 0x1
	s_load_b256 s[16:23], s[0:1], 0x8
	s_load_b256 s[4:11], s[0:1], 0x50
	s_waitcnt lgkmcnt(0)
	s_mul_i32 s3, s15, s19
	s_mul_hi_u32 s12, s15, s18
	s_mul_i32 s2, s15, s18
	s_add_i32 s3, s12, s3
	s_mul_i32 s9, s15, s9
	s_lshl_b64 s[2:3], s[2:3], 2
	s_mul_hi_u32 s12, s15, s8
	s_add_u32 s2, s16, s2
	s_addc_u32 s3, s17, s3
	s_add_i32 s9, s12, s9
	s_mul_i32 s8, s15, s8
	s_mov_b32 s12, 0
	s_lshl_b64 s[8:9], s[8:9], 2
	s_delay_alu instid0(SALU_CYCLE_1)
	s_add_u32 s6, s6, s8
	s_addc_u32 s7, s7, s9
	s_load_b32 s17, s[2:3], 0x0
	s_load_b32 s13, s[6:7], 0x0
	s_waitcnt lgkmcnt(0)
	v_cmp_eq_f32_e64 s2, s17, 0
	v_cmp_eq_f32_e64 s3, s13, 1.0
	s_delay_alu instid0(VALU_DEP_1) | instskip(NEXT) | instid1(SALU_CYCLE_1)
	s_and_b32 s2, s2, s3
	s_and_b32 vcc_lo, exec_lo, s2
	s_cbranch_vccnz .LBB546_70
; %bb.2:
	s_clause 0x3
	s_load_b64 s[2:3], s[0:1], 0x80
	s_load_b64 s[8:9], s[0:1], 0x70
	s_load_b32 s16, s[0:1], 0x78
	s_load_b64 s[6:7], s[0:1], 0x0
	v_and_b32_e32 v1, 0x3ff, v0
	v_bfe_u32 v13, v0, 10, 10
	s_delay_alu instid0(VALU_DEP_1)
	v_lshl_add_u32 v0, v13, 5, v1
	s_waitcnt lgkmcnt(0)
	s_mul_i32 s3, s15, s3
	s_mul_hi_u32 s18, s15, s2
	s_mul_i32 s2, s15, s2
	s_add_i32 s3, s18, s3
	v_cmp_neq_f32_e64 s18, s17, 0
	s_lshl_b64 s[2:3], s[2:3], 1
	s_delay_alu instid0(SALU_CYCLE_1) | instskip(SKIP_2) | instid1(SALU_CYCLE_1)
	s_add_u32 s10, s10, s2
	s_addc_u32 s11, s11, s3
	s_lshl_b64 s[2:3], s[8:9], 1
	s_add_u32 s8, s10, s2
	v_cmp_gt_u32_e64 s2, 0x80, v0
	s_addc_u32 s9, s11, s3
	s_and_b32 vcc_lo, exec_lo, s18
	s_cbranch_vccnz .LBB546_11
; %bb.3:
	s_mov_b32 s3, 0
                                        ; implicit-def: $vgpr5
                                        ; implicit-def: $vgpr2_vgpr3
	s_and_saveexec_b32 s10, s2
	s_cbranch_execz .LBB546_12
; %bb.4:
	v_lshl_or_b32 v4, s14, 7, v0
	v_mov_b32_e32 v5, 0
	s_ashr_i32 s19, s6, 31
	s_mov_b32 s18, s6
	s_mov_b32 s11, 0
                                        ; implicit-def: $vgpr2_vgpr3
	s_delay_alu instid0(VALU_DEP_1)
	v_cmp_gt_i64_e32 vcc_lo, s[18:19], v[4:5]
                                        ; implicit-def: $vgpr5
	s_and_saveexec_b32 s2, vcc_lo
	s_cbranch_execz .LBB546_15
; %bb.5:
	v_mad_u64_u32 v[2:3], null, s16, v4, 0
	s_ashr_i32 s11, s16, 31
	s_delay_alu instid0(VALU_DEP_1) | instid1(SALU_CYCLE_1)
	v_mad_u64_u32 v[5:6], null, s11, v4, v[3:4]
	v_cmp_eq_f32_e64 s11, s13, 0
	s_delay_alu instid0(VALU_DEP_1) | instskip(NEXT) | instid1(VALU_DEP_2)
	s_and_b32 vcc_lo, exec_lo, s11
	v_mov_b32_e32 v3, v5
	s_cbranch_vccnz .LBB546_13
; %bb.6:
	s_delay_alu instid0(VALU_DEP_1) | instskip(NEXT) | instid1(VALU_DEP_1)
	v_lshlrev_b64 v[4:5], 1, v[2:3]
	v_add_co_u32 v4, vcc_lo, s8, v4
	s_delay_alu instid0(VALU_DEP_2) | instskip(SKIP_3) | instid1(VALU_DEP_1)
	v_add_co_ci_u32_e32 v5, vcc_lo, s9, v5, vcc_lo
	global_load_u16 v4, v[4:5], off
	s_waitcnt vmcnt(0)
	v_lshlrev_b32_e32 v4, 16, v4
	v_mul_f32_e32 v4, s13, v4
	s_delay_alu instid0(VALU_DEP_1) | instskip(NEXT) | instid1(VALU_DEP_1)
	v_and_b32_e32 v5, 0x7f800000, v4
	v_cmp_ne_u32_e32 vcc_lo, 0x7f800000, v5
                                        ; implicit-def: $vgpr5
	s_and_saveexec_b32 s11, vcc_lo
	s_delay_alu instid0(SALU_CYCLE_1)
	s_xor_b32 s11, exec_lo, s11
; %bb.7:
	v_bfe_u32 v5, v4, 16, 1
	s_delay_alu instid0(VALU_DEP_1)
	v_add3_u32 v5, v4, v5, 0x7fff
                                        ; implicit-def: $vgpr4
; %bb.8:
	s_and_not1_saveexec_b32 s11, s11
; %bb.9:
	v_and_b32_e32 v5, 0xffff, v4
	v_or_b32_e32 v6, 0x10000, v4
	s_delay_alu instid0(VALU_DEP_2) | instskip(NEXT) | instid1(VALU_DEP_2)
	v_cmp_eq_u32_e32 vcc_lo, 0, v5
	v_cndmask_b32_e32 v5, v6, v4, vcc_lo
; %bb.10:
	s_or_b32 exec_lo, exec_lo, s11
	s_delay_alu instid0(VALU_DEP_1)
	v_lshrrev_b32_e32 v5, 16, v5
	s_branch .LBB546_14
.LBB546_11:
                                        ; implicit-def: $vgpr5
                                        ; implicit-def: $vgpr2_vgpr3
	s_cbranch_execnz .LBB546_16
	s_branch .LBB546_68
.LBB546_12:
	s_or_b32 exec_lo, exec_lo, s10
	s_delay_alu instid0(SALU_CYCLE_1)
	s_and_b32 vcc_lo, exec_lo, s3
	s_cbranch_vccnz .LBB546_16
	s_branch .LBB546_68
.LBB546_13:
	v_mov_b32_e32 v5, 0
.LBB546_14:
	s_mov_b32 s11, exec_lo
.LBB546_15:
	s_or_b32 exec_lo, exec_lo, s2
	s_delay_alu instid0(SALU_CYCLE_1) | instskip(SKIP_1) | instid1(SALU_CYCLE_1)
	s_and_b32 s12, s11, exec_lo
	s_or_b32 exec_lo, exec_lo, s10
	s_and_b32 vcc_lo, exec_lo, s3
	s_cbranch_vccz .LBB546_68
.LBB546_16:
	s_clause 0x2
	s_load_b128 s[24:27], s[0:1], 0x30
	s_load_b32 s18, s[0:1], 0x28
	s_load_b64 s[2:3], s[0:1], 0x40
	s_mul_i32 s5, s15, s5
	v_dual_mov_b32 v14, 0 :: v_dual_lshlrev_b32 v19, 2, v13
	v_dual_mov_b32 v15, 0 :: v_dual_mov_b32 v16, 0
	v_mov_b32_e32 v17, 0
	s_waitcnt lgkmcnt(0)
	s_mul_i32 s11, s15, s25
	s_mul_hi_u32 s19, s15, s24
	s_mul_i32 s10, s15, s24
	s_add_i32 s11, s19, s11
	s_mul_hi_u32 s19, s15, s4
	s_lshl_b64 s[10:11], s[10:11], 1
	s_delay_alu instid0(SALU_CYCLE_1) | instskip(SKIP_4) | instid1(SALU_CYCLE_1)
	s_add_u32 s24, s20, s10
	s_mul_i32 s20, s15, s4
	s_load_b32 s4, s[0:1], 0x48
	s_addc_u32 s21, s21, s11
	s_lshl_b64 s[10:11], s[22:23], 1
	s_add_u32 s10, s24, s10
	s_addc_u32 s11, s21, s11
	s_add_i32 s21, s19, s5
	s_delay_alu instid0(SALU_CYCLE_1) | instskip(SKIP_4) | instid1(SALU_CYCLE_1)
	s_lshl_b64 s[0:1], s[20:21], 1
	s_mov_b32 s20, exec_lo
	s_add_u32 s5, s26, s0
	s_addc_u32 s19, s27, s1
	s_lshl_b64 s[0:1], s[2:3], 1
	s_add_u32 s15, s5, s0
	s_addc_u32 s19, s19, s1
	s_ashr_i32 s0, s7, 31
	s_lshl_b32 s5, s14, 7
	s_lshr_b32 s0, s0, 26
	v_add_nc_u32_e32 v18, s5, v1
	s_add_i32 s0, s7, s0
	s_delay_alu instid0(SALU_CYCLE_1) | instskip(NEXT) | instid1(SALU_CYCLE_1)
	s_and_b32 s14, s0, 0xffffffc0
	v_cmpx_gt_i32_e64 s14, v19
	s_cbranch_execz .LBB546_28
; %bb.17:
	v_mul_lo_u32 v3, s18, v19
	v_dual_mov_b32 v15, 0 :: v_dual_add_nc_u32 v2, 32, v18
	v_add_nc_u32_e32 v6, 2, v19
	v_dual_mov_b32 v14, 0 :: v_dual_add_nc_u32 v5, 0x60, v18
	s_delay_alu instid0(VALU_DEP_3)
	v_cmp_gt_i32_e64 s0, s6, v2
	v_dual_mov_b32 v17, 0 :: v_dual_add_nc_u32 v4, 64, v18
	v_add3_u32 v20, v3, s18, v1
	v_mad_u64_u32 v[2:3], null, s18, v6, v[1:2]
	v_cmp_gt_i32_e64 s2, s6, v5
	v_mul_lo_u32 v5, v13, s18
	v_dual_mov_b32 v16, 0 :: v_dual_add_nc_u32 v7, 3, v19
	s_waitcnt lgkmcnt(0)
	v_mul_lo_u32 v8, v13, s4
	v_cmp_gt_i32_e64 s1, s6, v4
	v_mul_lo_u32 v22, s4, v6
	v_mad_u64_u32 v[3:4], null, s18, v7, v[1:2]
	v_lshl_add_u32 v21, v5, 2, v1
	v_mad_u64_u32 v[4:5], null, s4, v19, s[4:5]
	v_mul_lo_u32 v23, s4, v7
	v_cmp_gt_i32_e32 vcc_lo, s6, v18
	v_lshlrev_b32_e32 v24, 2, v8
	s_lshl_b32 s21, s18, 6
	s_lshl_b32 s23, s4, 6
	s_mov_b32 s22, 0
	s_mov_b32 s24, 0
	s_branch .LBB546_22
.LBB546_18:                             ;   in Loop: Header=BB546_22 Depth=1
	s_or_b32 exec_lo, exec_lo, s27
	s_waitcnt vmcnt(2)
	v_lshlrev_b32_e32 v6, 16, v39
	v_lshlrev_b32_e32 v5, 16, v40
	s_waitcnt vmcnt(1)
	s_delay_alu instid0(VALU_DEP_1) | instskip(NEXT) | instid1(VALU_DEP_1)
	v_dual_fmac_f32 v16, v32, v5 :: v_dual_lshlrev_b32 v5, 16, v38
	v_fmac_f32_e32 v16, v30, v6
	s_delay_alu instid0(VALU_DEP_1) | instskip(SKIP_2) | instid1(VALU_DEP_1)
	v_fmac_f32_e32 v16, v28, v5
	s_waitcnt vmcnt(0)
	v_lshlrev_b32_e32 v5, 16, v37
	v_fmac_f32_e32 v16, v27, v5
.LBB546_19:                             ;   in Loop: Header=BB546_22 Depth=1
	s_or_b32 exec_lo, exec_lo, s26
	s_waitcnt vmcnt(3)
	v_lshlrev_b32_e32 v5, 16, v36
	s_waitcnt vmcnt(2)
	s_delay_alu instid0(VALU_DEP_1) | instskip(SKIP_2) | instid1(VALU_DEP_2)
	v_dual_fmac_f32 v15, v32, v5 :: v_dual_lshlrev_b32 v6, 16, v35
	s_waitcnt vmcnt(1)
	v_lshlrev_b32_e32 v5, 16, v34
	v_fmac_f32_e32 v15, v30, v6
	s_delay_alu instid0(VALU_DEP_1) | instskip(SKIP_2) | instid1(VALU_DEP_1)
	v_fmac_f32_e32 v15, v28, v5
	s_waitcnt vmcnt(0)
	v_lshlrev_b32_e32 v5, 16, v33
	v_fmac_f32_e32 v15, v27, v5
.LBB546_20:                             ;   in Loop: Header=BB546_22 Depth=1
	s_or_b32 exec_lo, exec_lo, s3
	s_waitcnt vmcnt(2)
	v_lshlrev_b32_e32 v6, 16, v29
	v_lshlrev_b32_e32 v5, 16, v31
	s_waitcnt vmcnt(1)
	s_delay_alu instid0(VALU_DEP_1) | instskip(NEXT) | instid1(VALU_DEP_1)
	v_dual_fmac_f32 v14, v32, v5 :: v_dual_lshlrev_b32 v5, 16, v26
	v_fmac_f32_e32 v14, v30, v6
	s_delay_alu instid0(VALU_DEP_1) | instskip(SKIP_2) | instid1(VALU_DEP_1)
	v_fmac_f32_e32 v14, v28, v5
	s_waitcnt vmcnt(0)
	v_lshlrev_b32_e32 v5, 16, v25
	v_fmac_f32_e32 v14, v27, v5
.LBB546_21:                             ;   in Loop: Header=BB546_22 Depth=1
	s_or_b32 exec_lo, exec_lo, s25
	v_add_nc_u32_e32 v19, 64, v19
	v_add_nc_u32_e32 v20, s21, v20
	;; [unrolled: 1-line block ×5, first 2 shown]
	v_cmp_le_i32_e64 s3, s14, v19
	s_add_i32 s24, s24, s23
	s_delay_alu instid0(VALU_DEP_1) | instskip(NEXT) | instid1(SALU_CYCLE_1)
	s_or_b32 s22, s3, s22
	s_and_not1_b32 exec_lo, exec_lo, s22
	s_cbranch_execz .LBB546_27
.LBB546_22:                             ; =>This Inner Loop Header: Depth=1
	s_and_saveexec_b32 s25, vcc_lo
	s_cbranch_execz .LBB546_21
; %bb.23:                               ;   in Loop: Header=BB546_22 Depth=1
	v_add_nc_u32_e32 v5, s24, v24
	v_add_nc_u32_e32 v7, s24, v4
	;; [unrolled: 1-line block ×5, first 2 shown]
	v_ashrrev_i32_e32 v6, 31, v5
	v_ashrrev_i32_e32 v8, 31, v7
	;; [unrolled: 1-line block ×4, first 2 shown]
	v_add_nc_u32_e32 v27, s5, v20
	v_lshlrev_b64 v[5:6], 1, v[5:6]
	v_lshlrev_b64 v[7:8], 1, v[7:8]
	;; [unrolled: 1-line block ×4, first 2 shown]
	v_ashrrev_i32_e32 v26, 31, v25
	v_ashrrev_i32_e32 v28, 31, v27
	v_add_co_u32 v5, s3, s15, v5
	s_delay_alu instid0(VALU_DEP_1) | instskip(SKIP_1) | instid1(VALU_DEP_1)
	v_add_co_ci_u32_e64 v6, s3, s19, v6, s3
	v_add_co_u32 v7, s3, s15, v7
	v_add_co_ci_u32_e64 v8, s3, s19, v8, s3
	v_add_co_u32 v9, s3, s15, v9
	s_delay_alu instid0(VALU_DEP_1)
	v_add_co_ci_u32_e64 v10, s3, s19, v10, s3
	v_add_co_u32 v11, s3, s15, v11
	v_add_nc_u32_e32 v29, s5, v2
	v_add_co_ci_u32_e64 v12, s3, s19, v12, s3
	v_lshlrev_b64 v[25:26], 1, v[25:26]
	s_clause 0x3
	global_load_u16 v32, v[5:6], off
	global_load_u16 v33, v[7:8], off
	;; [unrolled: 1-line block ×4, first 2 shown]
	v_add_nc_u32_e32 v11, s5, v3
	v_lshlrev_b64 v[5:6], 1, v[27:28]
	v_ashrrev_i32_e32 v30, 31, v29
	v_add_co_u32 v7, s3, s10, v25
	s_delay_alu instid0(VALU_DEP_4) | instskip(SKIP_1) | instid1(VALU_DEP_4)
	v_ashrrev_i32_e32 v12, 31, v11
	v_add_co_ci_u32_e64 v8, s3, s11, v26, s3
	v_lshlrev_b64 v[25:26], 1, v[29:30]
	v_add_co_u32 v9, s3, s10, v5
	s_delay_alu instid0(VALU_DEP_1) | instskip(SKIP_1) | instid1(VALU_DEP_4)
	v_add_co_ci_u32_e64 v10, s3, s11, v6, s3
	v_lshlrev_b64 v[5:6], 1, v[11:12]
	v_add_co_u32 v11, s3, s10, v25
	s_delay_alu instid0(VALU_DEP_1) | instskip(NEXT) | instid1(VALU_DEP_3)
	v_add_co_ci_u32_e64 v12, s3, s11, v26, s3
	v_add_co_u32 v5, s3, s10, v5
	s_delay_alu instid0(VALU_DEP_1)
	v_add_co_ci_u32_e64 v6, s3, s11, v6, s3
	s_clause 0x3
	global_load_u16 v31, v[7:8], off
	global_load_u16 v29, v[9:10], off
	;; [unrolled: 1-line block ×4, first 2 shown]
	s_waitcnt vmcnt(7)
	v_lshlrev_b32_e32 v32, 16, v32
	s_waitcnt vmcnt(6)
	v_lshlrev_b32_e32 v30, 16, v33
	;; [unrolled: 2-line block ×4, first 2 shown]
	s_and_saveexec_b32 s3, s0
	s_cbranch_execz .LBB546_20
; %bb.24:                               ;   in Loop: Header=BB546_22 Depth=1
	s_clause 0x3
	global_load_u16 v36, v[7:8], off offset:64
	global_load_u16 v35, v[9:10], off offset:64
	global_load_u16 v34, v[11:12], off offset:64
	global_load_u16 v33, v[5:6], off offset:64
	s_and_saveexec_b32 s26, s1
	s_cbranch_execz .LBB546_19
; %bb.25:                               ;   in Loop: Header=BB546_22 Depth=1
	s_clause 0x3
	global_load_u16 v40, v[7:8], off offset:128
	global_load_u16 v39, v[9:10], off offset:128
	global_load_u16 v38, v[11:12], off offset:128
	global_load_u16 v37, v[5:6], off offset:128
	s_and_saveexec_b32 s27, s2
	s_cbranch_execz .LBB546_18
; %bb.26:                               ;   in Loop: Header=BB546_22 Depth=1
	s_clause 0x3
	global_load_u16 v7, v[7:8], off offset:192
	global_load_u16 v8, v[9:10], off offset:192
	global_load_u16 v9, v[11:12], off offset:192
	global_load_u16 v5, v[5:6], off offset:192
	s_waitcnt vmcnt(0)
	v_lshlrev_b32_e32 v5, 16, v5
	v_lshlrev_b32_e32 v6, 16, v7
	;; [unrolled: 1-line block ×3, first 2 shown]
	s_delay_alu instid0(VALU_DEP_2) | instskip(NEXT) | instid1(VALU_DEP_1)
	v_dual_fmac_f32 v17, v32, v6 :: v_dual_lshlrev_b32 v6, 16, v9
	v_fmac_f32_e32 v17, v30, v7
	s_delay_alu instid0(VALU_DEP_1) | instskip(NEXT) | instid1(VALU_DEP_1)
	v_fmac_f32_e32 v17, v28, v6
	v_fmac_f32_e32 v17, v27, v5
	s_branch .LBB546_18
.LBB546_27:
	s_or_b32 exec_lo, exec_lo, s22
.LBB546_28:
	s_delay_alu instid0(SALU_CYCLE_1) | instskip(SKIP_1) | instid1(SALU_CYCLE_1)
	s_or_b32 exec_lo, exec_lo, s20
	s_sub_i32 s0, s7, s14
	s_cmp_lt_i32 s0, 1
	s_cbranch_scc1 .LBB546_46
; %bb.29:
	v_cmp_gt_i32_e32 vcc_lo, s7, v19
	v_dual_mov_b32 v10, 0 :: v_dual_mov_b32 v11, 0
	v_or_b32_e32 v2, 1, v19
	v_mov_b32_e32 v12, 0
	v_mov_b32_e32 v20, 0
	s_and_saveexec_b32 s1, vcc_lo
	s_cbranch_execz .LBB546_37
; %bb.30:
	s_waitcnt lgkmcnt(0)
	v_mul_lo_u32 v3, v19, s4
	v_dual_mov_b32 v12, 0 :: v_dual_mov_b32 v11, 0
	v_mov_b32_e32 v10, 0
	s_mov_b32 s2, exec_lo
	s_delay_alu instid0(VALU_DEP_3) | instskip(NEXT) | instid1(VALU_DEP_1)
	v_ashrrev_i32_e32 v4, 31, v3
	v_lshlrev_b64 v[3:4], 1, v[3:4]
	s_delay_alu instid0(VALU_DEP_1) | instskip(NEXT) | instid1(VALU_DEP_1)
	v_add_co_u32 v3, s0, s15, v3
	v_add_co_ci_u32_e64 v4, s0, s19, v4, s0
	global_load_u16 v3, v[3:4], off
	v_cmpx_gt_i32_e64 s7, v2
	s_cbranch_execz .LBB546_36
; %bb.31:
	v_mul_lo_u32 v4, v2, s4
	v_dual_mov_b32 v11, 0 :: v_dual_mov_b32 v10, 0
	s_mov_b32 s3, exec_lo
	s_delay_alu instid0(VALU_DEP_2) | instskip(NEXT) | instid1(VALU_DEP_1)
	v_ashrrev_i32_e32 v5, 31, v4
	v_lshlrev_b64 v[4:5], 1, v[4:5]
	s_delay_alu instid0(VALU_DEP_1) | instskip(NEXT) | instid1(VALU_DEP_1)
	v_add_co_u32 v4, s0, s15, v4
	v_add_co_ci_u32_e64 v5, s0, s19, v5, s0
	global_load_u16 v4, v[4:5], off
	v_or_b32_e32 v5, 2, v19
	s_delay_alu instid0(VALU_DEP_1)
	v_cmpx_gt_i32_e64 s7, v5
	s_cbranch_execz .LBB546_35
; %bb.32:
	v_mul_lo_u32 v5, v5, s4
	v_mov_b32_e32 v10, 0
	s_mov_b32 s14, exec_lo
	s_delay_alu instid0(VALU_DEP_2) | instskip(NEXT) | instid1(VALU_DEP_1)
	v_ashrrev_i32_e32 v6, 31, v5
	v_lshlrev_b64 v[5:6], 1, v[5:6]
	s_delay_alu instid0(VALU_DEP_1) | instskip(NEXT) | instid1(VALU_DEP_1)
	v_add_co_u32 v5, s0, s15, v5
	v_add_co_ci_u32_e64 v6, s0, s19, v6, s0
	global_load_u16 v5, v[5:6], off
	v_or_b32_e32 v6, 3, v19
	s_delay_alu instid0(VALU_DEP_1)
	v_cmpx_gt_i32_e64 s7, v6
	s_cbranch_execz .LBB546_34
; %bb.33:
	v_mul_lo_u32 v6, v6, s4
	s_delay_alu instid0(VALU_DEP_1) | instskip(NEXT) | instid1(VALU_DEP_1)
	v_ashrrev_i32_e32 v7, 31, v6
	v_lshlrev_b64 v[6:7], 1, v[6:7]
	s_delay_alu instid0(VALU_DEP_1) | instskip(NEXT) | instid1(VALU_DEP_1)
	v_add_co_u32 v6, s0, s15, v6
	v_add_co_ci_u32_e64 v7, s0, s19, v7, s0
	global_load_u16 v6, v[6:7], off
	s_waitcnt vmcnt(0)
	v_lshlrev_b32_e32 v10, 16, v6
.LBB546_34:
	s_or_b32 exec_lo, exec_lo, s14
	s_waitcnt vmcnt(0)
	v_lshlrev_b32_e32 v11, 16, v5
.LBB546_35:
	s_or_b32 exec_lo, exec_lo, s3
	s_waitcnt vmcnt(0)
	v_lshlrev_b32_e32 v12, 16, v4
.LBB546_36:
	s_or_b32 exec_lo, exec_lo, s2
	s_waitcnt vmcnt(0)
	v_lshlrev_b32_e32 v20, 16, v3
.LBB546_37:
	s_or_b32 exec_lo, exec_lo, s1
	s_delay_alu instid0(SALU_CYCLE_1)
	s_mov_b32 s1, exec_lo
	v_cmpx_gt_i32_e64 s6, v18
	s_cbranch_execz .LBB546_45
; %bb.38:
	v_mul_lo_u32 v3, v19, s18
	v_mul_lo_u32 v4, v2, s18
	v_or_b32_e32 v5, 2, v19
	v_or_b32_e32 v6, 3, v19
	s_mov_b32 s0, exec_lo
	s_delay_alu instid0(VALU_DEP_2)
	v_mul_lo_u32 v7, v5, s18
	v_cndmask_b32_e32 v3, 0, v3, vcc_lo
	v_cmp_gt_i32_e32 vcc_lo, s7, v2
	v_mul_lo_u32 v8, v6, s18
	v_cndmask_b32_e32 v4, 0, v4, vcc_lo
	v_cmp_gt_i32_e32 vcc_lo, s7, v5
	v_add_nc_u32_e32 v2, v3, v18
	s_delay_alu instid0(VALU_DEP_3) | instskip(NEXT) | instid1(VALU_DEP_2)
	v_dual_cndmask_b32 v7, 0, v7 :: v_dual_add_nc_u32 v4, v4, v18
	v_ashrrev_i32_e32 v3, 31, v2
	v_cmp_gt_i32_e32 vcc_lo, s7, v6
	s_delay_alu instid0(VALU_DEP_3) | instskip(NEXT) | instid1(VALU_DEP_4)
	v_ashrrev_i32_e32 v5, 31, v4
	v_add_nc_u32_e32 v6, v7, v18
	s_delay_alu instid0(VALU_DEP_4) | instskip(SKIP_1) | instid1(VALU_DEP_4)
	v_lshlrev_b64 v[2:3], 1, v[2:3]
	v_cndmask_b32_e32 v8, 0, v8, vcc_lo
	v_lshlrev_b64 v[21:22], 1, v[4:5]
	s_delay_alu instid0(VALU_DEP_4) | instskip(NEXT) | instid1(VALU_DEP_4)
	v_ashrrev_i32_e32 v7, 31, v6
	v_add_co_u32 v4, vcc_lo, s10, v2
	v_add_co_ci_u32_e32 v5, vcc_lo, s11, v3, vcc_lo
	s_delay_alu instid0(VALU_DEP_4)
	v_add_co_u32 v2, vcc_lo, s10, v21
	v_add_co_ci_u32_e32 v3, vcc_lo, s11, v22, vcc_lo
	s_clause 0x1
	global_load_u16 v19, v[4:5], off
	global_load_u16 v23, v[2:3], off
	v_lshlrev_b64 v[6:7], 1, v[6:7]
	s_waitcnt vmcnt(1)
	v_lshlrev_b32_e32 v19, 16, v19
	v_add_nc_u32_e32 v8, v8, v18
	s_delay_alu instid0(VALU_DEP_1) | instskip(NEXT) | instid1(VALU_DEP_1)
	v_ashrrev_i32_e32 v9, 31, v8
	v_lshlrev_b64 v[21:22], 1, v[8:9]
	v_add_co_u32 v8, vcc_lo, s10, v6
	v_add_co_ci_u32_e32 v9, vcc_lo, s11, v7, vcc_lo
	s_delay_alu instid0(VALU_DEP_3) | instskip(NEXT) | instid1(VALU_DEP_4)
	v_add_co_u32 v6, vcc_lo, s10, v21
	v_add_co_ci_u32_e32 v7, vcc_lo, s11, v22, vcc_lo
	s_clause 0x1
	global_load_u16 v21, v[8:9], off
	global_load_u16 v22, v[6:7], off
	s_waitcnt vmcnt(1)
	v_dual_fmac_f32 v14, v20, v19 :: v_dual_lshlrev_b32 v21, 16, v21
	v_lshlrev_b32_e32 v23, 16, v23
	s_waitcnt vmcnt(0)
	s_delay_alu instid0(VALU_DEP_1) | instskip(NEXT) | instid1(VALU_DEP_1)
	v_dual_fmac_f32 v14, v12, v23 :: v_dual_lshlrev_b32 v19, 16, v22
	v_dual_fmac_f32 v14, v11, v21 :: v_dual_add_nc_u32 v23, 32, v18
	s_delay_alu instid0(VALU_DEP_1)
	v_cmpx_gt_i32_e64 s6, v23
	s_cbranch_execz .LBB546_44
; %bb.39:
	s_clause 0x3
	global_load_u16 v21, v[4:5], off offset:64
	global_load_u16 v22, v[2:3], off offset:64
	;; [unrolled: 1-line block ×4, first 2 shown]
	s_mov_b32 s2, exec_lo
	s_waitcnt vmcnt(3)
	v_lshlrev_b32_e32 v21, 16, v21
	s_waitcnt vmcnt(2)
	v_lshlrev_b32_e32 v22, 16, v22
	;; [unrolled: 2-line block ×3, first 2 shown]
	v_fmac_f32_e32 v15, v20, v21
	s_waitcnt vmcnt(0)
	v_lshlrev_b32_e32 v21, 16, v24
	s_delay_alu instid0(VALU_DEP_2) | instskip(NEXT) | instid1(VALU_DEP_1)
	v_fmac_f32_e32 v15, v12, v22
	v_dual_fmac_f32 v15, v11, v23 :: v_dual_add_nc_u32 v22, 64, v18
	s_delay_alu instid0(VALU_DEP_1)
	v_cmpx_gt_i32_e64 s6, v22
	s_cbranch_execz .LBB546_43
; %bb.40:
	s_clause 0x3
	global_load_u16 v22, v[4:5], off offset:128
	global_load_u16 v23, v[2:3], off offset:128
	;; [unrolled: 1-line block ×4, first 2 shown]
	s_mov_b32 s3, exec_lo
	s_waitcnt vmcnt(3)
	v_lshlrev_b32_e32 v22, 16, v22
	s_waitcnt vmcnt(2)
	s_delay_alu instid0(VALU_DEP_1) | instskip(SKIP_2) | instid1(VALU_DEP_2)
	v_dual_fmac_f32 v16, v20, v22 :: v_dual_lshlrev_b32 v23, 16, v23
	s_waitcnt vmcnt(1)
	v_lshlrev_b32_e32 v22, 16, v24
	v_dual_fmac_f32 v16, v12, v23 :: v_dual_add_nc_u32 v23, 0x60, v18
	s_waitcnt vmcnt(0)
	v_lshlrev_b32_e32 v18, 16, v25
	s_delay_alu instid0(VALU_DEP_2) | instskip(NEXT) | instid1(VALU_DEP_3)
	v_fmac_f32_e32 v16, v11, v22
	v_cmpx_gt_i32_e64 s6, v23
	s_cbranch_execz .LBB546_42
; %bb.41:
	s_clause 0x3
	global_load_u16 v4, v[4:5], off offset:192
	global_load_u16 v2, v[2:3], off offset:192
	;; [unrolled: 1-line block ×4, first 2 shown]
	s_waitcnt vmcnt(2)
	v_lshlrev_b32_e32 v2, 16, v2
	v_lshlrev_b32_e32 v4, 16, v4
	s_waitcnt vmcnt(1)
	v_lshlrev_b32_e32 v3, 16, v3
	s_delay_alu instid0(VALU_DEP_2) | instskip(SKIP_1) | instid1(VALU_DEP_1)
	v_fmac_f32_e32 v17, v20, v4
	s_waitcnt vmcnt(0)
	v_dual_fmac_f32 v17, v12, v2 :: v_dual_lshlrev_b32 v2, 16, v5
	s_delay_alu instid0(VALU_DEP_1) | instskip(NEXT) | instid1(VALU_DEP_1)
	v_fmac_f32_e32 v17, v11, v3
	v_fmac_f32_e32 v17, v10, v2
.LBB546_42:
	s_or_b32 exec_lo, exec_lo, s3
	s_delay_alu instid0(VALU_DEP_2)
	v_fmac_f32_e32 v16, v10, v18
.LBB546_43:
	s_or_b32 exec_lo, exec_lo, s2
	s_delay_alu instid0(VALU_DEP_2)
	v_fmac_f32_e32 v15, v10, v21
.LBB546_44:
	s_or_b32 exec_lo, exec_lo, s0
	s_delay_alu instid0(VALU_DEP_2)
	v_fmac_f32_e32 v14, v10, v19
.LBB546_45:
	s_or_b32 exec_lo, exec_lo, s1
.LBB546_46:
	v_lshlrev_b32_e32 v2, 7, v13
	s_mov_b32 s0, exec_lo
                                        ; implicit-def: $vgpr5
	s_delay_alu instid0(VALU_DEP_1)
	v_add_lshl_u32 v1, v2, v1, 2
                                        ; implicit-def: $vgpr2_vgpr3
	ds_store_2addr_b32 v1, v14, v15 offset1:32
	ds_store_2addr_b32 v1, v16, v17 offset0:64 offset1:96
	s_waitcnt lgkmcnt(0)
	s_barrier
	buffer_gl0_inv
	v_cmpx_gt_u32_e32 0x80, v0
	s_cbranch_execz .LBB546_67
; %bb.47:
	v_lshlrev_b32_e32 v7, 2, v0
	s_mov_b32 s2, s12
	s_mov_b32 s1, exec_lo
	ds_load_2addr_stride64_b32 v[1:2], v7 offset1:2
	ds_load_2addr_stride64_b32 v[3:4], v7 offset0:4 offset1:6
	ds_load_2addr_stride64_b32 v[5:6], v7 offset0:8 offset1:10
	s_waitcnt lgkmcnt(2)
	v_add_f32_e32 v8, v1, v2
	ds_load_2addr_stride64_b32 v[1:2], v7 offset0:12 offset1:14
	s_waitcnt lgkmcnt(2)
	v_add_f32_e32 v3, v3, v8
	s_delay_alu instid0(VALU_DEP_1) | instskip(SKIP_3) | instid1(VALU_DEP_1)
	v_add_f32_e32 v8, v4, v3
	ds_load_2addr_stride64_b32 v[3:4], v7 offset0:16 offset1:18
	s_waitcnt lgkmcnt(2)
	v_add_f32_e32 v5, v5, v8
	v_add_f32_e32 v8, v6, v5
	ds_load_2addr_stride64_b32 v[5:6], v7 offset0:20 offset1:22
	s_waitcnt lgkmcnt(2)
	v_add_f32_e32 v1, v1, v8
	s_delay_alu instid0(VALU_DEP_1) | instskip(SKIP_1) | instid1(VALU_DEP_1)
	v_add_f32_e32 v1, v2, v1
	s_waitcnt lgkmcnt(1)
	v_add_f32_e32 v3, v3, v1
	ds_load_2addr_stride64_b32 v[1:2], v7 offset0:24 offset1:26
	v_add_f32_e32 v3, v4, v3
	s_waitcnt lgkmcnt(1)
	s_delay_alu instid0(VALU_DEP_1) | instskip(SKIP_3) | instid1(VALU_DEP_1)
	v_add_f32_e32 v3, v5, v3
	ds_load_2addr_stride64_b32 v[4:5], v7 offset0:28 offset1:30
	v_add_f32_e32 v3, v6, v3
	s_waitcnt lgkmcnt(1)
	v_add_f32_e32 v1, v1, v3
	s_delay_alu instid0(VALU_DEP_1) | instskip(SKIP_1) | instid1(VALU_DEP_1)
	v_add_f32_e32 v1, v2, v1
                                        ; implicit-def: $vgpr2_vgpr3
	s_waitcnt lgkmcnt(0)
	v_add_f32_e32 v1, v4, v1
	v_or_b32_e32 v4, s5, v0
	s_delay_alu instid0(VALU_DEP_2)
	v_add_f32_e32 v0, v5, v1
                                        ; implicit-def: $vgpr5
	ds_store_b32 v7, v0
	v_cmpx_gt_i32_e64 s6, v4
	s_cbranch_execz .LBB546_66
; %bb.48:
	v_cmp_eq_f32_e64 s2, s13, 0
	v_mul_f32_e32 v0, s17, v0
	s_delay_alu instid0(VALU_DEP_2)
	s_and_b32 vcc_lo, exec_lo, s2
	s_cbranch_vccz .LBB546_54
; %bb.49:
	s_delay_alu instid0(VALU_DEP_1) | instskip(NEXT) | instid1(VALU_DEP_1)
	v_and_b32_e32 v1, 0x7f800000, v0
	v_cmp_ne_u32_e32 vcc_lo, 0x7f800000, v1
                                        ; implicit-def: $vgpr1
	s_and_saveexec_b32 s2, vcc_lo
	s_delay_alu instid0(SALU_CYCLE_1)
	s_xor_b32 s2, exec_lo, s2
; %bb.50:
	v_bfe_u32 v1, v0, 16, 1
	s_delay_alu instid0(VALU_DEP_1)
	v_add3_u32 v1, v0, v1, 0x7fff
; %bb.51:
	s_and_not1_saveexec_b32 s2, s2
; %bb.52:
	v_and_b32_e32 v1, 0xffff, v0
	v_or_b32_e32 v2, 0x10000, v0
	s_delay_alu instid0(VALU_DEP_2) | instskip(NEXT) | instid1(VALU_DEP_2)
	v_cmp_eq_u32_e32 vcc_lo, 0, v1
	v_cndmask_b32_e32 v1, v2, v0, vcc_lo
; %bb.53:
	s_or_b32 exec_lo, exec_lo, s2
	s_mov_b32 s2, 0
	s_branch .LBB546_55
.LBB546_54:
	s_mov_b32 s2, -1
                                        ; implicit-def: $vgpr1
.LBB546_55:
	v_mul_lo_u32 v2, v4, s16
	s_and_not1_b32 vcc_lo, exec_lo, s2
	s_delay_alu instid0(VALU_DEP_1)
	v_ashrrev_i32_e32 v3, 31, v2
	s_cbranch_vccnz .LBB546_65
; %bb.56:
	s_delay_alu instid0(VALU_DEP_1) | instskip(NEXT) | instid1(VALU_DEP_1)
	v_lshlrev_b64 v[4:5], 1, v[2:3]
	v_add_co_u32 v4, vcc_lo, s8, v4
	s_delay_alu instid0(VALU_DEP_2) | instskip(SKIP_3) | instid1(VALU_DEP_1)
	v_add_co_ci_u32_e32 v5, vcc_lo, s9, v5, vcc_lo
	global_load_u16 v1, v[4:5], off
	s_waitcnt vmcnt(0)
	v_lshlrev_b32_e32 v1, 16, v1
	v_mul_f32_e32 v1, s13, v1
	s_delay_alu instid0(VALU_DEP_1) | instskip(NEXT) | instid1(VALU_DEP_1)
	v_and_b32_e32 v4, 0x7f800000, v1
	v_cmp_ne_u32_e32 vcc_lo, 0x7f800000, v4
                                        ; implicit-def: $vgpr4
	s_and_saveexec_b32 s2, vcc_lo
	s_delay_alu instid0(SALU_CYCLE_1)
	s_xor_b32 s2, exec_lo, s2
; %bb.57:
	v_bfe_u32 v4, v1, 16, 1
	s_delay_alu instid0(VALU_DEP_1)
	v_add3_u32 v4, v1, v4, 0x7fff
                                        ; implicit-def: $vgpr1
; %bb.58:
	s_and_not1_saveexec_b32 s2, s2
; %bb.59:
	v_and_b32_e32 v4, 0xffff, v1
	v_or_b32_e32 v5, 0x10000, v1
	s_delay_alu instid0(VALU_DEP_2) | instskip(NEXT) | instid1(VALU_DEP_2)
	v_cmp_eq_u32_e32 vcc_lo, 0, v4
	v_cndmask_b32_e32 v4, v5, v1, vcc_lo
; %bb.60:
	s_or_b32 exec_lo, exec_lo, s2
	s_delay_alu instid0(VALU_DEP_1) | instskip(NEXT) | instid1(VALU_DEP_1)
	v_and_b32_e32 v1, 0xffff0000, v4
	v_add_f32_e32 v0, v0, v1
	s_delay_alu instid0(VALU_DEP_1) | instskip(NEXT) | instid1(VALU_DEP_1)
	v_and_b32_e32 v1, 0x7f800000, v0
	v_cmp_ne_u32_e32 vcc_lo, 0x7f800000, v1
                                        ; implicit-def: $vgpr1
	s_and_saveexec_b32 s2, vcc_lo
	s_delay_alu instid0(SALU_CYCLE_1)
	s_xor_b32 s2, exec_lo, s2
; %bb.61:
	v_bfe_u32 v1, v0, 16, 1
	s_delay_alu instid0(VALU_DEP_1)
	v_add3_u32 v1, v0, v1, 0x7fff
                                        ; implicit-def: $vgpr0
; %bb.62:
	s_and_not1_saveexec_b32 s2, s2
; %bb.63:
	v_and_b32_e32 v1, 0xffff, v0
	v_or_b32_e32 v4, 0x10000, v0
	s_delay_alu instid0(VALU_DEP_2) | instskip(NEXT) | instid1(VALU_DEP_2)
	v_cmp_eq_u32_e32 vcc_lo, 0, v1
	v_cndmask_b32_e32 v1, v4, v0, vcc_lo
; %bb.64:
	s_or_b32 exec_lo, exec_lo, s2
.LBB546_65:
	s_delay_alu instid0(VALU_DEP_1)
	v_lshrrev_b32_e32 v5, 16, v1
	s_or_b32 s2, s12, exec_lo
.LBB546_66:
	s_or_b32 exec_lo, exec_lo, s1
	s_delay_alu instid0(SALU_CYCLE_1) | instskip(SKIP_1) | instid1(SALU_CYCLE_1)
	s_and_not1_b32 s1, s12, exec_lo
	s_and_b32 s2, s2, exec_lo
	s_or_b32 s12, s1, s2
.LBB546_67:
	s_or_b32 exec_lo, exec_lo, s0
.LBB546_68:
	s_and_saveexec_b32 s0, s12
	s_cbranch_execz .LBB546_70
; %bb.69:
	v_lshlrev_b64 v[0:1], 1, v[2:3]
	s_delay_alu instid0(VALU_DEP_1) | instskip(NEXT) | instid1(VALU_DEP_2)
	v_add_co_u32 v0, vcc_lo, s8, v0
	v_add_co_ci_u32_e32 v1, vcc_lo, s9, v1, vcc_lo
	global_store_b16 v[0:1], v5, off
.LBB546_70:
	s_nop 0
	s_sendmsg sendmsg(MSG_DEALLOC_VGPRS)
	s_endpgm
	.section	.rodata,"a",@progbits
	.p2align	6, 0x0
	.amdhsa_kernel _ZL20rocblas_gemvn_kernelILi32ELi16Ei16rocblas_bfloat16PKfS0_EviiT3_lPKT2_lT1_lS6_lS7_lS3_lPT4_lS7_li
		.amdhsa_group_segment_fixed_size 8192
		.amdhsa_private_segment_fixed_size 0
		.amdhsa_kernarg_size 400
		.amdhsa_user_sgpr_count 14
		.amdhsa_user_sgpr_dispatch_ptr 0
		.amdhsa_user_sgpr_queue_ptr 0
		.amdhsa_user_sgpr_kernarg_segment_ptr 1
		.amdhsa_user_sgpr_dispatch_id 0
		.amdhsa_user_sgpr_private_segment_size 0
		.amdhsa_wavefront_size32 1
		.amdhsa_uses_dynamic_stack 0
		.amdhsa_enable_private_segment 0
		.amdhsa_system_sgpr_workgroup_id_x 1
		.amdhsa_system_sgpr_workgroup_id_y 0
		.amdhsa_system_sgpr_workgroup_id_z 1
		.amdhsa_system_sgpr_workgroup_info 0
		.amdhsa_system_vgpr_workitem_id 1
		.amdhsa_next_free_vgpr 41
		.amdhsa_next_free_sgpr 28
		.amdhsa_reserve_vcc 1
		.amdhsa_float_round_mode_32 0
		.amdhsa_float_round_mode_16_64 0
		.amdhsa_float_denorm_mode_32 3
		.amdhsa_float_denorm_mode_16_64 3
		.amdhsa_dx10_clamp 1
		.amdhsa_ieee_mode 1
		.amdhsa_fp16_overflow 0
		.amdhsa_workgroup_processor_mode 1
		.amdhsa_memory_ordered 1
		.amdhsa_forward_progress 0
		.amdhsa_shared_vgpr_count 0
		.amdhsa_exception_fp_ieee_invalid_op 0
		.amdhsa_exception_fp_denorm_src 0
		.amdhsa_exception_fp_ieee_div_zero 0
		.amdhsa_exception_fp_ieee_overflow 0
		.amdhsa_exception_fp_ieee_underflow 0
		.amdhsa_exception_fp_ieee_inexact 0
		.amdhsa_exception_int_div_zero 0
	.end_amdhsa_kernel
	.section	.text._ZL20rocblas_gemvn_kernelILi32ELi16Ei16rocblas_bfloat16PKfS0_EviiT3_lPKT2_lT1_lS6_lS7_lS3_lPT4_lS7_li,"axG",@progbits,_ZL20rocblas_gemvn_kernelILi32ELi16Ei16rocblas_bfloat16PKfS0_EviiT3_lPKT2_lT1_lS6_lS7_lS3_lPT4_lS7_li,comdat
.Lfunc_end546:
	.size	_ZL20rocblas_gemvn_kernelILi32ELi16Ei16rocblas_bfloat16PKfS0_EviiT3_lPKT2_lT1_lS6_lS7_lS3_lPT4_lS7_li, .Lfunc_end546-_ZL20rocblas_gemvn_kernelILi32ELi16Ei16rocblas_bfloat16PKfS0_EviiT3_lPKT2_lT1_lS6_lS7_lS3_lPT4_lS7_li
                                        ; -- End function
	.section	.AMDGPU.csdata,"",@progbits
; Kernel info:
; codeLenInByte = 3672
; NumSgprs: 30
; NumVgprs: 41
; ScratchSize: 0
; MemoryBound: 0
; FloatMode: 240
; IeeeMode: 1
; LDSByteSize: 8192 bytes/workgroup (compile time only)
; SGPRBlocks: 3
; VGPRBlocks: 5
; NumSGPRsForWavesPerEU: 30
; NumVGPRsForWavesPerEU: 41
; Occupancy: 16
; WaveLimiterHint : 1
; COMPUTE_PGM_RSRC2:SCRATCH_EN: 0
; COMPUTE_PGM_RSRC2:USER_SGPR: 14
; COMPUTE_PGM_RSRC2:TRAP_HANDLER: 0
; COMPUTE_PGM_RSRC2:TGID_X_EN: 1
; COMPUTE_PGM_RSRC2:TGID_Y_EN: 0
; COMPUTE_PGM_RSRC2:TGID_Z_EN: 1
; COMPUTE_PGM_RSRC2:TIDIG_COMP_CNT: 1
	.section	.text._ZL20rocblas_gemvn_kernelILi32ELi16El16rocblas_bfloat16PKfS0_EviiT3_lPKT2_lT1_lS6_lS7_lS3_lPT4_lS7_li,"axG",@progbits,_ZL20rocblas_gemvn_kernelILi32ELi16El16rocblas_bfloat16PKfS0_EviiT3_lPKT2_lT1_lS6_lS7_lS3_lPT4_lS7_li,comdat
	.globl	_ZL20rocblas_gemvn_kernelILi32ELi16El16rocblas_bfloat16PKfS0_EviiT3_lPKT2_lT1_lS6_lS7_lS3_lPT4_lS7_li ; -- Begin function _ZL20rocblas_gemvn_kernelILi32ELi16El16rocblas_bfloat16PKfS0_EviiT3_lPKT2_lT1_lS6_lS7_lS3_lPT4_lS7_li
	.p2align	8
	.type	_ZL20rocblas_gemvn_kernelILi32ELi16El16rocblas_bfloat16PKfS0_EviiT3_lPKT2_lT1_lS6_lS7_lS3_lPT4_lS7_li,@function
_ZL20rocblas_gemvn_kernelILi32ELi16El16rocblas_bfloat16PKfS0_EviiT3_lPKT2_lT1_lS6_lS7_lS3_lPT4_lS7_li: ; @_ZL20rocblas_gemvn_kernelILi32ELi16El16rocblas_bfloat16PKfS0_EviiT3_lPKT2_lT1_lS6_lS7_lS3_lPT4_lS7_li
; %bb.0:
	s_load_b64 s[2:3], s[0:1], 0x9c
	s_waitcnt lgkmcnt(0)
	s_lshr_b32 s4, s2, 16
	s_and_b32 s2, s2, 0xffff
	s_and_b32 s3, s3, 0xffff
	s_mul_i32 s2, s4, s2
	s_delay_alu instid0(SALU_CYCLE_1) | instskip(NEXT) | instid1(SALU_CYCLE_1)
	s_mul_i32 s2, s2, s3
	s_cmpk_lg_i32 s2, 0x200
	s_cbranch_scc1 .LBB547_70
; %bb.1:
	s_clause 0x1
	s_load_b512 s[36:51], s[0:1], 0x8
	s_load_b512 s[16:31], s[0:1], 0x48
	s_waitcnt lgkmcnt(0)
	s_mul_i32 s3, s15, s39
	s_mul_hi_u32 s4, s15, s38
	s_mul_i32 s2, s15, s38
	s_add_i32 s3, s4, s3
	s_mul_i32 s4, s15, s23
	s_lshl_b64 s[2:3], s[2:3], 2
	s_mul_hi_u32 s5, s15, s22
	s_add_u32 s2, s36, s2
	s_addc_u32 s3, s37, s3
	s_add_i32 s5, s5, s4
	s_mul_i32 s4, s15, s22
	s_delay_alu instid0(SALU_CYCLE_1) | instskip(NEXT) | instid1(SALU_CYCLE_1)
	s_lshl_b64 s[4:5], s[4:5], 2
	s_add_u32 s4, s20, s4
	s_addc_u32 s5, s21, s5
	s_load_b32 s23, s[2:3], 0x0
	s_load_b32 s22, s[4:5], 0x0
	s_mov_b32 s21, 0
	s_waitcnt lgkmcnt(0)
	v_cmp_eq_f32_e64 s2, s23, 0
	v_cmp_eq_f32_e64 s3, s22, 1.0
	s_delay_alu instid0(VALU_DEP_1) | instskip(NEXT) | instid1(SALU_CYCLE_1)
	s_and_b32 s2, s2, s3
	s_and_b32 vcc_lo, exec_lo, s2
	s_cbranch_vccnz .LBB547_70
; %bb.2:
	s_load_b64 s[6:7], s[0:1], 0x0
	v_and_b32_e32 v12, 0x3ff, v0
	v_bfe_u32 v13, v0, 10, 10
	s_mul_i32 s2, s15, s31
	s_mul_hi_u32 s3, s15, s30
	s_mul_i32 s0, s15, s30
	s_add_i32 s1, s3, s2
	v_lshl_add_u32 v11, v13, 5, v12
	s_lshl_b64 s[0:1], s[0:1], 1
	v_cmp_neq_f32_e64 s4, s23, 0
	s_add_u32 s2, s24, s0
	s_addc_u32 s3, s25, s1
	s_lshl_b64 s[0:1], s[26:27], 1
	s_delay_alu instid0(SALU_CYCLE_1)
	s_add_u32 s5, s2, s0
	v_cmp_gt_u32_e64 s0, 0x80, v11
	s_addc_u32 s20, s3, s1
	s_and_b32 vcc_lo, exec_lo, s4
	s_cbranch_vccnz .LBB547_11
; %bb.3:
	s_mov_b32 s1, 0
                                        ; implicit-def: $vgpr3
                                        ; implicit-def: $vgpr0_vgpr1
	s_and_saveexec_b32 s2, s0
	s_cbranch_execz .LBB547_12
; %bb.4:
	v_lshl_or_b32 v2, s14, 7, v11
	v_mov_b32_e32 v3, 0
	s_waitcnt lgkmcnt(0)
	s_ashr_i32 s9, s6, 31
	s_mov_b32 s8, s6
	s_mov_b32 s3, 0
                                        ; implicit-def: $vgpr0_vgpr1
	v_cmp_gt_i64_e32 vcc_lo, s[8:9], v[2:3]
                                        ; implicit-def: $vgpr3
	s_and_saveexec_b32 s0, vcc_lo
	s_cbranch_execz .LBB547_15
; %bb.5:
	v_mad_u64_u32 v[0:1], null, v2, s28, 0
	v_cmp_eq_f32_e64 s3, s22, 0
	s_delay_alu instid0(VALU_DEP_1) | instskip(NEXT) | instid1(VALU_DEP_2)
	s_and_b32 vcc_lo, exec_lo, s3
	v_mad_u64_u32 v[3:4], null, v2, s29, v[1:2]
	s_delay_alu instid0(VALU_DEP_1)
	v_mov_b32_e32 v1, v3
	s_cbranch_vccnz .LBB547_13
; %bb.6:
	s_delay_alu instid0(VALU_DEP_1) | instskip(NEXT) | instid1(VALU_DEP_1)
	v_lshlrev_b64 v[2:3], 1, v[0:1]
	v_add_co_u32 v2, vcc_lo, s5, v2
	s_delay_alu instid0(VALU_DEP_2) | instskip(SKIP_3) | instid1(VALU_DEP_1)
	v_add_co_ci_u32_e32 v3, vcc_lo, s20, v3, vcc_lo
	global_load_u16 v2, v[2:3], off
	s_waitcnt vmcnt(0)
	v_lshlrev_b32_e32 v2, 16, v2
	v_mul_f32_e32 v2, s22, v2
	s_delay_alu instid0(VALU_DEP_1) | instskip(NEXT) | instid1(VALU_DEP_1)
	v_and_b32_e32 v3, 0x7f800000, v2
	v_cmp_ne_u32_e32 vcc_lo, 0x7f800000, v3
                                        ; implicit-def: $vgpr3
	s_and_saveexec_b32 s3, vcc_lo
	s_delay_alu instid0(SALU_CYCLE_1)
	s_xor_b32 s3, exec_lo, s3
; %bb.7:
	v_bfe_u32 v3, v2, 16, 1
	s_delay_alu instid0(VALU_DEP_1)
	v_add3_u32 v3, v2, v3, 0x7fff
                                        ; implicit-def: $vgpr2
; %bb.8:
	s_and_not1_saveexec_b32 s3, s3
; %bb.9:
	v_and_b32_e32 v3, 0xffff, v2
	v_or_b32_e32 v4, 0x10000, v2
	s_delay_alu instid0(VALU_DEP_2) | instskip(NEXT) | instid1(VALU_DEP_2)
	v_cmp_eq_u32_e32 vcc_lo, 0, v3
	v_cndmask_b32_e32 v3, v4, v2, vcc_lo
; %bb.10:
	s_or_b32 exec_lo, exec_lo, s3
	s_delay_alu instid0(VALU_DEP_1)
	v_lshrrev_b32_e32 v3, 16, v3
	s_branch .LBB547_14
.LBB547_11:
                                        ; implicit-def: $vgpr3
                                        ; implicit-def: $vgpr0_vgpr1
	s_cbranch_execnz .LBB547_16
	s_branch .LBB547_68
.LBB547_12:
	s_or_b32 exec_lo, exec_lo, s2
	s_delay_alu instid0(SALU_CYCLE_1)
	s_and_b32 vcc_lo, exec_lo, s1
	s_cbranch_vccnz .LBB547_16
	s_branch .LBB547_68
.LBB547_13:
	v_mov_b32_e32 v3, 0
.LBB547_14:
	s_mov_b32 s3, exec_lo
.LBB547_15:
	s_or_b32 exec_lo, exec_lo, s0
	s_delay_alu instid0(SALU_CYCLE_1) | instskip(SKIP_1) | instid1(SALU_CYCLE_1)
	s_and_b32 s21, s3, exec_lo
	s_or_b32 exec_lo, exec_lo, s2
	s_and_b32 vcc_lo, exec_lo, s1
	s_cbranch_vccz .LBB547_68
.LBB547_16:
	s_mul_i32 s0, s15, s47
	s_mul_hi_u32 s1, s15, s46
	s_lshl_b32 s24, s14, 7
	s_add_i32 s9, s1, s0
	s_waitcnt lgkmcnt(0)
	s_ashr_i32 s1, s7, 31
	v_dual_mov_b32 v15, 0 :: v_dual_lshlrev_b32 v18, 2, v13
	s_lshr_b32 s1, s1, 26
	v_dual_mov_b32 v17, 0 :: v_dual_add_nc_u32 v0, s24, v12
	v_mov_b32_e32 v14, 0
	v_mov_b32_e32 v16, 0
	s_mul_i32 s0, s15, s19
	s_mul_hi_u32 s2, s15, s18
	s_add_i32 s25, s7, s1
	s_mul_i32 s8, s15, s46
	s_and_not1_b32 s25, s25, 63
	s_add_i32 s11, s2, s0
	s_mul_i32 s10, s15, s18
	s_mov_b32 s26, exec_lo
	v_cmpx_gt_i32_e64 s25, v18
	s_cbranch_execz .LBB547_28
; %bb.17:
	v_lshlrev_b32_e32 v29, 2, v13
	v_mad_u64_u32 v[2:3], null, s16, v13, 0
	v_add_nc_u32_e32 v15, 64, v0
	s_lshl_b64 s[0:1], s[10:11], 1
	s_delay_alu instid0(VALU_DEP_3)
	v_or_b32_e32 v16, 3, v29
	s_lshl_b64 s[12:13], s[50:51], 1
	s_add_u32 s4, s48, s0
	s_addc_u32 s27, s49, s1
	v_cmp_gt_i32_e64 s1, s6, v15
	v_mad_u64_u32 v[4:5], null, s44, v16, 0
	s_lshl_b64 s[18:19], s[42:43], 1
	s_lshl_b64 s[14:15], s[16:17], 7
	;; [unrolled: 1-line block ×3, first 2 shown]
	v_ashrrev_i32_e32 v1, 31, v0
	v_cmp_gt_i32_e32 vcc_lo, s6, v0
	s_delay_alu instid0(VALU_DEP_3) | instskip(SKIP_2) | instid1(VALU_DEP_3)
	v_mad_u64_u32 v[6:7], null, s17, v13, v[3:4]
	v_add_nc_u32_e32 v14, 32, v0
	v_mad_u64_u32 v[7:8], null, s16, v16, 0
	v_mov_b32_e32 v3, v6
	v_mad_u64_u32 v[9:10], null, s45, v16, v[5:6]
	s_delay_alu instid0(VALU_DEP_4) | instskip(NEXT) | instid1(VALU_DEP_3)
	v_cmp_gt_i32_e64 s0, s6, v14
	v_lshlrev_b64 v[14:15], 3, v[2:3]
	v_mov_b32_e32 v3, v8
	v_lshlrev_b64 v[1:2], 1, v[0:1]
	v_mov_b32_e32 v5, v9
	v_mad_u64_u32 v[9:10], null, s44, v13, 0
	v_add_co_u32 v19, s3, s4, v14
	s_delay_alu instid0(VALU_DEP_3) | instskip(SKIP_4) | instid1(VALU_DEP_2)
	v_lshlrev_b64 v[4:5], 1, v[4:5]
	v_add_co_ci_u32_e64 v20, s3, s27, v15, s3
	s_add_u32 s3, s40, s18
	s_addc_u32 s18, s41, s19
	s_add_u32 s19, s3, s30
	v_mad_u64_u32 v[14:15], null, s17, v16, v[3:4]
	v_mov_b32_e32 v3, v10
	s_addc_u32 s18, s18, s31
	v_add_co_u32 v21, s3, s19, v4
	s_delay_alu instid0(VALU_DEP_1) | instskip(NEXT) | instid1(VALU_DEP_4)
	v_add_co_ci_u32_e64 v22, s3, s18, v5, s3
	v_mov_b32_e32 v8, v14
	v_or_b32_e32 v23, 2, v29
	v_mad_u64_u32 v[31:32], null, s44, v29, s[44:45]
	s_delay_alu instid0(VALU_DEP_2) | instskip(SKIP_1) | instid1(VALU_DEP_2)
	v_mad_u64_u32 v[27:28], null, s16, v23, 0
	v_mad_u64_u32 v[14:15], null, s44, v23, 0
	v_dual_mov_b32 v6, v28 :: v_dual_add_nc_u32 v17, 0x60, v0
	s_delay_alu instid0(VALU_DEP_1) | instskip(SKIP_3) | instid1(VALU_DEP_1)
	v_cmp_gt_i32_e64 s2, s6, v17
	v_mad_u64_u32 v[16:17], null, s45, v13, v[3:4]
	v_lshlrev_b64 v[4:5], 1, v[7:8]
	v_mov_b32_e32 v3, v15
	v_mad_u64_u32 v[7:8], null, s45, v23, v[3:4]
	s_delay_alu instid0(VALU_DEP_4) | instskip(SKIP_1) | instid1(VALU_DEP_3)
	v_mov_b32_e32 v10, v16
	v_mad_u64_u32 v[16:17], null, s16, v29, s[16:17]
	v_mad_u64_u32 v[25:26], null, s17, v23, v[6:7]
	v_add_co_u32 v23, s3, s4, v4
	s_delay_alu instid0(VALU_DEP_1) | instskip(SKIP_3) | instid1(VALU_DEP_3)
	v_add_co_ci_u32_e64 v24, s3, s27, v5, s3
	v_lshlrev_b64 v[4:5], 3, v[9:10]
	v_mov_b32_e32 v3, v17
	v_dual_mov_b32 v15, v7 :: v_dual_mov_b32 v28, v25
	v_add_co_u32 v25, s3, s19, v4
	s_delay_alu instid0(VALU_DEP_3) | instskip(SKIP_1) | instid1(VALU_DEP_4)
	v_mad_u64_u32 v[6:7], null, s17, v29, v[3:4]
	v_add_co_ci_u32_e64 v26, s3, s18, v5, s3
	v_lshlrev_b64 v[4:5], 1, v[14:15]
	v_dual_mov_b32 v3, v32 :: v_dual_mov_b32 v14, 0
	v_mov_b32_e32 v15, 0
	v_mov_b32_e32 v17, v6
	s_delay_alu instid0(VALU_DEP_3) | instskip(SKIP_2) | instid1(VALU_DEP_4)
	v_mad_u64_u32 v[7:8], null, s45, v29, v[3:4]
	v_lshlrev_b64 v[8:9], 1, v[27:28]
	v_add_co_u32 v27, s3, s19, v4
	v_lshlrev_b64 v[3:4], 1, v[16:17]
	v_mov_b32_e32 v16, 0
	v_add_co_ci_u32_e64 v28, s3, s18, v5, s3
	v_mov_b32_e32 v32, v7
	v_add_co_u32 v29, s3, s4, v8
	s_delay_alu instid0(VALU_DEP_1) | instskip(NEXT) | instid1(VALU_DEP_3)
	v_add_co_ci_u32_e64 v30, s3, s27, v9, s3
	v_lshlrev_b64 v[5:6], 1, v[31:32]
	v_add_co_u32 v31, s3, s4, v3
	s_delay_alu instid0(VALU_DEP_1) | instskip(SKIP_1) | instid1(VALU_DEP_4)
	v_add_co_ci_u32_e64 v32, s3, s27, v4, s3
	v_mov_b32_e32 v17, 0
	v_add_co_u32 v33, s3, s19, v5
	s_delay_alu instid0(VALU_DEP_1)
	v_add_co_ci_u32_e64 v34, s3, s18, v6, s3
	s_lshl_b64 s[18:19], s[44:45], 7
	s_mov_b32 s27, 0
	s_branch .LBB547_22
.LBB547_18:                             ;   in Loop: Header=BB547_22 Depth=1
	s_or_b32 exec_lo, exec_lo, s31
	s_waitcnt vmcnt(2)
	v_lshlrev_b32_e32 v4, 16, v49
	v_lshlrev_b32_e32 v3, 16, v50
	s_waitcnt vmcnt(1)
	s_delay_alu instid0(VALU_DEP_1) | instskip(NEXT) | instid1(VALU_DEP_1)
	v_dual_fmac_f32 v16, v42, v3 :: v_dual_lshlrev_b32 v3, 16, v48
	v_fmac_f32_e32 v16, v40, v4
	s_delay_alu instid0(VALU_DEP_1) | instskip(SKIP_2) | instid1(VALU_DEP_1)
	v_fmac_f32_e32 v16, v38, v3
	s_waitcnt vmcnt(0)
	v_lshlrev_b32_e32 v3, 16, v47
	v_fmac_f32_e32 v16, v37, v3
.LBB547_19:                             ;   in Loop: Header=BB547_22 Depth=1
	s_or_b32 exec_lo, exec_lo, s30
	s_waitcnt vmcnt(3)
	v_lshlrev_b32_e32 v3, 16, v46
	s_waitcnt vmcnt(2)
	s_delay_alu instid0(VALU_DEP_1) | instskip(SKIP_2) | instid1(VALU_DEP_2)
	v_dual_fmac_f32 v15, v42, v3 :: v_dual_lshlrev_b32 v4, 16, v45
	s_waitcnt vmcnt(1)
	v_lshlrev_b32_e32 v3, 16, v44
	v_fmac_f32_e32 v15, v40, v4
	s_delay_alu instid0(VALU_DEP_1) | instskip(SKIP_2) | instid1(VALU_DEP_1)
	v_fmac_f32_e32 v15, v38, v3
	s_waitcnt vmcnt(0)
	v_lshlrev_b32_e32 v3, 16, v43
	v_fmac_f32_e32 v15, v37, v3
.LBB547_20:                             ;   in Loop: Header=BB547_22 Depth=1
	s_or_b32 exec_lo, exec_lo, s3
	s_waitcnt vmcnt(2)
	v_lshlrev_b32_e32 v4, 16, v39
	v_lshlrev_b32_e32 v3, 16, v41
	s_waitcnt vmcnt(1)
	s_delay_alu instid0(VALU_DEP_1) | instskip(NEXT) | instid1(VALU_DEP_1)
	v_dual_fmac_f32 v14, v42, v3 :: v_dual_lshlrev_b32 v3, 16, v36
	v_fmac_f32_e32 v14, v40, v4
	s_delay_alu instid0(VALU_DEP_1) | instskip(SKIP_2) | instid1(VALU_DEP_1)
	v_fmac_f32_e32 v14, v38, v3
	s_waitcnt vmcnt(0)
	v_lshlrev_b32_e32 v3, 16, v35
	v_fmac_f32_e32 v14, v37, v3
.LBB547_21:                             ;   in Loop: Header=BB547_22 Depth=1
	s_or_b32 exec_lo, exec_lo, s4
	v_add_co_u32 v19, s3, v19, s14
	s_delay_alu instid0(VALU_DEP_1) | instskip(SKIP_1) | instid1(VALU_DEP_1)
	v_add_co_ci_u32_e64 v20, s3, s15, v20, s3
	v_add_co_u32 v21, s3, v21, s18
	v_add_co_ci_u32_e64 v22, s3, s19, v22, s3
	v_add_co_u32 v23, s3, v23, s14
	s_delay_alu instid0(VALU_DEP_1) | instskip(SKIP_1) | instid1(VALU_DEP_1)
	v_add_co_ci_u32_e64 v24, s3, s15, v24, s3
	v_add_co_u32 v25, s3, v25, s18
	v_add_co_ci_u32_e64 v26, s3, s19, v26, s3
	v_add_co_u32 v27, s3, v27, s18
	s_delay_alu instid0(VALU_DEP_1) | instskip(SKIP_4) | instid1(VALU_DEP_1)
	v_add_co_ci_u32_e64 v28, s3, s19, v28, s3
	v_add_co_u32 v29, s3, v29, s14
	v_add_nc_u32_e32 v18, 64, v18
	v_add_co_ci_u32_e64 v30, s3, s15, v30, s3
	v_add_co_u32 v31, s3, v31, s14
	v_add_co_ci_u32_e64 v32, s3, s15, v32, s3
	s_delay_alu instid0(VALU_DEP_4) | instskip(SKIP_1) | instid1(VALU_DEP_1)
	v_cmp_le_i32_e64 s3, s25, v18
	v_add_co_u32 v33, s4, v33, s18
	v_add_co_ci_u32_e64 v34, s4, s19, v34, s4
	s_delay_alu instid0(VALU_DEP_3) | instskip(NEXT) | instid1(SALU_CYCLE_1)
	s_or_b32 s27, s3, s27
	s_and_not1_b32 exec_lo, exec_lo, s27
	s_cbranch_execz .LBB547_27
.LBB547_22:                             ; =>This Inner Loop Header: Depth=1
	s_and_saveexec_b32 s4, vcc_lo
	s_cbranch_execz .LBB547_21
; %bb.23:                               ;   in Loop: Header=BB547_22 Depth=1
	v_add_co_u32 v3, s3, v19, s12
	s_delay_alu instid0(VALU_DEP_1) | instskip(SKIP_1) | instid1(VALU_DEP_1)
	v_add_co_ci_u32_e64 v4, s3, s13, v20, s3
	v_add_co_u32 v5, s3, v31, s12
	v_add_co_ci_u32_e64 v6, s3, s13, v32, s3
	v_add_co_u32 v7, s3, v29, s12
	s_delay_alu instid0(VALU_DEP_1) | instskip(SKIP_1) | instid1(VALU_DEP_1)
	v_add_co_ci_u32_e64 v8, s3, s13, v30, s3
	v_add_co_u32 v9, s3, v23, s12
	v_add_co_ci_u32_e64 v10, s3, s13, v24, s3
	global_load_u16 v37, v[3:4], off
	global_load_u16 v38, v[5:6], off
	;; [unrolled: 1-line block ×4, first 2 shown]
	v_add_co_u32 v3, s3, v25, v1
	s_delay_alu instid0(VALU_DEP_1) | instskip(SKIP_1) | instid1(VALU_DEP_1)
	v_add_co_ci_u32_e64 v4, s3, v26, v2, s3
	v_add_co_u32 v5, s3, v33, v1
	v_add_co_ci_u32_e64 v6, s3, v34, v2, s3
	v_add_co_u32 v7, s3, v27, v1
	s_delay_alu instid0(VALU_DEP_1) | instskip(SKIP_1) | instid1(VALU_DEP_1)
	v_add_co_ci_u32_e64 v8, s3, v28, v2, s3
	v_add_co_u32 v9, s3, v21, v1
	v_add_co_ci_u32_e64 v10, s3, v22, v2, s3
	global_load_u16 v41, v[3:4], off
	global_load_u16 v39, v[5:6], off
	;; [unrolled: 1-line block ×4, first 2 shown]
	s_waitcnt vmcnt(7)
	v_lshlrev_b32_e32 v42, 16, v37
	s_waitcnt vmcnt(6)
	v_lshlrev_b32_e32 v40, 16, v38
	s_waitcnt vmcnt(5)
	v_lshlrev_b32_e32 v38, 16, v43
	s_waitcnt vmcnt(4)
	v_lshlrev_b32_e32 v37, 16, v44
	s_and_saveexec_b32 s3, s0
	s_cbranch_execz .LBB547_20
; %bb.24:                               ;   in Loop: Header=BB547_22 Depth=1
	global_load_u16 v46, v[3:4], off offset:64
	global_load_u16 v45, v[5:6], off offset:64
	global_load_u16 v44, v[7:8], off offset:64
	global_load_u16 v43, v[9:10], off offset:64
	s_and_saveexec_b32 s30, s1
	s_cbranch_execz .LBB547_19
; %bb.25:                               ;   in Loop: Header=BB547_22 Depth=1
	global_load_u16 v50, v[3:4], off offset:128
	global_load_u16 v49, v[5:6], off offset:128
	global_load_u16 v48, v[7:8], off offset:128
	global_load_u16 v47, v[9:10], off offset:128
	;; [unrolled: 7-line block ×3, first 2 shown]
	s_waitcnt vmcnt(3)
	v_lshlrev_b32_e32 v3, 16, v3
	s_waitcnt vmcnt(2)
	s_delay_alu instid0(VALU_DEP_1) | instskip(SKIP_2) | instid1(VALU_DEP_2)
	v_dual_fmac_f32 v17, v42, v3 :: v_dual_lshlrev_b32 v4, 16, v4
	s_waitcnt vmcnt(1)
	v_lshlrev_b32_e32 v3, 16, v5
	v_fmac_f32_e32 v17, v40, v4
	s_delay_alu instid0(VALU_DEP_1) | instskip(SKIP_2) | instid1(VALU_DEP_1)
	v_fmac_f32_e32 v17, v38, v3
	s_waitcnt vmcnt(0)
	v_lshlrev_b32_e32 v3, 16, v6
	v_fmac_f32_e32 v17, v37, v3
	s_branch .LBB547_18
.LBB547_27:
	s_or_b32 exec_lo, exec_lo, s27
.LBB547_28:
	s_delay_alu instid0(SALU_CYCLE_1) | instskip(SKIP_1) | instid1(SALU_CYCLE_1)
	s_or_b32 exec_lo, exec_lo, s26
	s_sub_i32 s0, s7, s25
	s_cmp_lt_i32 s0, 1
	s_cbranch_scc1 .LBB547_46
; %bb.29:
	v_cmp_gt_i32_e32 vcc_lo, s7, v18
	v_dual_mov_b32 v9, 0 :: v_dual_mov_b32 v10, 0
	v_or_b32_e32 v2, 1, v18
	v_dual_mov_b32 v19, 0 :: v_dual_mov_b32 v20, 0
	s_and_saveexec_b32 s1, vcc_lo
	s_cbranch_execz .LBB547_37
; %bb.30:
	v_mad_u64_u32 v[3:4], null, v18, s16, 0
	s_lshl_b64 s[2:3], s[10:11], 1
	v_mov_b32_e32 v19, 0
	s_add_u32 s0, s48, s2
	s_addc_u32 s2, s49, s3
	s_lshl_b64 s[10:11], s[50:51], 1
	v_mov_b32_e32 v9, 0
	s_delay_alu instid0(VALU_DEP_3) | instskip(SKIP_3) | instid1(VALU_DEP_1)
	v_dual_mov_b32 v1, v4 :: v_dual_mov_b32 v10, 0
	s_add_u32 s3, s0, s10
	s_addc_u32 s4, s2, s11
	s_mov_b32 s2, exec_lo
	v_mad_u64_u32 v[4:5], null, v18, s17, v[1:2]
	s_delay_alu instid0(VALU_DEP_1) | instskip(NEXT) | instid1(VALU_DEP_1)
	v_lshlrev_b64 v[3:4], 1, v[3:4]
	v_add_co_u32 v3, s0, s3, v3
	s_delay_alu instid0(VALU_DEP_1)
	v_add_co_ci_u32_e64 v4, s0, s4, v4, s0
	global_load_u16 v1, v[3:4], off
	v_cmpx_gt_i32_e64 s7, v2
	s_cbranch_execz .LBB547_36
; %bb.31:
	v_mad_u64_u32 v[3:4], null, v2, s16, 0
	v_mov_b32_e32 v10, 0
	s_mov_b32 s10, exec_lo
	v_mov_b32_e32 v9, 0
	s_delay_alu instid0(VALU_DEP_3) | instskip(NEXT) | instid1(VALU_DEP_1)
	v_mad_u64_u32 v[5:6], null, v2, s17, v[4:5]
	v_mov_b32_e32 v4, v5
	s_delay_alu instid0(VALU_DEP_1) | instskip(NEXT) | instid1(VALU_DEP_1)
	v_lshlrev_b64 v[3:4], 1, v[3:4]
	v_add_co_u32 v3, s0, s3, v3
	s_delay_alu instid0(VALU_DEP_1) | instskip(SKIP_2) | instid1(VALU_DEP_1)
	v_add_co_ci_u32_e64 v4, s0, s4, v4, s0
	global_load_u16 v3, v[3:4], off
	v_or_b32_e32 v4, 2, v18
	v_cmpx_gt_i32_e64 s7, v4
	s_cbranch_execz .LBB547_35
; %bb.32:
	v_mad_u64_u32 v[5:6], null, v4, s16, 0
	s_mov_b32 s11, exec_lo
	v_mov_b32_e32 v9, 0
	s_delay_alu instid0(VALU_DEP_2) | instskip(NEXT) | instid1(VALU_DEP_1)
	v_mad_u64_u32 v[7:8], null, v4, s17, v[6:7]
	v_mov_b32_e32 v6, v7
	s_delay_alu instid0(VALU_DEP_1) | instskip(NEXT) | instid1(VALU_DEP_1)
	v_lshlrev_b64 v[4:5], 1, v[5:6]
	v_add_co_u32 v4, s0, s3, v4
	s_delay_alu instid0(VALU_DEP_1) | instskip(SKIP_2) | instid1(VALU_DEP_1)
	v_add_co_ci_u32_e64 v5, s0, s4, v5, s0
	global_load_u16 v4, v[4:5], off
	v_or_b32_e32 v5, 3, v18
	v_cmpx_gt_i32_e64 s7, v5
	s_cbranch_execz .LBB547_34
; %bb.33:
	v_mad_u64_u32 v[6:7], null, v5, s16, 0
	s_delay_alu instid0(VALU_DEP_1) | instskip(NEXT) | instid1(VALU_DEP_1)
	v_mad_u64_u32 v[8:9], null, v5, s17, v[7:8]
	v_mov_b32_e32 v7, v8
	s_delay_alu instid0(VALU_DEP_1) | instskip(NEXT) | instid1(VALU_DEP_1)
	v_lshlrev_b64 v[5:6], 1, v[6:7]
	v_add_co_u32 v5, s0, s3, v5
	s_delay_alu instid0(VALU_DEP_1)
	v_add_co_ci_u32_e64 v6, s0, s4, v6, s0
	global_load_u16 v5, v[5:6], off
	s_waitcnt vmcnt(0)
	v_lshlrev_b32_e32 v9, 16, v5
.LBB547_34:
	s_or_b32 exec_lo, exec_lo, s11
	s_waitcnt vmcnt(0)
	v_lshlrev_b32_e32 v10, 16, v4
.LBB547_35:
	s_or_b32 exec_lo, exec_lo, s10
	s_waitcnt vmcnt(0)
	v_lshlrev_b32_e32 v19, 16, v3
.LBB547_36:
	s_or_b32 exec_lo, exec_lo, s2
	s_waitcnt vmcnt(0)
	v_lshlrev_b32_e32 v20, 16, v1
.LBB547_37:
	s_or_b32 exec_lo, exec_lo, s1
	s_delay_alu instid0(SALU_CYCLE_1)
	s_mov_b32 s1, exec_lo
	v_cmpx_gt_i32_e64 s6, v0
	s_cbranch_execz .LBB547_45
; %bb.38:
	v_mad_u64_u32 v[3:4], null, v18, s44, 0
	v_mad_u64_u32 v[5:6], null, v2, s44, 0
	v_ashrrev_i32_e32 v1, 31, v0
	s_lshl_b64 s[2:3], s[8:9], 1
	v_or_b32_e32 v28, 2, v18
	s_add_u32 s0, s40, s2
	s_delay_alu instid0(VALU_DEP_4)
	v_cndmask_b32_e32 v3, 0, v3, vcc_lo
	v_lshlrev_b64 v[21:22], 1, v[0:1]
	v_mad_u64_u32 v[7:8], null, v18, s45, v[4:5]
	s_addc_u32 s4, s41, s3
	s_lshl_b64 s[2:3], s[42:43], 1
	v_or_b32_e32 v18, 3, v18
	s_add_u32 s2, s0, s2
	v_mov_b32_e32 v1, v6
	v_mad_u64_u32 v[23:24], null, v28, s44, 0
	s_delay_alu instid0(VALU_DEP_4) | instskip(SKIP_1) | instid1(VALU_DEP_4)
	v_cndmask_b32_e32 v4, 0, v7, vcc_lo
	v_cmp_gt_i32_e32 vcc_lo, s7, v2
	v_mad_u64_u32 v[25:26], null, v2, s45, v[1:2]
	s_addc_u32 s3, s4, s3
	v_mad_u64_u32 v[6:7], null, v18, s44, 0
	v_cndmask_b32_e32 v26, 0, v5, vcc_lo
	v_lshlrev_b64 v[3:4], 1, v[3:4]
	s_delay_alu instid0(VALU_DEP_4) | instskip(NEXT) | instid1(VALU_DEP_2)
	v_cndmask_b32_e32 v27, 0, v25, vcc_lo
	v_add_co_u32 v1, s0, s2, v3
	s_delay_alu instid0(VALU_DEP_1) | instskip(NEXT) | instid1(VALU_DEP_3)
	v_add_co_ci_u32_e64 v2, s0, s3, v4, s0
	v_lshlrev_b64 v[3:4], 1, v[26:27]
	s_delay_alu instid0(VALU_DEP_3) | instskip(NEXT) | instid1(VALU_DEP_3)
	v_add_co_u32 v1, vcc_lo, v1, v21
	v_add_co_ci_u32_e32 v2, vcc_lo, v2, v22, vcc_lo
	v_cmp_gt_i32_e32 vcc_lo, s7, v28
	v_mov_b32_e32 v5, v24
	v_add_co_u32 v3, s0, s2, v3
	s_delay_alu instid0(VALU_DEP_1) | instskip(NEXT) | instid1(VALU_DEP_3)
	v_add_co_ci_u32_e64 v4, s0, s3, v4, s0
	v_mad_u64_u32 v[24:25], null, v28, s45, v[5:6]
	s_delay_alu instid0(VALU_DEP_3) | instskip(SKIP_1) | instid1(VALU_DEP_4)
	v_add_co_u32 v3, s0, v3, v21
	v_mov_b32_e32 v5, v7
	v_add_co_ci_u32_e64 v4, s0, v4, v22, s0
	s_delay_alu instid0(VALU_DEP_4) | instskip(NEXT) | instid1(VALU_DEP_3)
	v_dual_cndmask_b32 v7, 0, v23 :: v_dual_cndmask_b32 v8, 0, v24
	v_mad_u64_u32 v[25:26], null, v18, s45, v[5:6]
	v_cmp_gt_i32_e32 vcc_lo, s7, v18
	s_clause 0x1
	global_load_u16 v18, v[1:2], off
	global_load_u16 v23, v[3:4], off
	s_mov_b32 s0, exec_lo
	s_waitcnt vmcnt(1)
	v_lshlrev_b32_e32 v18, 16, v18
	s_waitcnt vmcnt(0)
	s_delay_alu instid0(VALU_DEP_1) | instskip(SKIP_2) | instid1(VALU_DEP_3)
	v_dual_fmac_f32 v14, v20, v18 :: v_dual_lshlrev_b32 v23, 16, v23
	v_dual_cndmask_b32 v5, 0, v6 :: v_dual_cndmask_b32 v6, 0, v25
	v_lshlrev_b64 v[7:8], 1, v[7:8]
	v_dual_fmac_f32 v14, v19, v23 :: v_dual_add_nc_u32 v23, 32, v0
	s_delay_alu instid0(VALU_DEP_3) | instskip(NEXT) | instid1(VALU_DEP_3)
	v_lshlrev_b64 v[5:6], 1, v[5:6]
	v_add_co_u32 v7, vcc_lo, s2, v7
	s_delay_alu instid0(VALU_DEP_4) | instskip(NEXT) | instid1(VALU_DEP_3)
	v_add_co_ci_u32_e32 v8, vcc_lo, s3, v8, vcc_lo
	v_add_co_u32 v5, vcc_lo, s2, v5
	s_delay_alu instid0(VALU_DEP_4) | instskip(NEXT) | instid1(VALU_DEP_4)
	v_add_co_ci_u32_e32 v6, vcc_lo, s3, v6, vcc_lo
	v_add_co_u32 v7, vcc_lo, v7, v21
	s_delay_alu instid0(VALU_DEP_4) | instskip(NEXT) | instid1(VALU_DEP_4)
	v_add_co_ci_u32_e32 v8, vcc_lo, v8, v22, vcc_lo
	v_add_co_u32 v5, vcc_lo, v5, v21
	s_delay_alu instid0(VALU_DEP_4)
	v_add_co_ci_u32_e32 v6, vcc_lo, v6, v22, vcc_lo
	s_clause 0x1
	global_load_u16 v21, v[7:8], off
	global_load_u16 v22, v[5:6], off
	s_waitcnt vmcnt(1)
	v_lshlrev_b32_e32 v21, 16, v21
	s_waitcnt vmcnt(0)
	v_lshlrev_b32_e32 v18, 16, v22
	s_delay_alu instid0(VALU_DEP_2)
	v_fmac_f32_e32 v14, v10, v21
	v_cmpx_gt_i32_e64 s6, v23
	s_cbranch_execz .LBB547_44
; %bb.39:
	s_clause 0x3
	global_load_u16 v21, v[1:2], off offset:64
	global_load_u16 v22, v[3:4], off offset:64
	;; [unrolled: 1-line block ×4, first 2 shown]
	s_mov_b32 s2, exec_lo
	s_waitcnt vmcnt(3)
	v_lshlrev_b32_e32 v21, 16, v21
	s_waitcnt vmcnt(2)
	v_lshlrev_b32_e32 v22, 16, v22
	;; [unrolled: 2-line block ×3, first 2 shown]
	v_fmac_f32_e32 v15, v20, v21
	s_waitcnt vmcnt(0)
	v_lshlrev_b32_e32 v21, 16, v24
	s_delay_alu instid0(VALU_DEP_2) | instskip(NEXT) | instid1(VALU_DEP_1)
	v_dual_fmac_f32 v15, v19, v22 :: v_dual_add_nc_u32 v22, 64, v0
	v_fmac_f32_e32 v15, v10, v23
	s_delay_alu instid0(VALU_DEP_2)
	v_cmpx_gt_i32_e64 s6, v22
	s_cbranch_execz .LBB547_43
; %bb.40:
	s_clause 0x3
	global_load_u16 v22, v[1:2], off offset:128
	global_load_u16 v23, v[3:4], off offset:128
	;; [unrolled: 1-line block ×4, first 2 shown]
	s_mov_b32 s3, exec_lo
	s_waitcnt vmcnt(3)
	v_lshlrev_b32_e32 v22, 16, v22
	s_waitcnt vmcnt(2)
	s_delay_alu instid0(VALU_DEP_1) | instskip(SKIP_2) | instid1(VALU_DEP_2)
	v_dual_fmac_f32 v16, v20, v22 :: v_dual_lshlrev_b32 v23, 16, v23
	s_waitcnt vmcnt(1)
	v_lshlrev_b32_e32 v22, 16, v24
	v_dual_fmac_f32 v16, v19, v23 :: v_dual_add_nc_u32 v23, 0x60, v0
	s_waitcnt vmcnt(0)
	v_lshlrev_b32_e32 v0, 16, v25
	s_delay_alu instid0(VALU_DEP_2) | instskip(NEXT) | instid1(VALU_DEP_3)
	v_fmac_f32_e32 v16, v10, v22
	v_cmpx_gt_i32_e64 s6, v23
	s_cbranch_execz .LBB547_42
; %bb.41:
	s_clause 0x3
	global_load_u16 v1, v[1:2], off offset:192
	global_load_u16 v2, v[3:4], off offset:192
	;; [unrolled: 1-line block ×4, first 2 shown]
	s_waitcnt vmcnt(3)
	v_lshlrev_b32_e32 v1, 16, v1
	s_waitcnt vmcnt(2)
	s_delay_alu instid0(VALU_DEP_1) | instskip(SKIP_2) | instid1(VALU_DEP_2)
	v_dual_fmac_f32 v17, v20, v1 :: v_dual_lshlrev_b32 v2, 16, v2
	s_waitcnt vmcnt(1)
	v_lshlrev_b32_e32 v1, 16, v3
	v_fmac_f32_e32 v17, v19, v2
	s_delay_alu instid0(VALU_DEP_1) | instskip(SKIP_2) | instid1(VALU_DEP_1)
	v_fmac_f32_e32 v17, v10, v1
	s_waitcnt vmcnt(0)
	v_lshlrev_b32_e32 v1, 16, v4
	v_fmac_f32_e32 v17, v9, v1
.LBB547_42:
	s_or_b32 exec_lo, exec_lo, s3
	s_delay_alu instid0(VALU_DEP_2)
	v_fmac_f32_e32 v16, v9, v0
.LBB547_43:
	s_or_b32 exec_lo, exec_lo, s2
	s_delay_alu instid0(VALU_DEP_2)
	v_fmac_f32_e32 v15, v9, v21
.LBB547_44:
	s_or_b32 exec_lo, exec_lo, s0
	s_delay_alu instid0(VALU_DEP_2)
	v_fmac_f32_e32 v14, v9, v18
.LBB547_45:
	s_or_b32 exec_lo, exec_lo, s1
.LBB547_46:
	v_lshlrev_b32_e32 v0, 7, v13
	s_mov_b32 s0, exec_lo
                                        ; implicit-def: $vgpr3
	s_delay_alu instid0(VALU_DEP_1)
	v_add_lshl_u32 v0, v0, v12, 2
	ds_store_2addr_b32 v0, v14, v15 offset1:32
	ds_store_2addr_b32 v0, v16, v17 offset0:64 offset1:96
	s_waitcnt lgkmcnt(0)
	s_barrier
	buffer_gl0_inv
                                        ; implicit-def: $vgpr0_vgpr1
	v_cmpx_gt_u32_e32 0x80, v11
	s_cbranch_execz .LBB547_67
; %bb.47:
	v_lshlrev_b32_e32 v6, 2, v11
	s_mov_b32 s2, s21
	s_mov_b32 s1, exec_lo
	ds_load_2addr_stride64_b32 v[0:1], v6 offset1:2
	ds_load_2addr_stride64_b32 v[2:3], v6 offset0:4 offset1:6
	ds_load_2addr_stride64_b32 v[4:5], v6 offset0:8 offset1:10
	s_waitcnt lgkmcnt(2)
	v_add_f32_e32 v7, v0, v1
	ds_load_2addr_stride64_b32 v[0:1], v6 offset0:12 offset1:14
	s_waitcnt lgkmcnt(2)
	v_add_f32_e32 v2, v2, v7
	s_delay_alu instid0(VALU_DEP_1) | instskip(SKIP_3) | instid1(VALU_DEP_1)
	v_add_f32_e32 v7, v3, v2
	ds_load_2addr_stride64_b32 v[2:3], v6 offset0:16 offset1:18
	s_waitcnt lgkmcnt(2)
	v_add_f32_e32 v4, v4, v7
	v_add_f32_e32 v7, v5, v4
	ds_load_2addr_stride64_b32 v[4:5], v6 offset0:20 offset1:22
	s_waitcnt lgkmcnt(2)
	v_add_f32_e32 v0, v0, v7
	s_delay_alu instid0(VALU_DEP_1) | instskip(SKIP_1) | instid1(VALU_DEP_1)
	v_add_f32_e32 v0, v1, v0
	s_waitcnt lgkmcnt(1)
	v_add_f32_e32 v2, v2, v0
	ds_load_2addr_stride64_b32 v[0:1], v6 offset0:24 offset1:26
	v_add_f32_e32 v2, v3, v2
	s_waitcnt lgkmcnt(1)
	s_delay_alu instid0(VALU_DEP_1) | instskip(SKIP_3) | instid1(VALU_DEP_1)
	v_add_f32_e32 v4, v4, v2
	ds_load_2addr_stride64_b32 v[2:3], v6 offset0:28 offset1:30
	v_add_f32_e32 v4, v5, v4
	s_waitcnt lgkmcnt(1)
	v_add_f32_e32 v0, v0, v4
	s_delay_alu instid0(VALU_DEP_1) | instskip(SKIP_1) | instid1(VALU_DEP_1)
	v_add_f32_e32 v0, v1, v0
	s_waitcnt lgkmcnt(0)
	v_add_f32_e32 v0, v2, v0
	v_or_b32_e32 v2, s24, v11
	s_delay_alu instid0(VALU_DEP_2)
	v_add_f32_e32 v4, v3, v0
                                        ; implicit-def: $vgpr3
                                        ; implicit-def: $vgpr0_vgpr1
	ds_store_b32 v6, v4
	v_cmpx_gt_i32_e64 s6, v2
	s_cbranch_execz .LBB547_66
; %bb.48:
	v_cmp_eq_f32_e64 s2, s22, 0
	v_mul_f32_e32 v0, s23, v4
	s_delay_alu instid0(VALU_DEP_2)
	s_and_b32 vcc_lo, exec_lo, s2
	s_cbranch_vccz .LBB547_54
; %bb.49:
	s_delay_alu instid0(VALU_DEP_1) | instskip(SKIP_1) | instid1(VALU_DEP_1)
	v_and_b32_e32 v1, 0x7f800000, v0
	s_mov_b32 s2, exec_lo
                                        ; implicit-def: $vgpr3
	v_cmpx_ne_u32_e32 0x7f800000, v1
	s_xor_b32 s2, exec_lo, s2
; %bb.50:
	v_bfe_u32 v1, v0, 16, 1
	s_delay_alu instid0(VALU_DEP_1)
	v_add3_u32 v3, v0, v1, 0x7fff
; %bb.51:
	s_and_not1_saveexec_b32 s2, s2
; %bb.52:
	v_and_b32_e32 v1, 0xffff, v0
	v_or_b32_e32 v3, 0x10000, v0
	s_delay_alu instid0(VALU_DEP_2) | instskip(NEXT) | instid1(VALU_DEP_2)
	v_cmp_eq_u32_e32 vcc_lo, 0, v1
	v_cndmask_b32_e32 v3, v3, v0, vcc_lo
; %bb.53:
	s_or_b32 exec_lo, exec_lo, s2
	s_mov_b32 s2, 0
	s_branch .LBB547_55
.LBB547_54:
	s_mov_b32 s2, -1
                                        ; implicit-def: $vgpr3
.LBB547_55:
	v_ashrrev_i32_e32 v1, 31, v2
	v_mul_lo_u32 v4, v2, s29
	s_and_not1_b32 vcc_lo, exec_lo, s2
	s_delay_alu instid0(VALU_DEP_2)
	v_mul_lo_u32 v5, v1, s28
	s_cbranch_vccnz .LBB547_65
; %bb.56:
	v_mad_u64_u32 v[6:7], null, v2, s28, 0
	s_delay_alu instid0(VALU_DEP_1) | instskip(NEXT) | instid1(VALU_DEP_1)
	v_add3_u32 v7, v7, v4, v5
	v_lshlrev_b64 v[6:7], 1, v[6:7]
	s_delay_alu instid0(VALU_DEP_1) | instskip(NEXT) | instid1(VALU_DEP_2)
	v_add_co_u32 v6, vcc_lo, s5, v6
	v_add_co_ci_u32_e32 v7, vcc_lo, s20, v7, vcc_lo
	global_load_u16 v1, v[6:7], off
	s_waitcnt vmcnt(0)
	v_lshlrev_b32_e32 v1, 16, v1
	s_delay_alu instid0(VALU_DEP_1) | instskip(NEXT) | instid1(VALU_DEP_1)
	v_mul_f32_e32 v1, s22, v1
	v_and_b32_e32 v3, 0x7f800000, v1
	s_delay_alu instid0(VALU_DEP_1) | instskip(SKIP_1) | instid1(SALU_CYCLE_1)
	v_cmp_ne_u32_e32 vcc_lo, 0x7f800000, v3
                                        ; implicit-def: $vgpr3
	s_and_saveexec_b32 s2, vcc_lo
	s_xor_b32 s2, exec_lo, s2
; %bb.57:
	v_bfe_u32 v3, v1, 16, 1
	s_delay_alu instid0(VALU_DEP_1)
	v_add3_u32 v3, v1, v3, 0x7fff
                                        ; implicit-def: $vgpr1
; %bb.58:
	s_and_not1_saveexec_b32 s2, s2
; %bb.59:
	v_and_b32_e32 v3, 0xffff, v1
	v_or_b32_e32 v6, 0x10000, v1
	s_delay_alu instid0(VALU_DEP_2) | instskip(NEXT) | instid1(VALU_DEP_2)
	v_cmp_eq_u32_e32 vcc_lo, 0, v3
	v_cndmask_b32_e32 v3, v6, v1, vcc_lo
; %bb.60:
	s_or_b32 exec_lo, exec_lo, s2
	s_delay_alu instid0(VALU_DEP_1) | instskip(SKIP_1) | instid1(VALU_DEP_1)
	v_and_b32_e32 v1, 0xffff0000, v3
	s_mov_b32 s2, exec_lo
                                        ; implicit-def: $vgpr3
	v_add_f32_e32 v0, v0, v1
	s_delay_alu instid0(VALU_DEP_1) | instskip(NEXT) | instid1(VALU_DEP_1)
	v_and_b32_e32 v1, 0x7f800000, v0
	v_cmpx_ne_u32_e32 0x7f800000, v1
	s_xor_b32 s2, exec_lo, s2
; %bb.61:
	v_bfe_u32 v1, v0, 16, 1
	s_delay_alu instid0(VALU_DEP_1)
	v_add3_u32 v3, v0, v1, 0x7fff
                                        ; implicit-def: $vgpr0
; %bb.62:
	s_and_not1_saveexec_b32 s2, s2
; %bb.63:
	v_and_b32_e32 v1, 0xffff, v0
	v_or_b32_e32 v3, 0x10000, v0
	s_delay_alu instid0(VALU_DEP_2) | instskip(NEXT) | instid1(VALU_DEP_2)
	v_cmp_eq_u32_e32 vcc_lo, 0, v1
	v_cndmask_b32_e32 v3, v3, v0, vcc_lo
; %bb.64:
	s_or_b32 exec_lo, exec_lo, s2
.LBB547_65:
	v_mad_u64_u32 v[0:1], null, v2, s28, 0
	s_delay_alu instid0(VALU_DEP_2) | instskip(SKIP_1) | instid1(VALU_DEP_2)
	v_lshrrev_b32_e32 v3, 16, v3
	s_or_b32 s2, s21, exec_lo
	v_add3_u32 v1, v1, v4, v5
.LBB547_66:
	s_or_b32 exec_lo, exec_lo, s1
	s_delay_alu instid0(SALU_CYCLE_1) | instskip(SKIP_1) | instid1(SALU_CYCLE_1)
	s_and_not1_b32 s1, s21, exec_lo
	s_and_b32 s2, s2, exec_lo
	s_or_b32 s21, s1, s2
.LBB547_67:
	s_or_b32 exec_lo, exec_lo, s0
.LBB547_68:
	s_and_saveexec_b32 s0, s21
	s_cbranch_execz .LBB547_70
; %bb.69:
	v_lshlrev_b64 v[0:1], 1, v[0:1]
	s_delay_alu instid0(VALU_DEP_1) | instskip(NEXT) | instid1(VALU_DEP_2)
	v_add_co_u32 v0, vcc_lo, s5, v0
	v_add_co_ci_u32_e32 v1, vcc_lo, s20, v1, vcc_lo
	global_store_b16 v[0:1], v3, off
.LBB547_70:
	s_nop 0
	s_sendmsg sendmsg(MSG_DEALLOC_VGPRS)
	s_endpgm
	.section	.rodata,"a",@progbits
	.p2align	6, 0x0
	.amdhsa_kernel _ZL20rocblas_gemvn_kernelILi32ELi16El16rocblas_bfloat16PKfS0_EviiT3_lPKT2_lT1_lS6_lS7_lS3_lPT4_lS7_li
		.amdhsa_group_segment_fixed_size 8192
		.amdhsa_private_segment_fixed_size 0
		.amdhsa_kernarg_size 400
		.amdhsa_user_sgpr_count 14
		.amdhsa_user_sgpr_dispatch_ptr 0
		.amdhsa_user_sgpr_queue_ptr 0
		.amdhsa_user_sgpr_kernarg_segment_ptr 1
		.amdhsa_user_sgpr_dispatch_id 0
		.amdhsa_user_sgpr_private_segment_size 0
		.amdhsa_wavefront_size32 1
		.amdhsa_uses_dynamic_stack 0
		.amdhsa_enable_private_segment 0
		.amdhsa_system_sgpr_workgroup_id_x 1
		.amdhsa_system_sgpr_workgroup_id_y 0
		.amdhsa_system_sgpr_workgroup_id_z 1
		.amdhsa_system_sgpr_workgroup_info 0
		.amdhsa_system_vgpr_workitem_id 1
		.amdhsa_next_free_vgpr 51
		.amdhsa_next_free_sgpr 52
		.amdhsa_reserve_vcc 1
		.amdhsa_float_round_mode_32 0
		.amdhsa_float_round_mode_16_64 0
		.amdhsa_float_denorm_mode_32 3
		.amdhsa_float_denorm_mode_16_64 3
		.amdhsa_dx10_clamp 1
		.amdhsa_ieee_mode 1
		.amdhsa_fp16_overflow 0
		.amdhsa_workgroup_processor_mode 1
		.amdhsa_memory_ordered 1
		.amdhsa_forward_progress 0
		.amdhsa_shared_vgpr_count 0
		.amdhsa_exception_fp_ieee_invalid_op 0
		.amdhsa_exception_fp_denorm_src 0
		.amdhsa_exception_fp_ieee_div_zero 0
		.amdhsa_exception_fp_ieee_overflow 0
		.amdhsa_exception_fp_ieee_underflow 0
		.amdhsa_exception_fp_ieee_inexact 0
		.amdhsa_exception_int_div_zero 0
	.end_amdhsa_kernel
	.section	.text._ZL20rocblas_gemvn_kernelILi32ELi16El16rocblas_bfloat16PKfS0_EviiT3_lPKT2_lT1_lS6_lS7_lS3_lPT4_lS7_li,"axG",@progbits,_ZL20rocblas_gemvn_kernelILi32ELi16El16rocblas_bfloat16PKfS0_EviiT3_lPKT2_lT1_lS6_lS7_lS3_lPT4_lS7_li,comdat
.Lfunc_end547:
	.size	_ZL20rocblas_gemvn_kernelILi32ELi16El16rocblas_bfloat16PKfS0_EviiT3_lPKT2_lT1_lS6_lS7_lS3_lPT4_lS7_li, .Lfunc_end547-_ZL20rocblas_gemvn_kernelILi32ELi16El16rocblas_bfloat16PKfS0_EviiT3_lPKT2_lT1_lS6_lS7_lS3_lPT4_lS7_li
                                        ; -- End function
	.section	.AMDGPU.csdata,"",@progbits
; Kernel info:
; codeLenInByte = 4148
; NumSgprs: 54
; NumVgprs: 51
; ScratchSize: 0
; MemoryBound: 0
; FloatMode: 240
; IeeeMode: 1
; LDSByteSize: 8192 bytes/workgroup (compile time only)
; SGPRBlocks: 6
; VGPRBlocks: 6
; NumSGPRsForWavesPerEU: 54
; NumVGPRsForWavesPerEU: 51
; Occupancy: 16
; WaveLimiterHint : 0
; COMPUTE_PGM_RSRC2:SCRATCH_EN: 0
; COMPUTE_PGM_RSRC2:USER_SGPR: 14
; COMPUTE_PGM_RSRC2:TRAP_HANDLER: 0
; COMPUTE_PGM_RSRC2:TGID_X_EN: 1
; COMPUTE_PGM_RSRC2:TGID_Y_EN: 0
; COMPUTE_PGM_RSRC2:TGID_Z_EN: 1
; COMPUTE_PGM_RSRC2:TIDIG_COMP_CNT: 1
	.section	.text._ZL20rocblas_gemvn_kernelILi32ELi16Ei16rocblas_bfloat16fS0_EviiT3_lPKT2_lT1_lS4_lS5_lS1_lPT4_lS5_li,"axG",@progbits,_ZL20rocblas_gemvn_kernelILi32ELi16Ei16rocblas_bfloat16fS0_EviiT3_lPKT2_lT1_lS4_lS5_lS1_lPT4_lS5_li,comdat
	.globl	_ZL20rocblas_gemvn_kernelILi32ELi16Ei16rocblas_bfloat16fS0_EviiT3_lPKT2_lT1_lS4_lS5_lS1_lPT4_lS5_li ; -- Begin function _ZL20rocblas_gemvn_kernelILi32ELi16Ei16rocblas_bfloat16fS0_EviiT3_lPKT2_lT1_lS4_lS5_lS1_lPT4_lS5_li
	.p2align	8
	.type	_ZL20rocblas_gemvn_kernelILi32ELi16Ei16rocblas_bfloat16fS0_EviiT3_lPKT2_lT1_lS4_lS5_lS1_lPT4_lS5_li,@function
_ZL20rocblas_gemvn_kernelILi32ELi16Ei16rocblas_bfloat16fS0_EviiT3_lPKT2_lT1_lS4_lS5_lS1_lPT4_lS5_li: ; @_ZL20rocblas_gemvn_kernelILi32ELi16Ei16rocblas_bfloat16fS0_EviiT3_lPKT2_lT1_lS4_lS5_lS1_lPT4_lS5_li
; %bb.0:
	s_load_b64 s[2:3], s[0:1], 0x9c
	s_waitcnt lgkmcnt(0)
	s_lshr_b32 s4, s2, 16
	s_and_b32 s2, s2, 0xffff
	s_and_b32 s3, s3, 0xffff
	s_mul_i32 s2, s4, s2
	s_delay_alu instid0(SALU_CYCLE_1) | instskip(NEXT) | instid1(SALU_CYCLE_1)
	s_mul_i32 s2, s2, s3
	s_cmpk_lg_i32 s2, 0x200
	s_cbranch_scc1 .LBB548_70
; %bb.1:
	s_clause 0x1
	s_load_b128 s[4:7], s[0:1], 0x0
	s_load_b32 s16, s[0:1], 0x58
	s_mov_b32 s13, 0
	s_waitcnt lgkmcnt(0)
	v_cmp_eq_f32_e64 s2, s6, 0
	v_cmp_eq_f32_e64 s3, s16, 1.0
	s_delay_alu instid0(VALU_DEP_1) | instskip(NEXT) | instid1(SALU_CYCLE_1)
	s_and_b32 s2, s2, s3
	s_and_b32 vcc_lo, exec_lo, s2
	s_cbranch_vccnz .LBB548_70
; %bb.2:
	s_clause 0x2
	s_load_b64 s[2:3], s[0:1], 0x80
	s_load_b128 s[8:11], s[0:1], 0x68
	s_load_b32 s17, s[0:1], 0x78
	v_and_b32_e32 v1, 0x3ff, v0
	v_bfe_u32 v13, v0, 10, 10
	v_cmp_neq_f32_e64 s18, s6, 0
	s_delay_alu instid0(VALU_DEP_2)
	v_lshl_add_u32 v0, v13, 5, v1
	s_waitcnt lgkmcnt(0)
	s_mul_i32 s3, s15, s3
	s_mul_hi_u32 s7, s15, s2
	s_mul_i32 s2, s15, s2
	s_add_i32 s3, s7, s3
	s_delay_alu instid0(SALU_CYCLE_1) | instskip(NEXT) | instid1(SALU_CYCLE_1)
	s_lshl_b64 s[2:3], s[2:3], 1
	s_add_u32 s7, s8, s2
	s_addc_u32 s8, s9, s3
	s_lshl_b64 s[2:3], s[10:11], 1
	s_delay_alu instid0(SALU_CYCLE_1)
	s_add_u32 s7, s7, s2
	v_cmp_gt_u32_e64 s2, 0x80, v0
	s_addc_u32 s12, s8, s3
	s_and_b32 vcc_lo, exec_lo, s18
	s_cbranch_vccnz .LBB548_11
; %bb.3:
	s_mov_b32 s3, 0
                                        ; implicit-def: $vgpr5
                                        ; implicit-def: $vgpr2_vgpr3
	s_and_saveexec_b32 s8, s2
	s_cbranch_execz .LBB548_12
; %bb.4:
	v_lshl_or_b32 v4, s14, 7, v0
	v_mov_b32_e32 v5, 0
	s_ashr_i32 s11, s4, 31
	s_mov_b32 s10, s4
	s_mov_b32 s9, 0
                                        ; implicit-def: $vgpr2_vgpr3
	s_delay_alu instid0(VALU_DEP_1)
	v_cmp_gt_i64_e32 vcc_lo, s[10:11], v[4:5]
                                        ; implicit-def: $vgpr5
	s_and_saveexec_b32 s2, vcc_lo
	s_cbranch_execz .LBB548_15
; %bb.5:
	v_mad_u64_u32 v[2:3], null, s17, v4, 0
	s_ashr_i32 s9, s17, 31
	s_delay_alu instid0(VALU_DEP_1) | instid1(SALU_CYCLE_1)
	v_mad_u64_u32 v[5:6], null, s9, v4, v[3:4]
	v_cmp_eq_f32_e64 s9, s16, 0
	s_delay_alu instid0(VALU_DEP_1) | instskip(NEXT) | instid1(VALU_DEP_2)
	s_and_b32 vcc_lo, exec_lo, s9
	v_mov_b32_e32 v3, v5
	s_cbranch_vccnz .LBB548_13
; %bb.6:
	s_delay_alu instid0(VALU_DEP_1) | instskip(NEXT) | instid1(VALU_DEP_1)
	v_lshlrev_b64 v[4:5], 1, v[2:3]
	v_add_co_u32 v4, vcc_lo, s7, v4
	s_delay_alu instid0(VALU_DEP_2) | instskip(SKIP_3) | instid1(VALU_DEP_1)
	v_add_co_ci_u32_e32 v5, vcc_lo, s12, v5, vcc_lo
	global_load_u16 v4, v[4:5], off
	s_waitcnt vmcnt(0)
	v_lshlrev_b32_e32 v4, 16, v4
	v_mul_f32_e32 v4, s16, v4
	s_delay_alu instid0(VALU_DEP_1) | instskip(NEXT) | instid1(VALU_DEP_1)
	v_and_b32_e32 v5, 0x7f800000, v4
	v_cmp_ne_u32_e32 vcc_lo, 0x7f800000, v5
                                        ; implicit-def: $vgpr5
	s_and_saveexec_b32 s9, vcc_lo
	s_delay_alu instid0(SALU_CYCLE_1)
	s_xor_b32 s9, exec_lo, s9
; %bb.7:
	v_bfe_u32 v5, v4, 16, 1
	s_delay_alu instid0(VALU_DEP_1)
	v_add3_u32 v5, v4, v5, 0x7fff
                                        ; implicit-def: $vgpr4
; %bb.8:
	s_and_not1_saveexec_b32 s9, s9
; %bb.9:
	v_and_b32_e32 v5, 0xffff, v4
	v_or_b32_e32 v6, 0x10000, v4
	s_delay_alu instid0(VALU_DEP_2) | instskip(NEXT) | instid1(VALU_DEP_2)
	v_cmp_eq_u32_e32 vcc_lo, 0, v5
	v_cndmask_b32_e32 v5, v6, v4, vcc_lo
; %bb.10:
	s_or_b32 exec_lo, exec_lo, s9
	s_delay_alu instid0(VALU_DEP_1)
	v_lshrrev_b32_e32 v5, 16, v5
	s_branch .LBB548_14
.LBB548_11:
                                        ; implicit-def: $vgpr5
                                        ; implicit-def: $vgpr2_vgpr3
	s_cbranch_execnz .LBB548_16
	s_branch .LBB548_68
.LBB548_12:
	s_or_b32 exec_lo, exec_lo, s8
	s_delay_alu instid0(SALU_CYCLE_1)
	s_and_b32 vcc_lo, exec_lo, s3
	s_cbranch_vccnz .LBB548_16
	s_branch .LBB548_68
.LBB548_13:
	v_mov_b32_e32 v5, 0
.LBB548_14:
	s_mov_b32 s9, exec_lo
.LBB548_15:
	s_or_b32 exec_lo, exec_lo, s2
	s_delay_alu instid0(SALU_CYCLE_1) | instskip(SKIP_1) | instid1(SALU_CYCLE_1)
	s_and_b32 s13, s9, exec_lo
	s_or_b32 exec_lo, exec_lo, s8
	s_and_b32 vcc_lo, exec_lo, s3
	s_cbranch_vccz .LBB548_68
.LBB548_16:
	s_clause 0x4
	s_load_b128 s[8:11], s[0:1], 0x30
	s_load_b64 s[2:3], s[0:1], 0x50
	s_load_b128 s[20:23], s[0:1], 0x18
	s_load_b32 s18, s[0:1], 0x28
	s_load_b64 s[24:25], s[0:1], 0x40
	v_dual_mov_b32 v14, 0 :: v_dual_lshlrev_b32 v19, 2, v13
	v_dual_mov_b32 v15, 0 :: v_dual_mov_b32 v16, 0
	v_mov_b32_e32 v17, 0
	s_waitcnt lgkmcnt(0)
	s_mul_i32 s9, s15, s9
	s_mul_hi_u32 s19, s15, s8
	s_mul_i32 s8, s15, s8
	s_add_i32 s9, s19, s9
	s_mul_i32 s3, s15, s3
	s_lshl_b64 s[8:9], s[8:9], 1
	s_mul_hi_u32 s26, s15, s2
	s_add_u32 s19, s20, s8
	s_addc_u32 s20, s21, s9
	s_lshl_b64 s[8:9], s[22:23], 1
	s_mul_i32 s2, s15, s2
	s_add_u32 s15, s19, s8
	s_load_b32 s8, s[0:1], 0x48
	s_addc_u32 s19, s20, s9
	s_add_i32 s3, s26, s3
	s_mov_b32 s20, exec_lo
	s_lshl_b64 s[0:1], s[2:3], 1
	s_delay_alu instid0(SALU_CYCLE_1) | instskip(SKIP_2) | instid1(SALU_CYCLE_1)
	s_add_u32 s2, s10, s0
	s_addc_u32 s3, s11, s1
	s_lshl_b64 s[0:1], s[24:25], 1
	s_add_u32 s10, s2, s0
	s_addc_u32 s11, s3, s1
	s_ashr_i32 s0, s5, 31
	s_lshl_b32 s9, s14, 7
	s_lshr_b32 s0, s0, 26
	v_add_nc_u32_e32 v18, s9, v1
	s_add_i32 s0, s5, s0
	s_delay_alu instid0(SALU_CYCLE_1) | instskip(NEXT) | instid1(SALU_CYCLE_1)
	s_and_b32 s14, s0, 0xffffffc0
	v_cmpx_gt_i32_e64 s14, v19
	s_cbranch_execz .LBB548_28
; %bb.17:
	v_mul_lo_u32 v3, s18, v19
	v_dual_mov_b32 v15, 0 :: v_dual_add_nc_u32 v2, 32, v18
	v_add_nc_u32_e32 v6, 2, v19
	v_dual_mov_b32 v14, 0 :: v_dual_add_nc_u32 v5, 0x60, v18
	s_delay_alu instid0(VALU_DEP_3)
	v_cmp_gt_i32_e64 s0, s4, v2
	v_dual_mov_b32 v17, 0 :: v_dual_add_nc_u32 v4, 64, v18
	v_add3_u32 v20, v3, s18, v1
	v_mad_u64_u32 v[2:3], null, s18, v6, v[1:2]
	v_cmp_gt_i32_e64 s2, s4, v5
	v_mul_lo_u32 v5, v13, s18
	v_dual_mov_b32 v16, 0 :: v_dual_add_nc_u32 v7, 3, v19
	s_waitcnt lgkmcnt(0)
	v_mul_lo_u32 v8, v13, s8
	v_cmp_gt_i32_e64 s1, s4, v4
	v_mul_lo_u32 v22, s8, v6
	v_mad_u64_u32 v[3:4], null, s18, v7, v[1:2]
	v_lshl_add_u32 v21, v5, 2, v1
	v_mad_u64_u32 v[4:5], null, s8, v19, s[8:9]
	v_mul_lo_u32 v23, s8, v7
	v_cmp_gt_i32_e32 vcc_lo, s4, v18
	v_lshlrev_b32_e32 v24, 2, v8
	s_lshl_b32 s21, s18, 6
	s_lshl_b32 s23, s8, 6
	s_mov_b32 s22, 0
	s_mov_b32 s24, 0
	s_branch .LBB548_22
.LBB548_18:                             ;   in Loop: Header=BB548_22 Depth=1
	s_or_b32 exec_lo, exec_lo, s27
	s_waitcnt vmcnt(2)
	v_lshlrev_b32_e32 v6, 16, v39
	v_lshlrev_b32_e32 v5, 16, v40
	s_waitcnt vmcnt(1)
	s_delay_alu instid0(VALU_DEP_1) | instskip(NEXT) | instid1(VALU_DEP_1)
	v_dual_fmac_f32 v16, v32, v5 :: v_dual_lshlrev_b32 v5, 16, v38
	v_fmac_f32_e32 v16, v30, v6
	s_delay_alu instid0(VALU_DEP_1) | instskip(SKIP_2) | instid1(VALU_DEP_1)
	v_fmac_f32_e32 v16, v28, v5
	s_waitcnt vmcnt(0)
	v_lshlrev_b32_e32 v5, 16, v37
	v_fmac_f32_e32 v16, v27, v5
.LBB548_19:                             ;   in Loop: Header=BB548_22 Depth=1
	s_or_b32 exec_lo, exec_lo, s26
	s_waitcnt vmcnt(3)
	v_lshlrev_b32_e32 v5, 16, v36
	s_waitcnt vmcnt(2)
	s_delay_alu instid0(VALU_DEP_1) | instskip(SKIP_2) | instid1(VALU_DEP_2)
	v_dual_fmac_f32 v15, v32, v5 :: v_dual_lshlrev_b32 v6, 16, v35
	s_waitcnt vmcnt(1)
	v_lshlrev_b32_e32 v5, 16, v34
	v_fmac_f32_e32 v15, v30, v6
	s_delay_alu instid0(VALU_DEP_1) | instskip(SKIP_2) | instid1(VALU_DEP_1)
	v_fmac_f32_e32 v15, v28, v5
	s_waitcnt vmcnt(0)
	v_lshlrev_b32_e32 v5, 16, v33
	v_fmac_f32_e32 v15, v27, v5
.LBB548_20:                             ;   in Loop: Header=BB548_22 Depth=1
	s_or_b32 exec_lo, exec_lo, s3
	s_waitcnt vmcnt(2)
	v_lshlrev_b32_e32 v6, 16, v29
	v_lshlrev_b32_e32 v5, 16, v31
	s_waitcnt vmcnt(1)
	s_delay_alu instid0(VALU_DEP_1) | instskip(NEXT) | instid1(VALU_DEP_1)
	v_dual_fmac_f32 v14, v32, v5 :: v_dual_lshlrev_b32 v5, 16, v26
	v_fmac_f32_e32 v14, v30, v6
	s_delay_alu instid0(VALU_DEP_1) | instskip(SKIP_2) | instid1(VALU_DEP_1)
	v_fmac_f32_e32 v14, v28, v5
	s_waitcnt vmcnt(0)
	v_lshlrev_b32_e32 v5, 16, v25
	v_fmac_f32_e32 v14, v27, v5
.LBB548_21:                             ;   in Loop: Header=BB548_22 Depth=1
	s_or_b32 exec_lo, exec_lo, s25
	v_add_nc_u32_e32 v19, 64, v19
	v_add_nc_u32_e32 v20, s21, v20
	;; [unrolled: 1-line block ×5, first 2 shown]
	v_cmp_le_i32_e64 s3, s14, v19
	s_add_i32 s24, s24, s23
	s_delay_alu instid0(VALU_DEP_1) | instskip(NEXT) | instid1(SALU_CYCLE_1)
	s_or_b32 s22, s3, s22
	s_and_not1_b32 exec_lo, exec_lo, s22
	s_cbranch_execz .LBB548_27
.LBB548_22:                             ; =>This Inner Loop Header: Depth=1
	s_and_saveexec_b32 s25, vcc_lo
	s_cbranch_execz .LBB548_21
; %bb.23:                               ;   in Loop: Header=BB548_22 Depth=1
	v_add_nc_u32_e32 v5, s24, v24
	v_add_nc_u32_e32 v7, s24, v4
	;; [unrolled: 1-line block ×5, first 2 shown]
	v_ashrrev_i32_e32 v6, 31, v5
	v_ashrrev_i32_e32 v8, 31, v7
	v_ashrrev_i32_e32 v10, 31, v9
	v_ashrrev_i32_e32 v12, 31, v11
	v_add_nc_u32_e32 v27, s9, v20
	v_lshlrev_b64 v[5:6], 1, v[5:6]
	v_lshlrev_b64 v[7:8], 1, v[7:8]
	;; [unrolled: 1-line block ×4, first 2 shown]
	v_ashrrev_i32_e32 v26, 31, v25
	v_ashrrev_i32_e32 v28, 31, v27
	v_add_co_u32 v5, s3, s10, v5
	s_delay_alu instid0(VALU_DEP_1) | instskip(SKIP_1) | instid1(VALU_DEP_1)
	v_add_co_ci_u32_e64 v6, s3, s11, v6, s3
	v_add_co_u32 v7, s3, s10, v7
	v_add_co_ci_u32_e64 v8, s3, s11, v8, s3
	v_add_co_u32 v9, s3, s10, v9
	s_delay_alu instid0(VALU_DEP_1)
	v_add_co_ci_u32_e64 v10, s3, s11, v10, s3
	v_add_co_u32 v11, s3, s10, v11
	v_add_nc_u32_e32 v29, s9, v2
	v_add_co_ci_u32_e64 v12, s3, s11, v12, s3
	v_lshlrev_b64 v[25:26], 1, v[25:26]
	s_clause 0x3
	global_load_u16 v32, v[5:6], off
	global_load_u16 v33, v[7:8], off
	global_load_u16 v34, v[9:10], off
	global_load_u16 v35, v[11:12], off
	v_add_nc_u32_e32 v11, s9, v3
	v_lshlrev_b64 v[5:6], 1, v[27:28]
	v_ashrrev_i32_e32 v30, 31, v29
	v_add_co_u32 v7, s3, s15, v25
	s_delay_alu instid0(VALU_DEP_4) | instskip(SKIP_1) | instid1(VALU_DEP_4)
	v_ashrrev_i32_e32 v12, 31, v11
	v_add_co_ci_u32_e64 v8, s3, s19, v26, s3
	v_lshlrev_b64 v[25:26], 1, v[29:30]
	v_add_co_u32 v9, s3, s15, v5
	s_delay_alu instid0(VALU_DEP_1) | instskip(SKIP_1) | instid1(VALU_DEP_4)
	v_add_co_ci_u32_e64 v10, s3, s19, v6, s3
	v_lshlrev_b64 v[5:6], 1, v[11:12]
	v_add_co_u32 v11, s3, s15, v25
	s_delay_alu instid0(VALU_DEP_1) | instskip(NEXT) | instid1(VALU_DEP_3)
	v_add_co_ci_u32_e64 v12, s3, s19, v26, s3
	v_add_co_u32 v5, s3, s15, v5
	s_delay_alu instid0(VALU_DEP_1)
	v_add_co_ci_u32_e64 v6, s3, s19, v6, s3
	s_clause 0x3
	global_load_u16 v31, v[7:8], off
	global_load_u16 v29, v[9:10], off
	;; [unrolled: 1-line block ×4, first 2 shown]
	s_waitcnt vmcnt(7)
	v_lshlrev_b32_e32 v32, 16, v32
	s_waitcnt vmcnt(6)
	v_lshlrev_b32_e32 v30, 16, v33
	;; [unrolled: 2-line block ×4, first 2 shown]
	s_and_saveexec_b32 s3, s0
	s_cbranch_execz .LBB548_20
; %bb.24:                               ;   in Loop: Header=BB548_22 Depth=1
	s_clause 0x3
	global_load_u16 v36, v[7:8], off offset:64
	global_load_u16 v35, v[9:10], off offset:64
	global_load_u16 v34, v[11:12], off offset:64
	global_load_u16 v33, v[5:6], off offset:64
	s_and_saveexec_b32 s26, s1
	s_cbranch_execz .LBB548_19
; %bb.25:                               ;   in Loop: Header=BB548_22 Depth=1
	s_clause 0x3
	global_load_u16 v40, v[7:8], off offset:128
	global_load_u16 v39, v[9:10], off offset:128
	global_load_u16 v38, v[11:12], off offset:128
	global_load_u16 v37, v[5:6], off offset:128
	;; [unrolled: 8-line block ×3, first 2 shown]
	s_waitcnt vmcnt(0)
	v_lshlrev_b32_e32 v5, 16, v5
	v_lshlrev_b32_e32 v6, 16, v7
	;; [unrolled: 1-line block ×3, first 2 shown]
	s_delay_alu instid0(VALU_DEP_2) | instskip(NEXT) | instid1(VALU_DEP_1)
	v_dual_fmac_f32 v17, v32, v6 :: v_dual_lshlrev_b32 v6, 16, v9
	v_fmac_f32_e32 v17, v30, v7
	s_delay_alu instid0(VALU_DEP_1) | instskip(NEXT) | instid1(VALU_DEP_1)
	v_fmac_f32_e32 v17, v28, v6
	v_fmac_f32_e32 v17, v27, v5
	s_branch .LBB548_18
.LBB548_27:
	s_or_b32 exec_lo, exec_lo, s22
.LBB548_28:
	s_delay_alu instid0(SALU_CYCLE_1) | instskip(SKIP_1) | instid1(SALU_CYCLE_1)
	s_or_b32 exec_lo, exec_lo, s20
	s_sub_i32 s0, s5, s14
	s_cmp_lt_i32 s0, 1
	s_cbranch_scc1 .LBB548_46
; %bb.29:
	v_cmp_gt_i32_e32 vcc_lo, s5, v19
	v_dual_mov_b32 v10, 0 :: v_dual_mov_b32 v11, 0
	v_or_b32_e32 v2, 1, v19
	v_mov_b32_e32 v12, 0
	v_mov_b32_e32 v20, 0
	s_and_saveexec_b32 s1, vcc_lo
	s_cbranch_execz .LBB548_37
; %bb.30:
	s_waitcnt lgkmcnt(0)
	v_mul_lo_u32 v3, v19, s8
	v_dual_mov_b32 v12, 0 :: v_dual_mov_b32 v11, 0
	v_mov_b32_e32 v10, 0
	s_mov_b32 s2, exec_lo
	s_delay_alu instid0(VALU_DEP_3) | instskip(NEXT) | instid1(VALU_DEP_1)
	v_ashrrev_i32_e32 v4, 31, v3
	v_lshlrev_b64 v[3:4], 1, v[3:4]
	s_delay_alu instid0(VALU_DEP_1) | instskip(NEXT) | instid1(VALU_DEP_1)
	v_add_co_u32 v3, s0, s10, v3
	v_add_co_ci_u32_e64 v4, s0, s11, v4, s0
	global_load_u16 v3, v[3:4], off
	v_cmpx_gt_i32_e64 s5, v2
	s_cbranch_execz .LBB548_36
; %bb.31:
	v_mul_lo_u32 v4, v2, s8
	v_dual_mov_b32 v11, 0 :: v_dual_mov_b32 v10, 0
	s_mov_b32 s3, exec_lo
	s_delay_alu instid0(VALU_DEP_2) | instskip(NEXT) | instid1(VALU_DEP_1)
	v_ashrrev_i32_e32 v5, 31, v4
	v_lshlrev_b64 v[4:5], 1, v[4:5]
	s_delay_alu instid0(VALU_DEP_1) | instskip(NEXT) | instid1(VALU_DEP_1)
	v_add_co_u32 v4, s0, s10, v4
	v_add_co_ci_u32_e64 v5, s0, s11, v5, s0
	global_load_u16 v4, v[4:5], off
	v_or_b32_e32 v5, 2, v19
	s_delay_alu instid0(VALU_DEP_1)
	v_cmpx_gt_i32_e64 s5, v5
	s_cbranch_execz .LBB548_35
; %bb.32:
	v_mul_lo_u32 v5, v5, s8
	v_mov_b32_e32 v10, 0
	s_mov_b32 s14, exec_lo
	s_delay_alu instid0(VALU_DEP_2) | instskip(NEXT) | instid1(VALU_DEP_1)
	v_ashrrev_i32_e32 v6, 31, v5
	v_lshlrev_b64 v[5:6], 1, v[5:6]
	s_delay_alu instid0(VALU_DEP_1) | instskip(NEXT) | instid1(VALU_DEP_1)
	v_add_co_u32 v5, s0, s10, v5
	v_add_co_ci_u32_e64 v6, s0, s11, v6, s0
	global_load_u16 v5, v[5:6], off
	v_or_b32_e32 v6, 3, v19
	s_delay_alu instid0(VALU_DEP_1)
	v_cmpx_gt_i32_e64 s5, v6
	s_cbranch_execz .LBB548_34
; %bb.33:
	v_mul_lo_u32 v6, v6, s8
	s_delay_alu instid0(VALU_DEP_1) | instskip(NEXT) | instid1(VALU_DEP_1)
	v_ashrrev_i32_e32 v7, 31, v6
	v_lshlrev_b64 v[6:7], 1, v[6:7]
	s_delay_alu instid0(VALU_DEP_1) | instskip(NEXT) | instid1(VALU_DEP_1)
	v_add_co_u32 v6, s0, s10, v6
	v_add_co_ci_u32_e64 v7, s0, s11, v7, s0
	global_load_u16 v6, v[6:7], off
	s_waitcnt vmcnt(0)
	v_lshlrev_b32_e32 v10, 16, v6
.LBB548_34:
	s_or_b32 exec_lo, exec_lo, s14
	s_waitcnt vmcnt(0)
	v_lshlrev_b32_e32 v11, 16, v5
.LBB548_35:
	s_or_b32 exec_lo, exec_lo, s3
	s_waitcnt vmcnt(0)
	v_lshlrev_b32_e32 v12, 16, v4
.LBB548_36:
	s_or_b32 exec_lo, exec_lo, s2
	s_waitcnt vmcnt(0)
	v_lshlrev_b32_e32 v20, 16, v3
.LBB548_37:
	s_or_b32 exec_lo, exec_lo, s1
	s_delay_alu instid0(SALU_CYCLE_1)
	s_mov_b32 s1, exec_lo
	v_cmpx_gt_i32_e64 s4, v18
	s_cbranch_execz .LBB548_45
; %bb.38:
	v_mul_lo_u32 v3, v19, s18
	v_mul_lo_u32 v4, v2, s18
	v_or_b32_e32 v5, 2, v19
	v_or_b32_e32 v6, 3, v19
	s_mov_b32 s0, exec_lo
	s_delay_alu instid0(VALU_DEP_2)
	v_mul_lo_u32 v7, v5, s18
	v_cndmask_b32_e32 v3, 0, v3, vcc_lo
	v_cmp_gt_i32_e32 vcc_lo, s5, v2
	v_mul_lo_u32 v8, v6, s18
	v_cndmask_b32_e32 v4, 0, v4, vcc_lo
	v_cmp_gt_i32_e32 vcc_lo, s5, v5
	v_add_nc_u32_e32 v2, v3, v18
	s_delay_alu instid0(VALU_DEP_3) | instskip(NEXT) | instid1(VALU_DEP_2)
	v_dual_cndmask_b32 v7, 0, v7 :: v_dual_add_nc_u32 v4, v4, v18
	v_ashrrev_i32_e32 v3, 31, v2
	v_cmp_gt_i32_e32 vcc_lo, s5, v6
	s_delay_alu instid0(VALU_DEP_3) | instskip(NEXT) | instid1(VALU_DEP_4)
	v_ashrrev_i32_e32 v5, 31, v4
	v_add_nc_u32_e32 v6, v7, v18
	s_delay_alu instid0(VALU_DEP_4) | instskip(SKIP_1) | instid1(VALU_DEP_4)
	v_lshlrev_b64 v[2:3], 1, v[2:3]
	v_cndmask_b32_e32 v8, 0, v8, vcc_lo
	v_lshlrev_b64 v[21:22], 1, v[4:5]
	s_delay_alu instid0(VALU_DEP_4) | instskip(NEXT) | instid1(VALU_DEP_4)
	v_ashrrev_i32_e32 v7, 31, v6
	v_add_co_u32 v4, vcc_lo, s15, v2
	v_add_co_ci_u32_e32 v5, vcc_lo, s19, v3, vcc_lo
	s_delay_alu instid0(VALU_DEP_4)
	v_add_co_u32 v2, vcc_lo, s15, v21
	v_add_co_ci_u32_e32 v3, vcc_lo, s19, v22, vcc_lo
	s_clause 0x1
	global_load_u16 v19, v[4:5], off
	global_load_u16 v23, v[2:3], off
	v_lshlrev_b64 v[6:7], 1, v[6:7]
	s_waitcnt vmcnt(1)
	v_lshlrev_b32_e32 v19, 16, v19
	v_add_nc_u32_e32 v8, v8, v18
	s_delay_alu instid0(VALU_DEP_1) | instskip(NEXT) | instid1(VALU_DEP_1)
	v_ashrrev_i32_e32 v9, 31, v8
	v_lshlrev_b64 v[21:22], 1, v[8:9]
	v_add_co_u32 v8, vcc_lo, s15, v6
	v_add_co_ci_u32_e32 v9, vcc_lo, s19, v7, vcc_lo
	s_delay_alu instid0(VALU_DEP_3) | instskip(NEXT) | instid1(VALU_DEP_4)
	v_add_co_u32 v6, vcc_lo, s15, v21
	v_add_co_ci_u32_e32 v7, vcc_lo, s19, v22, vcc_lo
	s_clause 0x1
	global_load_u16 v21, v[8:9], off
	global_load_u16 v22, v[6:7], off
	s_waitcnt vmcnt(1)
	v_dual_fmac_f32 v14, v20, v19 :: v_dual_lshlrev_b32 v21, 16, v21
	v_lshlrev_b32_e32 v23, 16, v23
	s_waitcnt vmcnt(0)
	s_delay_alu instid0(VALU_DEP_1) | instskip(NEXT) | instid1(VALU_DEP_1)
	v_dual_fmac_f32 v14, v12, v23 :: v_dual_lshlrev_b32 v19, 16, v22
	v_dual_fmac_f32 v14, v11, v21 :: v_dual_add_nc_u32 v23, 32, v18
	s_delay_alu instid0(VALU_DEP_1)
	v_cmpx_gt_i32_e64 s4, v23
	s_cbranch_execz .LBB548_44
; %bb.39:
	s_clause 0x3
	global_load_u16 v21, v[4:5], off offset:64
	global_load_u16 v22, v[2:3], off offset:64
	;; [unrolled: 1-line block ×4, first 2 shown]
	s_mov_b32 s2, exec_lo
	s_waitcnt vmcnt(3)
	v_lshlrev_b32_e32 v21, 16, v21
	s_waitcnt vmcnt(2)
	v_lshlrev_b32_e32 v22, 16, v22
	;; [unrolled: 2-line block ×3, first 2 shown]
	v_fmac_f32_e32 v15, v20, v21
	s_waitcnt vmcnt(0)
	v_lshlrev_b32_e32 v21, 16, v24
	s_delay_alu instid0(VALU_DEP_2) | instskip(NEXT) | instid1(VALU_DEP_1)
	v_fmac_f32_e32 v15, v12, v22
	v_dual_fmac_f32 v15, v11, v23 :: v_dual_add_nc_u32 v22, 64, v18
	s_delay_alu instid0(VALU_DEP_1)
	v_cmpx_gt_i32_e64 s4, v22
	s_cbranch_execz .LBB548_43
; %bb.40:
	s_clause 0x3
	global_load_u16 v22, v[4:5], off offset:128
	global_load_u16 v23, v[2:3], off offset:128
	;; [unrolled: 1-line block ×4, first 2 shown]
	s_mov_b32 s3, exec_lo
	s_waitcnt vmcnt(3)
	v_lshlrev_b32_e32 v22, 16, v22
	s_waitcnt vmcnt(2)
	s_delay_alu instid0(VALU_DEP_1) | instskip(SKIP_2) | instid1(VALU_DEP_2)
	v_dual_fmac_f32 v16, v20, v22 :: v_dual_lshlrev_b32 v23, 16, v23
	s_waitcnt vmcnt(1)
	v_lshlrev_b32_e32 v22, 16, v24
	v_dual_fmac_f32 v16, v12, v23 :: v_dual_add_nc_u32 v23, 0x60, v18
	s_waitcnt vmcnt(0)
	v_lshlrev_b32_e32 v18, 16, v25
	s_delay_alu instid0(VALU_DEP_2) | instskip(NEXT) | instid1(VALU_DEP_3)
	v_fmac_f32_e32 v16, v11, v22
	v_cmpx_gt_i32_e64 s4, v23
	s_cbranch_execz .LBB548_42
; %bb.41:
	s_clause 0x3
	global_load_u16 v4, v[4:5], off offset:192
	global_load_u16 v2, v[2:3], off offset:192
	global_load_u16 v3, v[8:9], off offset:192
	global_load_u16 v5, v[6:7], off offset:192
	s_waitcnt vmcnt(2)
	v_lshlrev_b32_e32 v2, 16, v2
	v_lshlrev_b32_e32 v4, 16, v4
	s_waitcnt vmcnt(1)
	v_lshlrev_b32_e32 v3, 16, v3
	s_delay_alu instid0(VALU_DEP_2) | instskip(SKIP_1) | instid1(VALU_DEP_1)
	v_fmac_f32_e32 v17, v20, v4
	s_waitcnt vmcnt(0)
	v_dual_fmac_f32 v17, v12, v2 :: v_dual_lshlrev_b32 v2, 16, v5
	s_delay_alu instid0(VALU_DEP_1) | instskip(NEXT) | instid1(VALU_DEP_1)
	v_fmac_f32_e32 v17, v11, v3
	v_fmac_f32_e32 v17, v10, v2
.LBB548_42:
	s_or_b32 exec_lo, exec_lo, s3
	s_delay_alu instid0(VALU_DEP_2)
	v_fmac_f32_e32 v16, v10, v18
.LBB548_43:
	s_or_b32 exec_lo, exec_lo, s2
	s_delay_alu instid0(VALU_DEP_2)
	v_fmac_f32_e32 v15, v10, v21
.LBB548_44:
	s_or_b32 exec_lo, exec_lo, s0
	s_delay_alu instid0(VALU_DEP_2)
	v_fmac_f32_e32 v14, v10, v19
.LBB548_45:
	s_or_b32 exec_lo, exec_lo, s1
.LBB548_46:
	v_lshlrev_b32_e32 v2, 7, v13
	s_mov_b32 s0, exec_lo
                                        ; implicit-def: $vgpr5
	s_delay_alu instid0(VALU_DEP_1)
	v_add_lshl_u32 v1, v2, v1, 2
                                        ; implicit-def: $vgpr2_vgpr3
	ds_store_2addr_b32 v1, v14, v15 offset1:32
	ds_store_2addr_b32 v1, v16, v17 offset0:64 offset1:96
	s_waitcnt lgkmcnt(0)
	s_barrier
	buffer_gl0_inv
	v_cmpx_gt_u32_e32 0x80, v0
	s_cbranch_execz .LBB548_67
; %bb.47:
	v_lshlrev_b32_e32 v7, 2, v0
	s_mov_b32 s2, s13
	s_mov_b32 s1, exec_lo
	ds_load_2addr_stride64_b32 v[1:2], v7 offset1:2
	ds_load_2addr_stride64_b32 v[3:4], v7 offset0:4 offset1:6
	ds_load_2addr_stride64_b32 v[5:6], v7 offset0:8 offset1:10
	s_waitcnt lgkmcnt(2)
	v_add_f32_e32 v8, v1, v2
	ds_load_2addr_stride64_b32 v[1:2], v7 offset0:12 offset1:14
	s_waitcnt lgkmcnt(2)
	v_add_f32_e32 v3, v3, v8
	s_delay_alu instid0(VALU_DEP_1) | instskip(SKIP_3) | instid1(VALU_DEP_1)
	v_add_f32_e32 v8, v4, v3
	ds_load_2addr_stride64_b32 v[3:4], v7 offset0:16 offset1:18
	s_waitcnt lgkmcnt(2)
	v_add_f32_e32 v5, v5, v8
	v_add_f32_e32 v8, v6, v5
	ds_load_2addr_stride64_b32 v[5:6], v7 offset0:20 offset1:22
	s_waitcnt lgkmcnt(2)
	v_add_f32_e32 v1, v1, v8
	s_delay_alu instid0(VALU_DEP_1) | instskip(SKIP_1) | instid1(VALU_DEP_1)
	v_add_f32_e32 v1, v2, v1
	s_waitcnt lgkmcnt(1)
	v_add_f32_e32 v3, v3, v1
	ds_load_2addr_stride64_b32 v[1:2], v7 offset0:24 offset1:26
	v_add_f32_e32 v3, v4, v3
	s_waitcnt lgkmcnt(1)
	s_delay_alu instid0(VALU_DEP_1) | instskip(SKIP_3) | instid1(VALU_DEP_1)
	v_add_f32_e32 v3, v5, v3
	ds_load_2addr_stride64_b32 v[4:5], v7 offset0:28 offset1:30
	v_add_f32_e32 v3, v6, v3
	s_waitcnt lgkmcnt(1)
	v_add_f32_e32 v1, v1, v3
	s_delay_alu instid0(VALU_DEP_1) | instskip(SKIP_1) | instid1(VALU_DEP_1)
	v_add_f32_e32 v1, v2, v1
                                        ; implicit-def: $vgpr2_vgpr3
	s_waitcnt lgkmcnt(0)
	v_add_f32_e32 v1, v4, v1
	v_or_b32_e32 v4, s9, v0
	s_delay_alu instid0(VALU_DEP_2)
	v_add_f32_e32 v0, v5, v1
                                        ; implicit-def: $vgpr5
	ds_store_b32 v7, v0
	v_cmpx_gt_i32_e64 s4, v4
	s_cbranch_execz .LBB548_66
; %bb.48:
	v_cmp_eq_f32_e64 s2, s16, 0
	v_mul_f32_e32 v0, s6, v0
	s_delay_alu instid0(VALU_DEP_2)
	s_and_b32 vcc_lo, exec_lo, s2
	s_cbranch_vccz .LBB548_54
; %bb.49:
	s_delay_alu instid0(VALU_DEP_1) | instskip(NEXT) | instid1(VALU_DEP_1)
	v_and_b32_e32 v1, 0x7f800000, v0
	v_cmp_ne_u32_e32 vcc_lo, 0x7f800000, v1
                                        ; implicit-def: $vgpr1
	s_and_saveexec_b32 s2, vcc_lo
	s_delay_alu instid0(SALU_CYCLE_1)
	s_xor_b32 s2, exec_lo, s2
; %bb.50:
	v_bfe_u32 v1, v0, 16, 1
	s_delay_alu instid0(VALU_DEP_1)
	v_add3_u32 v1, v0, v1, 0x7fff
; %bb.51:
	s_and_not1_saveexec_b32 s2, s2
; %bb.52:
	v_and_b32_e32 v1, 0xffff, v0
	v_or_b32_e32 v2, 0x10000, v0
	s_delay_alu instid0(VALU_DEP_2) | instskip(NEXT) | instid1(VALU_DEP_2)
	v_cmp_eq_u32_e32 vcc_lo, 0, v1
	v_cndmask_b32_e32 v1, v2, v0, vcc_lo
; %bb.53:
	s_or_b32 exec_lo, exec_lo, s2
	s_mov_b32 s2, 0
	s_branch .LBB548_55
.LBB548_54:
	s_mov_b32 s2, -1
                                        ; implicit-def: $vgpr1
.LBB548_55:
	v_mul_lo_u32 v2, v4, s17
	s_and_not1_b32 vcc_lo, exec_lo, s2
	s_delay_alu instid0(VALU_DEP_1)
	v_ashrrev_i32_e32 v3, 31, v2
	s_cbranch_vccnz .LBB548_65
; %bb.56:
	s_delay_alu instid0(VALU_DEP_1) | instskip(NEXT) | instid1(VALU_DEP_1)
	v_lshlrev_b64 v[4:5], 1, v[2:3]
	v_add_co_u32 v4, vcc_lo, s7, v4
	s_delay_alu instid0(VALU_DEP_2) | instskip(SKIP_3) | instid1(VALU_DEP_1)
	v_add_co_ci_u32_e32 v5, vcc_lo, s12, v5, vcc_lo
	global_load_u16 v1, v[4:5], off
	s_waitcnt vmcnt(0)
	v_lshlrev_b32_e32 v1, 16, v1
	v_mul_f32_e32 v1, s16, v1
	s_delay_alu instid0(VALU_DEP_1) | instskip(NEXT) | instid1(VALU_DEP_1)
	v_and_b32_e32 v4, 0x7f800000, v1
	v_cmp_ne_u32_e32 vcc_lo, 0x7f800000, v4
                                        ; implicit-def: $vgpr4
	s_and_saveexec_b32 s2, vcc_lo
	s_delay_alu instid0(SALU_CYCLE_1)
	s_xor_b32 s2, exec_lo, s2
; %bb.57:
	v_bfe_u32 v4, v1, 16, 1
	s_delay_alu instid0(VALU_DEP_1)
	v_add3_u32 v4, v1, v4, 0x7fff
                                        ; implicit-def: $vgpr1
; %bb.58:
	s_and_not1_saveexec_b32 s2, s2
; %bb.59:
	v_and_b32_e32 v4, 0xffff, v1
	v_or_b32_e32 v5, 0x10000, v1
	s_delay_alu instid0(VALU_DEP_2) | instskip(NEXT) | instid1(VALU_DEP_2)
	v_cmp_eq_u32_e32 vcc_lo, 0, v4
	v_cndmask_b32_e32 v4, v5, v1, vcc_lo
; %bb.60:
	s_or_b32 exec_lo, exec_lo, s2
	s_delay_alu instid0(VALU_DEP_1) | instskip(NEXT) | instid1(VALU_DEP_1)
	v_and_b32_e32 v1, 0xffff0000, v4
	v_add_f32_e32 v0, v0, v1
	s_delay_alu instid0(VALU_DEP_1) | instskip(NEXT) | instid1(VALU_DEP_1)
	v_and_b32_e32 v1, 0x7f800000, v0
	v_cmp_ne_u32_e32 vcc_lo, 0x7f800000, v1
                                        ; implicit-def: $vgpr1
	s_and_saveexec_b32 s2, vcc_lo
	s_delay_alu instid0(SALU_CYCLE_1)
	s_xor_b32 s2, exec_lo, s2
; %bb.61:
	v_bfe_u32 v1, v0, 16, 1
	s_delay_alu instid0(VALU_DEP_1)
	v_add3_u32 v1, v0, v1, 0x7fff
                                        ; implicit-def: $vgpr0
; %bb.62:
	s_and_not1_saveexec_b32 s2, s2
; %bb.63:
	v_and_b32_e32 v1, 0xffff, v0
	v_or_b32_e32 v4, 0x10000, v0
	s_delay_alu instid0(VALU_DEP_2) | instskip(NEXT) | instid1(VALU_DEP_2)
	v_cmp_eq_u32_e32 vcc_lo, 0, v1
	v_cndmask_b32_e32 v1, v4, v0, vcc_lo
; %bb.64:
	s_or_b32 exec_lo, exec_lo, s2
.LBB548_65:
	s_delay_alu instid0(VALU_DEP_1)
	v_lshrrev_b32_e32 v5, 16, v1
	s_or_b32 s2, s13, exec_lo
.LBB548_66:
	s_or_b32 exec_lo, exec_lo, s1
	s_delay_alu instid0(SALU_CYCLE_1) | instskip(SKIP_1) | instid1(SALU_CYCLE_1)
	s_and_not1_b32 s1, s13, exec_lo
	s_and_b32 s2, s2, exec_lo
	s_or_b32 s13, s1, s2
.LBB548_67:
	s_or_b32 exec_lo, exec_lo, s0
.LBB548_68:
	s_and_saveexec_b32 s0, s13
	s_cbranch_execz .LBB548_70
; %bb.69:
	v_lshlrev_b64 v[0:1], 1, v[2:3]
	s_delay_alu instid0(VALU_DEP_1) | instskip(NEXT) | instid1(VALU_DEP_2)
	v_add_co_u32 v0, vcc_lo, s7, v0
	v_add_co_ci_u32_e32 v1, vcc_lo, s12, v1, vcc_lo
	global_store_b16 v[0:1], v5, off
.LBB548_70:
	s_nop 0
	s_sendmsg sendmsg(MSG_DEALLOC_VGPRS)
	s_endpgm
	.section	.rodata,"a",@progbits
	.p2align	6, 0x0
	.amdhsa_kernel _ZL20rocblas_gemvn_kernelILi32ELi16Ei16rocblas_bfloat16fS0_EviiT3_lPKT2_lT1_lS4_lS5_lS1_lPT4_lS5_li
		.amdhsa_group_segment_fixed_size 8192
		.amdhsa_private_segment_fixed_size 0
		.amdhsa_kernarg_size 400
		.amdhsa_user_sgpr_count 14
		.amdhsa_user_sgpr_dispatch_ptr 0
		.amdhsa_user_sgpr_queue_ptr 0
		.amdhsa_user_sgpr_kernarg_segment_ptr 1
		.amdhsa_user_sgpr_dispatch_id 0
		.amdhsa_user_sgpr_private_segment_size 0
		.amdhsa_wavefront_size32 1
		.amdhsa_uses_dynamic_stack 0
		.amdhsa_enable_private_segment 0
		.amdhsa_system_sgpr_workgroup_id_x 1
		.amdhsa_system_sgpr_workgroup_id_y 0
		.amdhsa_system_sgpr_workgroup_id_z 1
		.amdhsa_system_sgpr_workgroup_info 0
		.amdhsa_system_vgpr_workitem_id 1
		.amdhsa_next_free_vgpr 41
		.amdhsa_next_free_sgpr 28
		.amdhsa_reserve_vcc 1
		.amdhsa_float_round_mode_32 0
		.amdhsa_float_round_mode_16_64 0
		.amdhsa_float_denorm_mode_32 3
		.amdhsa_float_denorm_mode_16_64 3
		.amdhsa_dx10_clamp 1
		.amdhsa_ieee_mode 1
		.amdhsa_fp16_overflow 0
		.amdhsa_workgroup_processor_mode 1
		.amdhsa_memory_ordered 1
		.amdhsa_forward_progress 0
		.amdhsa_shared_vgpr_count 0
		.amdhsa_exception_fp_ieee_invalid_op 0
		.amdhsa_exception_fp_denorm_src 0
		.amdhsa_exception_fp_ieee_div_zero 0
		.amdhsa_exception_fp_ieee_overflow 0
		.amdhsa_exception_fp_ieee_underflow 0
		.amdhsa_exception_fp_ieee_inexact 0
		.amdhsa_exception_int_div_zero 0
	.end_amdhsa_kernel
	.section	.text._ZL20rocblas_gemvn_kernelILi32ELi16Ei16rocblas_bfloat16fS0_EviiT3_lPKT2_lT1_lS4_lS5_lS1_lPT4_lS5_li,"axG",@progbits,_ZL20rocblas_gemvn_kernelILi32ELi16Ei16rocblas_bfloat16fS0_EviiT3_lPKT2_lT1_lS4_lS5_lS1_lPT4_lS5_li,comdat
.Lfunc_end548:
	.size	_ZL20rocblas_gemvn_kernelILi32ELi16Ei16rocblas_bfloat16fS0_EviiT3_lPKT2_lT1_lS4_lS5_lS1_lPT4_lS5_li, .Lfunc_end548-_ZL20rocblas_gemvn_kernelILi32ELi16Ei16rocblas_bfloat16fS0_EviiT3_lPKT2_lT1_lS4_lS5_lS1_lPT4_lS5_li
                                        ; -- End function
	.section	.AMDGPU.csdata,"",@progbits
; Kernel info:
; codeLenInByte = 3600
; NumSgprs: 30
; NumVgprs: 41
; ScratchSize: 0
; MemoryBound: 0
; FloatMode: 240
; IeeeMode: 1
; LDSByteSize: 8192 bytes/workgroup (compile time only)
; SGPRBlocks: 3
; VGPRBlocks: 5
; NumSGPRsForWavesPerEU: 30
; NumVGPRsForWavesPerEU: 41
; Occupancy: 16
; WaveLimiterHint : 1
; COMPUTE_PGM_RSRC2:SCRATCH_EN: 0
; COMPUTE_PGM_RSRC2:USER_SGPR: 14
; COMPUTE_PGM_RSRC2:TRAP_HANDLER: 0
; COMPUTE_PGM_RSRC2:TGID_X_EN: 1
; COMPUTE_PGM_RSRC2:TGID_Y_EN: 0
; COMPUTE_PGM_RSRC2:TGID_Z_EN: 1
; COMPUTE_PGM_RSRC2:TIDIG_COMP_CNT: 1
	.section	.text._ZL20rocblas_gemvn_kernelILi32ELi16El16rocblas_bfloat16fS0_EviiT3_lPKT2_lT1_lS4_lS5_lS1_lPT4_lS5_li,"axG",@progbits,_ZL20rocblas_gemvn_kernelILi32ELi16El16rocblas_bfloat16fS0_EviiT3_lPKT2_lT1_lS4_lS5_lS1_lPT4_lS5_li,comdat
	.globl	_ZL20rocblas_gemvn_kernelILi32ELi16El16rocblas_bfloat16fS0_EviiT3_lPKT2_lT1_lS4_lS5_lS1_lPT4_lS5_li ; -- Begin function _ZL20rocblas_gemvn_kernelILi32ELi16El16rocblas_bfloat16fS0_EviiT3_lPKT2_lT1_lS4_lS5_lS1_lPT4_lS5_li
	.p2align	8
	.type	_ZL20rocblas_gemvn_kernelILi32ELi16El16rocblas_bfloat16fS0_EviiT3_lPKT2_lT1_lS4_lS5_lS1_lPT4_lS5_li,@function
_ZL20rocblas_gemvn_kernelILi32ELi16El16rocblas_bfloat16fS0_EviiT3_lPKT2_lT1_lS4_lS5_lS1_lPT4_lS5_li: ; @_ZL20rocblas_gemvn_kernelILi32ELi16El16rocblas_bfloat16fS0_EviiT3_lPKT2_lT1_lS4_lS5_lS1_lPT4_lS5_li
; %bb.0:
	s_load_b64 s[2:3], s[0:1], 0x9c
	s_waitcnt lgkmcnt(0)
	s_lshr_b32 s4, s2, 16
	s_and_b32 s2, s2, 0xffff
	s_and_b32 s3, s3, 0xffff
	s_mul_i32 s2, s4, s2
	s_delay_alu instid0(SALU_CYCLE_1) | instskip(NEXT) | instid1(SALU_CYCLE_1)
	s_mul_i32 s2, s2, s3
	s_cmpk_lg_i32 s2, 0x200
	s_cbranch_scc1 .LBB549_70
; %bb.1:
	s_clause 0x1
	s_load_b128 s[36:39], s[0:1], 0x0
	s_load_b32 s35, s[0:1], 0x58
	s_mov_b32 s34, 0
	s_waitcnt lgkmcnt(0)
	v_cmp_eq_f32_e64 s2, s38, 0
	v_cmp_eq_f32_e64 s3, s35, 1.0
	s_delay_alu instid0(VALU_DEP_1) | instskip(NEXT) | instid1(SALU_CYCLE_1)
	s_and_b32 s2, s2, s3
	s_and_b32 vcc_lo, exec_lo, s2
	s_cbranch_vccnz .LBB549_70
; %bb.2:
	s_load_b256 s[4:11], s[0:1], 0x68
	v_and_b32_e32 v12, 0x3ff, v0
	v_bfe_u32 v13, v0, 10, 10
	s_delay_alu instid0(VALU_DEP_1)
	v_lshl_add_u32 v11, v13, 5, v12
	s_waitcnt lgkmcnt(0)
	s_mul_i32 s3, s15, s11
	s_mul_hi_u32 s11, s15, s10
	s_mul_i32 s2, s15, s10
	s_add_i32 s3, s11, s3
	v_cmp_neq_f32_e64 s10, s38, 0
	s_lshl_b64 s[2:3], s[2:3], 1
	s_delay_alu instid0(SALU_CYCLE_1) | instskip(SKIP_2) | instid1(SALU_CYCLE_1)
	s_add_u32 s4, s4, s2
	s_addc_u32 s11, s5, s3
	s_lshl_b64 s[2:3], s[6:7], 1
	s_add_u32 s5, s4, s2
	v_cmp_gt_u32_e64 s2, 0x80, v11
	s_addc_u32 s33, s11, s3
	s_and_b32 vcc_lo, exec_lo, s10
	s_cbranch_vccnz .LBB549_11
; %bb.3:
	s_mov_b32 s3, 0
                                        ; implicit-def: $vgpr3
                                        ; implicit-def: $vgpr0_vgpr1
	s_and_saveexec_b32 s4, s2
	s_cbranch_execz .LBB549_12
; %bb.4:
	v_lshl_or_b32 v2, s14, 7, v11
	v_mov_b32_e32 v3, 0
	s_ashr_i32 s7, s36, 31
	s_mov_b32 s6, s36
                                        ; implicit-def: $vgpr0_vgpr1
	s_delay_alu instid0(VALU_DEP_1) | instid1(SALU_CYCLE_1)
	v_cmp_gt_i64_e32 vcc_lo, s[6:7], v[2:3]
	s_mov_b32 s6, 0
                                        ; implicit-def: $vgpr3
	s_and_saveexec_b32 s2, vcc_lo
	s_cbranch_execz .LBB549_15
; %bb.5:
	v_mad_u64_u32 v[0:1], null, v2, s8, 0
	v_cmp_eq_f32_e64 s6, s35, 0
	s_delay_alu instid0(VALU_DEP_1) | instskip(NEXT) | instid1(VALU_DEP_2)
	s_and_b32 vcc_lo, exec_lo, s6
	v_mad_u64_u32 v[3:4], null, v2, s9, v[1:2]
	s_delay_alu instid0(VALU_DEP_1)
	v_mov_b32_e32 v1, v3
	s_cbranch_vccnz .LBB549_13
; %bb.6:
	s_delay_alu instid0(VALU_DEP_1) | instskip(NEXT) | instid1(VALU_DEP_1)
	v_lshlrev_b64 v[2:3], 1, v[0:1]
	v_add_co_u32 v2, vcc_lo, s5, v2
	s_delay_alu instid0(VALU_DEP_2) | instskip(SKIP_3) | instid1(VALU_DEP_1)
	v_add_co_ci_u32_e32 v3, vcc_lo, s33, v3, vcc_lo
	global_load_u16 v2, v[2:3], off
	s_waitcnt vmcnt(0)
	v_lshlrev_b32_e32 v2, 16, v2
	v_mul_f32_e32 v2, s35, v2
	s_delay_alu instid0(VALU_DEP_1) | instskip(NEXT) | instid1(VALU_DEP_1)
	v_and_b32_e32 v3, 0x7f800000, v2
	v_cmp_ne_u32_e32 vcc_lo, 0x7f800000, v3
                                        ; implicit-def: $vgpr3
	s_and_saveexec_b32 s6, vcc_lo
	s_delay_alu instid0(SALU_CYCLE_1)
	s_xor_b32 s6, exec_lo, s6
; %bb.7:
	v_bfe_u32 v3, v2, 16, 1
	s_delay_alu instid0(VALU_DEP_1)
	v_add3_u32 v3, v2, v3, 0x7fff
                                        ; implicit-def: $vgpr2
; %bb.8:
	s_and_not1_saveexec_b32 s6, s6
; %bb.9:
	v_and_b32_e32 v3, 0xffff, v2
	v_or_b32_e32 v4, 0x10000, v2
	s_delay_alu instid0(VALU_DEP_2) | instskip(NEXT) | instid1(VALU_DEP_2)
	v_cmp_eq_u32_e32 vcc_lo, 0, v3
	v_cndmask_b32_e32 v3, v4, v2, vcc_lo
; %bb.10:
	s_or_b32 exec_lo, exec_lo, s6
	s_delay_alu instid0(VALU_DEP_1)
	v_lshrrev_b32_e32 v3, 16, v3
	s_branch .LBB549_14
.LBB549_11:
                                        ; implicit-def: $vgpr3
                                        ; implicit-def: $vgpr0_vgpr1
	s_cbranch_execnz .LBB549_16
	s_branch .LBB549_68
.LBB549_12:
	s_or_b32 exec_lo, exec_lo, s4
	s_delay_alu instid0(SALU_CYCLE_1)
	s_and_b32 vcc_lo, exec_lo, s3
	s_cbranch_vccnz .LBB549_16
	s_branch .LBB549_68
.LBB549_13:
	v_mov_b32_e32 v3, 0
.LBB549_14:
	s_mov_b32 s6, exec_lo
.LBB549_15:
	s_or_b32 exec_lo, exec_lo, s2
	s_delay_alu instid0(SALU_CYCLE_1) | instskip(SKIP_1) | instid1(SALU_CYCLE_1)
	s_and_b32 s34, s6, exec_lo
	s_or_b32 exec_lo, exec_lo, s4
	s_and_b32 vcc_lo, exec_lo, s3
	s_cbranch_vccz .LBB549_68
.LBB549_16:
	s_load_b512 s[16:31], s[0:1], 0x18
	s_ashr_i32 s0, s37, 31
	s_lshl_b32 s39, s14, 7
	s_lshr_b32 s0, s0, 26
	v_dual_mov_b32 v15, 0 :: v_dual_lshlrev_b32 v18, 2, v13
	v_dual_mov_b32 v14, 0 :: v_dual_mov_b32 v17, 0
	v_mov_b32_e32 v16, 0
	v_add_nc_u32_e32 v0, s39, v12
	s_add_i32 s40, s37, s0
	s_delay_alu instid0(SALU_CYCLE_1)
	s_and_not1_b32 s40, s40, 63
	s_waitcnt lgkmcnt(0)
	s_mul_i32 s0, s15, s23
	s_mul_hi_u32 s1, s15, s22
	s_mul_i32 s2, s15, s31
	s_mul_hi_u32 s3, s15, s30
	s_mul_i32 s6, s15, s22
	s_add_i32 s7, s1, s0
	s_add_i32 s11, s3, s2
	s_mul_i32 s10, s15, s30
	s_mov_b32 s30, exec_lo
	v_cmpx_gt_i32_e64 s40, v18
	s_cbranch_execz .LBB549_28
; %bb.17:
	v_lshlrev_b32_e32 v29, 2, v13
	v_mad_u64_u32 v[2:3], null, s28, v13, 0
	v_add_nc_u32_e32 v15, 64, v0
	s_lshl_b64 s[0:1], s[10:11], 1
	s_delay_alu instid0(VALU_DEP_3)
	v_or_b32_e32 v16, 3, v29
	s_lshl_b64 s[12:13], s[26:27], 1
	s_add_u32 s4, s24, s0
	s_addc_u32 s31, s25, s1
	v_cmp_gt_i32_e64 s1, s36, v15
	v_mad_u64_u32 v[4:5], null, s20, v16, 0
	s_lshl_b64 s[22:23], s[18:19], 1
	s_lshl_b64 s[14:15], s[28:29], 7
	;; [unrolled: 1-line block ×3, first 2 shown]
	v_ashrrev_i32_e32 v1, 31, v0
	v_cmp_gt_i32_e32 vcc_lo, s36, v0
	s_delay_alu instid0(VALU_DEP_3) | instskip(SKIP_2) | instid1(VALU_DEP_3)
	v_mad_u64_u32 v[6:7], null, s29, v13, v[3:4]
	v_add_nc_u32_e32 v14, 32, v0
	v_mad_u64_u32 v[7:8], null, s28, v16, 0
	v_mov_b32_e32 v3, v6
	v_mad_u64_u32 v[9:10], null, s21, v16, v[5:6]
	s_delay_alu instid0(VALU_DEP_4) | instskip(NEXT) | instid1(VALU_DEP_3)
	v_cmp_gt_i32_e64 s0, s36, v14
	v_lshlrev_b64 v[14:15], 3, v[2:3]
	v_mov_b32_e32 v3, v8
	v_lshlrev_b64 v[1:2], 1, v[0:1]
	v_mov_b32_e32 v5, v9
	v_mad_u64_u32 v[9:10], null, s20, v13, 0
	v_add_co_u32 v19, s3, s4, v14
	s_delay_alu instid0(VALU_DEP_3) | instskip(SKIP_4) | instid1(VALU_DEP_2)
	v_lshlrev_b64 v[4:5], 1, v[4:5]
	v_add_co_ci_u32_e64 v20, s3, s31, v15, s3
	s_add_u32 s3, s16, s22
	s_addc_u32 s22, s17, s23
	s_add_u32 s23, s3, s42
	v_mad_u64_u32 v[14:15], null, s29, v16, v[3:4]
	v_mov_b32_e32 v3, v10
	s_addc_u32 s22, s22, s43
	v_add_co_u32 v21, s3, s23, v4
	s_delay_alu instid0(VALU_DEP_1) | instskip(NEXT) | instid1(VALU_DEP_4)
	v_add_co_ci_u32_e64 v22, s3, s22, v5, s3
	v_mov_b32_e32 v8, v14
	v_or_b32_e32 v23, 2, v29
	v_mad_u64_u32 v[31:32], null, s20, v29, s[20:21]
	s_delay_alu instid0(VALU_DEP_2) | instskip(SKIP_1) | instid1(VALU_DEP_2)
	v_mad_u64_u32 v[27:28], null, s28, v23, 0
	v_mad_u64_u32 v[14:15], null, s20, v23, 0
	v_dual_mov_b32 v6, v28 :: v_dual_add_nc_u32 v17, 0x60, v0
	s_delay_alu instid0(VALU_DEP_1) | instskip(SKIP_3) | instid1(VALU_DEP_1)
	v_cmp_gt_i32_e64 s2, s36, v17
	v_mad_u64_u32 v[16:17], null, s21, v13, v[3:4]
	v_lshlrev_b64 v[4:5], 1, v[7:8]
	v_mov_b32_e32 v3, v15
	v_mad_u64_u32 v[7:8], null, s21, v23, v[3:4]
	s_delay_alu instid0(VALU_DEP_4) | instskip(SKIP_1) | instid1(VALU_DEP_3)
	v_mov_b32_e32 v10, v16
	v_mad_u64_u32 v[16:17], null, s28, v29, s[28:29]
	v_mad_u64_u32 v[25:26], null, s29, v23, v[6:7]
	v_add_co_u32 v23, s3, s4, v4
	s_delay_alu instid0(VALU_DEP_1) | instskip(SKIP_3) | instid1(VALU_DEP_3)
	v_add_co_ci_u32_e64 v24, s3, s31, v5, s3
	v_lshlrev_b64 v[4:5], 3, v[9:10]
	v_mov_b32_e32 v3, v17
	v_dual_mov_b32 v15, v7 :: v_dual_mov_b32 v28, v25
	v_add_co_u32 v25, s3, s23, v4
	s_delay_alu instid0(VALU_DEP_3) | instskip(SKIP_1) | instid1(VALU_DEP_4)
	v_mad_u64_u32 v[6:7], null, s29, v29, v[3:4]
	v_add_co_ci_u32_e64 v26, s3, s22, v5, s3
	v_lshlrev_b64 v[4:5], 1, v[14:15]
	v_dual_mov_b32 v3, v32 :: v_dual_mov_b32 v14, 0
	v_mov_b32_e32 v15, 0
	v_mov_b32_e32 v17, v6
	s_delay_alu instid0(VALU_DEP_3) | instskip(SKIP_2) | instid1(VALU_DEP_4)
	v_mad_u64_u32 v[7:8], null, s21, v29, v[3:4]
	v_lshlrev_b64 v[8:9], 1, v[27:28]
	v_add_co_u32 v27, s3, s23, v4
	v_lshlrev_b64 v[3:4], 1, v[16:17]
	v_mov_b32_e32 v16, 0
	v_add_co_ci_u32_e64 v28, s3, s22, v5, s3
	v_mov_b32_e32 v32, v7
	v_add_co_u32 v29, s3, s4, v8
	s_delay_alu instid0(VALU_DEP_1) | instskip(NEXT) | instid1(VALU_DEP_3)
	v_add_co_ci_u32_e64 v30, s3, s31, v9, s3
	v_lshlrev_b64 v[5:6], 1, v[31:32]
	v_add_co_u32 v31, s3, s4, v3
	s_delay_alu instid0(VALU_DEP_1) | instskip(SKIP_1) | instid1(VALU_DEP_4)
	v_add_co_ci_u32_e64 v32, s3, s31, v4, s3
	v_mov_b32_e32 v17, 0
	v_add_co_u32 v33, s3, s23, v5
	s_delay_alu instid0(VALU_DEP_1)
	v_add_co_ci_u32_e64 v34, s3, s22, v6, s3
	s_lshl_b64 s[22:23], s[20:21], 7
	s_mov_b32 s31, 0
	s_branch .LBB549_22
.LBB549_18:                             ;   in Loop: Header=BB549_22 Depth=1
	s_or_b32 exec_lo, exec_lo, s42
	s_waitcnt vmcnt(2)
	v_lshlrev_b32_e32 v4, 16, v49
	v_lshlrev_b32_e32 v3, 16, v50
	s_waitcnt vmcnt(1)
	s_delay_alu instid0(VALU_DEP_1) | instskip(NEXT) | instid1(VALU_DEP_1)
	v_dual_fmac_f32 v16, v42, v3 :: v_dual_lshlrev_b32 v3, 16, v48
	v_fmac_f32_e32 v16, v40, v4
	s_delay_alu instid0(VALU_DEP_1) | instskip(SKIP_2) | instid1(VALU_DEP_1)
	v_fmac_f32_e32 v16, v38, v3
	s_waitcnt vmcnt(0)
	v_lshlrev_b32_e32 v3, 16, v47
	v_fmac_f32_e32 v16, v37, v3
.LBB549_19:                             ;   in Loop: Header=BB549_22 Depth=1
	s_or_b32 exec_lo, exec_lo, s41
	s_waitcnt vmcnt(3)
	v_lshlrev_b32_e32 v3, 16, v46
	s_waitcnt vmcnt(2)
	s_delay_alu instid0(VALU_DEP_1) | instskip(SKIP_2) | instid1(VALU_DEP_2)
	v_dual_fmac_f32 v15, v42, v3 :: v_dual_lshlrev_b32 v4, 16, v45
	s_waitcnt vmcnt(1)
	v_lshlrev_b32_e32 v3, 16, v44
	v_fmac_f32_e32 v15, v40, v4
	s_delay_alu instid0(VALU_DEP_1) | instskip(SKIP_2) | instid1(VALU_DEP_1)
	v_fmac_f32_e32 v15, v38, v3
	s_waitcnt vmcnt(0)
	v_lshlrev_b32_e32 v3, 16, v43
	v_fmac_f32_e32 v15, v37, v3
.LBB549_20:                             ;   in Loop: Header=BB549_22 Depth=1
	s_or_b32 exec_lo, exec_lo, s3
	s_waitcnt vmcnt(2)
	v_lshlrev_b32_e32 v4, 16, v39
	v_lshlrev_b32_e32 v3, 16, v41
	s_waitcnt vmcnt(1)
	s_delay_alu instid0(VALU_DEP_1) | instskip(NEXT) | instid1(VALU_DEP_1)
	v_dual_fmac_f32 v14, v42, v3 :: v_dual_lshlrev_b32 v3, 16, v36
	v_fmac_f32_e32 v14, v40, v4
	s_delay_alu instid0(VALU_DEP_1) | instskip(SKIP_2) | instid1(VALU_DEP_1)
	v_fmac_f32_e32 v14, v38, v3
	s_waitcnt vmcnt(0)
	v_lshlrev_b32_e32 v3, 16, v35
	v_fmac_f32_e32 v14, v37, v3
.LBB549_21:                             ;   in Loop: Header=BB549_22 Depth=1
	s_or_b32 exec_lo, exec_lo, s4
	v_add_co_u32 v19, s3, v19, s14
	s_delay_alu instid0(VALU_DEP_1) | instskip(SKIP_1) | instid1(VALU_DEP_1)
	v_add_co_ci_u32_e64 v20, s3, s15, v20, s3
	v_add_co_u32 v21, s3, v21, s22
	v_add_co_ci_u32_e64 v22, s3, s23, v22, s3
	v_add_co_u32 v23, s3, v23, s14
	s_delay_alu instid0(VALU_DEP_1) | instskip(SKIP_1) | instid1(VALU_DEP_1)
	v_add_co_ci_u32_e64 v24, s3, s15, v24, s3
	v_add_co_u32 v25, s3, v25, s22
	v_add_co_ci_u32_e64 v26, s3, s23, v26, s3
	v_add_co_u32 v27, s3, v27, s22
	s_delay_alu instid0(VALU_DEP_1) | instskip(SKIP_4) | instid1(VALU_DEP_1)
	v_add_co_ci_u32_e64 v28, s3, s23, v28, s3
	v_add_co_u32 v29, s3, v29, s14
	v_add_nc_u32_e32 v18, 64, v18
	v_add_co_ci_u32_e64 v30, s3, s15, v30, s3
	v_add_co_u32 v31, s3, v31, s14
	v_add_co_ci_u32_e64 v32, s3, s15, v32, s3
	s_delay_alu instid0(VALU_DEP_4) | instskip(SKIP_1) | instid1(VALU_DEP_1)
	v_cmp_le_i32_e64 s3, s40, v18
	v_add_co_u32 v33, s4, v33, s22
	v_add_co_ci_u32_e64 v34, s4, s23, v34, s4
	s_delay_alu instid0(VALU_DEP_3) | instskip(NEXT) | instid1(SALU_CYCLE_1)
	s_or_b32 s31, s3, s31
	s_and_not1_b32 exec_lo, exec_lo, s31
	s_cbranch_execz .LBB549_27
.LBB549_22:                             ; =>This Inner Loop Header: Depth=1
	s_and_saveexec_b32 s4, vcc_lo
	s_cbranch_execz .LBB549_21
; %bb.23:                               ;   in Loop: Header=BB549_22 Depth=1
	v_add_co_u32 v3, s3, v19, s12
	s_delay_alu instid0(VALU_DEP_1) | instskip(SKIP_1) | instid1(VALU_DEP_1)
	v_add_co_ci_u32_e64 v4, s3, s13, v20, s3
	v_add_co_u32 v5, s3, v31, s12
	v_add_co_ci_u32_e64 v6, s3, s13, v32, s3
	v_add_co_u32 v7, s3, v29, s12
	s_delay_alu instid0(VALU_DEP_1) | instskip(SKIP_1) | instid1(VALU_DEP_1)
	v_add_co_ci_u32_e64 v8, s3, s13, v30, s3
	v_add_co_u32 v9, s3, v23, s12
	v_add_co_ci_u32_e64 v10, s3, s13, v24, s3
	global_load_u16 v37, v[3:4], off
	global_load_u16 v38, v[5:6], off
	;; [unrolled: 1-line block ×4, first 2 shown]
	v_add_co_u32 v3, s3, v25, v1
	s_delay_alu instid0(VALU_DEP_1) | instskip(SKIP_1) | instid1(VALU_DEP_1)
	v_add_co_ci_u32_e64 v4, s3, v26, v2, s3
	v_add_co_u32 v5, s3, v33, v1
	v_add_co_ci_u32_e64 v6, s3, v34, v2, s3
	v_add_co_u32 v7, s3, v27, v1
	s_delay_alu instid0(VALU_DEP_1) | instskip(SKIP_1) | instid1(VALU_DEP_1)
	v_add_co_ci_u32_e64 v8, s3, v28, v2, s3
	v_add_co_u32 v9, s3, v21, v1
	v_add_co_ci_u32_e64 v10, s3, v22, v2, s3
	global_load_u16 v41, v[3:4], off
	global_load_u16 v39, v[5:6], off
	;; [unrolled: 1-line block ×4, first 2 shown]
	s_waitcnt vmcnt(7)
	v_lshlrev_b32_e32 v42, 16, v37
	s_waitcnt vmcnt(6)
	v_lshlrev_b32_e32 v40, 16, v38
	;; [unrolled: 2-line block ×4, first 2 shown]
	s_and_saveexec_b32 s3, s0
	s_cbranch_execz .LBB549_20
; %bb.24:                               ;   in Loop: Header=BB549_22 Depth=1
	global_load_u16 v46, v[3:4], off offset:64
	global_load_u16 v45, v[5:6], off offset:64
	global_load_u16 v44, v[7:8], off offset:64
	global_load_u16 v43, v[9:10], off offset:64
	s_and_saveexec_b32 s41, s1
	s_cbranch_execz .LBB549_19
; %bb.25:                               ;   in Loop: Header=BB549_22 Depth=1
	global_load_u16 v50, v[3:4], off offset:128
	global_load_u16 v49, v[5:6], off offset:128
	global_load_u16 v48, v[7:8], off offset:128
	global_load_u16 v47, v[9:10], off offset:128
	;; [unrolled: 7-line block ×3, first 2 shown]
	s_waitcnt vmcnt(3)
	v_lshlrev_b32_e32 v3, 16, v3
	s_waitcnt vmcnt(2)
	s_delay_alu instid0(VALU_DEP_1) | instskip(SKIP_2) | instid1(VALU_DEP_2)
	v_dual_fmac_f32 v17, v42, v3 :: v_dual_lshlrev_b32 v4, 16, v4
	s_waitcnt vmcnt(1)
	v_lshlrev_b32_e32 v3, 16, v5
	v_fmac_f32_e32 v17, v40, v4
	s_delay_alu instid0(VALU_DEP_1) | instskip(SKIP_2) | instid1(VALU_DEP_1)
	v_fmac_f32_e32 v17, v38, v3
	s_waitcnt vmcnt(0)
	v_lshlrev_b32_e32 v3, 16, v6
	v_fmac_f32_e32 v17, v37, v3
	s_branch .LBB549_18
.LBB549_27:
	s_or_b32 exec_lo, exec_lo, s31
.LBB549_28:
	s_delay_alu instid0(SALU_CYCLE_1) | instskip(SKIP_1) | instid1(SALU_CYCLE_1)
	s_or_b32 exec_lo, exec_lo, s30
	s_sub_i32 s0, s37, s40
	s_cmp_lt_i32 s0, 1
	s_cbranch_scc1 .LBB549_46
; %bb.29:
	v_cmp_gt_i32_e32 vcc_lo, s37, v18
	v_dual_mov_b32 v9, 0 :: v_dual_mov_b32 v10, 0
	v_or_b32_e32 v2, 1, v18
	v_dual_mov_b32 v19, 0 :: v_dual_mov_b32 v20, 0
	s_and_saveexec_b32 s1, vcc_lo
	s_cbranch_execz .LBB549_37
; %bb.30:
	v_mad_u64_u32 v[3:4], null, v18, s28, 0
	s_lshl_b64 s[2:3], s[10:11], 1
	v_mov_b32_e32 v19, 0
	s_add_u32 s0, s24, s2
	s_addc_u32 s2, s25, s3
	s_lshl_b64 s[10:11], s[26:27], 1
	v_mov_b32_e32 v9, 0
	s_delay_alu instid0(VALU_DEP_3) | instskip(SKIP_3) | instid1(VALU_DEP_1)
	v_dual_mov_b32 v1, v4 :: v_dual_mov_b32 v10, 0
	s_add_u32 s3, s0, s10
	s_addc_u32 s4, s2, s11
	s_mov_b32 s2, exec_lo
	v_mad_u64_u32 v[4:5], null, v18, s29, v[1:2]
	s_delay_alu instid0(VALU_DEP_1) | instskip(NEXT) | instid1(VALU_DEP_1)
	v_lshlrev_b64 v[3:4], 1, v[3:4]
	v_add_co_u32 v3, s0, s3, v3
	s_delay_alu instid0(VALU_DEP_1)
	v_add_co_ci_u32_e64 v4, s0, s4, v4, s0
	global_load_u16 v1, v[3:4], off
	v_cmpx_gt_i32_e64 s37, v2
	s_cbranch_execz .LBB549_36
; %bb.31:
	v_mad_u64_u32 v[3:4], null, v2, s28, 0
	v_mov_b32_e32 v10, 0
	s_mov_b32 s10, exec_lo
	v_mov_b32_e32 v9, 0
	s_delay_alu instid0(VALU_DEP_3) | instskip(NEXT) | instid1(VALU_DEP_1)
	v_mad_u64_u32 v[5:6], null, v2, s29, v[4:5]
	v_mov_b32_e32 v4, v5
	s_delay_alu instid0(VALU_DEP_1) | instskip(NEXT) | instid1(VALU_DEP_1)
	v_lshlrev_b64 v[3:4], 1, v[3:4]
	v_add_co_u32 v3, s0, s3, v3
	s_delay_alu instid0(VALU_DEP_1) | instskip(SKIP_2) | instid1(VALU_DEP_1)
	v_add_co_ci_u32_e64 v4, s0, s4, v4, s0
	global_load_u16 v3, v[3:4], off
	v_or_b32_e32 v4, 2, v18
	v_cmpx_gt_i32_e64 s37, v4
	s_cbranch_execz .LBB549_35
; %bb.32:
	v_mad_u64_u32 v[5:6], null, v4, s28, 0
	s_mov_b32 s11, exec_lo
	v_mov_b32_e32 v9, 0
	s_delay_alu instid0(VALU_DEP_2) | instskip(NEXT) | instid1(VALU_DEP_1)
	v_mad_u64_u32 v[7:8], null, v4, s29, v[6:7]
	v_mov_b32_e32 v6, v7
	s_delay_alu instid0(VALU_DEP_1) | instskip(NEXT) | instid1(VALU_DEP_1)
	v_lshlrev_b64 v[4:5], 1, v[5:6]
	v_add_co_u32 v4, s0, s3, v4
	s_delay_alu instid0(VALU_DEP_1) | instskip(SKIP_2) | instid1(VALU_DEP_1)
	v_add_co_ci_u32_e64 v5, s0, s4, v5, s0
	global_load_u16 v4, v[4:5], off
	v_or_b32_e32 v5, 3, v18
	v_cmpx_gt_i32_e64 s37, v5
	s_cbranch_execz .LBB549_34
; %bb.33:
	v_mad_u64_u32 v[6:7], null, v5, s28, 0
	s_delay_alu instid0(VALU_DEP_1) | instskip(NEXT) | instid1(VALU_DEP_1)
	v_mad_u64_u32 v[8:9], null, v5, s29, v[7:8]
	v_mov_b32_e32 v7, v8
	s_delay_alu instid0(VALU_DEP_1) | instskip(NEXT) | instid1(VALU_DEP_1)
	v_lshlrev_b64 v[5:6], 1, v[6:7]
	v_add_co_u32 v5, s0, s3, v5
	s_delay_alu instid0(VALU_DEP_1)
	v_add_co_ci_u32_e64 v6, s0, s4, v6, s0
	global_load_u16 v5, v[5:6], off
	s_waitcnt vmcnt(0)
	v_lshlrev_b32_e32 v9, 16, v5
.LBB549_34:
	s_or_b32 exec_lo, exec_lo, s11
	s_waitcnt vmcnt(0)
	v_lshlrev_b32_e32 v10, 16, v4
.LBB549_35:
	s_or_b32 exec_lo, exec_lo, s10
	s_waitcnt vmcnt(0)
	v_lshlrev_b32_e32 v19, 16, v3
.LBB549_36:
	s_or_b32 exec_lo, exec_lo, s2
	s_waitcnt vmcnt(0)
	v_lshlrev_b32_e32 v20, 16, v1
.LBB549_37:
	s_or_b32 exec_lo, exec_lo, s1
	s_delay_alu instid0(SALU_CYCLE_1)
	s_mov_b32 s1, exec_lo
	v_cmpx_gt_i32_e64 s36, v0
	s_cbranch_execz .LBB549_45
; %bb.38:
	v_mad_u64_u32 v[3:4], null, v18, s20, 0
	v_mad_u64_u32 v[5:6], null, v2, s20, 0
	v_ashrrev_i32_e32 v1, 31, v0
	s_lshl_b64 s[2:3], s[6:7], 1
	v_or_b32_e32 v28, 2, v18
	s_add_u32 s0, s16, s2
	s_delay_alu instid0(VALU_DEP_4)
	v_cndmask_b32_e32 v3, 0, v3, vcc_lo
	v_lshlrev_b64 v[21:22], 1, v[0:1]
	v_mad_u64_u32 v[7:8], null, v18, s21, v[4:5]
	s_addc_u32 s4, s17, s3
	s_lshl_b64 s[2:3], s[18:19], 1
	v_or_b32_e32 v18, 3, v18
	s_add_u32 s2, s0, s2
	v_mov_b32_e32 v1, v6
	v_mad_u64_u32 v[23:24], null, v28, s20, 0
	s_delay_alu instid0(VALU_DEP_4) | instskip(SKIP_1) | instid1(VALU_DEP_4)
	v_cndmask_b32_e32 v4, 0, v7, vcc_lo
	v_cmp_gt_i32_e32 vcc_lo, s37, v2
	v_mad_u64_u32 v[25:26], null, v2, s21, v[1:2]
	s_addc_u32 s3, s4, s3
	v_mad_u64_u32 v[6:7], null, v18, s20, 0
	v_cndmask_b32_e32 v26, 0, v5, vcc_lo
	v_lshlrev_b64 v[3:4], 1, v[3:4]
	s_delay_alu instid0(VALU_DEP_4) | instskip(NEXT) | instid1(VALU_DEP_2)
	v_cndmask_b32_e32 v27, 0, v25, vcc_lo
	v_add_co_u32 v1, s0, s2, v3
	s_delay_alu instid0(VALU_DEP_1) | instskip(NEXT) | instid1(VALU_DEP_3)
	v_add_co_ci_u32_e64 v2, s0, s3, v4, s0
	v_lshlrev_b64 v[3:4], 1, v[26:27]
	s_delay_alu instid0(VALU_DEP_3) | instskip(NEXT) | instid1(VALU_DEP_3)
	v_add_co_u32 v1, vcc_lo, v1, v21
	v_add_co_ci_u32_e32 v2, vcc_lo, v2, v22, vcc_lo
	v_cmp_gt_i32_e32 vcc_lo, s37, v28
	v_mov_b32_e32 v5, v24
	v_add_co_u32 v3, s0, s2, v3
	s_delay_alu instid0(VALU_DEP_1) | instskip(NEXT) | instid1(VALU_DEP_3)
	v_add_co_ci_u32_e64 v4, s0, s3, v4, s0
	v_mad_u64_u32 v[24:25], null, v28, s21, v[5:6]
	s_delay_alu instid0(VALU_DEP_3) | instskip(SKIP_1) | instid1(VALU_DEP_4)
	v_add_co_u32 v3, s0, v3, v21
	v_mov_b32_e32 v5, v7
	v_add_co_ci_u32_e64 v4, s0, v4, v22, s0
	s_delay_alu instid0(VALU_DEP_4) | instskip(NEXT) | instid1(VALU_DEP_3)
	v_dual_cndmask_b32 v7, 0, v23 :: v_dual_cndmask_b32 v8, 0, v24
	v_mad_u64_u32 v[25:26], null, v18, s21, v[5:6]
	v_cmp_gt_i32_e32 vcc_lo, s37, v18
	s_clause 0x1
	global_load_u16 v18, v[1:2], off
	global_load_u16 v23, v[3:4], off
	s_mov_b32 s0, exec_lo
	s_waitcnt vmcnt(1)
	v_lshlrev_b32_e32 v18, 16, v18
	s_waitcnt vmcnt(0)
	s_delay_alu instid0(VALU_DEP_1) | instskip(SKIP_2) | instid1(VALU_DEP_3)
	v_dual_fmac_f32 v14, v20, v18 :: v_dual_lshlrev_b32 v23, 16, v23
	v_dual_cndmask_b32 v5, 0, v6 :: v_dual_cndmask_b32 v6, 0, v25
	v_lshlrev_b64 v[7:8], 1, v[7:8]
	v_dual_fmac_f32 v14, v19, v23 :: v_dual_add_nc_u32 v23, 32, v0
	s_delay_alu instid0(VALU_DEP_3) | instskip(NEXT) | instid1(VALU_DEP_3)
	v_lshlrev_b64 v[5:6], 1, v[5:6]
	v_add_co_u32 v7, vcc_lo, s2, v7
	s_delay_alu instid0(VALU_DEP_4) | instskip(NEXT) | instid1(VALU_DEP_3)
	v_add_co_ci_u32_e32 v8, vcc_lo, s3, v8, vcc_lo
	v_add_co_u32 v5, vcc_lo, s2, v5
	s_delay_alu instid0(VALU_DEP_4) | instskip(NEXT) | instid1(VALU_DEP_4)
	v_add_co_ci_u32_e32 v6, vcc_lo, s3, v6, vcc_lo
	v_add_co_u32 v7, vcc_lo, v7, v21
	s_delay_alu instid0(VALU_DEP_4) | instskip(NEXT) | instid1(VALU_DEP_4)
	v_add_co_ci_u32_e32 v8, vcc_lo, v8, v22, vcc_lo
	v_add_co_u32 v5, vcc_lo, v5, v21
	s_delay_alu instid0(VALU_DEP_4)
	v_add_co_ci_u32_e32 v6, vcc_lo, v6, v22, vcc_lo
	s_clause 0x1
	global_load_u16 v21, v[7:8], off
	global_load_u16 v22, v[5:6], off
	s_waitcnt vmcnt(1)
	v_lshlrev_b32_e32 v21, 16, v21
	s_waitcnt vmcnt(0)
	v_lshlrev_b32_e32 v18, 16, v22
	s_delay_alu instid0(VALU_DEP_2)
	v_fmac_f32_e32 v14, v10, v21
	v_cmpx_gt_i32_e64 s36, v23
	s_cbranch_execz .LBB549_44
; %bb.39:
	s_clause 0x3
	global_load_u16 v21, v[1:2], off offset:64
	global_load_u16 v22, v[3:4], off offset:64
	;; [unrolled: 1-line block ×4, first 2 shown]
	s_mov_b32 s2, exec_lo
	s_waitcnt vmcnt(3)
	v_lshlrev_b32_e32 v21, 16, v21
	s_waitcnt vmcnt(2)
	v_lshlrev_b32_e32 v22, 16, v22
	;; [unrolled: 2-line block ×3, first 2 shown]
	v_fmac_f32_e32 v15, v20, v21
	s_waitcnt vmcnt(0)
	v_lshlrev_b32_e32 v21, 16, v24
	s_delay_alu instid0(VALU_DEP_2) | instskip(NEXT) | instid1(VALU_DEP_1)
	v_dual_fmac_f32 v15, v19, v22 :: v_dual_add_nc_u32 v22, 64, v0
	v_fmac_f32_e32 v15, v10, v23
	s_delay_alu instid0(VALU_DEP_2)
	v_cmpx_gt_i32_e64 s36, v22
	s_cbranch_execz .LBB549_43
; %bb.40:
	s_clause 0x3
	global_load_u16 v22, v[1:2], off offset:128
	global_load_u16 v23, v[3:4], off offset:128
	;; [unrolled: 1-line block ×4, first 2 shown]
	s_mov_b32 s3, exec_lo
	s_waitcnt vmcnt(3)
	v_lshlrev_b32_e32 v22, 16, v22
	s_waitcnt vmcnt(2)
	s_delay_alu instid0(VALU_DEP_1) | instskip(SKIP_2) | instid1(VALU_DEP_2)
	v_dual_fmac_f32 v16, v20, v22 :: v_dual_lshlrev_b32 v23, 16, v23
	s_waitcnt vmcnt(1)
	v_lshlrev_b32_e32 v22, 16, v24
	v_dual_fmac_f32 v16, v19, v23 :: v_dual_add_nc_u32 v23, 0x60, v0
	s_waitcnt vmcnt(0)
	v_lshlrev_b32_e32 v0, 16, v25
	s_delay_alu instid0(VALU_DEP_2) | instskip(NEXT) | instid1(VALU_DEP_3)
	v_fmac_f32_e32 v16, v10, v22
	v_cmpx_gt_i32_e64 s36, v23
	s_cbranch_execz .LBB549_42
; %bb.41:
	s_clause 0x3
	global_load_u16 v1, v[1:2], off offset:192
	global_load_u16 v2, v[3:4], off offset:192
	;; [unrolled: 1-line block ×4, first 2 shown]
	s_waitcnt vmcnt(3)
	v_lshlrev_b32_e32 v1, 16, v1
	s_waitcnt vmcnt(2)
	s_delay_alu instid0(VALU_DEP_1) | instskip(SKIP_2) | instid1(VALU_DEP_2)
	v_dual_fmac_f32 v17, v20, v1 :: v_dual_lshlrev_b32 v2, 16, v2
	s_waitcnt vmcnt(1)
	v_lshlrev_b32_e32 v1, 16, v3
	v_fmac_f32_e32 v17, v19, v2
	s_delay_alu instid0(VALU_DEP_1) | instskip(SKIP_2) | instid1(VALU_DEP_1)
	v_fmac_f32_e32 v17, v10, v1
	s_waitcnt vmcnt(0)
	v_lshlrev_b32_e32 v1, 16, v4
	v_fmac_f32_e32 v17, v9, v1
.LBB549_42:
	s_or_b32 exec_lo, exec_lo, s3
	s_delay_alu instid0(VALU_DEP_2)
	v_fmac_f32_e32 v16, v9, v0
.LBB549_43:
	s_or_b32 exec_lo, exec_lo, s2
	s_delay_alu instid0(VALU_DEP_2)
	v_fmac_f32_e32 v15, v9, v21
.LBB549_44:
	s_or_b32 exec_lo, exec_lo, s0
	s_delay_alu instid0(VALU_DEP_2)
	v_fmac_f32_e32 v14, v9, v18
.LBB549_45:
	s_or_b32 exec_lo, exec_lo, s1
.LBB549_46:
	v_lshlrev_b32_e32 v0, 7, v13
	s_mov_b32 s0, exec_lo
                                        ; implicit-def: $vgpr3
	s_delay_alu instid0(VALU_DEP_1)
	v_add_lshl_u32 v0, v0, v12, 2
	ds_store_2addr_b32 v0, v14, v15 offset1:32
	ds_store_2addr_b32 v0, v16, v17 offset0:64 offset1:96
	s_waitcnt lgkmcnt(0)
	s_barrier
	buffer_gl0_inv
                                        ; implicit-def: $vgpr0_vgpr1
	v_cmpx_gt_u32_e32 0x80, v11
	s_cbranch_execz .LBB549_67
; %bb.47:
	v_lshlrev_b32_e32 v6, 2, v11
	s_mov_b32 s2, s34
	s_mov_b32 s1, exec_lo
	ds_load_2addr_stride64_b32 v[0:1], v6 offset1:2
	ds_load_2addr_stride64_b32 v[2:3], v6 offset0:4 offset1:6
	ds_load_2addr_stride64_b32 v[4:5], v6 offset0:8 offset1:10
	s_waitcnt lgkmcnt(2)
	v_add_f32_e32 v7, v0, v1
	ds_load_2addr_stride64_b32 v[0:1], v6 offset0:12 offset1:14
	s_waitcnt lgkmcnt(2)
	v_add_f32_e32 v2, v2, v7
	s_delay_alu instid0(VALU_DEP_1) | instskip(SKIP_3) | instid1(VALU_DEP_1)
	v_add_f32_e32 v7, v3, v2
	ds_load_2addr_stride64_b32 v[2:3], v6 offset0:16 offset1:18
	s_waitcnt lgkmcnt(2)
	v_add_f32_e32 v4, v4, v7
	v_add_f32_e32 v7, v5, v4
	ds_load_2addr_stride64_b32 v[4:5], v6 offset0:20 offset1:22
	s_waitcnt lgkmcnt(2)
	v_add_f32_e32 v0, v0, v7
	s_delay_alu instid0(VALU_DEP_1) | instskip(SKIP_1) | instid1(VALU_DEP_1)
	v_add_f32_e32 v0, v1, v0
	s_waitcnt lgkmcnt(1)
	v_add_f32_e32 v2, v2, v0
	ds_load_2addr_stride64_b32 v[0:1], v6 offset0:24 offset1:26
	v_add_f32_e32 v2, v3, v2
	s_waitcnt lgkmcnt(1)
	s_delay_alu instid0(VALU_DEP_1) | instskip(SKIP_3) | instid1(VALU_DEP_1)
	v_add_f32_e32 v4, v4, v2
	ds_load_2addr_stride64_b32 v[2:3], v6 offset0:28 offset1:30
	v_add_f32_e32 v4, v5, v4
	s_waitcnt lgkmcnt(1)
	v_add_f32_e32 v0, v0, v4
	s_delay_alu instid0(VALU_DEP_1) | instskip(SKIP_1) | instid1(VALU_DEP_1)
	v_add_f32_e32 v0, v1, v0
	s_waitcnt lgkmcnt(0)
	v_add_f32_e32 v0, v2, v0
	v_or_b32_e32 v2, s39, v11
	s_delay_alu instid0(VALU_DEP_2)
	v_add_f32_e32 v4, v3, v0
                                        ; implicit-def: $vgpr3
                                        ; implicit-def: $vgpr0_vgpr1
	ds_store_b32 v6, v4
	v_cmpx_gt_i32_e64 s36, v2
	s_cbranch_execz .LBB549_66
; %bb.48:
	v_cmp_eq_f32_e64 s2, s35, 0
	v_mul_f32_e32 v0, s38, v4
	s_delay_alu instid0(VALU_DEP_2)
	s_and_b32 vcc_lo, exec_lo, s2
	s_cbranch_vccz .LBB549_54
; %bb.49:
	s_delay_alu instid0(VALU_DEP_1) | instskip(SKIP_1) | instid1(VALU_DEP_1)
	v_and_b32_e32 v1, 0x7f800000, v0
	s_mov_b32 s2, exec_lo
                                        ; implicit-def: $vgpr3
	v_cmpx_ne_u32_e32 0x7f800000, v1
	s_xor_b32 s2, exec_lo, s2
; %bb.50:
	v_bfe_u32 v1, v0, 16, 1
	s_delay_alu instid0(VALU_DEP_1)
	v_add3_u32 v3, v0, v1, 0x7fff
; %bb.51:
	s_and_not1_saveexec_b32 s2, s2
; %bb.52:
	v_and_b32_e32 v1, 0xffff, v0
	v_or_b32_e32 v3, 0x10000, v0
	s_delay_alu instid0(VALU_DEP_2) | instskip(NEXT) | instid1(VALU_DEP_2)
	v_cmp_eq_u32_e32 vcc_lo, 0, v1
	v_cndmask_b32_e32 v3, v3, v0, vcc_lo
; %bb.53:
	s_or_b32 exec_lo, exec_lo, s2
	s_mov_b32 s2, 0
	s_branch .LBB549_55
.LBB549_54:
	s_mov_b32 s2, -1
                                        ; implicit-def: $vgpr3
.LBB549_55:
	v_ashrrev_i32_e32 v1, 31, v2
	v_mul_lo_u32 v4, v2, s9
	s_and_not1_b32 vcc_lo, exec_lo, s2
	s_delay_alu instid0(VALU_DEP_2)
	v_mul_lo_u32 v5, v1, s8
	s_cbranch_vccnz .LBB549_65
; %bb.56:
	v_mad_u64_u32 v[6:7], null, v2, s8, 0
	s_delay_alu instid0(VALU_DEP_1) | instskip(NEXT) | instid1(VALU_DEP_1)
	v_add3_u32 v7, v7, v4, v5
	v_lshlrev_b64 v[6:7], 1, v[6:7]
	s_delay_alu instid0(VALU_DEP_1) | instskip(NEXT) | instid1(VALU_DEP_2)
	v_add_co_u32 v6, vcc_lo, s5, v6
	v_add_co_ci_u32_e32 v7, vcc_lo, s33, v7, vcc_lo
	global_load_u16 v1, v[6:7], off
	s_waitcnt vmcnt(0)
	v_lshlrev_b32_e32 v1, 16, v1
	s_delay_alu instid0(VALU_DEP_1) | instskip(NEXT) | instid1(VALU_DEP_1)
	v_mul_f32_e32 v1, s35, v1
	v_and_b32_e32 v3, 0x7f800000, v1
	s_delay_alu instid0(VALU_DEP_1) | instskip(SKIP_1) | instid1(SALU_CYCLE_1)
	v_cmp_ne_u32_e32 vcc_lo, 0x7f800000, v3
                                        ; implicit-def: $vgpr3
	s_and_saveexec_b32 s2, vcc_lo
	s_xor_b32 s2, exec_lo, s2
; %bb.57:
	v_bfe_u32 v3, v1, 16, 1
	s_delay_alu instid0(VALU_DEP_1)
	v_add3_u32 v3, v1, v3, 0x7fff
                                        ; implicit-def: $vgpr1
; %bb.58:
	s_and_not1_saveexec_b32 s2, s2
; %bb.59:
	v_and_b32_e32 v3, 0xffff, v1
	v_or_b32_e32 v6, 0x10000, v1
	s_delay_alu instid0(VALU_DEP_2) | instskip(NEXT) | instid1(VALU_DEP_2)
	v_cmp_eq_u32_e32 vcc_lo, 0, v3
	v_cndmask_b32_e32 v3, v6, v1, vcc_lo
; %bb.60:
	s_or_b32 exec_lo, exec_lo, s2
	s_delay_alu instid0(VALU_DEP_1) | instskip(SKIP_1) | instid1(VALU_DEP_1)
	v_and_b32_e32 v1, 0xffff0000, v3
	s_mov_b32 s2, exec_lo
                                        ; implicit-def: $vgpr3
	v_add_f32_e32 v0, v0, v1
	s_delay_alu instid0(VALU_DEP_1) | instskip(NEXT) | instid1(VALU_DEP_1)
	v_and_b32_e32 v1, 0x7f800000, v0
	v_cmpx_ne_u32_e32 0x7f800000, v1
	s_xor_b32 s2, exec_lo, s2
; %bb.61:
	v_bfe_u32 v1, v0, 16, 1
	s_delay_alu instid0(VALU_DEP_1)
	v_add3_u32 v3, v0, v1, 0x7fff
                                        ; implicit-def: $vgpr0
; %bb.62:
	s_and_not1_saveexec_b32 s2, s2
; %bb.63:
	v_and_b32_e32 v1, 0xffff, v0
	v_or_b32_e32 v3, 0x10000, v0
	s_delay_alu instid0(VALU_DEP_2) | instskip(NEXT) | instid1(VALU_DEP_2)
	v_cmp_eq_u32_e32 vcc_lo, 0, v1
	v_cndmask_b32_e32 v3, v3, v0, vcc_lo
; %bb.64:
	s_or_b32 exec_lo, exec_lo, s2
.LBB549_65:
	v_mad_u64_u32 v[0:1], null, v2, s8, 0
	s_delay_alu instid0(VALU_DEP_2) | instskip(SKIP_1) | instid1(VALU_DEP_2)
	v_lshrrev_b32_e32 v3, 16, v3
	s_or_b32 s2, s34, exec_lo
	v_add3_u32 v1, v1, v4, v5
.LBB549_66:
	s_or_b32 exec_lo, exec_lo, s1
	s_delay_alu instid0(SALU_CYCLE_1) | instskip(SKIP_1) | instid1(SALU_CYCLE_1)
	s_and_not1_b32 s1, s34, exec_lo
	s_and_b32 s2, s2, exec_lo
	s_or_b32 s34, s1, s2
.LBB549_67:
	s_or_b32 exec_lo, exec_lo, s0
.LBB549_68:
	s_and_saveexec_b32 s0, s34
	s_cbranch_execz .LBB549_70
; %bb.69:
	v_lshlrev_b64 v[0:1], 1, v[0:1]
	s_delay_alu instid0(VALU_DEP_1) | instskip(NEXT) | instid1(VALU_DEP_2)
	v_add_co_u32 v0, vcc_lo, s5, v0
	v_add_co_ci_u32_e32 v1, vcc_lo, s33, v1, vcc_lo
	global_store_b16 v[0:1], v3, off
.LBB549_70:
	s_nop 0
	s_sendmsg sendmsg(MSG_DEALLOC_VGPRS)
	s_endpgm
	.section	.rodata,"a",@progbits
	.p2align	6, 0x0
	.amdhsa_kernel _ZL20rocblas_gemvn_kernelILi32ELi16El16rocblas_bfloat16fS0_EviiT3_lPKT2_lT1_lS4_lS5_lS1_lPT4_lS5_li
		.amdhsa_group_segment_fixed_size 8192
		.amdhsa_private_segment_fixed_size 0
		.amdhsa_kernarg_size 400
		.amdhsa_user_sgpr_count 14
		.amdhsa_user_sgpr_dispatch_ptr 0
		.amdhsa_user_sgpr_queue_ptr 0
		.amdhsa_user_sgpr_kernarg_segment_ptr 1
		.amdhsa_user_sgpr_dispatch_id 0
		.amdhsa_user_sgpr_private_segment_size 0
		.amdhsa_wavefront_size32 1
		.amdhsa_uses_dynamic_stack 0
		.amdhsa_enable_private_segment 0
		.amdhsa_system_sgpr_workgroup_id_x 1
		.amdhsa_system_sgpr_workgroup_id_y 0
		.amdhsa_system_sgpr_workgroup_id_z 1
		.amdhsa_system_sgpr_workgroup_info 0
		.amdhsa_system_vgpr_workitem_id 1
		.amdhsa_next_free_vgpr 51
		.amdhsa_next_free_sgpr 44
		.amdhsa_reserve_vcc 1
		.amdhsa_float_round_mode_32 0
		.amdhsa_float_round_mode_16_64 0
		.amdhsa_float_denorm_mode_32 3
		.amdhsa_float_denorm_mode_16_64 3
		.amdhsa_dx10_clamp 1
		.amdhsa_ieee_mode 1
		.amdhsa_fp16_overflow 0
		.amdhsa_workgroup_processor_mode 1
		.amdhsa_memory_ordered 1
		.amdhsa_forward_progress 0
		.amdhsa_shared_vgpr_count 0
		.amdhsa_exception_fp_ieee_invalid_op 0
		.amdhsa_exception_fp_denorm_src 0
		.amdhsa_exception_fp_ieee_div_zero 0
		.amdhsa_exception_fp_ieee_overflow 0
		.amdhsa_exception_fp_ieee_underflow 0
		.amdhsa_exception_fp_ieee_inexact 0
		.amdhsa_exception_int_div_zero 0
	.end_amdhsa_kernel
	.section	.text._ZL20rocblas_gemvn_kernelILi32ELi16El16rocblas_bfloat16fS0_EviiT3_lPKT2_lT1_lS4_lS5_lS1_lPT4_lS5_li,"axG",@progbits,_ZL20rocblas_gemvn_kernelILi32ELi16El16rocblas_bfloat16fS0_EviiT3_lPKT2_lT1_lS4_lS5_lS1_lPT4_lS5_li,comdat
.Lfunc_end549:
	.size	_ZL20rocblas_gemvn_kernelILi32ELi16El16rocblas_bfloat16fS0_EviiT3_lPKT2_lT1_lS4_lS5_lS1_lPT4_lS5_li, .Lfunc_end549-_ZL20rocblas_gemvn_kernelILi32ELi16El16rocblas_bfloat16fS0_EviiT3_lPKT2_lT1_lS4_lS5_lS1_lPT4_lS5_li
                                        ; -- End function
	.section	.AMDGPU.csdata,"",@progbits
; Kernel info:
; codeLenInByte = 4088
; NumSgprs: 46
; NumVgprs: 51
; ScratchSize: 0
; MemoryBound: 0
; FloatMode: 240
; IeeeMode: 1
; LDSByteSize: 8192 bytes/workgroup (compile time only)
; SGPRBlocks: 5
; VGPRBlocks: 6
; NumSGPRsForWavesPerEU: 46
; NumVGPRsForWavesPerEU: 51
; Occupancy: 16
; WaveLimiterHint : 1
; COMPUTE_PGM_RSRC2:SCRATCH_EN: 0
; COMPUTE_PGM_RSRC2:USER_SGPR: 14
; COMPUTE_PGM_RSRC2:TRAP_HANDLER: 0
; COMPUTE_PGM_RSRC2:TGID_X_EN: 1
; COMPUTE_PGM_RSRC2:TGID_Y_EN: 0
; COMPUTE_PGM_RSRC2:TGID_Z_EN: 1
; COMPUTE_PGM_RSRC2:TIDIG_COMP_CNT: 1
	.section	.text._ZL20rocblas_gemvn_kernelILi64ELi16Ei16rocblas_bfloat16PKfS0_EviiT3_lPKT2_lT1_lS6_lS7_lS3_lPT4_lS7_li,"axG",@progbits,_ZL20rocblas_gemvn_kernelILi64ELi16Ei16rocblas_bfloat16PKfS0_EviiT3_lPKT2_lT1_lS6_lS7_lS3_lPT4_lS7_li,comdat
	.globl	_ZL20rocblas_gemvn_kernelILi64ELi16Ei16rocblas_bfloat16PKfS0_EviiT3_lPKT2_lT1_lS6_lS7_lS3_lPT4_lS7_li ; -- Begin function _ZL20rocblas_gemvn_kernelILi64ELi16Ei16rocblas_bfloat16PKfS0_EviiT3_lPKT2_lT1_lS6_lS7_lS3_lPT4_lS7_li
	.p2align	8
	.type	_ZL20rocblas_gemvn_kernelILi64ELi16Ei16rocblas_bfloat16PKfS0_EviiT3_lPKT2_lT1_lS6_lS7_lS3_lPT4_lS7_li,@function
_ZL20rocblas_gemvn_kernelILi64ELi16Ei16rocblas_bfloat16PKfS0_EviiT3_lPKT2_lT1_lS6_lS7_lS3_lPT4_lS7_li: ; @_ZL20rocblas_gemvn_kernelILi64ELi16Ei16rocblas_bfloat16PKfS0_EviiT3_lPKT2_lT1_lS6_lS7_lS3_lPT4_lS7_li
; %bb.0:
	s_load_b64 s[2:3], s[0:1], 0x9c
	s_waitcnt lgkmcnt(0)
	s_lshr_b32 s4, s2, 16
	s_and_b32 s2, s2, 0xffff
	s_and_b32 s3, s3, 0xffff
	s_mul_i32 s2, s4, s2
	s_delay_alu instid0(SALU_CYCLE_1) | instskip(NEXT) | instid1(SALU_CYCLE_1)
	s_mul_i32 s2, s2, s3
	s_cmpk_lg_i32 s2, 0x400
	s_cbranch_scc1 .LBB550_70
; %bb.1:
	s_clause 0x1
	s_load_b256 s[16:23], s[0:1], 0x8
	s_load_b256 s[4:11], s[0:1], 0x50
	s_waitcnt lgkmcnt(0)
	s_mul_i32 s3, s15, s19
	s_mul_hi_u32 s12, s15, s18
	s_mul_i32 s2, s15, s18
	s_add_i32 s3, s12, s3
	s_mul_i32 s9, s15, s9
	s_lshl_b64 s[2:3], s[2:3], 2
	s_mul_hi_u32 s12, s15, s8
	s_add_u32 s2, s16, s2
	s_addc_u32 s3, s17, s3
	s_add_i32 s9, s12, s9
	s_mul_i32 s8, s15, s8
	s_mov_b32 s12, 0
	s_lshl_b64 s[8:9], s[8:9], 2
	s_delay_alu instid0(SALU_CYCLE_1)
	s_add_u32 s6, s6, s8
	s_addc_u32 s7, s7, s9
	s_load_b32 s17, s[2:3], 0x0
	s_load_b32 s13, s[6:7], 0x0
	s_waitcnt lgkmcnt(0)
	v_cmp_eq_f32_e64 s2, s17, 0
	v_cmp_eq_f32_e64 s3, s13, 1.0
	s_delay_alu instid0(VALU_DEP_1) | instskip(NEXT) | instid1(SALU_CYCLE_1)
	s_and_b32 s2, s2, s3
	s_and_b32 vcc_lo, exec_lo, s2
	s_cbranch_vccnz .LBB550_70
; %bb.2:
	s_clause 0x3
	s_load_b64 s[2:3], s[0:1], 0x80
	s_load_b64 s[8:9], s[0:1], 0x70
	s_load_b32 s16, s[0:1], 0x78
	s_load_b64 s[6:7], s[0:1], 0x0
	v_and_b32_e32 v1, 0x3ff, v0
	v_bfe_u32 v13, v0, 10, 10
	s_delay_alu instid0(VALU_DEP_1)
	v_lshl_add_u32 v0, v13, 6, v1
	s_waitcnt lgkmcnt(0)
	s_mul_i32 s3, s15, s3
	s_mul_hi_u32 s18, s15, s2
	s_mul_i32 s2, s15, s2
	s_add_i32 s3, s18, s3
	v_cmp_neq_f32_e64 s18, s17, 0
	s_lshl_b64 s[2:3], s[2:3], 1
	s_delay_alu instid0(SALU_CYCLE_1) | instskip(SKIP_2) | instid1(SALU_CYCLE_1)
	s_add_u32 s10, s10, s2
	s_addc_u32 s11, s11, s3
	s_lshl_b64 s[2:3], s[8:9], 1
	s_add_u32 s8, s10, s2
	v_cmp_gt_u32_e64 s2, 0x100, v0
	s_addc_u32 s9, s11, s3
	s_and_b32 vcc_lo, exec_lo, s18
	s_cbranch_vccnz .LBB550_11
; %bb.3:
	s_mov_b32 s3, 0
                                        ; implicit-def: $vgpr5
                                        ; implicit-def: $vgpr2_vgpr3
	s_and_saveexec_b32 s10, s2
	s_cbranch_execz .LBB550_12
; %bb.4:
	v_lshl_or_b32 v4, s14, 8, v0
	v_mov_b32_e32 v5, 0
	s_ashr_i32 s19, s6, 31
	s_mov_b32 s18, s6
	s_mov_b32 s11, 0
                                        ; implicit-def: $vgpr2_vgpr3
	s_delay_alu instid0(VALU_DEP_1)
	v_cmp_gt_i64_e32 vcc_lo, s[18:19], v[4:5]
                                        ; implicit-def: $vgpr5
	s_and_saveexec_b32 s2, vcc_lo
	s_cbranch_execz .LBB550_15
; %bb.5:
	v_mad_u64_u32 v[2:3], null, s16, v4, 0
	s_ashr_i32 s11, s16, 31
	s_delay_alu instid0(VALU_DEP_1) | instid1(SALU_CYCLE_1)
	v_mad_u64_u32 v[5:6], null, s11, v4, v[3:4]
	v_cmp_eq_f32_e64 s11, s13, 0
	s_delay_alu instid0(VALU_DEP_1) | instskip(NEXT) | instid1(VALU_DEP_2)
	s_and_b32 vcc_lo, exec_lo, s11
	v_mov_b32_e32 v3, v5
	s_cbranch_vccnz .LBB550_13
; %bb.6:
	s_delay_alu instid0(VALU_DEP_1) | instskip(NEXT) | instid1(VALU_DEP_1)
	v_lshlrev_b64 v[4:5], 1, v[2:3]
	v_add_co_u32 v4, vcc_lo, s8, v4
	s_delay_alu instid0(VALU_DEP_2) | instskip(SKIP_3) | instid1(VALU_DEP_1)
	v_add_co_ci_u32_e32 v5, vcc_lo, s9, v5, vcc_lo
	global_load_u16 v4, v[4:5], off
	s_waitcnt vmcnt(0)
	v_lshlrev_b32_e32 v4, 16, v4
	v_mul_f32_e32 v4, s13, v4
	s_delay_alu instid0(VALU_DEP_1) | instskip(NEXT) | instid1(VALU_DEP_1)
	v_and_b32_e32 v5, 0x7f800000, v4
	v_cmp_ne_u32_e32 vcc_lo, 0x7f800000, v5
                                        ; implicit-def: $vgpr5
	s_and_saveexec_b32 s11, vcc_lo
	s_delay_alu instid0(SALU_CYCLE_1)
	s_xor_b32 s11, exec_lo, s11
; %bb.7:
	v_bfe_u32 v5, v4, 16, 1
	s_delay_alu instid0(VALU_DEP_1)
	v_add3_u32 v5, v4, v5, 0x7fff
                                        ; implicit-def: $vgpr4
; %bb.8:
	s_and_not1_saveexec_b32 s11, s11
; %bb.9:
	v_and_b32_e32 v5, 0xffff, v4
	v_or_b32_e32 v6, 0x10000, v4
	s_delay_alu instid0(VALU_DEP_2) | instskip(NEXT) | instid1(VALU_DEP_2)
	v_cmp_eq_u32_e32 vcc_lo, 0, v5
	v_cndmask_b32_e32 v5, v6, v4, vcc_lo
; %bb.10:
	s_or_b32 exec_lo, exec_lo, s11
	s_delay_alu instid0(VALU_DEP_1)
	v_lshrrev_b32_e32 v5, 16, v5
	s_branch .LBB550_14
.LBB550_11:
                                        ; implicit-def: $vgpr5
                                        ; implicit-def: $vgpr2_vgpr3
	s_cbranch_execnz .LBB550_16
	s_branch .LBB550_68
.LBB550_12:
	s_or_b32 exec_lo, exec_lo, s10
	s_delay_alu instid0(SALU_CYCLE_1)
	s_and_b32 vcc_lo, exec_lo, s3
	s_cbranch_vccnz .LBB550_16
	s_branch .LBB550_68
.LBB550_13:
	v_mov_b32_e32 v5, 0
.LBB550_14:
	s_mov_b32 s11, exec_lo
.LBB550_15:
	s_or_b32 exec_lo, exec_lo, s2
	s_delay_alu instid0(SALU_CYCLE_1) | instskip(SKIP_1) | instid1(SALU_CYCLE_1)
	s_and_b32 s12, s11, exec_lo
	s_or_b32 exec_lo, exec_lo, s10
	s_and_b32 vcc_lo, exec_lo, s3
	s_cbranch_vccz .LBB550_68
.LBB550_16:
	s_clause 0x2
	s_load_b128 s[24:27], s[0:1], 0x30
	s_load_b32 s18, s[0:1], 0x28
	s_load_b64 s[2:3], s[0:1], 0x40
	s_mul_i32 s5, s15, s5
	v_dual_mov_b32 v14, 0 :: v_dual_lshlrev_b32 v19, 2, v13
	v_dual_mov_b32 v15, 0 :: v_dual_mov_b32 v16, 0
	v_mov_b32_e32 v17, 0
	s_waitcnt lgkmcnt(0)
	s_mul_i32 s11, s15, s25
	s_mul_hi_u32 s19, s15, s24
	s_mul_i32 s10, s15, s24
	s_add_i32 s11, s19, s11
	s_mul_hi_u32 s19, s15, s4
	s_lshl_b64 s[10:11], s[10:11], 1
	s_delay_alu instid0(SALU_CYCLE_1) | instskip(SKIP_4) | instid1(SALU_CYCLE_1)
	s_add_u32 s24, s20, s10
	s_mul_i32 s20, s15, s4
	s_load_b32 s4, s[0:1], 0x48
	s_addc_u32 s21, s21, s11
	s_lshl_b64 s[10:11], s[22:23], 1
	s_add_u32 s10, s24, s10
	s_addc_u32 s11, s21, s11
	s_add_i32 s21, s19, s5
	s_delay_alu instid0(SALU_CYCLE_1) | instskip(SKIP_4) | instid1(SALU_CYCLE_1)
	s_lshl_b64 s[0:1], s[20:21], 1
	s_mov_b32 s20, exec_lo
	s_add_u32 s5, s26, s0
	s_addc_u32 s19, s27, s1
	s_lshl_b64 s[0:1], s[2:3], 1
	s_add_u32 s15, s5, s0
	s_addc_u32 s19, s19, s1
	s_ashr_i32 s0, s7, 31
	s_lshl_b32 s5, s14, 8
	s_lshr_b32 s0, s0, 26
	v_add_nc_u32_e32 v18, s5, v1
	s_add_i32 s0, s7, s0
	s_delay_alu instid0(SALU_CYCLE_1) | instskip(NEXT) | instid1(SALU_CYCLE_1)
	s_and_b32 s14, s0, 0xffffffc0
	v_cmpx_gt_i32_e64 s14, v19
	s_cbranch_execz .LBB550_28
; %bb.17:
	v_mul_lo_u32 v3, s18, v19
	v_dual_mov_b32 v15, 0 :: v_dual_add_nc_u32 v2, 64, v18
	v_add_nc_u32_e32 v6, 2, v19
	v_dual_mov_b32 v14, 0 :: v_dual_add_nc_u32 v5, 0xc0, v18
	s_delay_alu instid0(VALU_DEP_3)
	v_cmp_gt_i32_e64 s0, s6, v2
	v_dual_mov_b32 v17, 0 :: v_dual_add_nc_u32 v4, 0x80, v18
	v_add3_u32 v20, v3, s18, v1
	v_mad_u64_u32 v[2:3], null, s18, v6, v[1:2]
	v_cmp_gt_i32_e64 s2, s6, v5
	v_mul_lo_u32 v5, v13, s18
	v_dual_mov_b32 v16, 0 :: v_dual_add_nc_u32 v7, 3, v19
	s_waitcnt lgkmcnt(0)
	v_mul_lo_u32 v8, v13, s4
	v_cmp_gt_i32_e64 s1, s6, v4
	v_mul_lo_u32 v22, s4, v6
	v_mad_u64_u32 v[3:4], null, s18, v7, v[1:2]
	v_lshl_add_u32 v21, v5, 2, v1
	v_mad_u64_u32 v[4:5], null, s4, v19, s[4:5]
	v_mul_lo_u32 v23, s4, v7
	v_cmp_gt_i32_e32 vcc_lo, s6, v18
	v_lshlrev_b32_e32 v24, 2, v8
	s_lshl_b32 s21, s18, 6
	s_lshl_b32 s23, s4, 6
	s_mov_b32 s22, 0
	s_mov_b32 s24, 0
	s_branch .LBB550_22
.LBB550_18:                             ;   in Loop: Header=BB550_22 Depth=1
	s_or_b32 exec_lo, exec_lo, s27
	s_waitcnt vmcnt(2)
	v_lshlrev_b32_e32 v6, 16, v39
	v_lshlrev_b32_e32 v5, 16, v40
	s_waitcnt vmcnt(1)
	s_delay_alu instid0(VALU_DEP_1) | instskip(NEXT) | instid1(VALU_DEP_1)
	v_dual_fmac_f32 v16, v32, v5 :: v_dual_lshlrev_b32 v5, 16, v38
	v_fmac_f32_e32 v16, v30, v6
	s_delay_alu instid0(VALU_DEP_1) | instskip(SKIP_2) | instid1(VALU_DEP_1)
	v_fmac_f32_e32 v16, v28, v5
	s_waitcnt vmcnt(0)
	v_lshlrev_b32_e32 v5, 16, v37
	v_fmac_f32_e32 v16, v27, v5
.LBB550_19:                             ;   in Loop: Header=BB550_22 Depth=1
	s_or_b32 exec_lo, exec_lo, s26
	s_waitcnt vmcnt(3)
	v_lshlrev_b32_e32 v5, 16, v36
	s_waitcnt vmcnt(2)
	s_delay_alu instid0(VALU_DEP_1) | instskip(SKIP_2) | instid1(VALU_DEP_2)
	v_dual_fmac_f32 v15, v32, v5 :: v_dual_lshlrev_b32 v6, 16, v35
	s_waitcnt vmcnt(1)
	v_lshlrev_b32_e32 v5, 16, v34
	v_fmac_f32_e32 v15, v30, v6
	s_delay_alu instid0(VALU_DEP_1) | instskip(SKIP_2) | instid1(VALU_DEP_1)
	v_fmac_f32_e32 v15, v28, v5
	s_waitcnt vmcnt(0)
	v_lshlrev_b32_e32 v5, 16, v33
	v_fmac_f32_e32 v15, v27, v5
.LBB550_20:                             ;   in Loop: Header=BB550_22 Depth=1
	s_or_b32 exec_lo, exec_lo, s3
	s_waitcnt vmcnt(2)
	v_lshlrev_b32_e32 v6, 16, v29
	v_lshlrev_b32_e32 v5, 16, v31
	s_waitcnt vmcnt(1)
	s_delay_alu instid0(VALU_DEP_1) | instskip(NEXT) | instid1(VALU_DEP_1)
	v_dual_fmac_f32 v14, v32, v5 :: v_dual_lshlrev_b32 v5, 16, v26
	v_fmac_f32_e32 v14, v30, v6
	s_delay_alu instid0(VALU_DEP_1) | instskip(SKIP_2) | instid1(VALU_DEP_1)
	v_fmac_f32_e32 v14, v28, v5
	s_waitcnt vmcnt(0)
	v_lshlrev_b32_e32 v5, 16, v25
	v_fmac_f32_e32 v14, v27, v5
.LBB550_21:                             ;   in Loop: Header=BB550_22 Depth=1
	s_or_b32 exec_lo, exec_lo, s25
	v_add_nc_u32_e32 v19, 64, v19
	v_add_nc_u32_e32 v20, s21, v20
	;; [unrolled: 1-line block ×5, first 2 shown]
	v_cmp_le_i32_e64 s3, s14, v19
	s_add_i32 s24, s24, s23
	s_delay_alu instid0(VALU_DEP_1) | instskip(NEXT) | instid1(SALU_CYCLE_1)
	s_or_b32 s22, s3, s22
	s_and_not1_b32 exec_lo, exec_lo, s22
	s_cbranch_execz .LBB550_27
.LBB550_22:                             ; =>This Inner Loop Header: Depth=1
	s_and_saveexec_b32 s25, vcc_lo
	s_cbranch_execz .LBB550_21
; %bb.23:                               ;   in Loop: Header=BB550_22 Depth=1
	v_add_nc_u32_e32 v5, s24, v24
	v_add_nc_u32_e32 v7, s24, v4
	;; [unrolled: 1-line block ×5, first 2 shown]
	v_ashrrev_i32_e32 v6, 31, v5
	v_ashrrev_i32_e32 v8, 31, v7
	;; [unrolled: 1-line block ×4, first 2 shown]
	v_add_nc_u32_e32 v27, s5, v20
	v_lshlrev_b64 v[5:6], 1, v[5:6]
	v_lshlrev_b64 v[7:8], 1, v[7:8]
	;; [unrolled: 1-line block ×4, first 2 shown]
	v_ashrrev_i32_e32 v26, 31, v25
	v_ashrrev_i32_e32 v28, 31, v27
	v_add_co_u32 v5, s3, s15, v5
	s_delay_alu instid0(VALU_DEP_1) | instskip(SKIP_1) | instid1(VALU_DEP_1)
	v_add_co_ci_u32_e64 v6, s3, s19, v6, s3
	v_add_co_u32 v7, s3, s15, v7
	v_add_co_ci_u32_e64 v8, s3, s19, v8, s3
	v_add_co_u32 v9, s3, s15, v9
	s_delay_alu instid0(VALU_DEP_1)
	v_add_co_ci_u32_e64 v10, s3, s19, v10, s3
	v_add_co_u32 v11, s3, s15, v11
	v_add_nc_u32_e32 v29, s5, v2
	v_add_co_ci_u32_e64 v12, s3, s19, v12, s3
	v_lshlrev_b64 v[25:26], 1, v[25:26]
	s_clause 0x3
	global_load_u16 v32, v[5:6], off
	global_load_u16 v33, v[7:8], off
	;; [unrolled: 1-line block ×4, first 2 shown]
	v_add_nc_u32_e32 v11, s5, v3
	v_lshlrev_b64 v[5:6], 1, v[27:28]
	v_ashrrev_i32_e32 v30, 31, v29
	v_add_co_u32 v7, s3, s10, v25
	s_delay_alu instid0(VALU_DEP_4) | instskip(SKIP_1) | instid1(VALU_DEP_4)
	v_ashrrev_i32_e32 v12, 31, v11
	v_add_co_ci_u32_e64 v8, s3, s11, v26, s3
	v_lshlrev_b64 v[25:26], 1, v[29:30]
	v_add_co_u32 v9, s3, s10, v5
	s_delay_alu instid0(VALU_DEP_1) | instskip(SKIP_1) | instid1(VALU_DEP_4)
	v_add_co_ci_u32_e64 v10, s3, s11, v6, s3
	v_lshlrev_b64 v[5:6], 1, v[11:12]
	v_add_co_u32 v11, s3, s10, v25
	s_delay_alu instid0(VALU_DEP_1) | instskip(NEXT) | instid1(VALU_DEP_3)
	v_add_co_ci_u32_e64 v12, s3, s11, v26, s3
	v_add_co_u32 v5, s3, s10, v5
	s_delay_alu instid0(VALU_DEP_1)
	v_add_co_ci_u32_e64 v6, s3, s11, v6, s3
	s_clause 0x3
	global_load_u16 v31, v[7:8], off
	global_load_u16 v29, v[9:10], off
	;; [unrolled: 1-line block ×4, first 2 shown]
	s_waitcnt vmcnt(7)
	v_lshlrev_b32_e32 v32, 16, v32
	s_waitcnt vmcnt(6)
	v_lshlrev_b32_e32 v30, 16, v33
	;; [unrolled: 2-line block ×4, first 2 shown]
	s_and_saveexec_b32 s3, s0
	s_cbranch_execz .LBB550_20
; %bb.24:                               ;   in Loop: Header=BB550_22 Depth=1
	s_clause 0x3
	global_load_u16 v36, v[7:8], off offset:128
	global_load_u16 v35, v[9:10], off offset:128
	global_load_u16 v34, v[11:12], off offset:128
	global_load_u16 v33, v[5:6], off offset:128
	s_and_saveexec_b32 s26, s1
	s_cbranch_execz .LBB550_19
; %bb.25:                               ;   in Loop: Header=BB550_22 Depth=1
	s_clause 0x3
	global_load_u16 v40, v[7:8], off offset:256
	global_load_u16 v39, v[9:10], off offset:256
	global_load_u16 v38, v[11:12], off offset:256
	global_load_u16 v37, v[5:6], off offset:256
	;; [unrolled: 8-line block ×3, first 2 shown]
	s_waitcnt vmcnt(0)
	v_lshlrev_b32_e32 v5, 16, v5
	v_lshlrev_b32_e32 v6, 16, v7
	;; [unrolled: 1-line block ×3, first 2 shown]
	s_delay_alu instid0(VALU_DEP_2) | instskip(NEXT) | instid1(VALU_DEP_1)
	v_dual_fmac_f32 v17, v32, v6 :: v_dual_lshlrev_b32 v6, 16, v9
	v_fmac_f32_e32 v17, v30, v7
	s_delay_alu instid0(VALU_DEP_1) | instskip(NEXT) | instid1(VALU_DEP_1)
	v_fmac_f32_e32 v17, v28, v6
	v_fmac_f32_e32 v17, v27, v5
	s_branch .LBB550_18
.LBB550_27:
	s_or_b32 exec_lo, exec_lo, s22
.LBB550_28:
	s_delay_alu instid0(SALU_CYCLE_1) | instskip(SKIP_1) | instid1(SALU_CYCLE_1)
	s_or_b32 exec_lo, exec_lo, s20
	s_sub_i32 s0, s7, s14
	s_cmp_lt_i32 s0, 1
	s_cbranch_scc1 .LBB550_46
; %bb.29:
	v_cmp_gt_i32_e32 vcc_lo, s7, v19
	v_dual_mov_b32 v10, 0 :: v_dual_mov_b32 v11, 0
	v_or_b32_e32 v2, 1, v19
	v_mov_b32_e32 v12, 0
	v_mov_b32_e32 v20, 0
	s_and_saveexec_b32 s1, vcc_lo
	s_cbranch_execz .LBB550_37
; %bb.30:
	s_waitcnt lgkmcnt(0)
	v_mul_lo_u32 v3, v19, s4
	v_dual_mov_b32 v12, 0 :: v_dual_mov_b32 v11, 0
	v_mov_b32_e32 v10, 0
	s_mov_b32 s2, exec_lo
	s_delay_alu instid0(VALU_DEP_3) | instskip(NEXT) | instid1(VALU_DEP_1)
	v_ashrrev_i32_e32 v4, 31, v3
	v_lshlrev_b64 v[3:4], 1, v[3:4]
	s_delay_alu instid0(VALU_DEP_1) | instskip(NEXT) | instid1(VALU_DEP_1)
	v_add_co_u32 v3, s0, s15, v3
	v_add_co_ci_u32_e64 v4, s0, s19, v4, s0
	global_load_u16 v3, v[3:4], off
	v_cmpx_gt_i32_e64 s7, v2
	s_cbranch_execz .LBB550_36
; %bb.31:
	v_mul_lo_u32 v4, v2, s4
	v_dual_mov_b32 v11, 0 :: v_dual_mov_b32 v10, 0
	s_mov_b32 s3, exec_lo
	s_delay_alu instid0(VALU_DEP_2) | instskip(NEXT) | instid1(VALU_DEP_1)
	v_ashrrev_i32_e32 v5, 31, v4
	v_lshlrev_b64 v[4:5], 1, v[4:5]
	s_delay_alu instid0(VALU_DEP_1) | instskip(NEXT) | instid1(VALU_DEP_1)
	v_add_co_u32 v4, s0, s15, v4
	v_add_co_ci_u32_e64 v5, s0, s19, v5, s0
	global_load_u16 v4, v[4:5], off
	v_or_b32_e32 v5, 2, v19
	s_delay_alu instid0(VALU_DEP_1)
	v_cmpx_gt_i32_e64 s7, v5
	s_cbranch_execz .LBB550_35
; %bb.32:
	v_mul_lo_u32 v5, v5, s4
	v_mov_b32_e32 v10, 0
	s_mov_b32 s14, exec_lo
	s_delay_alu instid0(VALU_DEP_2) | instskip(NEXT) | instid1(VALU_DEP_1)
	v_ashrrev_i32_e32 v6, 31, v5
	v_lshlrev_b64 v[5:6], 1, v[5:6]
	s_delay_alu instid0(VALU_DEP_1) | instskip(NEXT) | instid1(VALU_DEP_1)
	v_add_co_u32 v5, s0, s15, v5
	v_add_co_ci_u32_e64 v6, s0, s19, v6, s0
	global_load_u16 v5, v[5:6], off
	v_or_b32_e32 v6, 3, v19
	s_delay_alu instid0(VALU_DEP_1)
	v_cmpx_gt_i32_e64 s7, v6
	s_cbranch_execz .LBB550_34
; %bb.33:
	v_mul_lo_u32 v6, v6, s4
	s_delay_alu instid0(VALU_DEP_1) | instskip(NEXT) | instid1(VALU_DEP_1)
	v_ashrrev_i32_e32 v7, 31, v6
	v_lshlrev_b64 v[6:7], 1, v[6:7]
	s_delay_alu instid0(VALU_DEP_1) | instskip(NEXT) | instid1(VALU_DEP_1)
	v_add_co_u32 v6, s0, s15, v6
	v_add_co_ci_u32_e64 v7, s0, s19, v7, s0
	global_load_u16 v6, v[6:7], off
	s_waitcnt vmcnt(0)
	v_lshlrev_b32_e32 v10, 16, v6
.LBB550_34:
	s_or_b32 exec_lo, exec_lo, s14
	s_waitcnt vmcnt(0)
	v_lshlrev_b32_e32 v11, 16, v5
.LBB550_35:
	s_or_b32 exec_lo, exec_lo, s3
	s_waitcnt vmcnt(0)
	v_lshlrev_b32_e32 v12, 16, v4
.LBB550_36:
	s_or_b32 exec_lo, exec_lo, s2
	s_waitcnt vmcnt(0)
	v_lshlrev_b32_e32 v20, 16, v3
.LBB550_37:
	s_or_b32 exec_lo, exec_lo, s1
	s_delay_alu instid0(SALU_CYCLE_1)
	s_mov_b32 s1, exec_lo
	v_cmpx_gt_i32_e64 s6, v18
	s_cbranch_execz .LBB550_45
; %bb.38:
	v_mul_lo_u32 v3, v19, s18
	v_mul_lo_u32 v4, v2, s18
	v_or_b32_e32 v5, 2, v19
	v_or_b32_e32 v6, 3, v19
	s_mov_b32 s0, exec_lo
	s_delay_alu instid0(VALU_DEP_2)
	v_mul_lo_u32 v7, v5, s18
	v_cndmask_b32_e32 v3, 0, v3, vcc_lo
	v_cmp_gt_i32_e32 vcc_lo, s7, v2
	v_mul_lo_u32 v8, v6, s18
	v_cndmask_b32_e32 v4, 0, v4, vcc_lo
	v_cmp_gt_i32_e32 vcc_lo, s7, v5
	v_add_nc_u32_e32 v2, v3, v18
	s_delay_alu instid0(VALU_DEP_3) | instskip(NEXT) | instid1(VALU_DEP_2)
	v_dual_cndmask_b32 v7, 0, v7 :: v_dual_add_nc_u32 v4, v4, v18
	v_ashrrev_i32_e32 v3, 31, v2
	v_cmp_gt_i32_e32 vcc_lo, s7, v6
	s_delay_alu instid0(VALU_DEP_3) | instskip(NEXT) | instid1(VALU_DEP_4)
	v_ashrrev_i32_e32 v5, 31, v4
	v_add_nc_u32_e32 v6, v7, v18
	s_delay_alu instid0(VALU_DEP_4) | instskip(SKIP_1) | instid1(VALU_DEP_4)
	v_lshlrev_b64 v[2:3], 1, v[2:3]
	v_cndmask_b32_e32 v8, 0, v8, vcc_lo
	v_lshlrev_b64 v[21:22], 1, v[4:5]
	s_delay_alu instid0(VALU_DEP_4) | instskip(NEXT) | instid1(VALU_DEP_4)
	v_ashrrev_i32_e32 v7, 31, v6
	v_add_co_u32 v4, vcc_lo, s10, v2
	v_add_co_ci_u32_e32 v5, vcc_lo, s11, v3, vcc_lo
	s_delay_alu instid0(VALU_DEP_4)
	v_add_co_u32 v2, vcc_lo, s10, v21
	v_add_co_ci_u32_e32 v3, vcc_lo, s11, v22, vcc_lo
	s_clause 0x1
	global_load_u16 v19, v[4:5], off
	global_load_u16 v23, v[2:3], off
	v_lshlrev_b64 v[6:7], 1, v[6:7]
	s_waitcnt vmcnt(1)
	v_lshlrev_b32_e32 v19, 16, v19
	v_add_nc_u32_e32 v8, v8, v18
	s_delay_alu instid0(VALU_DEP_1) | instskip(NEXT) | instid1(VALU_DEP_1)
	v_ashrrev_i32_e32 v9, 31, v8
	v_lshlrev_b64 v[21:22], 1, v[8:9]
	v_add_co_u32 v8, vcc_lo, s10, v6
	v_add_co_ci_u32_e32 v9, vcc_lo, s11, v7, vcc_lo
	s_delay_alu instid0(VALU_DEP_3) | instskip(NEXT) | instid1(VALU_DEP_4)
	v_add_co_u32 v6, vcc_lo, s10, v21
	v_add_co_ci_u32_e32 v7, vcc_lo, s11, v22, vcc_lo
	s_clause 0x1
	global_load_u16 v21, v[8:9], off
	global_load_u16 v22, v[6:7], off
	s_waitcnt vmcnt(1)
	v_dual_fmac_f32 v14, v20, v19 :: v_dual_lshlrev_b32 v21, 16, v21
	v_lshlrev_b32_e32 v23, 16, v23
	s_waitcnt vmcnt(0)
	s_delay_alu instid0(VALU_DEP_1) | instskip(NEXT) | instid1(VALU_DEP_1)
	v_dual_fmac_f32 v14, v12, v23 :: v_dual_lshlrev_b32 v19, 16, v22
	v_dual_fmac_f32 v14, v11, v21 :: v_dual_add_nc_u32 v23, 64, v18
	s_delay_alu instid0(VALU_DEP_1)
	v_cmpx_gt_i32_e64 s6, v23
	s_cbranch_execz .LBB550_44
; %bb.39:
	s_clause 0x3
	global_load_u16 v21, v[4:5], off offset:128
	global_load_u16 v22, v[2:3], off offset:128
	;; [unrolled: 1-line block ×4, first 2 shown]
	s_mov_b32 s2, exec_lo
	s_waitcnt vmcnt(3)
	v_lshlrev_b32_e32 v21, 16, v21
	s_waitcnt vmcnt(2)
	v_lshlrev_b32_e32 v22, 16, v22
	;; [unrolled: 2-line block ×3, first 2 shown]
	v_fmac_f32_e32 v15, v20, v21
	s_waitcnt vmcnt(0)
	v_lshlrev_b32_e32 v21, 16, v24
	s_delay_alu instid0(VALU_DEP_2) | instskip(NEXT) | instid1(VALU_DEP_1)
	v_fmac_f32_e32 v15, v12, v22
	v_dual_fmac_f32 v15, v11, v23 :: v_dual_add_nc_u32 v22, 0x80, v18
	s_delay_alu instid0(VALU_DEP_1)
	v_cmpx_gt_i32_e64 s6, v22
	s_cbranch_execz .LBB550_43
; %bb.40:
	s_clause 0x3
	global_load_u16 v22, v[4:5], off offset:256
	global_load_u16 v23, v[2:3], off offset:256
	;; [unrolled: 1-line block ×4, first 2 shown]
	s_mov_b32 s3, exec_lo
	s_waitcnt vmcnt(3)
	v_lshlrev_b32_e32 v22, 16, v22
	s_waitcnt vmcnt(2)
	s_delay_alu instid0(VALU_DEP_1) | instskip(SKIP_2) | instid1(VALU_DEP_2)
	v_dual_fmac_f32 v16, v20, v22 :: v_dual_lshlrev_b32 v23, 16, v23
	s_waitcnt vmcnt(1)
	v_lshlrev_b32_e32 v22, 16, v24
	v_dual_fmac_f32 v16, v12, v23 :: v_dual_add_nc_u32 v23, 0xc0, v18
	s_waitcnt vmcnt(0)
	v_lshlrev_b32_e32 v18, 16, v25
	s_delay_alu instid0(VALU_DEP_2) | instskip(NEXT) | instid1(VALU_DEP_3)
	v_fmac_f32_e32 v16, v11, v22
	v_cmpx_gt_i32_e64 s6, v23
	s_cbranch_execz .LBB550_42
; %bb.41:
	s_clause 0x3
	global_load_u16 v4, v[4:5], off offset:384
	global_load_u16 v2, v[2:3], off offset:384
	global_load_u16 v3, v[8:9], off offset:384
	global_load_u16 v5, v[6:7], off offset:384
	s_waitcnt vmcnt(2)
	v_lshlrev_b32_e32 v2, 16, v2
	v_lshlrev_b32_e32 v4, 16, v4
	s_waitcnt vmcnt(1)
	v_lshlrev_b32_e32 v3, 16, v3
	s_delay_alu instid0(VALU_DEP_2) | instskip(SKIP_1) | instid1(VALU_DEP_1)
	v_fmac_f32_e32 v17, v20, v4
	s_waitcnt vmcnt(0)
	v_dual_fmac_f32 v17, v12, v2 :: v_dual_lshlrev_b32 v2, 16, v5
	s_delay_alu instid0(VALU_DEP_1) | instskip(NEXT) | instid1(VALU_DEP_1)
	v_fmac_f32_e32 v17, v11, v3
	v_fmac_f32_e32 v17, v10, v2
.LBB550_42:
	s_or_b32 exec_lo, exec_lo, s3
	s_delay_alu instid0(VALU_DEP_2)
	v_fmac_f32_e32 v16, v10, v18
.LBB550_43:
	s_or_b32 exec_lo, exec_lo, s2
	s_delay_alu instid0(VALU_DEP_2)
	v_fmac_f32_e32 v15, v10, v21
.LBB550_44:
	s_or_b32 exec_lo, exec_lo, s0
	s_delay_alu instid0(VALU_DEP_2)
	v_fmac_f32_e32 v14, v10, v19
.LBB550_45:
	s_or_b32 exec_lo, exec_lo, s1
.LBB550_46:
	v_lshlrev_b32_e32 v2, 8, v13
	s_mov_b32 s0, exec_lo
                                        ; implicit-def: $vgpr5
	s_delay_alu instid0(VALU_DEP_1)
	v_add_lshl_u32 v1, v2, v1, 2
                                        ; implicit-def: $vgpr2_vgpr3
	ds_store_2addr_stride64_b32 v1, v14, v15 offset1:1
	ds_store_2addr_stride64_b32 v1, v16, v17 offset0:2 offset1:3
	s_waitcnt lgkmcnt(0)
	s_barrier
	buffer_gl0_inv
	v_cmpx_gt_u32_e32 0x100, v0
	s_cbranch_execz .LBB550_67
; %bb.47:
	v_lshlrev_b32_e32 v7, 2, v0
	s_mov_b32 s2, s12
	s_mov_b32 s1, exec_lo
	ds_load_2addr_stride64_b32 v[1:2], v7 offset1:4
	ds_load_2addr_stride64_b32 v[3:4], v7 offset0:8 offset1:12
	ds_load_2addr_stride64_b32 v[5:6], v7 offset0:16 offset1:20
	s_waitcnt lgkmcnt(2)
	v_add_f32_e32 v8, v1, v2
	ds_load_2addr_stride64_b32 v[1:2], v7 offset0:24 offset1:28
	s_waitcnt lgkmcnt(2)
	v_add_f32_e32 v3, v3, v8
	s_delay_alu instid0(VALU_DEP_1) | instskip(SKIP_3) | instid1(VALU_DEP_1)
	v_add_f32_e32 v8, v4, v3
	ds_load_2addr_stride64_b32 v[3:4], v7 offset0:32 offset1:36
	s_waitcnt lgkmcnt(2)
	v_add_f32_e32 v5, v5, v8
	v_add_f32_e32 v8, v6, v5
	ds_load_2addr_stride64_b32 v[5:6], v7 offset0:40 offset1:44
	s_waitcnt lgkmcnt(2)
	v_add_f32_e32 v1, v1, v8
	s_delay_alu instid0(VALU_DEP_1) | instskip(SKIP_1) | instid1(VALU_DEP_1)
	v_add_f32_e32 v1, v2, v1
	s_waitcnt lgkmcnt(1)
	v_add_f32_e32 v3, v3, v1
	ds_load_2addr_stride64_b32 v[1:2], v7 offset0:48 offset1:52
	v_add_f32_e32 v3, v4, v3
	s_waitcnt lgkmcnt(1)
	s_delay_alu instid0(VALU_DEP_1) | instskip(SKIP_3) | instid1(VALU_DEP_1)
	v_add_f32_e32 v3, v5, v3
	ds_load_2addr_stride64_b32 v[4:5], v7 offset0:56 offset1:60
	v_add_f32_e32 v3, v6, v3
	s_waitcnt lgkmcnt(1)
	v_add_f32_e32 v1, v1, v3
	s_delay_alu instid0(VALU_DEP_1) | instskip(SKIP_1) | instid1(VALU_DEP_1)
	v_add_f32_e32 v1, v2, v1
                                        ; implicit-def: $vgpr2_vgpr3
	s_waitcnt lgkmcnt(0)
	v_add_f32_e32 v1, v4, v1
	v_or_b32_e32 v4, s5, v0
	s_delay_alu instid0(VALU_DEP_2)
	v_add_f32_e32 v0, v5, v1
                                        ; implicit-def: $vgpr5
	ds_store_b32 v7, v0
	v_cmpx_gt_i32_e64 s6, v4
	s_cbranch_execz .LBB550_66
; %bb.48:
	v_cmp_eq_f32_e64 s2, s13, 0
	v_mul_f32_e32 v0, s17, v0
	s_delay_alu instid0(VALU_DEP_2)
	s_and_b32 vcc_lo, exec_lo, s2
	s_cbranch_vccz .LBB550_54
; %bb.49:
	s_delay_alu instid0(VALU_DEP_1) | instskip(NEXT) | instid1(VALU_DEP_1)
	v_and_b32_e32 v1, 0x7f800000, v0
	v_cmp_ne_u32_e32 vcc_lo, 0x7f800000, v1
                                        ; implicit-def: $vgpr1
	s_and_saveexec_b32 s2, vcc_lo
	s_delay_alu instid0(SALU_CYCLE_1)
	s_xor_b32 s2, exec_lo, s2
; %bb.50:
	v_bfe_u32 v1, v0, 16, 1
	s_delay_alu instid0(VALU_DEP_1)
	v_add3_u32 v1, v0, v1, 0x7fff
; %bb.51:
	s_and_not1_saveexec_b32 s2, s2
; %bb.52:
	v_and_b32_e32 v1, 0xffff, v0
	v_or_b32_e32 v2, 0x10000, v0
	s_delay_alu instid0(VALU_DEP_2) | instskip(NEXT) | instid1(VALU_DEP_2)
	v_cmp_eq_u32_e32 vcc_lo, 0, v1
	v_cndmask_b32_e32 v1, v2, v0, vcc_lo
; %bb.53:
	s_or_b32 exec_lo, exec_lo, s2
	s_mov_b32 s2, 0
	s_branch .LBB550_55
.LBB550_54:
	s_mov_b32 s2, -1
                                        ; implicit-def: $vgpr1
.LBB550_55:
	v_mul_lo_u32 v2, v4, s16
	s_and_not1_b32 vcc_lo, exec_lo, s2
	s_delay_alu instid0(VALU_DEP_1)
	v_ashrrev_i32_e32 v3, 31, v2
	s_cbranch_vccnz .LBB550_65
; %bb.56:
	s_delay_alu instid0(VALU_DEP_1) | instskip(NEXT) | instid1(VALU_DEP_1)
	v_lshlrev_b64 v[4:5], 1, v[2:3]
	v_add_co_u32 v4, vcc_lo, s8, v4
	s_delay_alu instid0(VALU_DEP_2) | instskip(SKIP_3) | instid1(VALU_DEP_1)
	v_add_co_ci_u32_e32 v5, vcc_lo, s9, v5, vcc_lo
	global_load_u16 v1, v[4:5], off
	s_waitcnt vmcnt(0)
	v_lshlrev_b32_e32 v1, 16, v1
	v_mul_f32_e32 v1, s13, v1
	s_delay_alu instid0(VALU_DEP_1) | instskip(NEXT) | instid1(VALU_DEP_1)
	v_and_b32_e32 v4, 0x7f800000, v1
	v_cmp_ne_u32_e32 vcc_lo, 0x7f800000, v4
                                        ; implicit-def: $vgpr4
	s_and_saveexec_b32 s2, vcc_lo
	s_delay_alu instid0(SALU_CYCLE_1)
	s_xor_b32 s2, exec_lo, s2
; %bb.57:
	v_bfe_u32 v4, v1, 16, 1
	s_delay_alu instid0(VALU_DEP_1)
	v_add3_u32 v4, v1, v4, 0x7fff
                                        ; implicit-def: $vgpr1
; %bb.58:
	s_and_not1_saveexec_b32 s2, s2
; %bb.59:
	v_and_b32_e32 v4, 0xffff, v1
	v_or_b32_e32 v5, 0x10000, v1
	s_delay_alu instid0(VALU_DEP_2) | instskip(NEXT) | instid1(VALU_DEP_2)
	v_cmp_eq_u32_e32 vcc_lo, 0, v4
	v_cndmask_b32_e32 v4, v5, v1, vcc_lo
; %bb.60:
	s_or_b32 exec_lo, exec_lo, s2
	s_delay_alu instid0(VALU_DEP_1) | instskip(NEXT) | instid1(VALU_DEP_1)
	v_and_b32_e32 v1, 0xffff0000, v4
	v_add_f32_e32 v0, v0, v1
	s_delay_alu instid0(VALU_DEP_1) | instskip(NEXT) | instid1(VALU_DEP_1)
	v_and_b32_e32 v1, 0x7f800000, v0
	v_cmp_ne_u32_e32 vcc_lo, 0x7f800000, v1
                                        ; implicit-def: $vgpr1
	s_and_saveexec_b32 s2, vcc_lo
	s_delay_alu instid0(SALU_CYCLE_1)
	s_xor_b32 s2, exec_lo, s2
; %bb.61:
	v_bfe_u32 v1, v0, 16, 1
	s_delay_alu instid0(VALU_DEP_1)
	v_add3_u32 v1, v0, v1, 0x7fff
                                        ; implicit-def: $vgpr0
; %bb.62:
	s_and_not1_saveexec_b32 s2, s2
; %bb.63:
	v_and_b32_e32 v1, 0xffff, v0
	v_or_b32_e32 v4, 0x10000, v0
	s_delay_alu instid0(VALU_DEP_2) | instskip(NEXT) | instid1(VALU_DEP_2)
	v_cmp_eq_u32_e32 vcc_lo, 0, v1
	v_cndmask_b32_e32 v1, v4, v0, vcc_lo
; %bb.64:
	s_or_b32 exec_lo, exec_lo, s2
.LBB550_65:
	s_delay_alu instid0(VALU_DEP_1)
	v_lshrrev_b32_e32 v5, 16, v1
	s_or_b32 s2, s12, exec_lo
.LBB550_66:
	s_or_b32 exec_lo, exec_lo, s1
	s_delay_alu instid0(SALU_CYCLE_1) | instskip(SKIP_1) | instid1(SALU_CYCLE_1)
	s_and_not1_b32 s1, s12, exec_lo
	s_and_b32 s2, s2, exec_lo
	s_or_b32 s12, s1, s2
.LBB550_67:
	s_or_b32 exec_lo, exec_lo, s0
.LBB550_68:
	s_and_saveexec_b32 s0, s12
	s_cbranch_execz .LBB550_70
; %bb.69:
	v_lshlrev_b64 v[0:1], 1, v[2:3]
	s_delay_alu instid0(VALU_DEP_1) | instskip(NEXT) | instid1(VALU_DEP_2)
	v_add_co_u32 v0, vcc_lo, s8, v0
	v_add_co_ci_u32_e32 v1, vcc_lo, s9, v1, vcc_lo
	global_store_b16 v[0:1], v5, off
.LBB550_70:
	s_nop 0
	s_sendmsg sendmsg(MSG_DEALLOC_VGPRS)
	s_endpgm
	.section	.rodata,"a",@progbits
	.p2align	6, 0x0
	.amdhsa_kernel _ZL20rocblas_gemvn_kernelILi64ELi16Ei16rocblas_bfloat16PKfS0_EviiT3_lPKT2_lT1_lS6_lS7_lS3_lPT4_lS7_li
		.amdhsa_group_segment_fixed_size 16384
		.amdhsa_private_segment_fixed_size 0
		.amdhsa_kernarg_size 400
		.amdhsa_user_sgpr_count 14
		.amdhsa_user_sgpr_dispatch_ptr 0
		.amdhsa_user_sgpr_queue_ptr 0
		.amdhsa_user_sgpr_kernarg_segment_ptr 1
		.amdhsa_user_sgpr_dispatch_id 0
		.amdhsa_user_sgpr_private_segment_size 0
		.amdhsa_wavefront_size32 1
		.amdhsa_uses_dynamic_stack 0
		.amdhsa_enable_private_segment 0
		.amdhsa_system_sgpr_workgroup_id_x 1
		.amdhsa_system_sgpr_workgroup_id_y 0
		.amdhsa_system_sgpr_workgroup_id_z 1
		.amdhsa_system_sgpr_workgroup_info 0
		.amdhsa_system_vgpr_workitem_id 1
		.amdhsa_next_free_vgpr 41
		.amdhsa_next_free_sgpr 28
		.amdhsa_reserve_vcc 1
		.amdhsa_float_round_mode_32 0
		.amdhsa_float_round_mode_16_64 0
		.amdhsa_float_denorm_mode_32 3
		.amdhsa_float_denorm_mode_16_64 3
		.amdhsa_dx10_clamp 1
		.amdhsa_ieee_mode 1
		.amdhsa_fp16_overflow 0
		.amdhsa_workgroup_processor_mode 1
		.amdhsa_memory_ordered 1
		.amdhsa_forward_progress 0
		.amdhsa_shared_vgpr_count 0
		.amdhsa_exception_fp_ieee_invalid_op 0
		.amdhsa_exception_fp_denorm_src 0
		.amdhsa_exception_fp_ieee_div_zero 0
		.amdhsa_exception_fp_ieee_overflow 0
		.amdhsa_exception_fp_ieee_underflow 0
		.amdhsa_exception_fp_ieee_inexact 0
		.amdhsa_exception_int_div_zero 0
	.end_amdhsa_kernel
	.section	.text._ZL20rocblas_gemvn_kernelILi64ELi16Ei16rocblas_bfloat16PKfS0_EviiT3_lPKT2_lT1_lS6_lS7_lS3_lPT4_lS7_li,"axG",@progbits,_ZL20rocblas_gemvn_kernelILi64ELi16Ei16rocblas_bfloat16PKfS0_EviiT3_lPKT2_lT1_lS6_lS7_lS3_lPT4_lS7_li,comdat
.Lfunc_end550:
	.size	_ZL20rocblas_gemvn_kernelILi64ELi16Ei16rocblas_bfloat16PKfS0_EviiT3_lPKT2_lT1_lS6_lS7_lS3_lPT4_lS7_li, .Lfunc_end550-_ZL20rocblas_gemvn_kernelILi64ELi16Ei16rocblas_bfloat16PKfS0_EviiT3_lPKT2_lT1_lS6_lS7_lS3_lPT4_lS7_li
                                        ; -- End function
	.section	.AMDGPU.csdata,"",@progbits
; Kernel info:
; codeLenInByte = 3680
; NumSgprs: 30
; NumVgprs: 41
; ScratchSize: 0
; MemoryBound: 0
; FloatMode: 240
; IeeeMode: 1
; LDSByteSize: 16384 bytes/workgroup (compile time only)
; SGPRBlocks: 3
; VGPRBlocks: 5
; NumSGPRsForWavesPerEU: 30
; NumVGPRsForWavesPerEU: 41
; Occupancy: 16
; WaveLimiterHint : 1
; COMPUTE_PGM_RSRC2:SCRATCH_EN: 0
; COMPUTE_PGM_RSRC2:USER_SGPR: 14
; COMPUTE_PGM_RSRC2:TRAP_HANDLER: 0
; COMPUTE_PGM_RSRC2:TGID_X_EN: 1
; COMPUTE_PGM_RSRC2:TGID_Y_EN: 0
; COMPUTE_PGM_RSRC2:TGID_Z_EN: 1
; COMPUTE_PGM_RSRC2:TIDIG_COMP_CNT: 1
	.section	.text._ZL20rocblas_gemvn_kernelILi64ELi16El16rocblas_bfloat16PKfS0_EviiT3_lPKT2_lT1_lS6_lS7_lS3_lPT4_lS7_li,"axG",@progbits,_ZL20rocblas_gemvn_kernelILi64ELi16El16rocblas_bfloat16PKfS0_EviiT3_lPKT2_lT1_lS6_lS7_lS3_lPT4_lS7_li,comdat
	.globl	_ZL20rocblas_gemvn_kernelILi64ELi16El16rocblas_bfloat16PKfS0_EviiT3_lPKT2_lT1_lS6_lS7_lS3_lPT4_lS7_li ; -- Begin function _ZL20rocblas_gemvn_kernelILi64ELi16El16rocblas_bfloat16PKfS0_EviiT3_lPKT2_lT1_lS6_lS7_lS3_lPT4_lS7_li
	.p2align	8
	.type	_ZL20rocblas_gemvn_kernelILi64ELi16El16rocblas_bfloat16PKfS0_EviiT3_lPKT2_lT1_lS6_lS7_lS3_lPT4_lS7_li,@function
_ZL20rocblas_gemvn_kernelILi64ELi16El16rocblas_bfloat16PKfS0_EviiT3_lPKT2_lT1_lS6_lS7_lS3_lPT4_lS7_li: ; @_ZL20rocblas_gemvn_kernelILi64ELi16El16rocblas_bfloat16PKfS0_EviiT3_lPKT2_lT1_lS6_lS7_lS3_lPT4_lS7_li
; %bb.0:
	s_load_b64 s[2:3], s[0:1], 0x9c
	s_waitcnt lgkmcnt(0)
	s_lshr_b32 s4, s2, 16
	s_and_b32 s2, s2, 0xffff
	s_and_b32 s3, s3, 0xffff
	s_mul_i32 s2, s4, s2
	s_delay_alu instid0(SALU_CYCLE_1) | instskip(NEXT) | instid1(SALU_CYCLE_1)
	s_mul_i32 s2, s2, s3
	s_cmpk_lg_i32 s2, 0x400
	s_cbranch_scc1 .LBB551_70
; %bb.1:
	s_clause 0x1
	s_load_b512 s[36:51], s[0:1], 0x8
	s_load_b512 s[16:31], s[0:1], 0x48
	s_waitcnt lgkmcnt(0)
	s_mul_i32 s3, s15, s39
	s_mul_hi_u32 s4, s15, s38
	s_mul_i32 s2, s15, s38
	s_add_i32 s3, s4, s3
	s_mul_i32 s4, s15, s23
	s_lshl_b64 s[2:3], s[2:3], 2
	s_mul_hi_u32 s5, s15, s22
	s_add_u32 s2, s36, s2
	s_addc_u32 s3, s37, s3
	s_add_i32 s5, s5, s4
	s_mul_i32 s4, s15, s22
	s_delay_alu instid0(SALU_CYCLE_1) | instskip(NEXT) | instid1(SALU_CYCLE_1)
	s_lshl_b64 s[4:5], s[4:5], 2
	s_add_u32 s4, s20, s4
	s_addc_u32 s5, s21, s5
	s_load_b32 s23, s[2:3], 0x0
	s_load_b32 s22, s[4:5], 0x0
	s_mov_b32 s21, 0
	s_waitcnt lgkmcnt(0)
	v_cmp_eq_f32_e64 s2, s23, 0
	v_cmp_eq_f32_e64 s3, s22, 1.0
	s_delay_alu instid0(VALU_DEP_1) | instskip(NEXT) | instid1(SALU_CYCLE_1)
	s_and_b32 s2, s2, s3
	s_and_b32 vcc_lo, exec_lo, s2
	s_cbranch_vccnz .LBB551_70
; %bb.2:
	s_load_b64 s[6:7], s[0:1], 0x0
	v_and_b32_e32 v12, 0x3ff, v0
	v_bfe_u32 v13, v0, 10, 10
	s_mul_i32 s2, s15, s31
	s_mul_hi_u32 s3, s15, s30
	s_mul_i32 s0, s15, s30
	s_add_i32 s1, s3, s2
	v_lshl_add_u32 v11, v13, 6, v12
	s_lshl_b64 s[0:1], s[0:1], 1
	v_cmp_neq_f32_e64 s4, s23, 0
	s_add_u32 s2, s24, s0
	s_addc_u32 s3, s25, s1
	s_lshl_b64 s[0:1], s[26:27], 1
	s_delay_alu instid0(SALU_CYCLE_1)
	s_add_u32 s5, s2, s0
	v_cmp_gt_u32_e64 s0, 0x100, v11
	s_addc_u32 s20, s3, s1
	s_and_b32 vcc_lo, exec_lo, s4
	s_cbranch_vccnz .LBB551_11
; %bb.3:
	s_mov_b32 s1, 0
                                        ; implicit-def: $vgpr3
                                        ; implicit-def: $vgpr0_vgpr1
	s_and_saveexec_b32 s2, s0
	s_cbranch_execz .LBB551_12
; %bb.4:
	v_lshl_or_b32 v2, s14, 8, v11
	v_mov_b32_e32 v3, 0
	s_waitcnt lgkmcnt(0)
	s_ashr_i32 s9, s6, 31
	s_mov_b32 s8, s6
	s_mov_b32 s3, 0
                                        ; implicit-def: $vgpr0_vgpr1
	v_cmp_gt_i64_e32 vcc_lo, s[8:9], v[2:3]
                                        ; implicit-def: $vgpr3
	s_and_saveexec_b32 s0, vcc_lo
	s_cbranch_execz .LBB551_15
; %bb.5:
	v_mad_u64_u32 v[0:1], null, v2, s28, 0
	v_cmp_eq_f32_e64 s3, s22, 0
	s_delay_alu instid0(VALU_DEP_1) | instskip(NEXT) | instid1(VALU_DEP_2)
	s_and_b32 vcc_lo, exec_lo, s3
	v_mad_u64_u32 v[3:4], null, v2, s29, v[1:2]
	s_delay_alu instid0(VALU_DEP_1)
	v_mov_b32_e32 v1, v3
	s_cbranch_vccnz .LBB551_13
; %bb.6:
	s_delay_alu instid0(VALU_DEP_1) | instskip(NEXT) | instid1(VALU_DEP_1)
	v_lshlrev_b64 v[2:3], 1, v[0:1]
	v_add_co_u32 v2, vcc_lo, s5, v2
	s_delay_alu instid0(VALU_DEP_2) | instskip(SKIP_3) | instid1(VALU_DEP_1)
	v_add_co_ci_u32_e32 v3, vcc_lo, s20, v3, vcc_lo
	global_load_u16 v2, v[2:3], off
	s_waitcnt vmcnt(0)
	v_lshlrev_b32_e32 v2, 16, v2
	v_mul_f32_e32 v2, s22, v2
	s_delay_alu instid0(VALU_DEP_1) | instskip(NEXT) | instid1(VALU_DEP_1)
	v_and_b32_e32 v3, 0x7f800000, v2
	v_cmp_ne_u32_e32 vcc_lo, 0x7f800000, v3
                                        ; implicit-def: $vgpr3
	s_and_saveexec_b32 s3, vcc_lo
	s_delay_alu instid0(SALU_CYCLE_1)
	s_xor_b32 s3, exec_lo, s3
; %bb.7:
	v_bfe_u32 v3, v2, 16, 1
	s_delay_alu instid0(VALU_DEP_1)
	v_add3_u32 v3, v2, v3, 0x7fff
                                        ; implicit-def: $vgpr2
; %bb.8:
	s_and_not1_saveexec_b32 s3, s3
; %bb.9:
	v_and_b32_e32 v3, 0xffff, v2
	v_or_b32_e32 v4, 0x10000, v2
	s_delay_alu instid0(VALU_DEP_2) | instskip(NEXT) | instid1(VALU_DEP_2)
	v_cmp_eq_u32_e32 vcc_lo, 0, v3
	v_cndmask_b32_e32 v3, v4, v2, vcc_lo
; %bb.10:
	s_or_b32 exec_lo, exec_lo, s3
	s_delay_alu instid0(VALU_DEP_1)
	v_lshrrev_b32_e32 v3, 16, v3
	s_branch .LBB551_14
.LBB551_11:
                                        ; implicit-def: $vgpr3
                                        ; implicit-def: $vgpr0_vgpr1
	s_cbranch_execnz .LBB551_16
	s_branch .LBB551_68
.LBB551_12:
	s_or_b32 exec_lo, exec_lo, s2
	s_delay_alu instid0(SALU_CYCLE_1)
	s_and_b32 vcc_lo, exec_lo, s1
	s_cbranch_vccnz .LBB551_16
	s_branch .LBB551_68
.LBB551_13:
	v_mov_b32_e32 v3, 0
.LBB551_14:
	s_mov_b32 s3, exec_lo
.LBB551_15:
	s_or_b32 exec_lo, exec_lo, s0
	s_delay_alu instid0(SALU_CYCLE_1) | instskip(SKIP_1) | instid1(SALU_CYCLE_1)
	s_and_b32 s21, s3, exec_lo
	s_or_b32 exec_lo, exec_lo, s2
	s_and_b32 vcc_lo, exec_lo, s1
	s_cbranch_vccz .LBB551_68
.LBB551_16:
	s_mul_i32 s0, s15, s47
	s_mul_hi_u32 s1, s15, s46
	s_lshl_b32 s24, s14, 8
	s_add_i32 s9, s1, s0
	s_waitcnt lgkmcnt(0)
	s_ashr_i32 s1, s7, 31
	v_dual_mov_b32 v15, 0 :: v_dual_lshlrev_b32 v18, 2, v13
	s_lshr_b32 s1, s1, 26
	v_dual_mov_b32 v17, 0 :: v_dual_add_nc_u32 v0, s24, v12
	v_mov_b32_e32 v14, 0
	v_mov_b32_e32 v16, 0
	s_mul_i32 s0, s15, s19
	s_mul_hi_u32 s2, s15, s18
	s_add_i32 s25, s7, s1
	s_mul_i32 s8, s15, s46
	s_and_not1_b32 s25, s25, 63
	s_add_i32 s11, s2, s0
	s_mul_i32 s10, s15, s18
	s_mov_b32 s26, exec_lo
	v_cmpx_gt_i32_e64 s25, v18
	s_cbranch_execz .LBB551_28
; %bb.17:
	v_lshlrev_b32_e32 v29, 2, v13
	v_mad_u64_u32 v[2:3], null, s16, v13, 0
	v_add_nc_u32_e32 v15, 0x80, v0
	s_lshl_b64 s[0:1], s[10:11], 1
	s_delay_alu instid0(VALU_DEP_3)
	v_or_b32_e32 v16, 3, v29
	s_lshl_b64 s[12:13], s[50:51], 1
	s_add_u32 s4, s48, s0
	s_addc_u32 s27, s49, s1
	v_cmp_gt_i32_e64 s1, s6, v15
	v_mad_u64_u32 v[4:5], null, s44, v16, 0
	s_lshl_b64 s[18:19], s[42:43], 1
	s_lshl_b64 s[14:15], s[16:17], 7
	s_lshl_b64 s[30:31], s[8:9], 1
	v_ashrrev_i32_e32 v1, 31, v0
	v_cmp_gt_i32_e32 vcc_lo, s6, v0
	s_delay_alu instid0(VALU_DEP_3) | instskip(SKIP_2) | instid1(VALU_DEP_3)
	v_mad_u64_u32 v[6:7], null, s17, v13, v[3:4]
	v_add_nc_u32_e32 v14, 64, v0
	v_mad_u64_u32 v[7:8], null, s16, v16, 0
	v_mov_b32_e32 v3, v6
	v_mad_u64_u32 v[9:10], null, s45, v16, v[5:6]
	s_delay_alu instid0(VALU_DEP_4) | instskip(NEXT) | instid1(VALU_DEP_3)
	v_cmp_gt_i32_e64 s0, s6, v14
	v_lshlrev_b64 v[14:15], 3, v[2:3]
	v_mov_b32_e32 v3, v8
	v_lshlrev_b64 v[1:2], 1, v[0:1]
	v_mov_b32_e32 v5, v9
	v_mad_u64_u32 v[9:10], null, s44, v13, 0
	v_add_co_u32 v19, s3, s4, v14
	s_delay_alu instid0(VALU_DEP_3) | instskip(SKIP_4) | instid1(VALU_DEP_2)
	v_lshlrev_b64 v[4:5], 1, v[4:5]
	v_add_co_ci_u32_e64 v20, s3, s27, v15, s3
	s_add_u32 s3, s40, s18
	s_addc_u32 s18, s41, s19
	s_add_u32 s19, s3, s30
	v_mad_u64_u32 v[14:15], null, s17, v16, v[3:4]
	v_mov_b32_e32 v3, v10
	s_addc_u32 s18, s18, s31
	v_add_co_u32 v21, s3, s19, v4
	s_delay_alu instid0(VALU_DEP_1) | instskip(NEXT) | instid1(VALU_DEP_4)
	v_add_co_ci_u32_e64 v22, s3, s18, v5, s3
	v_mov_b32_e32 v8, v14
	v_or_b32_e32 v23, 2, v29
	v_mad_u64_u32 v[31:32], null, s44, v29, s[44:45]
	s_delay_alu instid0(VALU_DEP_2) | instskip(SKIP_1) | instid1(VALU_DEP_2)
	v_mad_u64_u32 v[27:28], null, s16, v23, 0
	v_mad_u64_u32 v[14:15], null, s44, v23, 0
	v_dual_mov_b32 v6, v28 :: v_dual_add_nc_u32 v17, 0xc0, v0
	s_delay_alu instid0(VALU_DEP_1) | instskip(SKIP_3) | instid1(VALU_DEP_1)
	v_cmp_gt_i32_e64 s2, s6, v17
	v_mad_u64_u32 v[16:17], null, s45, v13, v[3:4]
	v_lshlrev_b64 v[4:5], 1, v[7:8]
	v_mov_b32_e32 v3, v15
	v_mad_u64_u32 v[7:8], null, s45, v23, v[3:4]
	s_delay_alu instid0(VALU_DEP_4) | instskip(SKIP_1) | instid1(VALU_DEP_3)
	v_mov_b32_e32 v10, v16
	v_mad_u64_u32 v[16:17], null, s16, v29, s[16:17]
	v_mad_u64_u32 v[25:26], null, s17, v23, v[6:7]
	v_add_co_u32 v23, s3, s4, v4
	s_delay_alu instid0(VALU_DEP_1) | instskip(SKIP_3) | instid1(VALU_DEP_3)
	v_add_co_ci_u32_e64 v24, s3, s27, v5, s3
	v_lshlrev_b64 v[4:5], 3, v[9:10]
	v_mov_b32_e32 v3, v17
	v_dual_mov_b32 v15, v7 :: v_dual_mov_b32 v28, v25
	v_add_co_u32 v25, s3, s19, v4
	s_delay_alu instid0(VALU_DEP_3) | instskip(SKIP_1) | instid1(VALU_DEP_4)
	v_mad_u64_u32 v[6:7], null, s17, v29, v[3:4]
	v_add_co_ci_u32_e64 v26, s3, s18, v5, s3
	v_lshlrev_b64 v[4:5], 1, v[14:15]
	v_dual_mov_b32 v3, v32 :: v_dual_mov_b32 v14, 0
	v_mov_b32_e32 v15, 0
	v_mov_b32_e32 v17, v6
	s_delay_alu instid0(VALU_DEP_3) | instskip(SKIP_2) | instid1(VALU_DEP_4)
	v_mad_u64_u32 v[7:8], null, s45, v29, v[3:4]
	v_lshlrev_b64 v[8:9], 1, v[27:28]
	v_add_co_u32 v27, s3, s19, v4
	v_lshlrev_b64 v[3:4], 1, v[16:17]
	v_mov_b32_e32 v16, 0
	v_add_co_ci_u32_e64 v28, s3, s18, v5, s3
	v_mov_b32_e32 v32, v7
	v_add_co_u32 v29, s3, s4, v8
	s_delay_alu instid0(VALU_DEP_1) | instskip(NEXT) | instid1(VALU_DEP_3)
	v_add_co_ci_u32_e64 v30, s3, s27, v9, s3
	v_lshlrev_b64 v[5:6], 1, v[31:32]
	v_add_co_u32 v31, s3, s4, v3
	s_delay_alu instid0(VALU_DEP_1) | instskip(SKIP_1) | instid1(VALU_DEP_4)
	v_add_co_ci_u32_e64 v32, s3, s27, v4, s3
	v_mov_b32_e32 v17, 0
	v_add_co_u32 v33, s3, s19, v5
	s_delay_alu instid0(VALU_DEP_1)
	v_add_co_ci_u32_e64 v34, s3, s18, v6, s3
	s_lshl_b64 s[18:19], s[44:45], 7
	s_mov_b32 s27, 0
	s_branch .LBB551_22
.LBB551_18:                             ;   in Loop: Header=BB551_22 Depth=1
	s_or_b32 exec_lo, exec_lo, s31
	s_waitcnt vmcnt(2)
	v_lshlrev_b32_e32 v4, 16, v49
	v_lshlrev_b32_e32 v3, 16, v50
	s_waitcnt vmcnt(1)
	s_delay_alu instid0(VALU_DEP_1) | instskip(NEXT) | instid1(VALU_DEP_1)
	v_dual_fmac_f32 v16, v42, v3 :: v_dual_lshlrev_b32 v3, 16, v48
	v_fmac_f32_e32 v16, v40, v4
	s_delay_alu instid0(VALU_DEP_1) | instskip(SKIP_2) | instid1(VALU_DEP_1)
	v_fmac_f32_e32 v16, v38, v3
	s_waitcnt vmcnt(0)
	v_lshlrev_b32_e32 v3, 16, v47
	v_fmac_f32_e32 v16, v37, v3
.LBB551_19:                             ;   in Loop: Header=BB551_22 Depth=1
	s_or_b32 exec_lo, exec_lo, s30
	s_waitcnt vmcnt(3)
	v_lshlrev_b32_e32 v3, 16, v46
	s_waitcnt vmcnt(2)
	s_delay_alu instid0(VALU_DEP_1) | instskip(SKIP_2) | instid1(VALU_DEP_2)
	v_dual_fmac_f32 v15, v42, v3 :: v_dual_lshlrev_b32 v4, 16, v45
	s_waitcnt vmcnt(1)
	v_lshlrev_b32_e32 v3, 16, v44
	v_fmac_f32_e32 v15, v40, v4
	s_delay_alu instid0(VALU_DEP_1) | instskip(SKIP_2) | instid1(VALU_DEP_1)
	v_fmac_f32_e32 v15, v38, v3
	s_waitcnt vmcnt(0)
	v_lshlrev_b32_e32 v3, 16, v43
	v_fmac_f32_e32 v15, v37, v3
.LBB551_20:                             ;   in Loop: Header=BB551_22 Depth=1
	s_or_b32 exec_lo, exec_lo, s3
	s_waitcnt vmcnt(2)
	v_lshlrev_b32_e32 v4, 16, v39
	v_lshlrev_b32_e32 v3, 16, v41
	s_waitcnt vmcnt(1)
	s_delay_alu instid0(VALU_DEP_1) | instskip(NEXT) | instid1(VALU_DEP_1)
	v_dual_fmac_f32 v14, v42, v3 :: v_dual_lshlrev_b32 v3, 16, v36
	v_fmac_f32_e32 v14, v40, v4
	s_delay_alu instid0(VALU_DEP_1) | instskip(SKIP_2) | instid1(VALU_DEP_1)
	v_fmac_f32_e32 v14, v38, v3
	s_waitcnt vmcnt(0)
	v_lshlrev_b32_e32 v3, 16, v35
	v_fmac_f32_e32 v14, v37, v3
.LBB551_21:                             ;   in Loop: Header=BB551_22 Depth=1
	s_or_b32 exec_lo, exec_lo, s4
	v_add_co_u32 v19, s3, v19, s14
	s_delay_alu instid0(VALU_DEP_1) | instskip(SKIP_1) | instid1(VALU_DEP_1)
	v_add_co_ci_u32_e64 v20, s3, s15, v20, s3
	v_add_co_u32 v21, s3, v21, s18
	v_add_co_ci_u32_e64 v22, s3, s19, v22, s3
	v_add_co_u32 v23, s3, v23, s14
	s_delay_alu instid0(VALU_DEP_1) | instskip(SKIP_1) | instid1(VALU_DEP_1)
	v_add_co_ci_u32_e64 v24, s3, s15, v24, s3
	v_add_co_u32 v25, s3, v25, s18
	v_add_co_ci_u32_e64 v26, s3, s19, v26, s3
	v_add_co_u32 v27, s3, v27, s18
	s_delay_alu instid0(VALU_DEP_1) | instskip(SKIP_4) | instid1(VALU_DEP_1)
	v_add_co_ci_u32_e64 v28, s3, s19, v28, s3
	v_add_co_u32 v29, s3, v29, s14
	v_add_nc_u32_e32 v18, 64, v18
	v_add_co_ci_u32_e64 v30, s3, s15, v30, s3
	v_add_co_u32 v31, s3, v31, s14
	v_add_co_ci_u32_e64 v32, s3, s15, v32, s3
	s_delay_alu instid0(VALU_DEP_4) | instskip(SKIP_1) | instid1(VALU_DEP_1)
	v_cmp_le_i32_e64 s3, s25, v18
	v_add_co_u32 v33, s4, v33, s18
	v_add_co_ci_u32_e64 v34, s4, s19, v34, s4
	s_delay_alu instid0(VALU_DEP_3) | instskip(NEXT) | instid1(SALU_CYCLE_1)
	s_or_b32 s27, s3, s27
	s_and_not1_b32 exec_lo, exec_lo, s27
	s_cbranch_execz .LBB551_27
.LBB551_22:                             ; =>This Inner Loop Header: Depth=1
	s_and_saveexec_b32 s4, vcc_lo
	s_cbranch_execz .LBB551_21
; %bb.23:                               ;   in Loop: Header=BB551_22 Depth=1
	v_add_co_u32 v3, s3, v19, s12
	s_delay_alu instid0(VALU_DEP_1) | instskip(SKIP_1) | instid1(VALU_DEP_1)
	v_add_co_ci_u32_e64 v4, s3, s13, v20, s3
	v_add_co_u32 v5, s3, v31, s12
	v_add_co_ci_u32_e64 v6, s3, s13, v32, s3
	v_add_co_u32 v7, s3, v29, s12
	s_delay_alu instid0(VALU_DEP_1) | instskip(SKIP_1) | instid1(VALU_DEP_1)
	v_add_co_ci_u32_e64 v8, s3, s13, v30, s3
	v_add_co_u32 v9, s3, v23, s12
	v_add_co_ci_u32_e64 v10, s3, s13, v24, s3
	global_load_u16 v37, v[3:4], off
	global_load_u16 v38, v[5:6], off
	;; [unrolled: 1-line block ×4, first 2 shown]
	v_add_co_u32 v3, s3, v25, v1
	s_delay_alu instid0(VALU_DEP_1) | instskip(SKIP_1) | instid1(VALU_DEP_1)
	v_add_co_ci_u32_e64 v4, s3, v26, v2, s3
	v_add_co_u32 v5, s3, v33, v1
	v_add_co_ci_u32_e64 v6, s3, v34, v2, s3
	v_add_co_u32 v7, s3, v27, v1
	s_delay_alu instid0(VALU_DEP_1) | instskip(SKIP_1) | instid1(VALU_DEP_1)
	v_add_co_ci_u32_e64 v8, s3, v28, v2, s3
	v_add_co_u32 v9, s3, v21, v1
	v_add_co_ci_u32_e64 v10, s3, v22, v2, s3
	global_load_u16 v41, v[3:4], off
	global_load_u16 v39, v[5:6], off
	;; [unrolled: 1-line block ×4, first 2 shown]
	s_waitcnt vmcnt(7)
	v_lshlrev_b32_e32 v42, 16, v37
	s_waitcnt vmcnt(6)
	v_lshlrev_b32_e32 v40, 16, v38
	;; [unrolled: 2-line block ×4, first 2 shown]
	s_and_saveexec_b32 s3, s0
	s_cbranch_execz .LBB551_20
; %bb.24:                               ;   in Loop: Header=BB551_22 Depth=1
	global_load_u16 v46, v[3:4], off offset:128
	global_load_u16 v45, v[5:6], off offset:128
	global_load_u16 v44, v[7:8], off offset:128
	global_load_u16 v43, v[9:10], off offset:128
	s_and_saveexec_b32 s30, s1
	s_cbranch_execz .LBB551_19
; %bb.25:                               ;   in Loop: Header=BB551_22 Depth=1
	global_load_u16 v50, v[3:4], off offset:256
	global_load_u16 v49, v[5:6], off offset:256
	global_load_u16 v48, v[7:8], off offset:256
	global_load_u16 v47, v[9:10], off offset:256
	s_and_saveexec_b32 s31, s2
	s_cbranch_execz .LBB551_18
; %bb.26:                               ;   in Loop: Header=BB551_22 Depth=1
	global_load_u16 v3, v[3:4], off offset:384
	global_load_u16 v4, v[5:6], off offset:384
	global_load_u16 v5, v[7:8], off offset:384
	global_load_u16 v6, v[9:10], off offset:384
	s_waitcnt vmcnt(3)
	v_lshlrev_b32_e32 v3, 16, v3
	s_waitcnt vmcnt(2)
	s_delay_alu instid0(VALU_DEP_1) | instskip(SKIP_2) | instid1(VALU_DEP_2)
	v_dual_fmac_f32 v17, v42, v3 :: v_dual_lshlrev_b32 v4, 16, v4
	s_waitcnt vmcnt(1)
	v_lshlrev_b32_e32 v3, 16, v5
	v_fmac_f32_e32 v17, v40, v4
	s_delay_alu instid0(VALU_DEP_1) | instskip(SKIP_2) | instid1(VALU_DEP_1)
	v_fmac_f32_e32 v17, v38, v3
	s_waitcnt vmcnt(0)
	v_lshlrev_b32_e32 v3, 16, v6
	v_fmac_f32_e32 v17, v37, v3
	s_branch .LBB551_18
.LBB551_27:
	s_or_b32 exec_lo, exec_lo, s27
.LBB551_28:
	s_delay_alu instid0(SALU_CYCLE_1) | instskip(SKIP_1) | instid1(SALU_CYCLE_1)
	s_or_b32 exec_lo, exec_lo, s26
	s_sub_i32 s0, s7, s25
	s_cmp_lt_i32 s0, 1
	s_cbranch_scc1 .LBB551_46
; %bb.29:
	v_cmp_gt_i32_e32 vcc_lo, s7, v18
	v_dual_mov_b32 v9, 0 :: v_dual_mov_b32 v10, 0
	v_or_b32_e32 v2, 1, v18
	v_dual_mov_b32 v19, 0 :: v_dual_mov_b32 v20, 0
	s_and_saveexec_b32 s1, vcc_lo
	s_cbranch_execz .LBB551_37
; %bb.30:
	v_mad_u64_u32 v[3:4], null, v18, s16, 0
	s_lshl_b64 s[2:3], s[10:11], 1
	v_mov_b32_e32 v19, 0
	s_add_u32 s0, s48, s2
	s_addc_u32 s2, s49, s3
	s_lshl_b64 s[10:11], s[50:51], 1
	v_mov_b32_e32 v9, 0
	s_delay_alu instid0(VALU_DEP_3) | instskip(SKIP_3) | instid1(VALU_DEP_1)
	v_dual_mov_b32 v1, v4 :: v_dual_mov_b32 v10, 0
	s_add_u32 s3, s0, s10
	s_addc_u32 s4, s2, s11
	s_mov_b32 s2, exec_lo
	v_mad_u64_u32 v[4:5], null, v18, s17, v[1:2]
	s_delay_alu instid0(VALU_DEP_1) | instskip(NEXT) | instid1(VALU_DEP_1)
	v_lshlrev_b64 v[3:4], 1, v[3:4]
	v_add_co_u32 v3, s0, s3, v3
	s_delay_alu instid0(VALU_DEP_1)
	v_add_co_ci_u32_e64 v4, s0, s4, v4, s0
	global_load_u16 v1, v[3:4], off
	v_cmpx_gt_i32_e64 s7, v2
	s_cbranch_execz .LBB551_36
; %bb.31:
	v_mad_u64_u32 v[3:4], null, v2, s16, 0
	v_mov_b32_e32 v10, 0
	s_mov_b32 s10, exec_lo
	v_mov_b32_e32 v9, 0
	s_delay_alu instid0(VALU_DEP_3) | instskip(NEXT) | instid1(VALU_DEP_1)
	v_mad_u64_u32 v[5:6], null, v2, s17, v[4:5]
	v_mov_b32_e32 v4, v5
	s_delay_alu instid0(VALU_DEP_1) | instskip(NEXT) | instid1(VALU_DEP_1)
	v_lshlrev_b64 v[3:4], 1, v[3:4]
	v_add_co_u32 v3, s0, s3, v3
	s_delay_alu instid0(VALU_DEP_1) | instskip(SKIP_2) | instid1(VALU_DEP_1)
	v_add_co_ci_u32_e64 v4, s0, s4, v4, s0
	global_load_u16 v3, v[3:4], off
	v_or_b32_e32 v4, 2, v18
	v_cmpx_gt_i32_e64 s7, v4
	s_cbranch_execz .LBB551_35
; %bb.32:
	v_mad_u64_u32 v[5:6], null, v4, s16, 0
	s_mov_b32 s11, exec_lo
	v_mov_b32_e32 v9, 0
	s_delay_alu instid0(VALU_DEP_2) | instskip(NEXT) | instid1(VALU_DEP_1)
	v_mad_u64_u32 v[7:8], null, v4, s17, v[6:7]
	v_mov_b32_e32 v6, v7
	s_delay_alu instid0(VALU_DEP_1) | instskip(NEXT) | instid1(VALU_DEP_1)
	v_lshlrev_b64 v[4:5], 1, v[5:6]
	v_add_co_u32 v4, s0, s3, v4
	s_delay_alu instid0(VALU_DEP_1) | instskip(SKIP_2) | instid1(VALU_DEP_1)
	v_add_co_ci_u32_e64 v5, s0, s4, v5, s0
	global_load_u16 v4, v[4:5], off
	v_or_b32_e32 v5, 3, v18
	v_cmpx_gt_i32_e64 s7, v5
	s_cbranch_execz .LBB551_34
; %bb.33:
	v_mad_u64_u32 v[6:7], null, v5, s16, 0
	s_delay_alu instid0(VALU_DEP_1) | instskip(NEXT) | instid1(VALU_DEP_1)
	v_mad_u64_u32 v[8:9], null, v5, s17, v[7:8]
	v_mov_b32_e32 v7, v8
	s_delay_alu instid0(VALU_DEP_1) | instskip(NEXT) | instid1(VALU_DEP_1)
	v_lshlrev_b64 v[5:6], 1, v[6:7]
	v_add_co_u32 v5, s0, s3, v5
	s_delay_alu instid0(VALU_DEP_1)
	v_add_co_ci_u32_e64 v6, s0, s4, v6, s0
	global_load_u16 v5, v[5:6], off
	s_waitcnt vmcnt(0)
	v_lshlrev_b32_e32 v9, 16, v5
.LBB551_34:
	s_or_b32 exec_lo, exec_lo, s11
	s_waitcnt vmcnt(0)
	v_lshlrev_b32_e32 v10, 16, v4
.LBB551_35:
	s_or_b32 exec_lo, exec_lo, s10
	s_waitcnt vmcnt(0)
	v_lshlrev_b32_e32 v19, 16, v3
.LBB551_36:
	s_or_b32 exec_lo, exec_lo, s2
	s_waitcnt vmcnt(0)
	v_lshlrev_b32_e32 v20, 16, v1
.LBB551_37:
	s_or_b32 exec_lo, exec_lo, s1
	s_delay_alu instid0(SALU_CYCLE_1)
	s_mov_b32 s1, exec_lo
	v_cmpx_gt_i32_e64 s6, v0
	s_cbranch_execz .LBB551_45
; %bb.38:
	v_mad_u64_u32 v[3:4], null, v18, s44, 0
	v_mad_u64_u32 v[5:6], null, v2, s44, 0
	v_ashrrev_i32_e32 v1, 31, v0
	s_lshl_b64 s[2:3], s[8:9], 1
	v_or_b32_e32 v28, 2, v18
	s_add_u32 s0, s40, s2
	s_delay_alu instid0(VALU_DEP_4)
	v_cndmask_b32_e32 v3, 0, v3, vcc_lo
	v_lshlrev_b64 v[21:22], 1, v[0:1]
	v_mad_u64_u32 v[7:8], null, v18, s45, v[4:5]
	s_addc_u32 s4, s41, s3
	s_lshl_b64 s[2:3], s[42:43], 1
	v_or_b32_e32 v18, 3, v18
	s_add_u32 s2, s0, s2
	v_mov_b32_e32 v1, v6
	v_mad_u64_u32 v[23:24], null, v28, s44, 0
	s_delay_alu instid0(VALU_DEP_4) | instskip(SKIP_1) | instid1(VALU_DEP_4)
	v_cndmask_b32_e32 v4, 0, v7, vcc_lo
	v_cmp_gt_i32_e32 vcc_lo, s7, v2
	v_mad_u64_u32 v[25:26], null, v2, s45, v[1:2]
	s_addc_u32 s3, s4, s3
	v_mad_u64_u32 v[6:7], null, v18, s44, 0
	v_cndmask_b32_e32 v26, 0, v5, vcc_lo
	v_lshlrev_b64 v[3:4], 1, v[3:4]
	s_delay_alu instid0(VALU_DEP_4) | instskip(NEXT) | instid1(VALU_DEP_2)
	v_cndmask_b32_e32 v27, 0, v25, vcc_lo
	v_add_co_u32 v1, s0, s2, v3
	s_delay_alu instid0(VALU_DEP_1) | instskip(NEXT) | instid1(VALU_DEP_3)
	v_add_co_ci_u32_e64 v2, s0, s3, v4, s0
	v_lshlrev_b64 v[3:4], 1, v[26:27]
	s_delay_alu instid0(VALU_DEP_3) | instskip(NEXT) | instid1(VALU_DEP_3)
	v_add_co_u32 v1, vcc_lo, v1, v21
	v_add_co_ci_u32_e32 v2, vcc_lo, v2, v22, vcc_lo
	v_cmp_gt_i32_e32 vcc_lo, s7, v28
	v_mov_b32_e32 v5, v24
	v_add_co_u32 v3, s0, s2, v3
	s_delay_alu instid0(VALU_DEP_1) | instskip(NEXT) | instid1(VALU_DEP_3)
	v_add_co_ci_u32_e64 v4, s0, s3, v4, s0
	v_mad_u64_u32 v[24:25], null, v28, s45, v[5:6]
	s_delay_alu instid0(VALU_DEP_3) | instskip(SKIP_1) | instid1(VALU_DEP_4)
	v_add_co_u32 v3, s0, v3, v21
	v_mov_b32_e32 v5, v7
	v_add_co_ci_u32_e64 v4, s0, v4, v22, s0
	s_delay_alu instid0(VALU_DEP_4) | instskip(NEXT) | instid1(VALU_DEP_3)
	v_dual_cndmask_b32 v7, 0, v23 :: v_dual_cndmask_b32 v8, 0, v24
	v_mad_u64_u32 v[25:26], null, v18, s45, v[5:6]
	v_cmp_gt_i32_e32 vcc_lo, s7, v18
	s_clause 0x1
	global_load_u16 v18, v[1:2], off
	global_load_u16 v23, v[3:4], off
	s_mov_b32 s0, exec_lo
	s_waitcnt vmcnt(1)
	v_lshlrev_b32_e32 v18, 16, v18
	s_waitcnt vmcnt(0)
	s_delay_alu instid0(VALU_DEP_1) | instskip(SKIP_2) | instid1(VALU_DEP_3)
	v_dual_fmac_f32 v14, v20, v18 :: v_dual_lshlrev_b32 v23, 16, v23
	v_dual_cndmask_b32 v5, 0, v6 :: v_dual_cndmask_b32 v6, 0, v25
	v_lshlrev_b64 v[7:8], 1, v[7:8]
	v_dual_fmac_f32 v14, v19, v23 :: v_dual_add_nc_u32 v23, 64, v0
	s_delay_alu instid0(VALU_DEP_3) | instskip(NEXT) | instid1(VALU_DEP_3)
	v_lshlrev_b64 v[5:6], 1, v[5:6]
	v_add_co_u32 v7, vcc_lo, s2, v7
	s_delay_alu instid0(VALU_DEP_4) | instskip(NEXT) | instid1(VALU_DEP_3)
	v_add_co_ci_u32_e32 v8, vcc_lo, s3, v8, vcc_lo
	v_add_co_u32 v5, vcc_lo, s2, v5
	s_delay_alu instid0(VALU_DEP_4) | instskip(NEXT) | instid1(VALU_DEP_4)
	v_add_co_ci_u32_e32 v6, vcc_lo, s3, v6, vcc_lo
	v_add_co_u32 v7, vcc_lo, v7, v21
	s_delay_alu instid0(VALU_DEP_4) | instskip(NEXT) | instid1(VALU_DEP_4)
	v_add_co_ci_u32_e32 v8, vcc_lo, v8, v22, vcc_lo
	v_add_co_u32 v5, vcc_lo, v5, v21
	s_delay_alu instid0(VALU_DEP_4)
	v_add_co_ci_u32_e32 v6, vcc_lo, v6, v22, vcc_lo
	s_clause 0x1
	global_load_u16 v21, v[7:8], off
	global_load_u16 v22, v[5:6], off
	s_waitcnt vmcnt(1)
	v_lshlrev_b32_e32 v21, 16, v21
	s_waitcnt vmcnt(0)
	v_lshlrev_b32_e32 v18, 16, v22
	s_delay_alu instid0(VALU_DEP_2)
	v_fmac_f32_e32 v14, v10, v21
	v_cmpx_gt_i32_e64 s6, v23
	s_cbranch_execz .LBB551_44
; %bb.39:
	s_clause 0x3
	global_load_u16 v21, v[1:2], off offset:128
	global_load_u16 v22, v[3:4], off offset:128
	;; [unrolled: 1-line block ×4, first 2 shown]
	s_mov_b32 s2, exec_lo
	s_waitcnt vmcnt(3)
	v_lshlrev_b32_e32 v21, 16, v21
	s_waitcnt vmcnt(2)
	v_lshlrev_b32_e32 v22, 16, v22
	;; [unrolled: 2-line block ×3, first 2 shown]
	v_fmac_f32_e32 v15, v20, v21
	s_waitcnt vmcnt(0)
	v_lshlrev_b32_e32 v21, 16, v24
	s_delay_alu instid0(VALU_DEP_2) | instskip(NEXT) | instid1(VALU_DEP_1)
	v_dual_fmac_f32 v15, v19, v22 :: v_dual_add_nc_u32 v22, 0x80, v0
	v_fmac_f32_e32 v15, v10, v23
	s_delay_alu instid0(VALU_DEP_2)
	v_cmpx_gt_i32_e64 s6, v22
	s_cbranch_execz .LBB551_43
; %bb.40:
	s_clause 0x3
	global_load_u16 v22, v[1:2], off offset:256
	global_load_u16 v23, v[3:4], off offset:256
	;; [unrolled: 1-line block ×4, first 2 shown]
	s_mov_b32 s3, exec_lo
	s_waitcnt vmcnt(3)
	v_lshlrev_b32_e32 v22, 16, v22
	s_waitcnt vmcnt(2)
	s_delay_alu instid0(VALU_DEP_1) | instskip(SKIP_2) | instid1(VALU_DEP_2)
	v_dual_fmac_f32 v16, v20, v22 :: v_dual_lshlrev_b32 v23, 16, v23
	s_waitcnt vmcnt(1)
	v_lshlrev_b32_e32 v22, 16, v24
	v_dual_fmac_f32 v16, v19, v23 :: v_dual_add_nc_u32 v23, 0xc0, v0
	s_waitcnt vmcnt(0)
	v_lshlrev_b32_e32 v0, 16, v25
	s_delay_alu instid0(VALU_DEP_2) | instskip(NEXT) | instid1(VALU_DEP_3)
	v_fmac_f32_e32 v16, v10, v22
	v_cmpx_gt_i32_e64 s6, v23
	s_cbranch_execz .LBB551_42
; %bb.41:
	s_clause 0x3
	global_load_u16 v1, v[1:2], off offset:384
	global_load_u16 v2, v[3:4], off offset:384
	;; [unrolled: 1-line block ×4, first 2 shown]
	s_waitcnt vmcnt(3)
	v_lshlrev_b32_e32 v1, 16, v1
	s_waitcnt vmcnt(2)
	s_delay_alu instid0(VALU_DEP_1) | instskip(SKIP_2) | instid1(VALU_DEP_2)
	v_dual_fmac_f32 v17, v20, v1 :: v_dual_lshlrev_b32 v2, 16, v2
	s_waitcnt vmcnt(1)
	v_lshlrev_b32_e32 v1, 16, v3
	v_fmac_f32_e32 v17, v19, v2
	s_delay_alu instid0(VALU_DEP_1) | instskip(SKIP_2) | instid1(VALU_DEP_1)
	v_fmac_f32_e32 v17, v10, v1
	s_waitcnt vmcnt(0)
	v_lshlrev_b32_e32 v1, 16, v4
	v_fmac_f32_e32 v17, v9, v1
.LBB551_42:
	s_or_b32 exec_lo, exec_lo, s3
	s_delay_alu instid0(VALU_DEP_2)
	v_fmac_f32_e32 v16, v9, v0
.LBB551_43:
	s_or_b32 exec_lo, exec_lo, s2
	s_delay_alu instid0(VALU_DEP_2)
	v_fmac_f32_e32 v15, v9, v21
.LBB551_44:
	s_or_b32 exec_lo, exec_lo, s0
	s_delay_alu instid0(VALU_DEP_2)
	v_fmac_f32_e32 v14, v9, v18
.LBB551_45:
	s_or_b32 exec_lo, exec_lo, s1
.LBB551_46:
	v_lshlrev_b32_e32 v0, 8, v13
	s_mov_b32 s0, exec_lo
                                        ; implicit-def: $vgpr3
	s_delay_alu instid0(VALU_DEP_1)
	v_add_lshl_u32 v0, v0, v12, 2
	ds_store_2addr_stride64_b32 v0, v14, v15 offset1:1
	ds_store_2addr_stride64_b32 v0, v16, v17 offset0:2 offset1:3
	s_waitcnt lgkmcnt(0)
	s_barrier
	buffer_gl0_inv
                                        ; implicit-def: $vgpr0_vgpr1
	v_cmpx_gt_u32_e32 0x100, v11
	s_cbranch_execz .LBB551_67
; %bb.47:
	v_lshlrev_b32_e32 v6, 2, v11
	s_mov_b32 s2, s21
	s_mov_b32 s1, exec_lo
	ds_load_2addr_stride64_b32 v[0:1], v6 offset1:4
	ds_load_2addr_stride64_b32 v[2:3], v6 offset0:8 offset1:12
	ds_load_2addr_stride64_b32 v[4:5], v6 offset0:16 offset1:20
	s_waitcnt lgkmcnt(2)
	v_add_f32_e32 v7, v0, v1
	ds_load_2addr_stride64_b32 v[0:1], v6 offset0:24 offset1:28
	s_waitcnt lgkmcnt(2)
	v_add_f32_e32 v2, v2, v7
	s_delay_alu instid0(VALU_DEP_1) | instskip(SKIP_3) | instid1(VALU_DEP_1)
	v_add_f32_e32 v7, v3, v2
	ds_load_2addr_stride64_b32 v[2:3], v6 offset0:32 offset1:36
	s_waitcnt lgkmcnt(2)
	v_add_f32_e32 v4, v4, v7
	v_add_f32_e32 v7, v5, v4
	ds_load_2addr_stride64_b32 v[4:5], v6 offset0:40 offset1:44
	s_waitcnt lgkmcnt(2)
	v_add_f32_e32 v0, v0, v7
	s_delay_alu instid0(VALU_DEP_1) | instskip(SKIP_1) | instid1(VALU_DEP_1)
	v_add_f32_e32 v0, v1, v0
	s_waitcnt lgkmcnt(1)
	v_add_f32_e32 v2, v2, v0
	ds_load_2addr_stride64_b32 v[0:1], v6 offset0:48 offset1:52
	v_add_f32_e32 v2, v3, v2
	s_waitcnt lgkmcnt(1)
	s_delay_alu instid0(VALU_DEP_1) | instskip(SKIP_3) | instid1(VALU_DEP_1)
	v_add_f32_e32 v4, v4, v2
	ds_load_2addr_stride64_b32 v[2:3], v6 offset0:56 offset1:60
	v_add_f32_e32 v4, v5, v4
	s_waitcnt lgkmcnt(1)
	v_add_f32_e32 v0, v0, v4
	s_delay_alu instid0(VALU_DEP_1) | instskip(SKIP_1) | instid1(VALU_DEP_1)
	v_add_f32_e32 v0, v1, v0
	s_waitcnt lgkmcnt(0)
	v_add_f32_e32 v0, v2, v0
	v_or_b32_e32 v2, s24, v11
	s_delay_alu instid0(VALU_DEP_2)
	v_add_f32_e32 v4, v3, v0
                                        ; implicit-def: $vgpr3
                                        ; implicit-def: $vgpr0_vgpr1
	ds_store_b32 v6, v4
	v_cmpx_gt_i32_e64 s6, v2
	s_cbranch_execz .LBB551_66
; %bb.48:
	v_cmp_eq_f32_e64 s2, s22, 0
	v_mul_f32_e32 v0, s23, v4
	s_delay_alu instid0(VALU_DEP_2)
	s_and_b32 vcc_lo, exec_lo, s2
	s_cbranch_vccz .LBB551_54
; %bb.49:
	s_delay_alu instid0(VALU_DEP_1) | instskip(SKIP_1) | instid1(VALU_DEP_1)
	v_and_b32_e32 v1, 0x7f800000, v0
	s_mov_b32 s2, exec_lo
                                        ; implicit-def: $vgpr3
	v_cmpx_ne_u32_e32 0x7f800000, v1
	s_xor_b32 s2, exec_lo, s2
; %bb.50:
	v_bfe_u32 v1, v0, 16, 1
	s_delay_alu instid0(VALU_DEP_1)
	v_add3_u32 v3, v0, v1, 0x7fff
; %bb.51:
	s_and_not1_saveexec_b32 s2, s2
; %bb.52:
	v_and_b32_e32 v1, 0xffff, v0
	v_or_b32_e32 v3, 0x10000, v0
	s_delay_alu instid0(VALU_DEP_2) | instskip(NEXT) | instid1(VALU_DEP_2)
	v_cmp_eq_u32_e32 vcc_lo, 0, v1
	v_cndmask_b32_e32 v3, v3, v0, vcc_lo
; %bb.53:
	s_or_b32 exec_lo, exec_lo, s2
	s_mov_b32 s2, 0
	s_branch .LBB551_55
.LBB551_54:
	s_mov_b32 s2, -1
                                        ; implicit-def: $vgpr3
.LBB551_55:
	v_ashrrev_i32_e32 v1, 31, v2
	v_mul_lo_u32 v4, v2, s29
	s_and_not1_b32 vcc_lo, exec_lo, s2
	s_delay_alu instid0(VALU_DEP_2)
	v_mul_lo_u32 v5, v1, s28
	s_cbranch_vccnz .LBB551_65
; %bb.56:
	v_mad_u64_u32 v[6:7], null, v2, s28, 0
	s_delay_alu instid0(VALU_DEP_1) | instskip(NEXT) | instid1(VALU_DEP_1)
	v_add3_u32 v7, v7, v4, v5
	v_lshlrev_b64 v[6:7], 1, v[6:7]
	s_delay_alu instid0(VALU_DEP_1) | instskip(NEXT) | instid1(VALU_DEP_2)
	v_add_co_u32 v6, vcc_lo, s5, v6
	v_add_co_ci_u32_e32 v7, vcc_lo, s20, v7, vcc_lo
	global_load_u16 v1, v[6:7], off
	s_waitcnt vmcnt(0)
	v_lshlrev_b32_e32 v1, 16, v1
	s_delay_alu instid0(VALU_DEP_1) | instskip(NEXT) | instid1(VALU_DEP_1)
	v_mul_f32_e32 v1, s22, v1
	v_and_b32_e32 v3, 0x7f800000, v1
	s_delay_alu instid0(VALU_DEP_1) | instskip(SKIP_1) | instid1(SALU_CYCLE_1)
	v_cmp_ne_u32_e32 vcc_lo, 0x7f800000, v3
                                        ; implicit-def: $vgpr3
	s_and_saveexec_b32 s2, vcc_lo
	s_xor_b32 s2, exec_lo, s2
; %bb.57:
	v_bfe_u32 v3, v1, 16, 1
	s_delay_alu instid0(VALU_DEP_1)
	v_add3_u32 v3, v1, v3, 0x7fff
                                        ; implicit-def: $vgpr1
; %bb.58:
	s_and_not1_saveexec_b32 s2, s2
; %bb.59:
	v_and_b32_e32 v3, 0xffff, v1
	v_or_b32_e32 v6, 0x10000, v1
	s_delay_alu instid0(VALU_DEP_2) | instskip(NEXT) | instid1(VALU_DEP_2)
	v_cmp_eq_u32_e32 vcc_lo, 0, v3
	v_cndmask_b32_e32 v3, v6, v1, vcc_lo
; %bb.60:
	s_or_b32 exec_lo, exec_lo, s2
	s_delay_alu instid0(VALU_DEP_1) | instskip(SKIP_1) | instid1(VALU_DEP_1)
	v_and_b32_e32 v1, 0xffff0000, v3
	s_mov_b32 s2, exec_lo
                                        ; implicit-def: $vgpr3
	v_add_f32_e32 v0, v0, v1
	s_delay_alu instid0(VALU_DEP_1) | instskip(NEXT) | instid1(VALU_DEP_1)
	v_and_b32_e32 v1, 0x7f800000, v0
	v_cmpx_ne_u32_e32 0x7f800000, v1
	s_xor_b32 s2, exec_lo, s2
; %bb.61:
	v_bfe_u32 v1, v0, 16, 1
	s_delay_alu instid0(VALU_DEP_1)
	v_add3_u32 v3, v0, v1, 0x7fff
                                        ; implicit-def: $vgpr0
; %bb.62:
	s_and_not1_saveexec_b32 s2, s2
; %bb.63:
	v_and_b32_e32 v1, 0xffff, v0
	v_or_b32_e32 v3, 0x10000, v0
	s_delay_alu instid0(VALU_DEP_2) | instskip(NEXT) | instid1(VALU_DEP_2)
	v_cmp_eq_u32_e32 vcc_lo, 0, v1
	v_cndmask_b32_e32 v3, v3, v0, vcc_lo
; %bb.64:
	s_or_b32 exec_lo, exec_lo, s2
.LBB551_65:
	v_mad_u64_u32 v[0:1], null, v2, s28, 0
	s_delay_alu instid0(VALU_DEP_2) | instskip(SKIP_1) | instid1(VALU_DEP_2)
	v_lshrrev_b32_e32 v3, 16, v3
	s_or_b32 s2, s21, exec_lo
	v_add3_u32 v1, v1, v4, v5
.LBB551_66:
	s_or_b32 exec_lo, exec_lo, s1
	s_delay_alu instid0(SALU_CYCLE_1) | instskip(SKIP_1) | instid1(SALU_CYCLE_1)
	s_and_not1_b32 s1, s21, exec_lo
	s_and_b32 s2, s2, exec_lo
	s_or_b32 s21, s1, s2
.LBB551_67:
	s_or_b32 exec_lo, exec_lo, s0
.LBB551_68:
	s_and_saveexec_b32 s0, s21
	s_cbranch_execz .LBB551_70
; %bb.69:
	v_lshlrev_b64 v[0:1], 1, v[0:1]
	s_delay_alu instid0(VALU_DEP_1) | instskip(NEXT) | instid1(VALU_DEP_2)
	v_add_co_u32 v0, vcc_lo, s5, v0
	v_add_co_ci_u32_e32 v1, vcc_lo, s20, v1, vcc_lo
	global_store_b16 v[0:1], v3, off
.LBB551_70:
	s_nop 0
	s_sendmsg sendmsg(MSG_DEALLOC_VGPRS)
	s_endpgm
	.section	.rodata,"a",@progbits
	.p2align	6, 0x0
	.amdhsa_kernel _ZL20rocblas_gemvn_kernelILi64ELi16El16rocblas_bfloat16PKfS0_EviiT3_lPKT2_lT1_lS6_lS7_lS3_lPT4_lS7_li
		.amdhsa_group_segment_fixed_size 16384
		.amdhsa_private_segment_fixed_size 0
		.amdhsa_kernarg_size 400
		.amdhsa_user_sgpr_count 14
		.amdhsa_user_sgpr_dispatch_ptr 0
		.amdhsa_user_sgpr_queue_ptr 0
		.amdhsa_user_sgpr_kernarg_segment_ptr 1
		.amdhsa_user_sgpr_dispatch_id 0
		.amdhsa_user_sgpr_private_segment_size 0
		.amdhsa_wavefront_size32 1
		.amdhsa_uses_dynamic_stack 0
		.amdhsa_enable_private_segment 0
		.amdhsa_system_sgpr_workgroup_id_x 1
		.amdhsa_system_sgpr_workgroup_id_y 0
		.amdhsa_system_sgpr_workgroup_id_z 1
		.amdhsa_system_sgpr_workgroup_info 0
		.amdhsa_system_vgpr_workitem_id 1
		.amdhsa_next_free_vgpr 51
		.amdhsa_next_free_sgpr 52
		.amdhsa_reserve_vcc 1
		.amdhsa_float_round_mode_32 0
		.amdhsa_float_round_mode_16_64 0
		.amdhsa_float_denorm_mode_32 3
		.amdhsa_float_denorm_mode_16_64 3
		.amdhsa_dx10_clamp 1
		.amdhsa_ieee_mode 1
		.amdhsa_fp16_overflow 0
		.amdhsa_workgroup_processor_mode 1
		.amdhsa_memory_ordered 1
		.amdhsa_forward_progress 0
		.amdhsa_shared_vgpr_count 0
		.amdhsa_exception_fp_ieee_invalid_op 0
		.amdhsa_exception_fp_denorm_src 0
		.amdhsa_exception_fp_ieee_div_zero 0
		.amdhsa_exception_fp_ieee_overflow 0
		.amdhsa_exception_fp_ieee_underflow 0
		.amdhsa_exception_fp_ieee_inexact 0
		.amdhsa_exception_int_div_zero 0
	.end_amdhsa_kernel
	.section	.text._ZL20rocblas_gemvn_kernelILi64ELi16El16rocblas_bfloat16PKfS0_EviiT3_lPKT2_lT1_lS6_lS7_lS3_lPT4_lS7_li,"axG",@progbits,_ZL20rocblas_gemvn_kernelILi64ELi16El16rocblas_bfloat16PKfS0_EviiT3_lPKT2_lT1_lS6_lS7_lS3_lPT4_lS7_li,comdat
.Lfunc_end551:
	.size	_ZL20rocblas_gemvn_kernelILi64ELi16El16rocblas_bfloat16PKfS0_EviiT3_lPKT2_lT1_lS6_lS7_lS3_lPT4_lS7_li, .Lfunc_end551-_ZL20rocblas_gemvn_kernelILi64ELi16El16rocblas_bfloat16PKfS0_EviiT3_lPKT2_lT1_lS6_lS7_lS3_lPT4_lS7_li
                                        ; -- End function
	.section	.AMDGPU.csdata,"",@progbits
; Kernel info:
; codeLenInByte = 4156
; NumSgprs: 54
; NumVgprs: 51
; ScratchSize: 0
; MemoryBound: 0
; FloatMode: 240
; IeeeMode: 1
; LDSByteSize: 16384 bytes/workgroup (compile time only)
; SGPRBlocks: 6
; VGPRBlocks: 6
; NumSGPRsForWavesPerEU: 54
; NumVGPRsForWavesPerEU: 51
; Occupancy: 16
; WaveLimiterHint : 0
; COMPUTE_PGM_RSRC2:SCRATCH_EN: 0
; COMPUTE_PGM_RSRC2:USER_SGPR: 14
; COMPUTE_PGM_RSRC2:TRAP_HANDLER: 0
; COMPUTE_PGM_RSRC2:TGID_X_EN: 1
; COMPUTE_PGM_RSRC2:TGID_Y_EN: 0
; COMPUTE_PGM_RSRC2:TGID_Z_EN: 1
; COMPUTE_PGM_RSRC2:TIDIG_COMP_CNT: 1
	.section	.text._ZL20rocblas_gemvn_kernelILi64ELi16Ei16rocblas_bfloat16fS0_EviiT3_lPKT2_lT1_lS4_lS5_lS1_lPT4_lS5_li,"axG",@progbits,_ZL20rocblas_gemvn_kernelILi64ELi16Ei16rocblas_bfloat16fS0_EviiT3_lPKT2_lT1_lS4_lS5_lS1_lPT4_lS5_li,comdat
	.globl	_ZL20rocblas_gemvn_kernelILi64ELi16Ei16rocblas_bfloat16fS0_EviiT3_lPKT2_lT1_lS4_lS5_lS1_lPT4_lS5_li ; -- Begin function _ZL20rocblas_gemvn_kernelILi64ELi16Ei16rocblas_bfloat16fS0_EviiT3_lPKT2_lT1_lS4_lS5_lS1_lPT4_lS5_li
	.p2align	8
	.type	_ZL20rocblas_gemvn_kernelILi64ELi16Ei16rocblas_bfloat16fS0_EviiT3_lPKT2_lT1_lS4_lS5_lS1_lPT4_lS5_li,@function
_ZL20rocblas_gemvn_kernelILi64ELi16Ei16rocblas_bfloat16fS0_EviiT3_lPKT2_lT1_lS4_lS5_lS1_lPT4_lS5_li: ; @_ZL20rocblas_gemvn_kernelILi64ELi16Ei16rocblas_bfloat16fS0_EviiT3_lPKT2_lT1_lS4_lS5_lS1_lPT4_lS5_li
; %bb.0:
	s_load_b64 s[2:3], s[0:1], 0x9c
	s_waitcnt lgkmcnt(0)
	s_lshr_b32 s4, s2, 16
	s_and_b32 s2, s2, 0xffff
	s_and_b32 s3, s3, 0xffff
	s_mul_i32 s2, s4, s2
	s_delay_alu instid0(SALU_CYCLE_1) | instskip(NEXT) | instid1(SALU_CYCLE_1)
	s_mul_i32 s2, s2, s3
	s_cmpk_lg_i32 s2, 0x400
	s_cbranch_scc1 .LBB552_70
; %bb.1:
	s_clause 0x1
	s_load_b128 s[4:7], s[0:1], 0x0
	s_load_b32 s16, s[0:1], 0x58
	s_mov_b32 s13, 0
	s_waitcnt lgkmcnt(0)
	v_cmp_eq_f32_e64 s2, s6, 0
	v_cmp_eq_f32_e64 s3, s16, 1.0
	s_delay_alu instid0(VALU_DEP_1) | instskip(NEXT) | instid1(SALU_CYCLE_1)
	s_and_b32 s2, s2, s3
	s_and_b32 vcc_lo, exec_lo, s2
	s_cbranch_vccnz .LBB552_70
; %bb.2:
	s_clause 0x2
	s_load_b64 s[2:3], s[0:1], 0x80
	s_load_b128 s[8:11], s[0:1], 0x68
	s_load_b32 s17, s[0:1], 0x78
	v_and_b32_e32 v1, 0x3ff, v0
	v_bfe_u32 v13, v0, 10, 10
	v_cmp_neq_f32_e64 s18, s6, 0
	s_delay_alu instid0(VALU_DEP_2)
	v_lshl_add_u32 v0, v13, 6, v1
	s_waitcnt lgkmcnt(0)
	s_mul_i32 s3, s15, s3
	s_mul_hi_u32 s7, s15, s2
	s_mul_i32 s2, s15, s2
	s_add_i32 s3, s7, s3
	s_delay_alu instid0(SALU_CYCLE_1) | instskip(NEXT) | instid1(SALU_CYCLE_1)
	s_lshl_b64 s[2:3], s[2:3], 1
	s_add_u32 s7, s8, s2
	s_addc_u32 s8, s9, s3
	s_lshl_b64 s[2:3], s[10:11], 1
	s_delay_alu instid0(SALU_CYCLE_1)
	s_add_u32 s7, s7, s2
	v_cmp_gt_u32_e64 s2, 0x100, v0
	s_addc_u32 s12, s8, s3
	s_and_b32 vcc_lo, exec_lo, s18
	s_cbranch_vccnz .LBB552_11
; %bb.3:
	s_mov_b32 s3, 0
                                        ; implicit-def: $vgpr5
                                        ; implicit-def: $vgpr2_vgpr3
	s_and_saveexec_b32 s8, s2
	s_cbranch_execz .LBB552_12
; %bb.4:
	v_lshl_or_b32 v4, s14, 8, v0
	v_mov_b32_e32 v5, 0
	s_ashr_i32 s11, s4, 31
	s_mov_b32 s10, s4
	s_mov_b32 s9, 0
                                        ; implicit-def: $vgpr2_vgpr3
	s_delay_alu instid0(VALU_DEP_1)
	v_cmp_gt_i64_e32 vcc_lo, s[10:11], v[4:5]
                                        ; implicit-def: $vgpr5
	s_and_saveexec_b32 s2, vcc_lo
	s_cbranch_execz .LBB552_15
; %bb.5:
	v_mad_u64_u32 v[2:3], null, s17, v4, 0
	s_ashr_i32 s9, s17, 31
	s_delay_alu instid0(VALU_DEP_1) | instid1(SALU_CYCLE_1)
	v_mad_u64_u32 v[5:6], null, s9, v4, v[3:4]
	v_cmp_eq_f32_e64 s9, s16, 0
	s_delay_alu instid0(VALU_DEP_1) | instskip(NEXT) | instid1(VALU_DEP_2)
	s_and_b32 vcc_lo, exec_lo, s9
	v_mov_b32_e32 v3, v5
	s_cbranch_vccnz .LBB552_13
; %bb.6:
	s_delay_alu instid0(VALU_DEP_1) | instskip(NEXT) | instid1(VALU_DEP_1)
	v_lshlrev_b64 v[4:5], 1, v[2:3]
	v_add_co_u32 v4, vcc_lo, s7, v4
	s_delay_alu instid0(VALU_DEP_2) | instskip(SKIP_3) | instid1(VALU_DEP_1)
	v_add_co_ci_u32_e32 v5, vcc_lo, s12, v5, vcc_lo
	global_load_u16 v4, v[4:5], off
	s_waitcnt vmcnt(0)
	v_lshlrev_b32_e32 v4, 16, v4
	v_mul_f32_e32 v4, s16, v4
	s_delay_alu instid0(VALU_DEP_1) | instskip(NEXT) | instid1(VALU_DEP_1)
	v_and_b32_e32 v5, 0x7f800000, v4
	v_cmp_ne_u32_e32 vcc_lo, 0x7f800000, v5
                                        ; implicit-def: $vgpr5
	s_and_saveexec_b32 s9, vcc_lo
	s_delay_alu instid0(SALU_CYCLE_1)
	s_xor_b32 s9, exec_lo, s9
; %bb.7:
	v_bfe_u32 v5, v4, 16, 1
	s_delay_alu instid0(VALU_DEP_1)
	v_add3_u32 v5, v4, v5, 0x7fff
                                        ; implicit-def: $vgpr4
; %bb.8:
	s_and_not1_saveexec_b32 s9, s9
; %bb.9:
	v_and_b32_e32 v5, 0xffff, v4
	v_or_b32_e32 v6, 0x10000, v4
	s_delay_alu instid0(VALU_DEP_2) | instskip(NEXT) | instid1(VALU_DEP_2)
	v_cmp_eq_u32_e32 vcc_lo, 0, v5
	v_cndmask_b32_e32 v5, v6, v4, vcc_lo
; %bb.10:
	s_or_b32 exec_lo, exec_lo, s9
	s_delay_alu instid0(VALU_DEP_1)
	v_lshrrev_b32_e32 v5, 16, v5
	s_branch .LBB552_14
.LBB552_11:
                                        ; implicit-def: $vgpr5
                                        ; implicit-def: $vgpr2_vgpr3
	s_cbranch_execnz .LBB552_16
	s_branch .LBB552_68
.LBB552_12:
	s_or_b32 exec_lo, exec_lo, s8
	s_delay_alu instid0(SALU_CYCLE_1)
	s_and_b32 vcc_lo, exec_lo, s3
	s_cbranch_vccnz .LBB552_16
	s_branch .LBB552_68
.LBB552_13:
	v_mov_b32_e32 v5, 0
.LBB552_14:
	s_mov_b32 s9, exec_lo
.LBB552_15:
	s_or_b32 exec_lo, exec_lo, s2
	s_delay_alu instid0(SALU_CYCLE_1) | instskip(SKIP_1) | instid1(SALU_CYCLE_1)
	s_and_b32 s13, s9, exec_lo
	s_or_b32 exec_lo, exec_lo, s8
	s_and_b32 vcc_lo, exec_lo, s3
	s_cbranch_vccz .LBB552_68
.LBB552_16:
	s_clause 0x4
	s_load_b128 s[8:11], s[0:1], 0x30
	s_load_b64 s[2:3], s[0:1], 0x50
	s_load_b128 s[20:23], s[0:1], 0x18
	s_load_b32 s18, s[0:1], 0x28
	s_load_b64 s[24:25], s[0:1], 0x40
	v_dual_mov_b32 v14, 0 :: v_dual_lshlrev_b32 v19, 2, v13
	v_dual_mov_b32 v15, 0 :: v_dual_mov_b32 v16, 0
	v_mov_b32_e32 v17, 0
	s_waitcnt lgkmcnt(0)
	s_mul_i32 s9, s15, s9
	s_mul_hi_u32 s19, s15, s8
	s_mul_i32 s8, s15, s8
	s_add_i32 s9, s19, s9
	s_mul_i32 s3, s15, s3
	s_lshl_b64 s[8:9], s[8:9], 1
	s_mul_hi_u32 s26, s15, s2
	s_add_u32 s19, s20, s8
	s_addc_u32 s20, s21, s9
	s_lshl_b64 s[8:9], s[22:23], 1
	s_mul_i32 s2, s15, s2
	s_add_u32 s15, s19, s8
	s_load_b32 s8, s[0:1], 0x48
	s_addc_u32 s19, s20, s9
	s_add_i32 s3, s26, s3
	s_mov_b32 s20, exec_lo
	s_lshl_b64 s[0:1], s[2:3], 1
	s_delay_alu instid0(SALU_CYCLE_1) | instskip(SKIP_2) | instid1(SALU_CYCLE_1)
	s_add_u32 s2, s10, s0
	s_addc_u32 s3, s11, s1
	s_lshl_b64 s[0:1], s[24:25], 1
	s_add_u32 s10, s2, s0
	s_addc_u32 s11, s3, s1
	s_ashr_i32 s0, s5, 31
	s_lshl_b32 s9, s14, 8
	s_lshr_b32 s0, s0, 26
	v_add_nc_u32_e32 v18, s9, v1
	s_add_i32 s0, s5, s0
	s_delay_alu instid0(SALU_CYCLE_1) | instskip(NEXT) | instid1(SALU_CYCLE_1)
	s_and_b32 s14, s0, 0xffffffc0
	v_cmpx_gt_i32_e64 s14, v19
	s_cbranch_execz .LBB552_28
; %bb.17:
	v_mul_lo_u32 v3, s18, v19
	v_dual_mov_b32 v15, 0 :: v_dual_add_nc_u32 v2, 64, v18
	v_add_nc_u32_e32 v6, 2, v19
	v_dual_mov_b32 v14, 0 :: v_dual_add_nc_u32 v5, 0xc0, v18
	s_delay_alu instid0(VALU_DEP_3)
	v_cmp_gt_i32_e64 s0, s4, v2
	v_dual_mov_b32 v17, 0 :: v_dual_add_nc_u32 v4, 0x80, v18
	v_add3_u32 v20, v3, s18, v1
	v_mad_u64_u32 v[2:3], null, s18, v6, v[1:2]
	v_cmp_gt_i32_e64 s2, s4, v5
	v_mul_lo_u32 v5, v13, s18
	v_dual_mov_b32 v16, 0 :: v_dual_add_nc_u32 v7, 3, v19
	s_waitcnt lgkmcnt(0)
	v_mul_lo_u32 v8, v13, s8
	v_cmp_gt_i32_e64 s1, s4, v4
	v_mul_lo_u32 v22, s8, v6
	v_mad_u64_u32 v[3:4], null, s18, v7, v[1:2]
	v_lshl_add_u32 v21, v5, 2, v1
	v_mad_u64_u32 v[4:5], null, s8, v19, s[8:9]
	v_mul_lo_u32 v23, s8, v7
	v_cmp_gt_i32_e32 vcc_lo, s4, v18
	v_lshlrev_b32_e32 v24, 2, v8
	s_lshl_b32 s21, s18, 6
	s_lshl_b32 s23, s8, 6
	s_mov_b32 s22, 0
	s_mov_b32 s24, 0
	s_branch .LBB552_22
.LBB552_18:                             ;   in Loop: Header=BB552_22 Depth=1
	s_or_b32 exec_lo, exec_lo, s27
	s_waitcnt vmcnt(2)
	v_lshlrev_b32_e32 v6, 16, v39
	v_lshlrev_b32_e32 v5, 16, v40
	s_waitcnt vmcnt(1)
	s_delay_alu instid0(VALU_DEP_1) | instskip(NEXT) | instid1(VALU_DEP_1)
	v_dual_fmac_f32 v16, v32, v5 :: v_dual_lshlrev_b32 v5, 16, v38
	v_fmac_f32_e32 v16, v30, v6
	s_delay_alu instid0(VALU_DEP_1) | instskip(SKIP_2) | instid1(VALU_DEP_1)
	v_fmac_f32_e32 v16, v28, v5
	s_waitcnt vmcnt(0)
	v_lshlrev_b32_e32 v5, 16, v37
	v_fmac_f32_e32 v16, v27, v5
.LBB552_19:                             ;   in Loop: Header=BB552_22 Depth=1
	s_or_b32 exec_lo, exec_lo, s26
	s_waitcnt vmcnt(3)
	v_lshlrev_b32_e32 v5, 16, v36
	s_waitcnt vmcnt(2)
	s_delay_alu instid0(VALU_DEP_1) | instskip(SKIP_2) | instid1(VALU_DEP_2)
	v_dual_fmac_f32 v15, v32, v5 :: v_dual_lshlrev_b32 v6, 16, v35
	s_waitcnt vmcnt(1)
	v_lshlrev_b32_e32 v5, 16, v34
	v_fmac_f32_e32 v15, v30, v6
	s_delay_alu instid0(VALU_DEP_1) | instskip(SKIP_2) | instid1(VALU_DEP_1)
	v_fmac_f32_e32 v15, v28, v5
	s_waitcnt vmcnt(0)
	v_lshlrev_b32_e32 v5, 16, v33
	v_fmac_f32_e32 v15, v27, v5
.LBB552_20:                             ;   in Loop: Header=BB552_22 Depth=1
	s_or_b32 exec_lo, exec_lo, s3
	s_waitcnt vmcnt(2)
	v_lshlrev_b32_e32 v6, 16, v29
	v_lshlrev_b32_e32 v5, 16, v31
	s_waitcnt vmcnt(1)
	s_delay_alu instid0(VALU_DEP_1) | instskip(NEXT) | instid1(VALU_DEP_1)
	v_dual_fmac_f32 v14, v32, v5 :: v_dual_lshlrev_b32 v5, 16, v26
	v_fmac_f32_e32 v14, v30, v6
	s_delay_alu instid0(VALU_DEP_1) | instskip(SKIP_2) | instid1(VALU_DEP_1)
	v_fmac_f32_e32 v14, v28, v5
	s_waitcnt vmcnt(0)
	v_lshlrev_b32_e32 v5, 16, v25
	v_fmac_f32_e32 v14, v27, v5
.LBB552_21:                             ;   in Loop: Header=BB552_22 Depth=1
	s_or_b32 exec_lo, exec_lo, s25
	v_add_nc_u32_e32 v19, 64, v19
	v_add_nc_u32_e32 v20, s21, v20
	;; [unrolled: 1-line block ×5, first 2 shown]
	v_cmp_le_i32_e64 s3, s14, v19
	s_add_i32 s24, s24, s23
	s_delay_alu instid0(VALU_DEP_1) | instskip(NEXT) | instid1(SALU_CYCLE_1)
	s_or_b32 s22, s3, s22
	s_and_not1_b32 exec_lo, exec_lo, s22
	s_cbranch_execz .LBB552_27
.LBB552_22:                             ; =>This Inner Loop Header: Depth=1
	s_and_saveexec_b32 s25, vcc_lo
	s_cbranch_execz .LBB552_21
; %bb.23:                               ;   in Loop: Header=BB552_22 Depth=1
	v_add_nc_u32_e32 v5, s24, v24
	v_add_nc_u32_e32 v7, s24, v4
	;; [unrolled: 1-line block ×5, first 2 shown]
	v_ashrrev_i32_e32 v6, 31, v5
	v_ashrrev_i32_e32 v8, 31, v7
	;; [unrolled: 1-line block ×4, first 2 shown]
	v_add_nc_u32_e32 v27, s9, v20
	v_lshlrev_b64 v[5:6], 1, v[5:6]
	v_lshlrev_b64 v[7:8], 1, v[7:8]
	;; [unrolled: 1-line block ×4, first 2 shown]
	v_ashrrev_i32_e32 v26, 31, v25
	v_ashrrev_i32_e32 v28, 31, v27
	v_add_co_u32 v5, s3, s10, v5
	s_delay_alu instid0(VALU_DEP_1) | instskip(SKIP_1) | instid1(VALU_DEP_1)
	v_add_co_ci_u32_e64 v6, s3, s11, v6, s3
	v_add_co_u32 v7, s3, s10, v7
	v_add_co_ci_u32_e64 v8, s3, s11, v8, s3
	v_add_co_u32 v9, s3, s10, v9
	s_delay_alu instid0(VALU_DEP_1)
	v_add_co_ci_u32_e64 v10, s3, s11, v10, s3
	v_add_co_u32 v11, s3, s10, v11
	v_add_nc_u32_e32 v29, s9, v2
	v_add_co_ci_u32_e64 v12, s3, s11, v12, s3
	v_lshlrev_b64 v[25:26], 1, v[25:26]
	s_clause 0x3
	global_load_u16 v32, v[5:6], off
	global_load_u16 v33, v[7:8], off
	global_load_u16 v34, v[9:10], off
	global_load_u16 v35, v[11:12], off
	v_add_nc_u32_e32 v11, s9, v3
	v_lshlrev_b64 v[5:6], 1, v[27:28]
	v_ashrrev_i32_e32 v30, 31, v29
	v_add_co_u32 v7, s3, s15, v25
	s_delay_alu instid0(VALU_DEP_4) | instskip(SKIP_1) | instid1(VALU_DEP_4)
	v_ashrrev_i32_e32 v12, 31, v11
	v_add_co_ci_u32_e64 v8, s3, s19, v26, s3
	v_lshlrev_b64 v[25:26], 1, v[29:30]
	v_add_co_u32 v9, s3, s15, v5
	s_delay_alu instid0(VALU_DEP_1) | instskip(SKIP_1) | instid1(VALU_DEP_4)
	v_add_co_ci_u32_e64 v10, s3, s19, v6, s3
	v_lshlrev_b64 v[5:6], 1, v[11:12]
	v_add_co_u32 v11, s3, s15, v25
	s_delay_alu instid0(VALU_DEP_1) | instskip(NEXT) | instid1(VALU_DEP_3)
	v_add_co_ci_u32_e64 v12, s3, s19, v26, s3
	v_add_co_u32 v5, s3, s15, v5
	s_delay_alu instid0(VALU_DEP_1)
	v_add_co_ci_u32_e64 v6, s3, s19, v6, s3
	s_clause 0x3
	global_load_u16 v31, v[7:8], off
	global_load_u16 v29, v[9:10], off
	global_load_u16 v26, v[11:12], off
	global_load_u16 v25, v[5:6], off
	s_waitcnt vmcnt(7)
	v_lshlrev_b32_e32 v32, 16, v32
	s_waitcnt vmcnt(6)
	v_lshlrev_b32_e32 v30, 16, v33
	;; [unrolled: 2-line block ×4, first 2 shown]
	s_and_saveexec_b32 s3, s0
	s_cbranch_execz .LBB552_20
; %bb.24:                               ;   in Loop: Header=BB552_22 Depth=1
	s_clause 0x3
	global_load_u16 v36, v[7:8], off offset:128
	global_load_u16 v35, v[9:10], off offset:128
	global_load_u16 v34, v[11:12], off offset:128
	global_load_u16 v33, v[5:6], off offset:128
	s_and_saveexec_b32 s26, s1
	s_cbranch_execz .LBB552_19
; %bb.25:                               ;   in Loop: Header=BB552_22 Depth=1
	s_clause 0x3
	global_load_u16 v40, v[7:8], off offset:256
	global_load_u16 v39, v[9:10], off offset:256
	global_load_u16 v38, v[11:12], off offset:256
	global_load_u16 v37, v[5:6], off offset:256
	;; [unrolled: 8-line block ×3, first 2 shown]
	s_waitcnt vmcnt(0)
	v_lshlrev_b32_e32 v5, 16, v5
	v_lshlrev_b32_e32 v6, 16, v7
	;; [unrolled: 1-line block ×3, first 2 shown]
	s_delay_alu instid0(VALU_DEP_2) | instskip(NEXT) | instid1(VALU_DEP_1)
	v_dual_fmac_f32 v17, v32, v6 :: v_dual_lshlrev_b32 v6, 16, v9
	v_fmac_f32_e32 v17, v30, v7
	s_delay_alu instid0(VALU_DEP_1) | instskip(NEXT) | instid1(VALU_DEP_1)
	v_fmac_f32_e32 v17, v28, v6
	v_fmac_f32_e32 v17, v27, v5
	s_branch .LBB552_18
.LBB552_27:
	s_or_b32 exec_lo, exec_lo, s22
.LBB552_28:
	s_delay_alu instid0(SALU_CYCLE_1) | instskip(SKIP_1) | instid1(SALU_CYCLE_1)
	s_or_b32 exec_lo, exec_lo, s20
	s_sub_i32 s0, s5, s14
	s_cmp_lt_i32 s0, 1
	s_cbranch_scc1 .LBB552_46
; %bb.29:
	v_cmp_gt_i32_e32 vcc_lo, s5, v19
	v_dual_mov_b32 v10, 0 :: v_dual_mov_b32 v11, 0
	v_or_b32_e32 v2, 1, v19
	v_mov_b32_e32 v12, 0
	v_mov_b32_e32 v20, 0
	s_and_saveexec_b32 s1, vcc_lo
	s_cbranch_execz .LBB552_37
; %bb.30:
	s_waitcnt lgkmcnt(0)
	v_mul_lo_u32 v3, v19, s8
	v_dual_mov_b32 v12, 0 :: v_dual_mov_b32 v11, 0
	v_mov_b32_e32 v10, 0
	s_mov_b32 s2, exec_lo
	s_delay_alu instid0(VALU_DEP_3) | instskip(NEXT) | instid1(VALU_DEP_1)
	v_ashrrev_i32_e32 v4, 31, v3
	v_lshlrev_b64 v[3:4], 1, v[3:4]
	s_delay_alu instid0(VALU_DEP_1) | instskip(NEXT) | instid1(VALU_DEP_1)
	v_add_co_u32 v3, s0, s10, v3
	v_add_co_ci_u32_e64 v4, s0, s11, v4, s0
	global_load_u16 v3, v[3:4], off
	v_cmpx_gt_i32_e64 s5, v2
	s_cbranch_execz .LBB552_36
; %bb.31:
	v_mul_lo_u32 v4, v2, s8
	v_dual_mov_b32 v11, 0 :: v_dual_mov_b32 v10, 0
	s_mov_b32 s3, exec_lo
	s_delay_alu instid0(VALU_DEP_2) | instskip(NEXT) | instid1(VALU_DEP_1)
	v_ashrrev_i32_e32 v5, 31, v4
	v_lshlrev_b64 v[4:5], 1, v[4:5]
	s_delay_alu instid0(VALU_DEP_1) | instskip(NEXT) | instid1(VALU_DEP_1)
	v_add_co_u32 v4, s0, s10, v4
	v_add_co_ci_u32_e64 v5, s0, s11, v5, s0
	global_load_u16 v4, v[4:5], off
	v_or_b32_e32 v5, 2, v19
	s_delay_alu instid0(VALU_DEP_1)
	v_cmpx_gt_i32_e64 s5, v5
	s_cbranch_execz .LBB552_35
; %bb.32:
	v_mul_lo_u32 v5, v5, s8
	v_mov_b32_e32 v10, 0
	s_mov_b32 s14, exec_lo
	s_delay_alu instid0(VALU_DEP_2) | instskip(NEXT) | instid1(VALU_DEP_1)
	v_ashrrev_i32_e32 v6, 31, v5
	v_lshlrev_b64 v[5:6], 1, v[5:6]
	s_delay_alu instid0(VALU_DEP_1) | instskip(NEXT) | instid1(VALU_DEP_1)
	v_add_co_u32 v5, s0, s10, v5
	v_add_co_ci_u32_e64 v6, s0, s11, v6, s0
	global_load_u16 v5, v[5:6], off
	v_or_b32_e32 v6, 3, v19
	s_delay_alu instid0(VALU_DEP_1)
	v_cmpx_gt_i32_e64 s5, v6
	s_cbranch_execz .LBB552_34
; %bb.33:
	v_mul_lo_u32 v6, v6, s8
	s_delay_alu instid0(VALU_DEP_1) | instskip(NEXT) | instid1(VALU_DEP_1)
	v_ashrrev_i32_e32 v7, 31, v6
	v_lshlrev_b64 v[6:7], 1, v[6:7]
	s_delay_alu instid0(VALU_DEP_1) | instskip(NEXT) | instid1(VALU_DEP_1)
	v_add_co_u32 v6, s0, s10, v6
	v_add_co_ci_u32_e64 v7, s0, s11, v7, s0
	global_load_u16 v6, v[6:7], off
	s_waitcnt vmcnt(0)
	v_lshlrev_b32_e32 v10, 16, v6
.LBB552_34:
	s_or_b32 exec_lo, exec_lo, s14
	s_waitcnt vmcnt(0)
	v_lshlrev_b32_e32 v11, 16, v5
.LBB552_35:
	s_or_b32 exec_lo, exec_lo, s3
	s_waitcnt vmcnt(0)
	v_lshlrev_b32_e32 v12, 16, v4
.LBB552_36:
	s_or_b32 exec_lo, exec_lo, s2
	s_waitcnt vmcnt(0)
	v_lshlrev_b32_e32 v20, 16, v3
.LBB552_37:
	s_or_b32 exec_lo, exec_lo, s1
	s_delay_alu instid0(SALU_CYCLE_1)
	s_mov_b32 s1, exec_lo
	v_cmpx_gt_i32_e64 s4, v18
	s_cbranch_execz .LBB552_45
; %bb.38:
	v_mul_lo_u32 v3, v19, s18
	v_mul_lo_u32 v4, v2, s18
	v_or_b32_e32 v5, 2, v19
	v_or_b32_e32 v6, 3, v19
	s_mov_b32 s0, exec_lo
	s_delay_alu instid0(VALU_DEP_2)
	v_mul_lo_u32 v7, v5, s18
	v_cndmask_b32_e32 v3, 0, v3, vcc_lo
	v_cmp_gt_i32_e32 vcc_lo, s5, v2
	v_mul_lo_u32 v8, v6, s18
	v_cndmask_b32_e32 v4, 0, v4, vcc_lo
	v_cmp_gt_i32_e32 vcc_lo, s5, v5
	v_add_nc_u32_e32 v2, v3, v18
	s_delay_alu instid0(VALU_DEP_3) | instskip(NEXT) | instid1(VALU_DEP_2)
	v_dual_cndmask_b32 v7, 0, v7 :: v_dual_add_nc_u32 v4, v4, v18
	v_ashrrev_i32_e32 v3, 31, v2
	v_cmp_gt_i32_e32 vcc_lo, s5, v6
	s_delay_alu instid0(VALU_DEP_3) | instskip(NEXT) | instid1(VALU_DEP_4)
	v_ashrrev_i32_e32 v5, 31, v4
	v_add_nc_u32_e32 v6, v7, v18
	s_delay_alu instid0(VALU_DEP_4) | instskip(SKIP_1) | instid1(VALU_DEP_4)
	v_lshlrev_b64 v[2:3], 1, v[2:3]
	v_cndmask_b32_e32 v8, 0, v8, vcc_lo
	v_lshlrev_b64 v[21:22], 1, v[4:5]
	s_delay_alu instid0(VALU_DEP_4) | instskip(NEXT) | instid1(VALU_DEP_4)
	v_ashrrev_i32_e32 v7, 31, v6
	v_add_co_u32 v4, vcc_lo, s15, v2
	v_add_co_ci_u32_e32 v5, vcc_lo, s19, v3, vcc_lo
	s_delay_alu instid0(VALU_DEP_4)
	v_add_co_u32 v2, vcc_lo, s15, v21
	v_add_co_ci_u32_e32 v3, vcc_lo, s19, v22, vcc_lo
	s_clause 0x1
	global_load_u16 v19, v[4:5], off
	global_load_u16 v23, v[2:3], off
	v_lshlrev_b64 v[6:7], 1, v[6:7]
	s_waitcnt vmcnt(1)
	v_lshlrev_b32_e32 v19, 16, v19
	v_add_nc_u32_e32 v8, v8, v18
	s_delay_alu instid0(VALU_DEP_1) | instskip(NEXT) | instid1(VALU_DEP_1)
	v_ashrrev_i32_e32 v9, 31, v8
	v_lshlrev_b64 v[21:22], 1, v[8:9]
	v_add_co_u32 v8, vcc_lo, s15, v6
	v_add_co_ci_u32_e32 v9, vcc_lo, s19, v7, vcc_lo
	s_delay_alu instid0(VALU_DEP_3) | instskip(NEXT) | instid1(VALU_DEP_4)
	v_add_co_u32 v6, vcc_lo, s15, v21
	v_add_co_ci_u32_e32 v7, vcc_lo, s19, v22, vcc_lo
	s_clause 0x1
	global_load_u16 v21, v[8:9], off
	global_load_u16 v22, v[6:7], off
	s_waitcnt vmcnt(1)
	v_dual_fmac_f32 v14, v20, v19 :: v_dual_lshlrev_b32 v21, 16, v21
	v_lshlrev_b32_e32 v23, 16, v23
	s_waitcnt vmcnt(0)
	s_delay_alu instid0(VALU_DEP_1) | instskip(NEXT) | instid1(VALU_DEP_1)
	v_dual_fmac_f32 v14, v12, v23 :: v_dual_lshlrev_b32 v19, 16, v22
	v_dual_fmac_f32 v14, v11, v21 :: v_dual_add_nc_u32 v23, 64, v18
	s_delay_alu instid0(VALU_DEP_1)
	v_cmpx_gt_i32_e64 s4, v23
	s_cbranch_execz .LBB552_44
; %bb.39:
	s_clause 0x3
	global_load_u16 v21, v[4:5], off offset:128
	global_load_u16 v22, v[2:3], off offset:128
	global_load_u16 v23, v[8:9], off offset:128
	global_load_u16 v24, v[6:7], off offset:128
	s_mov_b32 s2, exec_lo
	s_waitcnt vmcnt(3)
	v_lshlrev_b32_e32 v21, 16, v21
	s_waitcnt vmcnt(2)
	v_lshlrev_b32_e32 v22, 16, v22
	;; [unrolled: 2-line block ×3, first 2 shown]
	v_fmac_f32_e32 v15, v20, v21
	s_waitcnt vmcnt(0)
	v_lshlrev_b32_e32 v21, 16, v24
	s_delay_alu instid0(VALU_DEP_2) | instskip(NEXT) | instid1(VALU_DEP_1)
	v_fmac_f32_e32 v15, v12, v22
	v_dual_fmac_f32 v15, v11, v23 :: v_dual_add_nc_u32 v22, 0x80, v18
	s_delay_alu instid0(VALU_DEP_1)
	v_cmpx_gt_i32_e64 s4, v22
	s_cbranch_execz .LBB552_43
; %bb.40:
	s_clause 0x3
	global_load_u16 v22, v[4:5], off offset:256
	global_load_u16 v23, v[2:3], off offset:256
	;; [unrolled: 1-line block ×4, first 2 shown]
	s_mov_b32 s3, exec_lo
	s_waitcnt vmcnt(3)
	v_lshlrev_b32_e32 v22, 16, v22
	s_waitcnt vmcnt(2)
	s_delay_alu instid0(VALU_DEP_1) | instskip(SKIP_2) | instid1(VALU_DEP_2)
	v_dual_fmac_f32 v16, v20, v22 :: v_dual_lshlrev_b32 v23, 16, v23
	s_waitcnt vmcnt(1)
	v_lshlrev_b32_e32 v22, 16, v24
	v_dual_fmac_f32 v16, v12, v23 :: v_dual_add_nc_u32 v23, 0xc0, v18
	s_waitcnt vmcnt(0)
	v_lshlrev_b32_e32 v18, 16, v25
	s_delay_alu instid0(VALU_DEP_2) | instskip(NEXT) | instid1(VALU_DEP_3)
	v_fmac_f32_e32 v16, v11, v22
	v_cmpx_gt_i32_e64 s4, v23
	s_cbranch_execz .LBB552_42
; %bb.41:
	s_clause 0x3
	global_load_u16 v4, v[4:5], off offset:384
	global_load_u16 v2, v[2:3], off offset:384
	;; [unrolled: 1-line block ×4, first 2 shown]
	s_waitcnt vmcnt(2)
	v_lshlrev_b32_e32 v2, 16, v2
	v_lshlrev_b32_e32 v4, 16, v4
	s_waitcnt vmcnt(1)
	v_lshlrev_b32_e32 v3, 16, v3
	s_delay_alu instid0(VALU_DEP_2) | instskip(SKIP_1) | instid1(VALU_DEP_1)
	v_fmac_f32_e32 v17, v20, v4
	s_waitcnt vmcnt(0)
	v_dual_fmac_f32 v17, v12, v2 :: v_dual_lshlrev_b32 v2, 16, v5
	s_delay_alu instid0(VALU_DEP_1) | instskip(NEXT) | instid1(VALU_DEP_1)
	v_fmac_f32_e32 v17, v11, v3
	v_fmac_f32_e32 v17, v10, v2
.LBB552_42:
	s_or_b32 exec_lo, exec_lo, s3
	s_delay_alu instid0(VALU_DEP_2)
	v_fmac_f32_e32 v16, v10, v18
.LBB552_43:
	s_or_b32 exec_lo, exec_lo, s2
	s_delay_alu instid0(VALU_DEP_2)
	v_fmac_f32_e32 v15, v10, v21
.LBB552_44:
	s_or_b32 exec_lo, exec_lo, s0
	s_delay_alu instid0(VALU_DEP_2)
	v_fmac_f32_e32 v14, v10, v19
.LBB552_45:
	s_or_b32 exec_lo, exec_lo, s1
.LBB552_46:
	v_lshlrev_b32_e32 v2, 8, v13
	s_mov_b32 s0, exec_lo
                                        ; implicit-def: $vgpr5
	s_delay_alu instid0(VALU_DEP_1)
	v_add_lshl_u32 v1, v2, v1, 2
                                        ; implicit-def: $vgpr2_vgpr3
	ds_store_2addr_stride64_b32 v1, v14, v15 offset1:1
	ds_store_2addr_stride64_b32 v1, v16, v17 offset0:2 offset1:3
	s_waitcnt lgkmcnt(0)
	s_barrier
	buffer_gl0_inv
	v_cmpx_gt_u32_e32 0x100, v0
	s_cbranch_execz .LBB552_67
; %bb.47:
	v_lshlrev_b32_e32 v7, 2, v0
	s_mov_b32 s2, s13
	s_mov_b32 s1, exec_lo
	ds_load_2addr_stride64_b32 v[1:2], v7 offset1:4
	ds_load_2addr_stride64_b32 v[3:4], v7 offset0:8 offset1:12
	ds_load_2addr_stride64_b32 v[5:6], v7 offset0:16 offset1:20
	s_waitcnt lgkmcnt(2)
	v_add_f32_e32 v8, v1, v2
	ds_load_2addr_stride64_b32 v[1:2], v7 offset0:24 offset1:28
	s_waitcnt lgkmcnt(2)
	v_add_f32_e32 v3, v3, v8
	s_delay_alu instid0(VALU_DEP_1) | instskip(SKIP_3) | instid1(VALU_DEP_1)
	v_add_f32_e32 v8, v4, v3
	ds_load_2addr_stride64_b32 v[3:4], v7 offset0:32 offset1:36
	s_waitcnt lgkmcnt(2)
	v_add_f32_e32 v5, v5, v8
	v_add_f32_e32 v8, v6, v5
	ds_load_2addr_stride64_b32 v[5:6], v7 offset0:40 offset1:44
	s_waitcnt lgkmcnt(2)
	v_add_f32_e32 v1, v1, v8
	s_delay_alu instid0(VALU_DEP_1) | instskip(SKIP_1) | instid1(VALU_DEP_1)
	v_add_f32_e32 v1, v2, v1
	s_waitcnt lgkmcnt(1)
	v_add_f32_e32 v3, v3, v1
	ds_load_2addr_stride64_b32 v[1:2], v7 offset0:48 offset1:52
	v_add_f32_e32 v3, v4, v3
	s_waitcnt lgkmcnt(1)
	s_delay_alu instid0(VALU_DEP_1) | instskip(SKIP_3) | instid1(VALU_DEP_1)
	v_add_f32_e32 v3, v5, v3
	ds_load_2addr_stride64_b32 v[4:5], v7 offset0:56 offset1:60
	v_add_f32_e32 v3, v6, v3
	s_waitcnt lgkmcnt(1)
	v_add_f32_e32 v1, v1, v3
	s_delay_alu instid0(VALU_DEP_1) | instskip(SKIP_1) | instid1(VALU_DEP_1)
	v_add_f32_e32 v1, v2, v1
                                        ; implicit-def: $vgpr2_vgpr3
	s_waitcnt lgkmcnt(0)
	v_add_f32_e32 v1, v4, v1
	v_or_b32_e32 v4, s9, v0
	s_delay_alu instid0(VALU_DEP_2)
	v_add_f32_e32 v0, v5, v1
                                        ; implicit-def: $vgpr5
	ds_store_b32 v7, v0
	v_cmpx_gt_i32_e64 s4, v4
	s_cbranch_execz .LBB552_66
; %bb.48:
	v_cmp_eq_f32_e64 s2, s16, 0
	v_mul_f32_e32 v0, s6, v0
	s_delay_alu instid0(VALU_DEP_2)
	s_and_b32 vcc_lo, exec_lo, s2
	s_cbranch_vccz .LBB552_54
; %bb.49:
	s_delay_alu instid0(VALU_DEP_1) | instskip(NEXT) | instid1(VALU_DEP_1)
	v_and_b32_e32 v1, 0x7f800000, v0
	v_cmp_ne_u32_e32 vcc_lo, 0x7f800000, v1
                                        ; implicit-def: $vgpr1
	s_and_saveexec_b32 s2, vcc_lo
	s_delay_alu instid0(SALU_CYCLE_1)
	s_xor_b32 s2, exec_lo, s2
; %bb.50:
	v_bfe_u32 v1, v0, 16, 1
	s_delay_alu instid0(VALU_DEP_1)
	v_add3_u32 v1, v0, v1, 0x7fff
; %bb.51:
	s_and_not1_saveexec_b32 s2, s2
; %bb.52:
	v_and_b32_e32 v1, 0xffff, v0
	v_or_b32_e32 v2, 0x10000, v0
	s_delay_alu instid0(VALU_DEP_2) | instskip(NEXT) | instid1(VALU_DEP_2)
	v_cmp_eq_u32_e32 vcc_lo, 0, v1
	v_cndmask_b32_e32 v1, v2, v0, vcc_lo
; %bb.53:
	s_or_b32 exec_lo, exec_lo, s2
	s_mov_b32 s2, 0
	s_branch .LBB552_55
.LBB552_54:
	s_mov_b32 s2, -1
                                        ; implicit-def: $vgpr1
.LBB552_55:
	v_mul_lo_u32 v2, v4, s17
	s_and_not1_b32 vcc_lo, exec_lo, s2
	s_delay_alu instid0(VALU_DEP_1)
	v_ashrrev_i32_e32 v3, 31, v2
	s_cbranch_vccnz .LBB552_65
; %bb.56:
	s_delay_alu instid0(VALU_DEP_1) | instskip(NEXT) | instid1(VALU_DEP_1)
	v_lshlrev_b64 v[4:5], 1, v[2:3]
	v_add_co_u32 v4, vcc_lo, s7, v4
	s_delay_alu instid0(VALU_DEP_2) | instskip(SKIP_3) | instid1(VALU_DEP_1)
	v_add_co_ci_u32_e32 v5, vcc_lo, s12, v5, vcc_lo
	global_load_u16 v1, v[4:5], off
	s_waitcnt vmcnt(0)
	v_lshlrev_b32_e32 v1, 16, v1
	v_mul_f32_e32 v1, s16, v1
	s_delay_alu instid0(VALU_DEP_1) | instskip(NEXT) | instid1(VALU_DEP_1)
	v_and_b32_e32 v4, 0x7f800000, v1
	v_cmp_ne_u32_e32 vcc_lo, 0x7f800000, v4
                                        ; implicit-def: $vgpr4
	s_and_saveexec_b32 s2, vcc_lo
	s_delay_alu instid0(SALU_CYCLE_1)
	s_xor_b32 s2, exec_lo, s2
; %bb.57:
	v_bfe_u32 v4, v1, 16, 1
	s_delay_alu instid0(VALU_DEP_1)
	v_add3_u32 v4, v1, v4, 0x7fff
                                        ; implicit-def: $vgpr1
; %bb.58:
	s_and_not1_saveexec_b32 s2, s2
; %bb.59:
	v_and_b32_e32 v4, 0xffff, v1
	v_or_b32_e32 v5, 0x10000, v1
	s_delay_alu instid0(VALU_DEP_2) | instskip(NEXT) | instid1(VALU_DEP_2)
	v_cmp_eq_u32_e32 vcc_lo, 0, v4
	v_cndmask_b32_e32 v4, v5, v1, vcc_lo
; %bb.60:
	s_or_b32 exec_lo, exec_lo, s2
	s_delay_alu instid0(VALU_DEP_1) | instskip(NEXT) | instid1(VALU_DEP_1)
	v_and_b32_e32 v1, 0xffff0000, v4
	v_add_f32_e32 v0, v0, v1
	s_delay_alu instid0(VALU_DEP_1) | instskip(NEXT) | instid1(VALU_DEP_1)
	v_and_b32_e32 v1, 0x7f800000, v0
	v_cmp_ne_u32_e32 vcc_lo, 0x7f800000, v1
                                        ; implicit-def: $vgpr1
	s_and_saveexec_b32 s2, vcc_lo
	s_delay_alu instid0(SALU_CYCLE_1)
	s_xor_b32 s2, exec_lo, s2
; %bb.61:
	v_bfe_u32 v1, v0, 16, 1
	s_delay_alu instid0(VALU_DEP_1)
	v_add3_u32 v1, v0, v1, 0x7fff
                                        ; implicit-def: $vgpr0
; %bb.62:
	s_and_not1_saveexec_b32 s2, s2
; %bb.63:
	v_and_b32_e32 v1, 0xffff, v0
	v_or_b32_e32 v4, 0x10000, v0
	s_delay_alu instid0(VALU_DEP_2) | instskip(NEXT) | instid1(VALU_DEP_2)
	v_cmp_eq_u32_e32 vcc_lo, 0, v1
	v_cndmask_b32_e32 v1, v4, v0, vcc_lo
; %bb.64:
	s_or_b32 exec_lo, exec_lo, s2
.LBB552_65:
	s_delay_alu instid0(VALU_DEP_1)
	v_lshrrev_b32_e32 v5, 16, v1
	s_or_b32 s2, s13, exec_lo
.LBB552_66:
	s_or_b32 exec_lo, exec_lo, s1
	s_delay_alu instid0(SALU_CYCLE_1) | instskip(SKIP_1) | instid1(SALU_CYCLE_1)
	s_and_not1_b32 s1, s13, exec_lo
	s_and_b32 s2, s2, exec_lo
	s_or_b32 s13, s1, s2
.LBB552_67:
	s_or_b32 exec_lo, exec_lo, s0
.LBB552_68:
	s_and_saveexec_b32 s0, s13
	s_cbranch_execz .LBB552_70
; %bb.69:
	v_lshlrev_b64 v[0:1], 1, v[2:3]
	s_delay_alu instid0(VALU_DEP_1) | instskip(NEXT) | instid1(VALU_DEP_2)
	v_add_co_u32 v0, vcc_lo, s7, v0
	v_add_co_ci_u32_e32 v1, vcc_lo, s12, v1, vcc_lo
	global_store_b16 v[0:1], v5, off
.LBB552_70:
	s_nop 0
	s_sendmsg sendmsg(MSG_DEALLOC_VGPRS)
	s_endpgm
	.section	.rodata,"a",@progbits
	.p2align	6, 0x0
	.amdhsa_kernel _ZL20rocblas_gemvn_kernelILi64ELi16Ei16rocblas_bfloat16fS0_EviiT3_lPKT2_lT1_lS4_lS5_lS1_lPT4_lS5_li
		.amdhsa_group_segment_fixed_size 16384
		.amdhsa_private_segment_fixed_size 0
		.amdhsa_kernarg_size 400
		.amdhsa_user_sgpr_count 14
		.amdhsa_user_sgpr_dispatch_ptr 0
		.amdhsa_user_sgpr_queue_ptr 0
		.amdhsa_user_sgpr_kernarg_segment_ptr 1
		.amdhsa_user_sgpr_dispatch_id 0
		.amdhsa_user_sgpr_private_segment_size 0
		.amdhsa_wavefront_size32 1
		.amdhsa_uses_dynamic_stack 0
		.amdhsa_enable_private_segment 0
		.amdhsa_system_sgpr_workgroup_id_x 1
		.amdhsa_system_sgpr_workgroup_id_y 0
		.amdhsa_system_sgpr_workgroup_id_z 1
		.amdhsa_system_sgpr_workgroup_info 0
		.amdhsa_system_vgpr_workitem_id 1
		.amdhsa_next_free_vgpr 41
		.amdhsa_next_free_sgpr 28
		.amdhsa_reserve_vcc 1
		.amdhsa_float_round_mode_32 0
		.amdhsa_float_round_mode_16_64 0
		.amdhsa_float_denorm_mode_32 3
		.amdhsa_float_denorm_mode_16_64 3
		.amdhsa_dx10_clamp 1
		.amdhsa_ieee_mode 1
		.amdhsa_fp16_overflow 0
		.amdhsa_workgroup_processor_mode 1
		.amdhsa_memory_ordered 1
		.amdhsa_forward_progress 0
		.amdhsa_shared_vgpr_count 0
		.amdhsa_exception_fp_ieee_invalid_op 0
		.amdhsa_exception_fp_denorm_src 0
		.amdhsa_exception_fp_ieee_div_zero 0
		.amdhsa_exception_fp_ieee_overflow 0
		.amdhsa_exception_fp_ieee_underflow 0
		.amdhsa_exception_fp_ieee_inexact 0
		.amdhsa_exception_int_div_zero 0
	.end_amdhsa_kernel
	.section	.text._ZL20rocblas_gemvn_kernelILi64ELi16Ei16rocblas_bfloat16fS0_EviiT3_lPKT2_lT1_lS4_lS5_lS1_lPT4_lS5_li,"axG",@progbits,_ZL20rocblas_gemvn_kernelILi64ELi16Ei16rocblas_bfloat16fS0_EviiT3_lPKT2_lT1_lS4_lS5_lS1_lPT4_lS5_li,comdat
.Lfunc_end552:
	.size	_ZL20rocblas_gemvn_kernelILi64ELi16Ei16rocblas_bfloat16fS0_EviiT3_lPKT2_lT1_lS4_lS5_lS1_lPT4_lS5_li, .Lfunc_end552-_ZL20rocblas_gemvn_kernelILi64ELi16Ei16rocblas_bfloat16fS0_EviiT3_lPKT2_lT1_lS4_lS5_lS1_lPT4_lS5_li
                                        ; -- End function
	.section	.AMDGPU.csdata,"",@progbits
; Kernel info:
; codeLenInByte = 3608
; NumSgprs: 30
; NumVgprs: 41
; ScratchSize: 0
; MemoryBound: 0
; FloatMode: 240
; IeeeMode: 1
; LDSByteSize: 16384 bytes/workgroup (compile time only)
; SGPRBlocks: 3
; VGPRBlocks: 5
; NumSGPRsForWavesPerEU: 30
; NumVGPRsForWavesPerEU: 41
; Occupancy: 16
; WaveLimiterHint : 1
; COMPUTE_PGM_RSRC2:SCRATCH_EN: 0
; COMPUTE_PGM_RSRC2:USER_SGPR: 14
; COMPUTE_PGM_RSRC2:TRAP_HANDLER: 0
; COMPUTE_PGM_RSRC2:TGID_X_EN: 1
; COMPUTE_PGM_RSRC2:TGID_Y_EN: 0
; COMPUTE_PGM_RSRC2:TGID_Z_EN: 1
; COMPUTE_PGM_RSRC2:TIDIG_COMP_CNT: 1
	.section	.text._ZL20rocblas_gemvn_kernelILi64ELi16El16rocblas_bfloat16fS0_EviiT3_lPKT2_lT1_lS4_lS5_lS1_lPT4_lS5_li,"axG",@progbits,_ZL20rocblas_gemvn_kernelILi64ELi16El16rocblas_bfloat16fS0_EviiT3_lPKT2_lT1_lS4_lS5_lS1_lPT4_lS5_li,comdat
	.globl	_ZL20rocblas_gemvn_kernelILi64ELi16El16rocblas_bfloat16fS0_EviiT3_lPKT2_lT1_lS4_lS5_lS1_lPT4_lS5_li ; -- Begin function _ZL20rocblas_gemvn_kernelILi64ELi16El16rocblas_bfloat16fS0_EviiT3_lPKT2_lT1_lS4_lS5_lS1_lPT4_lS5_li
	.p2align	8
	.type	_ZL20rocblas_gemvn_kernelILi64ELi16El16rocblas_bfloat16fS0_EviiT3_lPKT2_lT1_lS4_lS5_lS1_lPT4_lS5_li,@function
_ZL20rocblas_gemvn_kernelILi64ELi16El16rocblas_bfloat16fS0_EviiT3_lPKT2_lT1_lS4_lS5_lS1_lPT4_lS5_li: ; @_ZL20rocblas_gemvn_kernelILi64ELi16El16rocblas_bfloat16fS0_EviiT3_lPKT2_lT1_lS4_lS5_lS1_lPT4_lS5_li
; %bb.0:
	s_load_b64 s[2:3], s[0:1], 0x9c
	s_waitcnt lgkmcnt(0)
	s_lshr_b32 s4, s2, 16
	s_and_b32 s2, s2, 0xffff
	s_and_b32 s3, s3, 0xffff
	s_mul_i32 s2, s4, s2
	s_delay_alu instid0(SALU_CYCLE_1) | instskip(NEXT) | instid1(SALU_CYCLE_1)
	s_mul_i32 s2, s2, s3
	s_cmpk_lg_i32 s2, 0x400
	s_cbranch_scc1 .LBB553_70
; %bb.1:
	s_clause 0x1
	s_load_b128 s[36:39], s[0:1], 0x0
	s_load_b32 s35, s[0:1], 0x58
	s_mov_b32 s34, 0
	s_waitcnt lgkmcnt(0)
	v_cmp_eq_f32_e64 s2, s38, 0
	v_cmp_eq_f32_e64 s3, s35, 1.0
	s_delay_alu instid0(VALU_DEP_1) | instskip(NEXT) | instid1(SALU_CYCLE_1)
	s_and_b32 s2, s2, s3
	s_and_b32 vcc_lo, exec_lo, s2
	s_cbranch_vccnz .LBB553_70
; %bb.2:
	s_load_b256 s[4:11], s[0:1], 0x68
	v_and_b32_e32 v12, 0x3ff, v0
	v_bfe_u32 v13, v0, 10, 10
	s_delay_alu instid0(VALU_DEP_1)
	v_lshl_add_u32 v11, v13, 6, v12
	s_waitcnt lgkmcnt(0)
	s_mul_i32 s3, s15, s11
	s_mul_hi_u32 s11, s15, s10
	s_mul_i32 s2, s15, s10
	s_add_i32 s3, s11, s3
	v_cmp_neq_f32_e64 s10, s38, 0
	s_lshl_b64 s[2:3], s[2:3], 1
	s_delay_alu instid0(SALU_CYCLE_1) | instskip(SKIP_2) | instid1(SALU_CYCLE_1)
	s_add_u32 s4, s4, s2
	s_addc_u32 s11, s5, s3
	s_lshl_b64 s[2:3], s[6:7], 1
	s_add_u32 s5, s4, s2
	v_cmp_gt_u32_e64 s2, 0x100, v11
	s_addc_u32 s33, s11, s3
	s_and_b32 vcc_lo, exec_lo, s10
	s_cbranch_vccnz .LBB553_11
; %bb.3:
	s_mov_b32 s3, 0
                                        ; implicit-def: $vgpr3
                                        ; implicit-def: $vgpr0_vgpr1
	s_and_saveexec_b32 s4, s2
	s_cbranch_execz .LBB553_12
; %bb.4:
	v_lshl_or_b32 v2, s14, 8, v11
	v_mov_b32_e32 v3, 0
	s_ashr_i32 s7, s36, 31
	s_mov_b32 s6, s36
                                        ; implicit-def: $vgpr0_vgpr1
	s_delay_alu instid0(VALU_DEP_1) | instid1(SALU_CYCLE_1)
	v_cmp_gt_i64_e32 vcc_lo, s[6:7], v[2:3]
	s_mov_b32 s6, 0
                                        ; implicit-def: $vgpr3
	s_and_saveexec_b32 s2, vcc_lo
	s_cbranch_execz .LBB553_15
; %bb.5:
	v_mad_u64_u32 v[0:1], null, v2, s8, 0
	v_cmp_eq_f32_e64 s6, s35, 0
	s_delay_alu instid0(VALU_DEP_1) | instskip(NEXT) | instid1(VALU_DEP_2)
	s_and_b32 vcc_lo, exec_lo, s6
	v_mad_u64_u32 v[3:4], null, v2, s9, v[1:2]
	s_delay_alu instid0(VALU_DEP_1)
	v_mov_b32_e32 v1, v3
	s_cbranch_vccnz .LBB553_13
; %bb.6:
	s_delay_alu instid0(VALU_DEP_1) | instskip(NEXT) | instid1(VALU_DEP_1)
	v_lshlrev_b64 v[2:3], 1, v[0:1]
	v_add_co_u32 v2, vcc_lo, s5, v2
	s_delay_alu instid0(VALU_DEP_2) | instskip(SKIP_3) | instid1(VALU_DEP_1)
	v_add_co_ci_u32_e32 v3, vcc_lo, s33, v3, vcc_lo
	global_load_u16 v2, v[2:3], off
	s_waitcnt vmcnt(0)
	v_lshlrev_b32_e32 v2, 16, v2
	v_mul_f32_e32 v2, s35, v2
	s_delay_alu instid0(VALU_DEP_1) | instskip(NEXT) | instid1(VALU_DEP_1)
	v_and_b32_e32 v3, 0x7f800000, v2
	v_cmp_ne_u32_e32 vcc_lo, 0x7f800000, v3
                                        ; implicit-def: $vgpr3
	s_and_saveexec_b32 s6, vcc_lo
	s_delay_alu instid0(SALU_CYCLE_1)
	s_xor_b32 s6, exec_lo, s6
; %bb.7:
	v_bfe_u32 v3, v2, 16, 1
	s_delay_alu instid0(VALU_DEP_1)
	v_add3_u32 v3, v2, v3, 0x7fff
                                        ; implicit-def: $vgpr2
; %bb.8:
	s_and_not1_saveexec_b32 s6, s6
; %bb.9:
	v_and_b32_e32 v3, 0xffff, v2
	v_or_b32_e32 v4, 0x10000, v2
	s_delay_alu instid0(VALU_DEP_2) | instskip(NEXT) | instid1(VALU_DEP_2)
	v_cmp_eq_u32_e32 vcc_lo, 0, v3
	v_cndmask_b32_e32 v3, v4, v2, vcc_lo
; %bb.10:
	s_or_b32 exec_lo, exec_lo, s6
	s_delay_alu instid0(VALU_DEP_1)
	v_lshrrev_b32_e32 v3, 16, v3
	s_branch .LBB553_14
.LBB553_11:
                                        ; implicit-def: $vgpr3
                                        ; implicit-def: $vgpr0_vgpr1
	s_cbranch_execnz .LBB553_16
	s_branch .LBB553_68
.LBB553_12:
	s_or_b32 exec_lo, exec_lo, s4
	s_delay_alu instid0(SALU_CYCLE_1)
	s_and_b32 vcc_lo, exec_lo, s3
	s_cbranch_vccnz .LBB553_16
	s_branch .LBB553_68
.LBB553_13:
	v_mov_b32_e32 v3, 0
.LBB553_14:
	s_mov_b32 s6, exec_lo
.LBB553_15:
	s_or_b32 exec_lo, exec_lo, s2
	s_delay_alu instid0(SALU_CYCLE_1) | instskip(SKIP_1) | instid1(SALU_CYCLE_1)
	s_and_b32 s34, s6, exec_lo
	s_or_b32 exec_lo, exec_lo, s4
	s_and_b32 vcc_lo, exec_lo, s3
	s_cbranch_vccz .LBB553_68
.LBB553_16:
	s_load_b512 s[16:31], s[0:1], 0x18
	s_ashr_i32 s0, s37, 31
	s_lshl_b32 s39, s14, 8
	s_lshr_b32 s0, s0, 26
	v_dual_mov_b32 v15, 0 :: v_dual_lshlrev_b32 v18, 2, v13
	v_dual_mov_b32 v14, 0 :: v_dual_mov_b32 v17, 0
	v_mov_b32_e32 v16, 0
	v_add_nc_u32_e32 v0, s39, v12
	s_add_i32 s40, s37, s0
	s_delay_alu instid0(SALU_CYCLE_1)
	s_and_not1_b32 s40, s40, 63
	s_waitcnt lgkmcnt(0)
	s_mul_i32 s0, s15, s23
	s_mul_hi_u32 s1, s15, s22
	s_mul_i32 s2, s15, s31
	s_mul_hi_u32 s3, s15, s30
	s_mul_i32 s6, s15, s22
	s_add_i32 s7, s1, s0
	s_add_i32 s11, s3, s2
	s_mul_i32 s10, s15, s30
	s_mov_b32 s30, exec_lo
	v_cmpx_gt_i32_e64 s40, v18
	s_cbranch_execz .LBB553_28
; %bb.17:
	v_lshlrev_b32_e32 v29, 2, v13
	v_mad_u64_u32 v[2:3], null, s28, v13, 0
	v_add_nc_u32_e32 v15, 0x80, v0
	s_lshl_b64 s[0:1], s[10:11], 1
	s_delay_alu instid0(VALU_DEP_3)
	v_or_b32_e32 v16, 3, v29
	s_lshl_b64 s[12:13], s[26:27], 1
	s_add_u32 s4, s24, s0
	s_addc_u32 s31, s25, s1
	v_cmp_gt_i32_e64 s1, s36, v15
	v_mad_u64_u32 v[4:5], null, s20, v16, 0
	s_lshl_b64 s[22:23], s[18:19], 1
	s_lshl_b64 s[14:15], s[28:29], 7
	;; [unrolled: 1-line block ×3, first 2 shown]
	v_ashrrev_i32_e32 v1, 31, v0
	v_cmp_gt_i32_e32 vcc_lo, s36, v0
	s_delay_alu instid0(VALU_DEP_3) | instskip(SKIP_2) | instid1(VALU_DEP_3)
	v_mad_u64_u32 v[6:7], null, s29, v13, v[3:4]
	v_add_nc_u32_e32 v14, 64, v0
	v_mad_u64_u32 v[7:8], null, s28, v16, 0
	v_mov_b32_e32 v3, v6
	v_mad_u64_u32 v[9:10], null, s21, v16, v[5:6]
	s_delay_alu instid0(VALU_DEP_4) | instskip(NEXT) | instid1(VALU_DEP_3)
	v_cmp_gt_i32_e64 s0, s36, v14
	v_lshlrev_b64 v[14:15], 3, v[2:3]
	v_mov_b32_e32 v3, v8
	v_lshlrev_b64 v[1:2], 1, v[0:1]
	v_mov_b32_e32 v5, v9
	v_mad_u64_u32 v[9:10], null, s20, v13, 0
	v_add_co_u32 v19, s3, s4, v14
	s_delay_alu instid0(VALU_DEP_3) | instskip(SKIP_4) | instid1(VALU_DEP_2)
	v_lshlrev_b64 v[4:5], 1, v[4:5]
	v_add_co_ci_u32_e64 v20, s3, s31, v15, s3
	s_add_u32 s3, s16, s22
	s_addc_u32 s22, s17, s23
	s_add_u32 s23, s3, s42
	v_mad_u64_u32 v[14:15], null, s29, v16, v[3:4]
	v_mov_b32_e32 v3, v10
	s_addc_u32 s22, s22, s43
	v_add_co_u32 v21, s3, s23, v4
	s_delay_alu instid0(VALU_DEP_1) | instskip(NEXT) | instid1(VALU_DEP_4)
	v_add_co_ci_u32_e64 v22, s3, s22, v5, s3
	v_mov_b32_e32 v8, v14
	v_or_b32_e32 v23, 2, v29
	v_mad_u64_u32 v[31:32], null, s20, v29, s[20:21]
	s_delay_alu instid0(VALU_DEP_2) | instskip(SKIP_1) | instid1(VALU_DEP_2)
	v_mad_u64_u32 v[27:28], null, s28, v23, 0
	v_mad_u64_u32 v[14:15], null, s20, v23, 0
	v_dual_mov_b32 v6, v28 :: v_dual_add_nc_u32 v17, 0xc0, v0
	s_delay_alu instid0(VALU_DEP_1) | instskip(SKIP_3) | instid1(VALU_DEP_1)
	v_cmp_gt_i32_e64 s2, s36, v17
	v_mad_u64_u32 v[16:17], null, s21, v13, v[3:4]
	v_lshlrev_b64 v[4:5], 1, v[7:8]
	v_mov_b32_e32 v3, v15
	v_mad_u64_u32 v[7:8], null, s21, v23, v[3:4]
	s_delay_alu instid0(VALU_DEP_4) | instskip(SKIP_1) | instid1(VALU_DEP_3)
	v_mov_b32_e32 v10, v16
	v_mad_u64_u32 v[16:17], null, s28, v29, s[28:29]
	v_mad_u64_u32 v[25:26], null, s29, v23, v[6:7]
	v_add_co_u32 v23, s3, s4, v4
	s_delay_alu instid0(VALU_DEP_1) | instskip(SKIP_3) | instid1(VALU_DEP_3)
	v_add_co_ci_u32_e64 v24, s3, s31, v5, s3
	v_lshlrev_b64 v[4:5], 3, v[9:10]
	v_mov_b32_e32 v3, v17
	v_dual_mov_b32 v15, v7 :: v_dual_mov_b32 v28, v25
	v_add_co_u32 v25, s3, s23, v4
	s_delay_alu instid0(VALU_DEP_3) | instskip(SKIP_1) | instid1(VALU_DEP_4)
	v_mad_u64_u32 v[6:7], null, s29, v29, v[3:4]
	v_add_co_ci_u32_e64 v26, s3, s22, v5, s3
	v_lshlrev_b64 v[4:5], 1, v[14:15]
	v_dual_mov_b32 v3, v32 :: v_dual_mov_b32 v14, 0
	v_mov_b32_e32 v15, 0
	v_mov_b32_e32 v17, v6
	s_delay_alu instid0(VALU_DEP_3) | instskip(SKIP_2) | instid1(VALU_DEP_4)
	v_mad_u64_u32 v[7:8], null, s21, v29, v[3:4]
	v_lshlrev_b64 v[8:9], 1, v[27:28]
	v_add_co_u32 v27, s3, s23, v4
	v_lshlrev_b64 v[3:4], 1, v[16:17]
	v_mov_b32_e32 v16, 0
	v_add_co_ci_u32_e64 v28, s3, s22, v5, s3
	v_mov_b32_e32 v32, v7
	v_add_co_u32 v29, s3, s4, v8
	s_delay_alu instid0(VALU_DEP_1) | instskip(NEXT) | instid1(VALU_DEP_3)
	v_add_co_ci_u32_e64 v30, s3, s31, v9, s3
	v_lshlrev_b64 v[5:6], 1, v[31:32]
	v_add_co_u32 v31, s3, s4, v3
	s_delay_alu instid0(VALU_DEP_1) | instskip(SKIP_1) | instid1(VALU_DEP_4)
	v_add_co_ci_u32_e64 v32, s3, s31, v4, s3
	v_mov_b32_e32 v17, 0
	v_add_co_u32 v33, s3, s23, v5
	s_delay_alu instid0(VALU_DEP_1)
	v_add_co_ci_u32_e64 v34, s3, s22, v6, s3
	s_lshl_b64 s[22:23], s[20:21], 7
	s_mov_b32 s31, 0
	s_branch .LBB553_22
.LBB553_18:                             ;   in Loop: Header=BB553_22 Depth=1
	s_or_b32 exec_lo, exec_lo, s42
	s_waitcnt vmcnt(2)
	v_lshlrev_b32_e32 v4, 16, v49
	v_lshlrev_b32_e32 v3, 16, v50
	s_waitcnt vmcnt(1)
	s_delay_alu instid0(VALU_DEP_1) | instskip(NEXT) | instid1(VALU_DEP_1)
	v_dual_fmac_f32 v16, v42, v3 :: v_dual_lshlrev_b32 v3, 16, v48
	v_fmac_f32_e32 v16, v40, v4
	s_delay_alu instid0(VALU_DEP_1) | instskip(SKIP_2) | instid1(VALU_DEP_1)
	v_fmac_f32_e32 v16, v38, v3
	s_waitcnt vmcnt(0)
	v_lshlrev_b32_e32 v3, 16, v47
	v_fmac_f32_e32 v16, v37, v3
.LBB553_19:                             ;   in Loop: Header=BB553_22 Depth=1
	s_or_b32 exec_lo, exec_lo, s41
	s_waitcnt vmcnt(3)
	v_lshlrev_b32_e32 v3, 16, v46
	s_waitcnt vmcnt(2)
	s_delay_alu instid0(VALU_DEP_1) | instskip(SKIP_2) | instid1(VALU_DEP_2)
	v_dual_fmac_f32 v15, v42, v3 :: v_dual_lshlrev_b32 v4, 16, v45
	s_waitcnt vmcnt(1)
	v_lshlrev_b32_e32 v3, 16, v44
	v_fmac_f32_e32 v15, v40, v4
	s_delay_alu instid0(VALU_DEP_1) | instskip(SKIP_2) | instid1(VALU_DEP_1)
	v_fmac_f32_e32 v15, v38, v3
	s_waitcnt vmcnt(0)
	v_lshlrev_b32_e32 v3, 16, v43
	v_fmac_f32_e32 v15, v37, v3
.LBB553_20:                             ;   in Loop: Header=BB553_22 Depth=1
	s_or_b32 exec_lo, exec_lo, s3
	s_waitcnt vmcnt(2)
	v_lshlrev_b32_e32 v4, 16, v39
	v_lshlrev_b32_e32 v3, 16, v41
	s_waitcnt vmcnt(1)
	s_delay_alu instid0(VALU_DEP_1) | instskip(NEXT) | instid1(VALU_DEP_1)
	v_dual_fmac_f32 v14, v42, v3 :: v_dual_lshlrev_b32 v3, 16, v36
	v_fmac_f32_e32 v14, v40, v4
	s_delay_alu instid0(VALU_DEP_1) | instskip(SKIP_2) | instid1(VALU_DEP_1)
	v_fmac_f32_e32 v14, v38, v3
	s_waitcnt vmcnt(0)
	v_lshlrev_b32_e32 v3, 16, v35
	v_fmac_f32_e32 v14, v37, v3
.LBB553_21:                             ;   in Loop: Header=BB553_22 Depth=1
	s_or_b32 exec_lo, exec_lo, s4
	v_add_co_u32 v19, s3, v19, s14
	s_delay_alu instid0(VALU_DEP_1) | instskip(SKIP_1) | instid1(VALU_DEP_1)
	v_add_co_ci_u32_e64 v20, s3, s15, v20, s3
	v_add_co_u32 v21, s3, v21, s22
	v_add_co_ci_u32_e64 v22, s3, s23, v22, s3
	v_add_co_u32 v23, s3, v23, s14
	s_delay_alu instid0(VALU_DEP_1) | instskip(SKIP_1) | instid1(VALU_DEP_1)
	v_add_co_ci_u32_e64 v24, s3, s15, v24, s3
	v_add_co_u32 v25, s3, v25, s22
	v_add_co_ci_u32_e64 v26, s3, s23, v26, s3
	v_add_co_u32 v27, s3, v27, s22
	s_delay_alu instid0(VALU_DEP_1) | instskip(SKIP_4) | instid1(VALU_DEP_1)
	v_add_co_ci_u32_e64 v28, s3, s23, v28, s3
	v_add_co_u32 v29, s3, v29, s14
	v_add_nc_u32_e32 v18, 64, v18
	v_add_co_ci_u32_e64 v30, s3, s15, v30, s3
	v_add_co_u32 v31, s3, v31, s14
	v_add_co_ci_u32_e64 v32, s3, s15, v32, s3
	s_delay_alu instid0(VALU_DEP_4) | instskip(SKIP_1) | instid1(VALU_DEP_1)
	v_cmp_le_i32_e64 s3, s40, v18
	v_add_co_u32 v33, s4, v33, s22
	v_add_co_ci_u32_e64 v34, s4, s23, v34, s4
	s_delay_alu instid0(VALU_DEP_3) | instskip(NEXT) | instid1(SALU_CYCLE_1)
	s_or_b32 s31, s3, s31
	s_and_not1_b32 exec_lo, exec_lo, s31
	s_cbranch_execz .LBB553_27
.LBB553_22:                             ; =>This Inner Loop Header: Depth=1
	s_and_saveexec_b32 s4, vcc_lo
	s_cbranch_execz .LBB553_21
; %bb.23:                               ;   in Loop: Header=BB553_22 Depth=1
	v_add_co_u32 v3, s3, v19, s12
	s_delay_alu instid0(VALU_DEP_1) | instskip(SKIP_1) | instid1(VALU_DEP_1)
	v_add_co_ci_u32_e64 v4, s3, s13, v20, s3
	v_add_co_u32 v5, s3, v31, s12
	v_add_co_ci_u32_e64 v6, s3, s13, v32, s3
	v_add_co_u32 v7, s3, v29, s12
	s_delay_alu instid0(VALU_DEP_1) | instskip(SKIP_1) | instid1(VALU_DEP_1)
	v_add_co_ci_u32_e64 v8, s3, s13, v30, s3
	v_add_co_u32 v9, s3, v23, s12
	v_add_co_ci_u32_e64 v10, s3, s13, v24, s3
	global_load_u16 v37, v[3:4], off
	global_load_u16 v38, v[5:6], off
	;; [unrolled: 1-line block ×4, first 2 shown]
	v_add_co_u32 v3, s3, v25, v1
	s_delay_alu instid0(VALU_DEP_1) | instskip(SKIP_1) | instid1(VALU_DEP_1)
	v_add_co_ci_u32_e64 v4, s3, v26, v2, s3
	v_add_co_u32 v5, s3, v33, v1
	v_add_co_ci_u32_e64 v6, s3, v34, v2, s3
	v_add_co_u32 v7, s3, v27, v1
	s_delay_alu instid0(VALU_DEP_1) | instskip(SKIP_1) | instid1(VALU_DEP_1)
	v_add_co_ci_u32_e64 v8, s3, v28, v2, s3
	v_add_co_u32 v9, s3, v21, v1
	v_add_co_ci_u32_e64 v10, s3, v22, v2, s3
	global_load_u16 v41, v[3:4], off
	global_load_u16 v39, v[5:6], off
	;; [unrolled: 1-line block ×4, first 2 shown]
	s_waitcnt vmcnt(7)
	v_lshlrev_b32_e32 v42, 16, v37
	s_waitcnt vmcnt(6)
	v_lshlrev_b32_e32 v40, 16, v38
	s_waitcnt vmcnt(5)
	v_lshlrev_b32_e32 v38, 16, v43
	s_waitcnt vmcnt(4)
	v_lshlrev_b32_e32 v37, 16, v44
	s_and_saveexec_b32 s3, s0
	s_cbranch_execz .LBB553_20
; %bb.24:                               ;   in Loop: Header=BB553_22 Depth=1
	global_load_u16 v46, v[3:4], off offset:128
	global_load_u16 v45, v[5:6], off offset:128
	global_load_u16 v44, v[7:8], off offset:128
	global_load_u16 v43, v[9:10], off offset:128
	s_and_saveexec_b32 s41, s1
	s_cbranch_execz .LBB553_19
; %bb.25:                               ;   in Loop: Header=BB553_22 Depth=1
	global_load_u16 v50, v[3:4], off offset:256
	global_load_u16 v49, v[5:6], off offset:256
	global_load_u16 v48, v[7:8], off offset:256
	global_load_u16 v47, v[9:10], off offset:256
	s_and_saveexec_b32 s42, s2
	s_cbranch_execz .LBB553_18
; %bb.26:                               ;   in Loop: Header=BB553_22 Depth=1
	global_load_u16 v3, v[3:4], off offset:384
	global_load_u16 v4, v[5:6], off offset:384
	global_load_u16 v5, v[7:8], off offset:384
	global_load_u16 v6, v[9:10], off offset:384
	s_waitcnt vmcnt(3)
	v_lshlrev_b32_e32 v3, 16, v3
	s_waitcnt vmcnt(2)
	s_delay_alu instid0(VALU_DEP_1) | instskip(SKIP_2) | instid1(VALU_DEP_2)
	v_dual_fmac_f32 v17, v42, v3 :: v_dual_lshlrev_b32 v4, 16, v4
	s_waitcnt vmcnt(1)
	v_lshlrev_b32_e32 v3, 16, v5
	v_fmac_f32_e32 v17, v40, v4
	s_delay_alu instid0(VALU_DEP_1) | instskip(SKIP_2) | instid1(VALU_DEP_1)
	v_fmac_f32_e32 v17, v38, v3
	s_waitcnt vmcnt(0)
	v_lshlrev_b32_e32 v3, 16, v6
	v_fmac_f32_e32 v17, v37, v3
	s_branch .LBB553_18
.LBB553_27:
	s_or_b32 exec_lo, exec_lo, s31
.LBB553_28:
	s_delay_alu instid0(SALU_CYCLE_1) | instskip(SKIP_1) | instid1(SALU_CYCLE_1)
	s_or_b32 exec_lo, exec_lo, s30
	s_sub_i32 s0, s37, s40
	s_cmp_lt_i32 s0, 1
	s_cbranch_scc1 .LBB553_46
; %bb.29:
	v_cmp_gt_i32_e32 vcc_lo, s37, v18
	v_dual_mov_b32 v9, 0 :: v_dual_mov_b32 v10, 0
	v_or_b32_e32 v2, 1, v18
	v_dual_mov_b32 v19, 0 :: v_dual_mov_b32 v20, 0
	s_and_saveexec_b32 s1, vcc_lo
	s_cbranch_execz .LBB553_37
; %bb.30:
	v_mad_u64_u32 v[3:4], null, v18, s28, 0
	s_lshl_b64 s[2:3], s[10:11], 1
	v_mov_b32_e32 v19, 0
	s_add_u32 s0, s24, s2
	s_addc_u32 s2, s25, s3
	s_lshl_b64 s[10:11], s[26:27], 1
	v_mov_b32_e32 v9, 0
	s_delay_alu instid0(VALU_DEP_3) | instskip(SKIP_3) | instid1(VALU_DEP_1)
	v_dual_mov_b32 v1, v4 :: v_dual_mov_b32 v10, 0
	s_add_u32 s3, s0, s10
	s_addc_u32 s4, s2, s11
	s_mov_b32 s2, exec_lo
	v_mad_u64_u32 v[4:5], null, v18, s29, v[1:2]
	s_delay_alu instid0(VALU_DEP_1) | instskip(NEXT) | instid1(VALU_DEP_1)
	v_lshlrev_b64 v[3:4], 1, v[3:4]
	v_add_co_u32 v3, s0, s3, v3
	s_delay_alu instid0(VALU_DEP_1)
	v_add_co_ci_u32_e64 v4, s0, s4, v4, s0
	global_load_u16 v1, v[3:4], off
	v_cmpx_gt_i32_e64 s37, v2
	s_cbranch_execz .LBB553_36
; %bb.31:
	v_mad_u64_u32 v[3:4], null, v2, s28, 0
	v_mov_b32_e32 v10, 0
	s_mov_b32 s10, exec_lo
	v_mov_b32_e32 v9, 0
	s_delay_alu instid0(VALU_DEP_3) | instskip(NEXT) | instid1(VALU_DEP_1)
	v_mad_u64_u32 v[5:6], null, v2, s29, v[4:5]
	v_mov_b32_e32 v4, v5
	s_delay_alu instid0(VALU_DEP_1) | instskip(NEXT) | instid1(VALU_DEP_1)
	v_lshlrev_b64 v[3:4], 1, v[3:4]
	v_add_co_u32 v3, s0, s3, v3
	s_delay_alu instid0(VALU_DEP_1) | instskip(SKIP_2) | instid1(VALU_DEP_1)
	v_add_co_ci_u32_e64 v4, s0, s4, v4, s0
	global_load_u16 v3, v[3:4], off
	v_or_b32_e32 v4, 2, v18
	v_cmpx_gt_i32_e64 s37, v4
	s_cbranch_execz .LBB553_35
; %bb.32:
	v_mad_u64_u32 v[5:6], null, v4, s28, 0
	s_mov_b32 s11, exec_lo
	v_mov_b32_e32 v9, 0
	s_delay_alu instid0(VALU_DEP_2) | instskip(NEXT) | instid1(VALU_DEP_1)
	v_mad_u64_u32 v[7:8], null, v4, s29, v[6:7]
	v_mov_b32_e32 v6, v7
	s_delay_alu instid0(VALU_DEP_1) | instskip(NEXT) | instid1(VALU_DEP_1)
	v_lshlrev_b64 v[4:5], 1, v[5:6]
	v_add_co_u32 v4, s0, s3, v4
	s_delay_alu instid0(VALU_DEP_1) | instskip(SKIP_2) | instid1(VALU_DEP_1)
	v_add_co_ci_u32_e64 v5, s0, s4, v5, s0
	global_load_u16 v4, v[4:5], off
	v_or_b32_e32 v5, 3, v18
	v_cmpx_gt_i32_e64 s37, v5
	s_cbranch_execz .LBB553_34
; %bb.33:
	v_mad_u64_u32 v[6:7], null, v5, s28, 0
	s_delay_alu instid0(VALU_DEP_1) | instskip(NEXT) | instid1(VALU_DEP_1)
	v_mad_u64_u32 v[8:9], null, v5, s29, v[7:8]
	v_mov_b32_e32 v7, v8
	s_delay_alu instid0(VALU_DEP_1) | instskip(NEXT) | instid1(VALU_DEP_1)
	v_lshlrev_b64 v[5:6], 1, v[6:7]
	v_add_co_u32 v5, s0, s3, v5
	s_delay_alu instid0(VALU_DEP_1)
	v_add_co_ci_u32_e64 v6, s0, s4, v6, s0
	global_load_u16 v5, v[5:6], off
	s_waitcnt vmcnt(0)
	v_lshlrev_b32_e32 v9, 16, v5
.LBB553_34:
	s_or_b32 exec_lo, exec_lo, s11
	s_waitcnt vmcnt(0)
	v_lshlrev_b32_e32 v10, 16, v4
.LBB553_35:
	s_or_b32 exec_lo, exec_lo, s10
	s_waitcnt vmcnt(0)
	v_lshlrev_b32_e32 v19, 16, v3
.LBB553_36:
	s_or_b32 exec_lo, exec_lo, s2
	s_waitcnt vmcnt(0)
	v_lshlrev_b32_e32 v20, 16, v1
.LBB553_37:
	s_or_b32 exec_lo, exec_lo, s1
	s_delay_alu instid0(SALU_CYCLE_1)
	s_mov_b32 s1, exec_lo
	v_cmpx_gt_i32_e64 s36, v0
	s_cbranch_execz .LBB553_45
; %bb.38:
	v_mad_u64_u32 v[3:4], null, v18, s20, 0
	v_mad_u64_u32 v[5:6], null, v2, s20, 0
	v_ashrrev_i32_e32 v1, 31, v0
	s_lshl_b64 s[2:3], s[6:7], 1
	v_or_b32_e32 v28, 2, v18
	s_add_u32 s0, s16, s2
	s_delay_alu instid0(VALU_DEP_4)
	v_cndmask_b32_e32 v3, 0, v3, vcc_lo
	v_lshlrev_b64 v[21:22], 1, v[0:1]
	v_mad_u64_u32 v[7:8], null, v18, s21, v[4:5]
	s_addc_u32 s4, s17, s3
	s_lshl_b64 s[2:3], s[18:19], 1
	v_or_b32_e32 v18, 3, v18
	s_add_u32 s2, s0, s2
	v_mov_b32_e32 v1, v6
	v_mad_u64_u32 v[23:24], null, v28, s20, 0
	s_delay_alu instid0(VALU_DEP_4) | instskip(SKIP_1) | instid1(VALU_DEP_4)
	v_cndmask_b32_e32 v4, 0, v7, vcc_lo
	v_cmp_gt_i32_e32 vcc_lo, s37, v2
	v_mad_u64_u32 v[25:26], null, v2, s21, v[1:2]
	s_addc_u32 s3, s4, s3
	v_mad_u64_u32 v[6:7], null, v18, s20, 0
	v_cndmask_b32_e32 v26, 0, v5, vcc_lo
	v_lshlrev_b64 v[3:4], 1, v[3:4]
	s_delay_alu instid0(VALU_DEP_4) | instskip(NEXT) | instid1(VALU_DEP_2)
	v_cndmask_b32_e32 v27, 0, v25, vcc_lo
	v_add_co_u32 v1, s0, s2, v3
	s_delay_alu instid0(VALU_DEP_1) | instskip(NEXT) | instid1(VALU_DEP_3)
	v_add_co_ci_u32_e64 v2, s0, s3, v4, s0
	v_lshlrev_b64 v[3:4], 1, v[26:27]
	s_delay_alu instid0(VALU_DEP_3) | instskip(NEXT) | instid1(VALU_DEP_3)
	v_add_co_u32 v1, vcc_lo, v1, v21
	v_add_co_ci_u32_e32 v2, vcc_lo, v2, v22, vcc_lo
	v_cmp_gt_i32_e32 vcc_lo, s37, v28
	v_mov_b32_e32 v5, v24
	v_add_co_u32 v3, s0, s2, v3
	s_delay_alu instid0(VALU_DEP_1) | instskip(NEXT) | instid1(VALU_DEP_3)
	v_add_co_ci_u32_e64 v4, s0, s3, v4, s0
	v_mad_u64_u32 v[24:25], null, v28, s21, v[5:6]
	s_delay_alu instid0(VALU_DEP_3) | instskip(SKIP_1) | instid1(VALU_DEP_4)
	v_add_co_u32 v3, s0, v3, v21
	v_mov_b32_e32 v5, v7
	v_add_co_ci_u32_e64 v4, s0, v4, v22, s0
	s_delay_alu instid0(VALU_DEP_4) | instskip(NEXT) | instid1(VALU_DEP_3)
	v_dual_cndmask_b32 v7, 0, v23 :: v_dual_cndmask_b32 v8, 0, v24
	v_mad_u64_u32 v[25:26], null, v18, s21, v[5:6]
	v_cmp_gt_i32_e32 vcc_lo, s37, v18
	s_clause 0x1
	global_load_u16 v18, v[1:2], off
	global_load_u16 v23, v[3:4], off
	s_mov_b32 s0, exec_lo
	s_waitcnt vmcnt(1)
	v_lshlrev_b32_e32 v18, 16, v18
	s_waitcnt vmcnt(0)
	s_delay_alu instid0(VALU_DEP_1) | instskip(SKIP_2) | instid1(VALU_DEP_3)
	v_dual_fmac_f32 v14, v20, v18 :: v_dual_lshlrev_b32 v23, 16, v23
	v_dual_cndmask_b32 v5, 0, v6 :: v_dual_cndmask_b32 v6, 0, v25
	v_lshlrev_b64 v[7:8], 1, v[7:8]
	v_dual_fmac_f32 v14, v19, v23 :: v_dual_add_nc_u32 v23, 64, v0
	s_delay_alu instid0(VALU_DEP_3) | instskip(NEXT) | instid1(VALU_DEP_3)
	v_lshlrev_b64 v[5:6], 1, v[5:6]
	v_add_co_u32 v7, vcc_lo, s2, v7
	s_delay_alu instid0(VALU_DEP_4) | instskip(NEXT) | instid1(VALU_DEP_3)
	v_add_co_ci_u32_e32 v8, vcc_lo, s3, v8, vcc_lo
	v_add_co_u32 v5, vcc_lo, s2, v5
	s_delay_alu instid0(VALU_DEP_4) | instskip(NEXT) | instid1(VALU_DEP_4)
	v_add_co_ci_u32_e32 v6, vcc_lo, s3, v6, vcc_lo
	v_add_co_u32 v7, vcc_lo, v7, v21
	s_delay_alu instid0(VALU_DEP_4) | instskip(NEXT) | instid1(VALU_DEP_4)
	v_add_co_ci_u32_e32 v8, vcc_lo, v8, v22, vcc_lo
	v_add_co_u32 v5, vcc_lo, v5, v21
	s_delay_alu instid0(VALU_DEP_4)
	v_add_co_ci_u32_e32 v6, vcc_lo, v6, v22, vcc_lo
	s_clause 0x1
	global_load_u16 v21, v[7:8], off
	global_load_u16 v22, v[5:6], off
	s_waitcnt vmcnt(1)
	v_lshlrev_b32_e32 v21, 16, v21
	s_waitcnt vmcnt(0)
	v_lshlrev_b32_e32 v18, 16, v22
	s_delay_alu instid0(VALU_DEP_2)
	v_fmac_f32_e32 v14, v10, v21
	v_cmpx_gt_i32_e64 s36, v23
	s_cbranch_execz .LBB553_44
; %bb.39:
	s_clause 0x3
	global_load_u16 v21, v[1:2], off offset:128
	global_load_u16 v22, v[3:4], off offset:128
	;; [unrolled: 1-line block ×4, first 2 shown]
	s_mov_b32 s2, exec_lo
	s_waitcnt vmcnt(3)
	v_lshlrev_b32_e32 v21, 16, v21
	s_waitcnt vmcnt(2)
	v_lshlrev_b32_e32 v22, 16, v22
	;; [unrolled: 2-line block ×3, first 2 shown]
	v_fmac_f32_e32 v15, v20, v21
	s_waitcnt vmcnt(0)
	v_lshlrev_b32_e32 v21, 16, v24
	s_delay_alu instid0(VALU_DEP_2) | instskip(NEXT) | instid1(VALU_DEP_1)
	v_dual_fmac_f32 v15, v19, v22 :: v_dual_add_nc_u32 v22, 0x80, v0
	v_fmac_f32_e32 v15, v10, v23
	s_delay_alu instid0(VALU_DEP_2)
	v_cmpx_gt_i32_e64 s36, v22
	s_cbranch_execz .LBB553_43
; %bb.40:
	s_clause 0x3
	global_load_u16 v22, v[1:2], off offset:256
	global_load_u16 v23, v[3:4], off offset:256
	global_load_u16 v24, v[7:8], off offset:256
	global_load_u16 v25, v[5:6], off offset:256
	s_mov_b32 s3, exec_lo
	s_waitcnt vmcnt(3)
	v_lshlrev_b32_e32 v22, 16, v22
	s_waitcnt vmcnt(2)
	s_delay_alu instid0(VALU_DEP_1) | instskip(SKIP_2) | instid1(VALU_DEP_2)
	v_dual_fmac_f32 v16, v20, v22 :: v_dual_lshlrev_b32 v23, 16, v23
	s_waitcnt vmcnt(1)
	v_lshlrev_b32_e32 v22, 16, v24
	v_dual_fmac_f32 v16, v19, v23 :: v_dual_add_nc_u32 v23, 0xc0, v0
	s_waitcnt vmcnt(0)
	v_lshlrev_b32_e32 v0, 16, v25
	s_delay_alu instid0(VALU_DEP_2) | instskip(NEXT) | instid1(VALU_DEP_3)
	v_fmac_f32_e32 v16, v10, v22
	v_cmpx_gt_i32_e64 s36, v23
	s_cbranch_execz .LBB553_42
; %bb.41:
	s_clause 0x3
	global_load_u16 v1, v[1:2], off offset:384
	global_load_u16 v2, v[3:4], off offset:384
	;; [unrolled: 1-line block ×4, first 2 shown]
	s_waitcnt vmcnt(3)
	v_lshlrev_b32_e32 v1, 16, v1
	s_waitcnt vmcnt(2)
	s_delay_alu instid0(VALU_DEP_1) | instskip(SKIP_2) | instid1(VALU_DEP_2)
	v_dual_fmac_f32 v17, v20, v1 :: v_dual_lshlrev_b32 v2, 16, v2
	s_waitcnt vmcnt(1)
	v_lshlrev_b32_e32 v1, 16, v3
	v_fmac_f32_e32 v17, v19, v2
	s_delay_alu instid0(VALU_DEP_1) | instskip(SKIP_2) | instid1(VALU_DEP_1)
	v_fmac_f32_e32 v17, v10, v1
	s_waitcnt vmcnt(0)
	v_lshlrev_b32_e32 v1, 16, v4
	v_fmac_f32_e32 v17, v9, v1
.LBB553_42:
	s_or_b32 exec_lo, exec_lo, s3
	s_delay_alu instid0(VALU_DEP_2)
	v_fmac_f32_e32 v16, v9, v0
.LBB553_43:
	s_or_b32 exec_lo, exec_lo, s2
	s_delay_alu instid0(VALU_DEP_2)
	v_fmac_f32_e32 v15, v9, v21
.LBB553_44:
	s_or_b32 exec_lo, exec_lo, s0
	s_delay_alu instid0(VALU_DEP_2)
	v_fmac_f32_e32 v14, v9, v18
.LBB553_45:
	s_or_b32 exec_lo, exec_lo, s1
.LBB553_46:
	v_lshlrev_b32_e32 v0, 8, v13
	s_mov_b32 s0, exec_lo
                                        ; implicit-def: $vgpr3
	s_delay_alu instid0(VALU_DEP_1)
	v_add_lshl_u32 v0, v0, v12, 2
	ds_store_2addr_stride64_b32 v0, v14, v15 offset1:1
	ds_store_2addr_stride64_b32 v0, v16, v17 offset0:2 offset1:3
	s_waitcnt lgkmcnt(0)
	s_barrier
	buffer_gl0_inv
                                        ; implicit-def: $vgpr0_vgpr1
	v_cmpx_gt_u32_e32 0x100, v11
	s_cbranch_execz .LBB553_67
; %bb.47:
	v_lshlrev_b32_e32 v6, 2, v11
	s_mov_b32 s2, s34
	s_mov_b32 s1, exec_lo
	ds_load_2addr_stride64_b32 v[0:1], v6 offset1:4
	ds_load_2addr_stride64_b32 v[2:3], v6 offset0:8 offset1:12
	ds_load_2addr_stride64_b32 v[4:5], v6 offset0:16 offset1:20
	s_waitcnt lgkmcnt(2)
	v_add_f32_e32 v7, v0, v1
	ds_load_2addr_stride64_b32 v[0:1], v6 offset0:24 offset1:28
	s_waitcnt lgkmcnt(2)
	v_add_f32_e32 v2, v2, v7
	s_delay_alu instid0(VALU_DEP_1) | instskip(SKIP_3) | instid1(VALU_DEP_1)
	v_add_f32_e32 v7, v3, v2
	ds_load_2addr_stride64_b32 v[2:3], v6 offset0:32 offset1:36
	s_waitcnt lgkmcnt(2)
	v_add_f32_e32 v4, v4, v7
	v_add_f32_e32 v7, v5, v4
	ds_load_2addr_stride64_b32 v[4:5], v6 offset0:40 offset1:44
	s_waitcnt lgkmcnt(2)
	v_add_f32_e32 v0, v0, v7
	s_delay_alu instid0(VALU_DEP_1) | instskip(SKIP_1) | instid1(VALU_DEP_1)
	v_add_f32_e32 v0, v1, v0
	s_waitcnt lgkmcnt(1)
	v_add_f32_e32 v2, v2, v0
	ds_load_2addr_stride64_b32 v[0:1], v6 offset0:48 offset1:52
	v_add_f32_e32 v2, v3, v2
	s_waitcnt lgkmcnt(1)
	s_delay_alu instid0(VALU_DEP_1) | instskip(SKIP_3) | instid1(VALU_DEP_1)
	v_add_f32_e32 v4, v4, v2
	ds_load_2addr_stride64_b32 v[2:3], v6 offset0:56 offset1:60
	v_add_f32_e32 v4, v5, v4
	s_waitcnt lgkmcnt(1)
	v_add_f32_e32 v0, v0, v4
	s_delay_alu instid0(VALU_DEP_1) | instskip(SKIP_1) | instid1(VALU_DEP_1)
	v_add_f32_e32 v0, v1, v0
	s_waitcnt lgkmcnt(0)
	v_add_f32_e32 v0, v2, v0
	v_or_b32_e32 v2, s39, v11
	s_delay_alu instid0(VALU_DEP_2)
	v_add_f32_e32 v4, v3, v0
                                        ; implicit-def: $vgpr3
                                        ; implicit-def: $vgpr0_vgpr1
	ds_store_b32 v6, v4
	v_cmpx_gt_i32_e64 s36, v2
	s_cbranch_execz .LBB553_66
; %bb.48:
	v_cmp_eq_f32_e64 s2, s35, 0
	v_mul_f32_e32 v0, s38, v4
	s_delay_alu instid0(VALU_DEP_2)
	s_and_b32 vcc_lo, exec_lo, s2
	s_cbranch_vccz .LBB553_54
; %bb.49:
	s_delay_alu instid0(VALU_DEP_1) | instskip(SKIP_1) | instid1(VALU_DEP_1)
	v_and_b32_e32 v1, 0x7f800000, v0
	s_mov_b32 s2, exec_lo
                                        ; implicit-def: $vgpr3
	v_cmpx_ne_u32_e32 0x7f800000, v1
	s_xor_b32 s2, exec_lo, s2
; %bb.50:
	v_bfe_u32 v1, v0, 16, 1
	s_delay_alu instid0(VALU_DEP_1)
	v_add3_u32 v3, v0, v1, 0x7fff
; %bb.51:
	s_and_not1_saveexec_b32 s2, s2
; %bb.52:
	v_and_b32_e32 v1, 0xffff, v0
	v_or_b32_e32 v3, 0x10000, v0
	s_delay_alu instid0(VALU_DEP_2) | instskip(NEXT) | instid1(VALU_DEP_2)
	v_cmp_eq_u32_e32 vcc_lo, 0, v1
	v_cndmask_b32_e32 v3, v3, v0, vcc_lo
; %bb.53:
	s_or_b32 exec_lo, exec_lo, s2
	s_mov_b32 s2, 0
	s_branch .LBB553_55
.LBB553_54:
	s_mov_b32 s2, -1
                                        ; implicit-def: $vgpr3
.LBB553_55:
	v_ashrrev_i32_e32 v1, 31, v2
	v_mul_lo_u32 v4, v2, s9
	s_and_not1_b32 vcc_lo, exec_lo, s2
	s_delay_alu instid0(VALU_DEP_2)
	v_mul_lo_u32 v5, v1, s8
	s_cbranch_vccnz .LBB553_65
; %bb.56:
	v_mad_u64_u32 v[6:7], null, v2, s8, 0
	s_delay_alu instid0(VALU_DEP_1) | instskip(NEXT) | instid1(VALU_DEP_1)
	v_add3_u32 v7, v7, v4, v5
	v_lshlrev_b64 v[6:7], 1, v[6:7]
	s_delay_alu instid0(VALU_DEP_1) | instskip(NEXT) | instid1(VALU_DEP_2)
	v_add_co_u32 v6, vcc_lo, s5, v6
	v_add_co_ci_u32_e32 v7, vcc_lo, s33, v7, vcc_lo
	global_load_u16 v1, v[6:7], off
	s_waitcnt vmcnt(0)
	v_lshlrev_b32_e32 v1, 16, v1
	s_delay_alu instid0(VALU_DEP_1) | instskip(NEXT) | instid1(VALU_DEP_1)
	v_mul_f32_e32 v1, s35, v1
	v_and_b32_e32 v3, 0x7f800000, v1
	s_delay_alu instid0(VALU_DEP_1) | instskip(SKIP_1) | instid1(SALU_CYCLE_1)
	v_cmp_ne_u32_e32 vcc_lo, 0x7f800000, v3
                                        ; implicit-def: $vgpr3
	s_and_saveexec_b32 s2, vcc_lo
	s_xor_b32 s2, exec_lo, s2
; %bb.57:
	v_bfe_u32 v3, v1, 16, 1
	s_delay_alu instid0(VALU_DEP_1)
	v_add3_u32 v3, v1, v3, 0x7fff
                                        ; implicit-def: $vgpr1
; %bb.58:
	s_and_not1_saveexec_b32 s2, s2
; %bb.59:
	v_and_b32_e32 v3, 0xffff, v1
	v_or_b32_e32 v6, 0x10000, v1
	s_delay_alu instid0(VALU_DEP_2) | instskip(NEXT) | instid1(VALU_DEP_2)
	v_cmp_eq_u32_e32 vcc_lo, 0, v3
	v_cndmask_b32_e32 v3, v6, v1, vcc_lo
; %bb.60:
	s_or_b32 exec_lo, exec_lo, s2
	s_delay_alu instid0(VALU_DEP_1) | instskip(SKIP_1) | instid1(VALU_DEP_1)
	v_and_b32_e32 v1, 0xffff0000, v3
	s_mov_b32 s2, exec_lo
                                        ; implicit-def: $vgpr3
	v_add_f32_e32 v0, v0, v1
	s_delay_alu instid0(VALU_DEP_1) | instskip(NEXT) | instid1(VALU_DEP_1)
	v_and_b32_e32 v1, 0x7f800000, v0
	v_cmpx_ne_u32_e32 0x7f800000, v1
	s_xor_b32 s2, exec_lo, s2
; %bb.61:
	v_bfe_u32 v1, v0, 16, 1
	s_delay_alu instid0(VALU_DEP_1)
	v_add3_u32 v3, v0, v1, 0x7fff
                                        ; implicit-def: $vgpr0
; %bb.62:
	s_and_not1_saveexec_b32 s2, s2
; %bb.63:
	v_and_b32_e32 v1, 0xffff, v0
	v_or_b32_e32 v3, 0x10000, v0
	s_delay_alu instid0(VALU_DEP_2) | instskip(NEXT) | instid1(VALU_DEP_2)
	v_cmp_eq_u32_e32 vcc_lo, 0, v1
	v_cndmask_b32_e32 v3, v3, v0, vcc_lo
; %bb.64:
	s_or_b32 exec_lo, exec_lo, s2
.LBB553_65:
	v_mad_u64_u32 v[0:1], null, v2, s8, 0
	s_delay_alu instid0(VALU_DEP_2) | instskip(SKIP_1) | instid1(VALU_DEP_2)
	v_lshrrev_b32_e32 v3, 16, v3
	s_or_b32 s2, s34, exec_lo
	v_add3_u32 v1, v1, v4, v5
.LBB553_66:
	s_or_b32 exec_lo, exec_lo, s1
	s_delay_alu instid0(SALU_CYCLE_1) | instskip(SKIP_1) | instid1(SALU_CYCLE_1)
	s_and_not1_b32 s1, s34, exec_lo
	s_and_b32 s2, s2, exec_lo
	s_or_b32 s34, s1, s2
.LBB553_67:
	s_or_b32 exec_lo, exec_lo, s0
.LBB553_68:
	s_and_saveexec_b32 s0, s34
	s_cbranch_execz .LBB553_70
; %bb.69:
	v_lshlrev_b64 v[0:1], 1, v[0:1]
	s_delay_alu instid0(VALU_DEP_1) | instskip(NEXT) | instid1(VALU_DEP_2)
	v_add_co_u32 v0, vcc_lo, s5, v0
	v_add_co_ci_u32_e32 v1, vcc_lo, s33, v1, vcc_lo
	global_store_b16 v[0:1], v3, off
.LBB553_70:
	s_nop 0
	s_sendmsg sendmsg(MSG_DEALLOC_VGPRS)
	s_endpgm
	.section	.rodata,"a",@progbits
	.p2align	6, 0x0
	.amdhsa_kernel _ZL20rocblas_gemvn_kernelILi64ELi16El16rocblas_bfloat16fS0_EviiT3_lPKT2_lT1_lS4_lS5_lS1_lPT4_lS5_li
		.amdhsa_group_segment_fixed_size 16384
		.amdhsa_private_segment_fixed_size 0
		.amdhsa_kernarg_size 400
		.amdhsa_user_sgpr_count 14
		.amdhsa_user_sgpr_dispatch_ptr 0
		.amdhsa_user_sgpr_queue_ptr 0
		.amdhsa_user_sgpr_kernarg_segment_ptr 1
		.amdhsa_user_sgpr_dispatch_id 0
		.amdhsa_user_sgpr_private_segment_size 0
		.amdhsa_wavefront_size32 1
		.amdhsa_uses_dynamic_stack 0
		.amdhsa_enable_private_segment 0
		.amdhsa_system_sgpr_workgroup_id_x 1
		.amdhsa_system_sgpr_workgroup_id_y 0
		.amdhsa_system_sgpr_workgroup_id_z 1
		.amdhsa_system_sgpr_workgroup_info 0
		.amdhsa_system_vgpr_workitem_id 1
		.amdhsa_next_free_vgpr 51
		.amdhsa_next_free_sgpr 44
		.amdhsa_reserve_vcc 1
		.amdhsa_float_round_mode_32 0
		.amdhsa_float_round_mode_16_64 0
		.amdhsa_float_denorm_mode_32 3
		.amdhsa_float_denorm_mode_16_64 3
		.amdhsa_dx10_clamp 1
		.amdhsa_ieee_mode 1
		.amdhsa_fp16_overflow 0
		.amdhsa_workgroup_processor_mode 1
		.amdhsa_memory_ordered 1
		.amdhsa_forward_progress 0
		.amdhsa_shared_vgpr_count 0
		.amdhsa_exception_fp_ieee_invalid_op 0
		.amdhsa_exception_fp_denorm_src 0
		.amdhsa_exception_fp_ieee_div_zero 0
		.amdhsa_exception_fp_ieee_overflow 0
		.amdhsa_exception_fp_ieee_underflow 0
		.amdhsa_exception_fp_ieee_inexact 0
		.amdhsa_exception_int_div_zero 0
	.end_amdhsa_kernel
	.section	.text._ZL20rocblas_gemvn_kernelILi64ELi16El16rocblas_bfloat16fS0_EviiT3_lPKT2_lT1_lS4_lS5_lS1_lPT4_lS5_li,"axG",@progbits,_ZL20rocblas_gemvn_kernelILi64ELi16El16rocblas_bfloat16fS0_EviiT3_lPKT2_lT1_lS4_lS5_lS1_lPT4_lS5_li,comdat
.Lfunc_end553:
	.size	_ZL20rocblas_gemvn_kernelILi64ELi16El16rocblas_bfloat16fS0_EviiT3_lPKT2_lT1_lS4_lS5_lS1_lPT4_lS5_li, .Lfunc_end553-_ZL20rocblas_gemvn_kernelILi64ELi16El16rocblas_bfloat16fS0_EviiT3_lPKT2_lT1_lS4_lS5_lS1_lPT4_lS5_li
                                        ; -- End function
	.section	.AMDGPU.csdata,"",@progbits
; Kernel info:
; codeLenInByte = 4096
; NumSgprs: 46
; NumVgprs: 51
; ScratchSize: 0
; MemoryBound: 0
; FloatMode: 240
; IeeeMode: 1
; LDSByteSize: 16384 bytes/workgroup (compile time only)
; SGPRBlocks: 5
; VGPRBlocks: 6
; NumSGPRsForWavesPerEU: 46
; NumVGPRsForWavesPerEU: 51
; Occupancy: 16
; WaveLimiterHint : 1
; COMPUTE_PGM_RSRC2:SCRATCH_EN: 0
; COMPUTE_PGM_RSRC2:USER_SGPR: 14
; COMPUTE_PGM_RSRC2:TRAP_HANDLER: 0
; COMPUTE_PGM_RSRC2:TGID_X_EN: 1
; COMPUTE_PGM_RSRC2:TGID_Y_EN: 0
; COMPUTE_PGM_RSRC2:TGID_Z_EN: 1
; COMPUTE_PGM_RSRC2:TIDIG_COMP_CNT: 1
	.section	.text._ZL22rocblas_gemvtsm_kernelILb0ELi256E16rocblas_bfloat16PKfS0_EviiT2_lPKT1_lilS6_lilS3_lPT3_lil,"axG",@progbits,_ZL22rocblas_gemvtsm_kernelILb0ELi256E16rocblas_bfloat16PKfS0_EviiT2_lPKT1_lilS6_lilS3_lPT3_lil,comdat
	.globl	_ZL22rocblas_gemvtsm_kernelILb0ELi256E16rocblas_bfloat16PKfS0_EviiT2_lPKT1_lilS6_lilS3_lPT3_lil ; -- Begin function _ZL22rocblas_gemvtsm_kernelILb0ELi256E16rocblas_bfloat16PKfS0_EviiT2_lPKT1_lilS6_lilS3_lPT3_lil
	.p2align	8
	.type	_ZL22rocblas_gemvtsm_kernelILb0ELi256E16rocblas_bfloat16PKfS0_EviiT2_lPKT1_lilS6_lilS3_lPT3_lil,@function
_ZL22rocblas_gemvtsm_kernelILb0ELi256E16rocblas_bfloat16PKfS0_EviiT2_lPKT1_lilS6_lilS3_lPT3_lil: ; @_ZL22rocblas_gemvtsm_kernelILb0ELi256E16rocblas_bfloat16PKfS0_EviiT2_lPKT1_lilS6_lilS3_lPT3_lil
; %bb.0:
	s_clause 0x1
	s_load_b256 s[4:11], s[0:1], 0x8
	s_load_b256 s[16:23], s[0:1], 0x50
	s_waitcnt lgkmcnt(0)
	s_mul_i32 s3, s15, s7
	s_mul_hi_u32 s7, s15, s6
	s_mul_i32 s2, s15, s6
	s_add_i32 s3, s7, s3
	s_mul_i32 s6, s15, s21
	s_lshl_b64 s[2:3], s[2:3], 2
	s_mul_hi_u32 s7, s15, s20
	s_add_u32 s2, s4, s2
	s_addc_u32 s3, s5, s3
	s_add_i32 s5, s7, s6
	s_mul_i32 s4, s15, s20
	s_delay_alu instid0(SALU_CYCLE_1) | instskip(NEXT) | instid1(SALU_CYCLE_1)
	s_lshl_b64 s[4:5], s[4:5], 2
	s_add_u32 s4, s18, s4
	s_addc_u32 s5, s19, s5
	s_load_b32 s26, s[2:3], 0x0
	s_load_b32 s14, s[4:5], 0x0
	s_waitcnt lgkmcnt(0)
	v_cmp_eq_f32_e64 s2, s26, 0
	v_cmp_eq_f32_e64 s3, s14, 1.0
	s_delay_alu instid0(VALU_DEP_1) | instskip(NEXT) | instid1(SALU_CYCLE_1)
	s_and_b32 s2, s2, s3
	s_and_b32 vcc_lo, exec_lo, s2
	s_cbranch_vccnz .LBB554_70
; %bb.1:
	s_clause 0x3
	s_load_b64 s[2:3], s[0:1], 0x80
	s_load_b32 s12, s[0:1], 0x78
	s_load_b64 s[20:21], s[0:1], 0x70
	s_load_b64 s[18:19], s[0:1], 0x0
	v_cmp_neq_f32_e64 s4, s26, 0
	s_delay_alu instid0(VALU_DEP_1)
	s_and_b32 vcc_lo, exec_lo, s4
	s_waitcnt lgkmcnt(0)
	s_mul_i32 s3, s15, s3
	s_mul_hi_u32 s4, s15, s2
	s_mul_i32 s24, s15, s2
	s_add_i32 s25, s4, s3
	s_cbranch_vccnz .LBB554_9
; %bb.2:
	s_cmp_gt_i32 s19, 0
	v_cmp_neq_f32_e64 s2, s14, 0
	s_cselect_b32 s4, -1, 0
	s_delay_alu instid0(SALU_CYCLE_1) | instskip(NEXT) | instid1(VALU_DEP_2)
	v_cndmask_b32_e64 v1, 0, 1, s4
	s_and_b32 vcc_lo, exec_lo, s2
	s_delay_alu instid0(VALU_DEP_1)
	v_cmp_ne_u32_e64 s2, 1, v1
	s_cbranch_vccnz .LBB554_10
; %bb.3:
	s_delay_alu instid0(VALU_DEP_1)
	s_and_b32 vcc_lo, exec_lo, s2
	s_cbranch_vccnz .LBB554_8
; %bb.4:
	v_mad_i64_i32 v[1:2], null, s12, v0, 0
	s_lshl_b64 s[6:7], s[20:21], 1
	s_ashr_i32 s13, s12, 31
	s_lshl_b64 s[2:3], s[24:25], 1
	s_add_u32 s5, s22, s6
	s_addc_u32 s6, s23, s7
	s_add_u32 s2, s5, s2
	s_delay_alu instid0(VALU_DEP_1) | instskip(SKIP_3) | instid1(VALU_DEP_2)
	v_lshlrev_b64 v[1:2], 1, v[1:2]
	s_addc_u32 s3, s6, s3
	v_mov_b32_e32 v3, 0
	s_mov_b32 s5, 0
	v_add_co_u32 v1, vcc_lo, s2, v1
	s_delay_alu instid0(VALU_DEP_3)
	v_add_co_ci_u32_e32 v2, vcc_lo, s3, v2, vcc_lo
	s_lshl_b64 s[2:3], s[12:13], 9
	s_branch .LBB554_6
.LBB554_5:                              ;   in Loop: Header=BB554_6 Depth=1
	s_or_b32 exec_lo, exec_lo, s6
	v_add_co_u32 v1, vcc_lo, v1, s2
	v_add_co_ci_u32_e32 v2, vcc_lo, s3, v2, vcc_lo
	s_addk_i32 s5, 0x100
	s_delay_alu instid0(SALU_CYCLE_1)
	s_cmp_ge_i32 s5, s19
	s_cbranch_scc1 .LBB554_8
.LBB554_6:                              ; =>This Inner Loop Header: Depth=1
	v_add_nc_u32_e32 v4, s5, v0
	s_mov_b32 s6, exec_lo
	s_delay_alu instid0(VALU_DEP_1)
	v_cmpx_gt_i32_e64 s19, v4
	s_cbranch_execz .LBB554_5
; %bb.7:                                ;   in Loop: Header=BB554_6 Depth=1
	global_store_b16 v[1:2], v3, off
	s_branch .LBB554_5
.LBB554_8:
	s_cbranch_execz .LBB554_11
	s_branch .LBB554_20
.LBB554_9:
	s_branch .LBB554_21
.LBB554_10:
.LBB554_11:
	s_and_not1_b32 vcc_lo, exec_lo, s4
	s_cbranch_vccnz .LBB554_20
; %bb.12:
	v_mad_i64_i32 v[1:2], null, s12, v0, 0
	s_lshl_b64 s[4:5], s[20:21], 1
	s_ashr_i32 s13, s12, 31
	s_lshl_b64 s[2:3], s[24:25], 1
	s_add_u32 s4, s22, s4
	s_addc_u32 s5, s23, s5
	s_add_u32 s2, s4, s2
	s_delay_alu instid0(VALU_DEP_1) | instskip(SKIP_2) | instid1(VALU_DEP_1)
	v_lshlrev_b64 v[1:2], 1, v[1:2]
	s_addc_u32 s3, s5, s3
	s_mov_b32 s4, 0
	v_add_co_u32 v1, vcc_lo, s2, v1
	s_delay_alu instid0(VALU_DEP_2)
	v_add_co_ci_u32_e32 v2, vcc_lo, s3, v2, vcc_lo
	s_lshl_b64 s[2:3], s[12:13], 9
	s_set_inst_prefetch_distance 0x1
	s_branch .LBB554_15
	.p2align	6
.LBB554_13:                             ;   in Loop: Header=BB554_15 Depth=1
	s_or_b32 exec_lo, exec_lo, s6
	global_store_d16_hi_b16 v[1:2], v4, off
.LBB554_14:                             ;   in Loop: Header=BB554_15 Depth=1
	s_or_b32 exec_lo, exec_lo, s5
	v_add_co_u32 v1, vcc_lo, v1, s2
	v_add_co_ci_u32_e32 v2, vcc_lo, s3, v2, vcc_lo
	s_addk_i32 s4, 0x100
	s_delay_alu instid0(SALU_CYCLE_1)
	s_cmp_ge_i32 s4, s19
	s_cbranch_scc1 .LBB554_20
.LBB554_15:                             ; =>This Inner Loop Header: Depth=1
	v_add_nc_u32_e32 v3, s4, v0
	s_mov_b32 s5, exec_lo
	s_delay_alu instid0(VALU_DEP_1)
	v_cmpx_gt_i32_e64 s19, v3
	s_cbranch_execz .LBB554_14
; %bb.16:                               ;   in Loop: Header=BB554_15 Depth=1
	global_load_u16 v3, v[1:2], off
	s_waitcnt vmcnt(0)
	v_lshlrev_b32_e32 v3, 16, v3
	s_delay_alu instid0(VALU_DEP_1) | instskip(NEXT) | instid1(VALU_DEP_1)
	v_mul_f32_e32 v3, s14, v3
	v_and_b32_e32 v4, 0x7f800000, v3
	s_delay_alu instid0(VALU_DEP_1) | instskip(SKIP_1) | instid1(SALU_CYCLE_1)
	v_cmp_ne_u32_e32 vcc_lo, 0x7f800000, v4
                                        ; implicit-def: $vgpr4
	s_and_saveexec_b32 s6, vcc_lo
	s_xor_b32 s6, exec_lo, s6
; %bb.17:                               ;   in Loop: Header=BB554_15 Depth=1
	v_bfe_u32 v4, v3, 16, 1
	s_delay_alu instid0(VALU_DEP_1)
	v_add3_u32 v4, v3, v4, 0x7fff
                                        ; implicit-def: $vgpr3
; %bb.18:                               ;   in Loop: Header=BB554_15 Depth=1
	s_and_not1_saveexec_b32 s6, s6
	s_cbranch_execz .LBB554_13
; %bb.19:                               ;   in Loop: Header=BB554_15 Depth=1
	v_and_b32_e32 v4, 0xffff, v3
	v_or_b32_e32 v5, 0x10000, v3
	s_delay_alu instid0(VALU_DEP_2) | instskip(NEXT) | instid1(VALU_DEP_2)
	v_cmp_eq_u32_e32 vcc_lo, 0, v4
	v_cndmask_b32_e32 v4, v5, v3, vcc_lo
	s_branch .LBB554_13
.LBB554_20:
	s_set_inst_prefetch_distance 0x2
	s_cbranch_execnz .LBB554_70
.LBB554_21:
	s_clause 0x1
	s_load_b128 s[4:7], s[0:1], 0x30
	s_load_b64 s[2:3], s[0:1], 0x40
	s_mov_b32 s13, exec_lo
	v_cmpx_gt_i32_e64 s18, v0
	s_cbranch_execz .LBB554_27
; %bb.22:
	s_load_b32 s27, s[0:1], 0x48
	s_mul_i32 s17, s15, s17
	s_mul_hi_u32 s28, s15, s16
	s_mul_i32 s16, s15, s16
	s_add_i32 s17, s28, s17
	s_delay_alu instid0(SALU_CYCLE_1) | instskip(SKIP_4) | instid1(SALU_CYCLE_1)
	s_lshl_b64 s[16:17], s[16:17], 1
	s_waitcnt lgkmcnt(0)
	s_add_u32 s6, s6, s16
	s_addc_u32 s7, s7, s17
	s_lshl_b64 s[2:3], s[2:3], 1
	s_add_u32 s2, s6, s2
	s_addc_u32 s3, s7, s3
	v_mad_i64_i32 v[1:2], null, s27, v0, 0
	s_delay_alu instid0(VALU_DEP_1) | instskip(NEXT) | instid1(VALU_DEP_1)
	v_lshlrev_b64 v[1:2], 1, v[1:2]
	v_add_co_u32 v1, vcc_lo, s2, v1
	s_delay_alu instid0(VALU_DEP_2) | instskip(SKIP_3) | instid1(VALU_DEP_1)
	v_add_co_ci_u32_e32 v2, vcc_lo, s3, v2, vcc_lo
	global_load_u16 v1, v[1:2], off
	s_waitcnt vmcnt(0)
	v_lshlrev_b32_e32 v1, 16, v1
	v_mul_f32_e32 v1, s26, v1
	s_delay_alu instid0(VALU_DEP_1) | instskip(NEXT) | instid1(VALU_DEP_1)
	v_and_b32_e32 v2, 0x7f800000, v1
	v_cmp_ne_u32_e32 vcc_lo, 0x7f800000, v2
                                        ; implicit-def: $vgpr2
	s_and_saveexec_b32 s2, vcc_lo
	s_delay_alu instid0(SALU_CYCLE_1)
	s_xor_b32 s2, exec_lo, s2
; %bb.23:
	v_bfe_u32 v2, v1, 16, 1
	s_delay_alu instid0(VALU_DEP_1)
	v_add3_u32 v2, v1, v2, 0x7fff
                                        ; implicit-def: $vgpr1
; %bb.24:
	s_and_not1_saveexec_b32 s2, s2
; %bb.25:
	v_and_b32_e32 v2, 0xffff, v1
	v_or_b32_e32 v3, 0x10000, v1
	s_delay_alu instid0(VALU_DEP_2) | instskip(NEXT) | instid1(VALU_DEP_2)
	v_cmp_eq_u32_e32 vcc_lo, 0, v2
	v_cndmask_b32_e32 v2, v3, v1, vcc_lo
; %bb.26:
	s_or_b32 exec_lo, exec_lo, s2
	s_delay_alu instid0(VALU_DEP_1)
	v_and_b32_e32 v1, 0xffff0000, v2
	v_lshlrev_b32_e32 v2, 2, v0
	ds_store_b32 v2, v1
.LBB554_27:
	s_or_b32 exec_lo, exec_lo, s13
	s_cmp_lt_i32 s19, 1
	s_waitcnt lgkmcnt(0)
	s_waitcnt_vscnt null, 0x0
	s_barrier
	buffer_gl0_inv
	s_cbranch_scc1 .LBB554_70
; %bb.28:
	s_load_b32 s0, s[0:1], 0x28
	s_lshl_b64 s[2:3], s[24:25], 1
	s_mul_i32 s17, s5, s15
	s_add_u32 s1, s22, s2
	s_mul_hi_u32 s25, s4, s15
	s_mul_i32 s24, s4, s15
	s_addc_u32 s6, s23, s3
	s_lshl_b64 s[4:5], s[20:21], 1
	v_cmp_neq_f32_e64 s2, s14, 0
	s_add_u32 s3, s1, s4
	s_addc_u32 s4, s6, s5
	s_ashr_i32 s5, s12, 31
	s_waitcnt lgkmcnt(0)
	s_ashr_i32 s1, s0, 31
	s_cmp_gt_i32 s18, 0
	v_mad_i64_i32 v[1:2], null, s0, v0, 0
	s_cselect_b32 s6, -1, 0
	s_and_b32 s7, s18, 3
	s_cmp_gt_u32 s18, 3
	s_cselect_b32 s13, -1, 0
	s_and_b32 s15, s18, 0x7ffffffc
	s_cmp_lg_u32 s7, 0
	s_delay_alu instid0(VALU_DEP_1)
	v_lshlrev_b64 v[1:2], 1, v[1:2]
	s_cselect_b32 s16, -1, 0
	s_add_i32 s25, s25, s17
	s_lshl_b64 s[10:11], s[10:11], 1
	s_lshl_b64 s[20:21], s[24:25], 1
	s_add_u32 s8, s8, s10
	s_addc_u32 s9, s9, s11
	s_add_u32 s8, s8, s20
	s_addc_u32 s9, s9, s21
	v_add_co_u32 v7, vcc_lo, s8, v1
	v_add_co_ci_u32_e32 v8, vcc_lo, s9, v2, vcc_lo
	s_mov_b32 s8, 0
	s_delay_alu instid0(VALU_DEP_2) | instskip(NEXT) | instid1(VALU_DEP_2)
	v_add_co_u32 v1, vcc_lo, v7, 4
	v_add_co_ci_u32_e32 v2, vcc_lo, 0, v8, vcc_lo
	s_lshl_b64 s[0:1], s[0:1], 9
	s_branch .LBB554_31
.LBB554_29:                             ;   in Loop: Header=BB554_31 Depth=1
	s_or_b32 exec_lo, exec_lo, s10
	v_add_co_u32 v3, vcc_lo, s3, v3
	v_add_co_ci_u32_e32 v4, vcc_lo, s4, v4, vcc_lo
	global_store_d16_hi_b16 v[3:4], v5, off
.LBB554_30:                             ;   in Loop: Header=BB554_31 Depth=1
	s_or_b32 exec_lo, exec_lo, s9
	v_add_co_u32 v1, vcc_lo, v1, s0
	v_add_co_ci_u32_e32 v2, vcc_lo, s1, v2, vcc_lo
	v_add_co_u32 v7, vcc_lo, v7, s0
	v_add_co_ci_u32_e32 v8, vcc_lo, s1, v8, vcc_lo
	s_addk_i32 s8, 0x100
	s_delay_alu instid0(SALU_CYCLE_1)
	s_cmp_ge_i32 s8, s19
	s_cbranch_scc1 .LBB554_70
.LBB554_31:                             ; =>This Loop Header: Depth=1
                                        ;     Child Loop BB554_42 Depth 2
                                        ;     Child Loop BB554_62 Depth 2
	v_add_nc_u32_e32 v3, s8, v0
	s_mov_b32 s9, exec_lo
	s_delay_alu instid0(VALU_DEP_1)
	v_cmpx_gt_i32_e64 s19, v3
	s_cbranch_execz .LBB554_30
; %bb.32:                               ;   in Loop: Header=BB554_31 Depth=1
	v_mad_u64_u32 v[4:5], null, v3, s12, 0
	s_and_not1_b32 vcc_lo, exec_lo, s2
	s_delay_alu instid0(VALU_DEP_1) | instskip(NEXT) | instid1(VALU_DEP_1)
	v_mad_u64_u32 v[9:10], null, v3, s5, v[5:6]
	v_mov_b32_e32 v5, v9
	s_delay_alu instid0(VALU_DEP_1)
	v_lshlrev_b64 v[3:4], 1, v[4:5]
	s_cbranch_vccnz .LBB554_38
; %bb.33:                               ;   in Loop: Header=BB554_31 Depth=1
	s_delay_alu instid0(VALU_DEP_1) | instskip(NEXT) | instid1(VALU_DEP_2)
	v_add_co_u32 v5, vcc_lo, s3, v3
	v_add_co_ci_u32_e32 v6, vcc_lo, s4, v4, vcc_lo
	global_load_u16 v5, v[5:6], off
	s_waitcnt vmcnt(0)
	v_lshlrev_b32_e32 v5, 16, v5
	s_delay_alu instid0(VALU_DEP_1) | instskip(NEXT) | instid1(VALU_DEP_1)
	v_mul_f32_e32 v5, s14, v5
	v_and_b32_e32 v6, 0x7f800000, v5
	s_delay_alu instid0(VALU_DEP_1) | instskip(SKIP_1) | instid1(SALU_CYCLE_1)
	v_cmp_ne_u32_e32 vcc_lo, 0x7f800000, v6
                                        ; implicit-def: $vgpr6
	s_and_saveexec_b32 s10, vcc_lo
	s_xor_b32 s10, exec_lo, s10
; %bb.34:                               ;   in Loop: Header=BB554_31 Depth=1
	v_bfe_u32 v6, v5, 16, 1
	s_delay_alu instid0(VALU_DEP_1)
	v_add3_u32 v6, v5, v6, 0x7fff
                                        ; implicit-def: $vgpr5
; %bb.35:                               ;   in Loop: Header=BB554_31 Depth=1
	s_and_not1_saveexec_b32 s10, s10
; %bb.36:                               ;   in Loop: Header=BB554_31 Depth=1
	v_and_b32_e32 v6, 0xffff, v5
	v_or_b32_e32 v9, 0x10000, v5
	s_delay_alu instid0(VALU_DEP_2) | instskip(NEXT) | instid1(VALU_DEP_2)
	v_cmp_eq_u32_e32 vcc_lo, 0, v6
	v_cndmask_b32_e32 v6, v9, v5, vcc_lo
; %bb.37:                               ;   in Loop: Header=BB554_31 Depth=1
	s_or_b32 exec_lo, exec_lo, s10
	s_delay_alu instid0(VALU_DEP_1) | instskip(NEXT) | instid1(VALU_DEP_1)
	v_and_b32_e32 v5, 0xffff0000, v6
	v_cvt_i32_f32_e32 v5, v5
	s_delay_alu instid0(VALU_DEP_1)
	v_cvt_f32_i32_e32 v9, v5
	s_and_not1_b32 vcc_lo, exec_lo, s6
	s_cbranch_vccz .LBB554_39
	s_branch .LBB554_66
.LBB554_38:                             ;   in Loop: Header=BB554_31 Depth=1
	v_mov_b32_e32 v5, 0
	s_delay_alu instid0(VALU_DEP_1)
	v_cvt_f32_i32_e32 v9, v5
	s_and_not1_b32 vcc_lo, exec_lo, s6
	s_cbranch_vccnz .LBB554_66
.LBB554_39:                             ;   in Loop: Header=BB554_31 Depth=1
	s_and_not1_b32 vcc_lo, exec_lo, s13
	s_cbranch_vccnz .LBB554_58
; %bb.40:                               ;   in Loop: Header=BB554_31 Depth=1
	v_dual_mov_b32 v6, v2 :: v_dual_mov_b32 v5, v1
	s_mov_b32 s10, 0
	s_mov_b32 s11, 0
	s_branch .LBB554_42
.LBB554_41:                             ;   in Loop: Header=BB554_42 Depth=2
	s_or_b32 exec_lo, exec_lo, s17
	v_and_b32_e32 v11, 0xffff0000, v11
	v_and_b32_e32 v10, 0xffff0000, v10
	v_add_co_u32 v5, vcc_lo, v5, 8
	v_add_co_ci_u32_e32 v6, vcc_lo, 0, v6, vcc_lo
	s_delay_alu instid0(VALU_DEP_3) | instskip(SKIP_3) | instid1(VALU_DEP_1)
	v_dual_add_f32 v9, v9, v10 :: v_dual_and_b32 v10, 0xffff0000, v12
	s_add_i32 s11, s11, 4
	s_add_i32 s10, s10, 16
	s_cmp_eq_u32 s15, s11
	v_add_f32_e32 v9, v9, v11
	v_and_b32_e32 v11, 0xffff0000, v13
	s_delay_alu instid0(VALU_DEP_2) | instskip(NEXT) | instid1(VALU_DEP_1)
	v_add_f32_e32 v9, v9, v10
	v_add_f32_e32 v9, v9, v11
	s_cbranch_scc1 .LBB554_59
.LBB554_42:                             ;   Parent Loop BB554_31 Depth=1
                                        ; =>  This Inner Loop Header: Depth=2
	global_load_u16 v10, v[5:6], off offset:-4
	s_waitcnt vmcnt(0)
	v_dual_mov_b32 v11, s10 :: v_dual_lshlrev_b32 v10, 16, v10
	ds_load_b32 v11, v11
	s_waitcnt lgkmcnt(0)
	v_mul_f32_e32 v11, v11, v10
	s_delay_alu instid0(VALU_DEP_1) | instskip(NEXT) | instid1(VALU_DEP_1)
	v_and_b32_e32 v10, 0x7f800000, v11
	v_cmp_ne_u32_e32 vcc_lo, 0x7f800000, v10
                                        ; implicit-def: $vgpr10
	s_and_saveexec_b32 s17, vcc_lo
	s_delay_alu instid0(SALU_CYCLE_1)
	s_xor_b32 s17, exec_lo, s17
; %bb.43:                               ;   in Loop: Header=BB554_42 Depth=2
	v_bfe_u32 v10, v11, 16, 1
	s_delay_alu instid0(VALU_DEP_1)
	v_add3_u32 v10, v11, v10, 0x7fff
                                        ; implicit-def: $vgpr11
; %bb.44:                               ;   in Loop: Header=BB554_42 Depth=2
	s_and_not1_saveexec_b32 s17, s17
; %bb.45:                               ;   in Loop: Header=BB554_42 Depth=2
	v_and_b32_e32 v10, 0xffff, v11
	v_or_b32_e32 v12, 0x10000, v11
	s_delay_alu instid0(VALU_DEP_2) | instskip(NEXT) | instid1(VALU_DEP_2)
	v_cmp_eq_u32_e32 vcc_lo, 0, v10
	v_cndmask_b32_e32 v10, v12, v11, vcc_lo
; %bb.46:                               ;   in Loop: Header=BB554_42 Depth=2
	s_or_b32 exec_lo, exec_lo, s17
	global_load_u16 v11, v[5:6], off offset:-2
	s_waitcnt vmcnt(0)
	v_dual_mov_b32 v12, s10 :: v_dual_lshlrev_b32 v11, 16, v11
	ds_load_b32 v12, v12 offset:4
	s_waitcnt lgkmcnt(0)
	v_mul_f32_e32 v12, v12, v11
	s_delay_alu instid0(VALU_DEP_1) | instskip(NEXT) | instid1(VALU_DEP_1)
	v_and_b32_e32 v11, 0x7f800000, v12
	v_cmp_ne_u32_e32 vcc_lo, 0x7f800000, v11
                                        ; implicit-def: $vgpr11
	s_and_saveexec_b32 s17, vcc_lo
	s_delay_alu instid0(SALU_CYCLE_1)
	s_xor_b32 s17, exec_lo, s17
; %bb.47:                               ;   in Loop: Header=BB554_42 Depth=2
	v_bfe_u32 v11, v12, 16, 1
	s_delay_alu instid0(VALU_DEP_1)
	v_add3_u32 v11, v12, v11, 0x7fff
                                        ; implicit-def: $vgpr12
; %bb.48:                               ;   in Loop: Header=BB554_42 Depth=2
	s_and_not1_saveexec_b32 s17, s17
; %bb.49:                               ;   in Loop: Header=BB554_42 Depth=2
	v_and_b32_e32 v11, 0xffff, v12
	v_or_b32_e32 v13, 0x10000, v12
	s_delay_alu instid0(VALU_DEP_2) | instskip(NEXT) | instid1(VALU_DEP_2)
	v_cmp_eq_u32_e32 vcc_lo, 0, v11
	v_cndmask_b32_e32 v11, v13, v12, vcc_lo
; %bb.50:                               ;   in Loop: Header=BB554_42 Depth=2
	s_or_b32 exec_lo, exec_lo, s17
	global_load_u16 v12, v[5:6], off
	s_waitcnt vmcnt(0)
	v_dual_mov_b32 v13, s10 :: v_dual_lshlrev_b32 v12, 16, v12
	ds_load_b32 v13, v13 offset:8
	s_waitcnt lgkmcnt(0)
	v_mul_f32_e32 v13, v13, v12
	s_delay_alu instid0(VALU_DEP_1) | instskip(NEXT) | instid1(VALU_DEP_1)
	v_and_b32_e32 v12, 0x7f800000, v13
	v_cmp_ne_u32_e32 vcc_lo, 0x7f800000, v12
                                        ; implicit-def: $vgpr12
	s_and_saveexec_b32 s17, vcc_lo
	s_delay_alu instid0(SALU_CYCLE_1)
	s_xor_b32 s17, exec_lo, s17
; %bb.51:                               ;   in Loop: Header=BB554_42 Depth=2
	v_bfe_u32 v12, v13, 16, 1
	s_delay_alu instid0(VALU_DEP_1)
	v_add3_u32 v12, v13, v12, 0x7fff
                                        ; implicit-def: $vgpr13
; %bb.52:                               ;   in Loop: Header=BB554_42 Depth=2
	s_and_not1_saveexec_b32 s17, s17
; %bb.53:                               ;   in Loop: Header=BB554_42 Depth=2
	v_and_b32_e32 v12, 0xffff, v13
	v_or_b32_e32 v14, 0x10000, v13
	s_delay_alu instid0(VALU_DEP_2) | instskip(NEXT) | instid1(VALU_DEP_2)
	v_cmp_eq_u32_e32 vcc_lo, 0, v12
	v_cndmask_b32_e32 v12, v14, v13, vcc_lo
; %bb.54:                               ;   in Loop: Header=BB554_42 Depth=2
	s_or_b32 exec_lo, exec_lo, s17
	global_load_u16 v13, v[5:6], off offset:2
	s_waitcnt vmcnt(0)
	v_dual_mov_b32 v14, s10 :: v_dual_lshlrev_b32 v13, 16, v13
	ds_load_b32 v14, v14 offset:12
	s_waitcnt lgkmcnt(0)
	v_mul_f32_e32 v14, v14, v13
	s_delay_alu instid0(VALU_DEP_1) | instskip(NEXT) | instid1(VALU_DEP_1)
	v_and_b32_e32 v13, 0x7f800000, v14
	v_cmp_ne_u32_e32 vcc_lo, 0x7f800000, v13
                                        ; implicit-def: $vgpr13
	s_and_saveexec_b32 s17, vcc_lo
	s_delay_alu instid0(SALU_CYCLE_1)
	s_xor_b32 s17, exec_lo, s17
; %bb.55:                               ;   in Loop: Header=BB554_42 Depth=2
	v_bfe_u32 v13, v14, 16, 1
	s_delay_alu instid0(VALU_DEP_1)
	v_add3_u32 v13, v14, v13, 0x7fff
                                        ; implicit-def: $vgpr14
; %bb.56:                               ;   in Loop: Header=BB554_42 Depth=2
	s_and_not1_saveexec_b32 s17, s17
	s_cbranch_execz .LBB554_41
; %bb.57:                               ;   in Loop: Header=BB554_42 Depth=2
	v_and_b32_e32 v13, 0xffff, v14
	v_or_b32_e32 v15, 0x10000, v14
	s_delay_alu instid0(VALU_DEP_2) | instskip(NEXT) | instid1(VALU_DEP_2)
	v_cmp_eq_u32_e32 vcc_lo, 0, v13
	v_cndmask_b32_e32 v13, v15, v14, vcc_lo
	s_branch .LBB554_41
.LBB554_58:                             ;   in Loop: Header=BB554_31 Depth=1
	s_mov_b32 s10, 0
	s_and_not1_b32 vcc_lo, exec_lo, s16
	s_cbranch_vccz .LBB554_60
	s_branch .LBB554_66
.LBB554_59:                             ;   in Loop: Header=BB554_31 Depth=1
	s_mov_b32 s10, s15
	s_and_not1_b32 vcc_lo, exec_lo, s16
	s_cbranch_vccnz .LBB554_66
.LBB554_60:                             ;   in Loop: Header=BB554_31 Depth=1
	s_lshl_b32 s11, s10, 1
	s_lshl_b32 s10, s10, 2
	v_add_co_u32 v5, vcc_lo, v7, s11
	v_add_co_ci_u32_e32 v6, vcc_lo, 0, v8, vcc_lo
	s_mov_b32 s11, s7
	s_set_inst_prefetch_distance 0x1
	s_branch .LBB554_62
	.p2align	6
.LBB554_61:                             ;   in Loop: Header=BB554_62 Depth=2
	s_or_b32 exec_lo, exec_lo, s17
	s_delay_alu instid0(VALU_DEP_1) | instskip(SKIP_2) | instid1(VALU_DEP_3)
	v_and_b32_e32 v10, 0xffff0000, v11
	v_add_co_u32 v5, vcc_lo, v5, 2
	v_add_co_ci_u32_e32 v6, vcc_lo, 0, v6, vcc_lo
	v_add_f32_e32 v9, v9, v10
	s_add_i32 s11, s11, -1
	s_add_i32 s10, s10, 4
	s_cmp_lg_u32 s11, 0
	s_cbranch_scc0 .LBB554_66
.LBB554_62:                             ;   Parent Loop BB554_31 Depth=1
                                        ; =>  This Inner Loop Header: Depth=2
	global_load_u16 v10, v[5:6], off
	s_waitcnt vmcnt(0)
	v_dual_mov_b32 v11, s10 :: v_dual_lshlrev_b32 v10, 16, v10
	ds_load_b32 v11, v11
	s_waitcnt lgkmcnt(0)
	v_mul_f32_e32 v10, v11, v10
	s_delay_alu instid0(VALU_DEP_1) | instskip(NEXT) | instid1(VALU_DEP_1)
	v_and_b32_e32 v11, 0x7f800000, v10
	v_cmp_ne_u32_e32 vcc_lo, 0x7f800000, v11
                                        ; implicit-def: $vgpr11
	s_and_saveexec_b32 s17, vcc_lo
	s_delay_alu instid0(SALU_CYCLE_1)
	s_xor_b32 s17, exec_lo, s17
; %bb.63:                               ;   in Loop: Header=BB554_62 Depth=2
	v_bfe_u32 v11, v10, 16, 1
	s_delay_alu instid0(VALU_DEP_1)
	v_add3_u32 v11, v10, v11, 0x7fff
                                        ; implicit-def: $vgpr10
; %bb.64:                               ;   in Loop: Header=BB554_62 Depth=2
	s_and_not1_saveexec_b32 s17, s17
	s_cbranch_execz .LBB554_61
; %bb.65:                               ;   in Loop: Header=BB554_62 Depth=2
	v_and_b32_e32 v11, 0xffff, v10
	v_or_b32_e32 v12, 0x10000, v10
	s_delay_alu instid0(VALU_DEP_2) | instskip(NEXT) | instid1(VALU_DEP_2)
	v_cmp_eq_u32_e32 vcc_lo, 0, v11
	v_cndmask_b32_e32 v11, v12, v10, vcc_lo
	s_branch .LBB554_61
.LBB554_66:                             ;   in Loop: Header=BB554_31 Depth=1
	s_set_inst_prefetch_distance 0x2
	s_delay_alu instid0(VALU_DEP_1) | instskip(NEXT) | instid1(VALU_DEP_1)
	v_and_b32_e32 v5, 0x7f800000, v9
	v_cmp_ne_u32_e32 vcc_lo, 0x7f800000, v5
                                        ; implicit-def: $vgpr5
	s_and_saveexec_b32 s10, vcc_lo
	s_delay_alu instid0(SALU_CYCLE_1)
	s_xor_b32 s10, exec_lo, s10
; %bb.67:                               ;   in Loop: Header=BB554_31 Depth=1
	v_bfe_u32 v5, v9, 16, 1
	s_delay_alu instid0(VALU_DEP_1)
	v_add3_u32 v5, v9, v5, 0x7fff
                                        ; implicit-def: $vgpr9
; %bb.68:                               ;   in Loop: Header=BB554_31 Depth=1
	s_and_not1_saveexec_b32 s10, s10
	s_cbranch_execz .LBB554_29
; %bb.69:                               ;   in Loop: Header=BB554_31 Depth=1
	v_and_b32_e32 v5, 0xffff, v9
	v_or_b32_e32 v6, 0x10000, v9
	s_delay_alu instid0(VALU_DEP_2) | instskip(NEXT) | instid1(VALU_DEP_2)
	v_cmp_eq_u32_e32 vcc_lo, 0, v5
	v_cndmask_b32_e32 v5, v6, v9, vcc_lo
	s_branch .LBB554_29
.LBB554_70:
	s_nop 0
	s_sendmsg sendmsg(MSG_DEALLOC_VGPRS)
	s_endpgm
	.section	.rodata,"a",@progbits
	.p2align	6, 0x0
	.amdhsa_kernel _ZL22rocblas_gemvtsm_kernelILb0ELi256E16rocblas_bfloat16PKfS0_EviiT2_lPKT1_lilS6_lilS3_lPT3_lil
		.amdhsa_group_segment_fixed_size 256
		.amdhsa_private_segment_fixed_size 0
		.amdhsa_kernarg_size 136
		.amdhsa_user_sgpr_count 15
		.amdhsa_user_sgpr_dispatch_ptr 0
		.amdhsa_user_sgpr_queue_ptr 0
		.amdhsa_user_sgpr_kernarg_segment_ptr 1
		.amdhsa_user_sgpr_dispatch_id 0
		.amdhsa_user_sgpr_private_segment_size 0
		.amdhsa_wavefront_size32 1
		.amdhsa_uses_dynamic_stack 0
		.amdhsa_enable_private_segment 0
		.amdhsa_system_sgpr_workgroup_id_x 1
		.amdhsa_system_sgpr_workgroup_id_y 0
		.amdhsa_system_sgpr_workgroup_id_z 0
		.amdhsa_system_sgpr_workgroup_info 0
		.amdhsa_system_vgpr_workitem_id 0
		.amdhsa_next_free_vgpr 16
		.amdhsa_next_free_sgpr 29
		.amdhsa_reserve_vcc 1
		.amdhsa_float_round_mode_32 0
		.amdhsa_float_round_mode_16_64 0
		.amdhsa_float_denorm_mode_32 3
		.amdhsa_float_denorm_mode_16_64 3
		.amdhsa_dx10_clamp 1
		.amdhsa_ieee_mode 1
		.amdhsa_fp16_overflow 0
		.amdhsa_workgroup_processor_mode 1
		.amdhsa_memory_ordered 1
		.amdhsa_forward_progress 0
		.amdhsa_shared_vgpr_count 0
		.amdhsa_exception_fp_ieee_invalid_op 0
		.amdhsa_exception_fp_denorm_src 0
		.amdhsa_exception_fp_ieee_div_zero 0
		.amdhsa_exception_fp_ieee_overflow 0
		.amdhsa_exception_fp_ieee_underflow 0
		.amdhsa_exception_fp_ieee_inexact 0
		.amdhsa_exception_int_div_zero 0
	.end_amdhsa_kernel
	.section	.text._ZL22rocblas_gemvtsm_kernelILb0ELi256E16rocblas_bfloat16PKfS0_EviiT2_lPKT1_lilS6_lilS3_lPT3_lil,"axG",@progbits,_ZL22rocblas_gemvtsm_kernelILb0ELi256E16rocblas_bfloat16PKfS0_EviiT2_lPKT1_lilS6_lilS3_lPT3_lil,comdat
.Lfunc_end554:
	.size	_ZL22rocblas_gemvtsm_kernelILb0ELi256E16rocblas_bfloat16PKfS0_EviiT2_lPKT1_lilS6_lilS3_lPT3_lil, .Lfunc_end554-_ZL22rocblas_gemvtsm_kernelILb0ELi256E16rocblas_bfloat16PKfS0_EviiT2_lPKT1_lilS6_lilS3_lPT3_lil
                                        ; -- End function
	.section	.AMDGPU.csdata,"",@progbits
; Kernel info:
; codeLenInByte = 2500
; NumSgprs: 31
; NumVgprs: 16
; ScratchSize: 0
; MemoryBound: 0
; FloatMode: 240
; IeeeMode: 1
; LDSByteSize: 256 bytes/workgroup (compile time only)
; SGPRBlocks: 3
; VGPRBlocks: 1
; NumSGPRsForWavesPerEU: 31
; NumVGPRsForWavesPerEU: 16
; Occupancy: 16
; WaveLimiterHint : 1
; COMPUTE_PGM_RSRC2:SCRATCH_EN: 0
; COMPUTE_PGM_RSRC2:USER_SGPR: 15
; COMPUTE_PGM_RSRC2:TRAP_HANDLER: 0
; COMPUTE_PGM_RSRC2:TGID_X_EN: 1
; COMPUTE_PGM_RSRC2:TGID_Y_EN: 0
; COMPUTE_PGM_RSRC2:TGID_Z_EN: 0
; COMPUTE_PGM_RSRC2:TIDIG_COMP_CNT: 0
	.section	.text._ZL22rocblas_gemvtsm_kernelILb0ELi256E16rocblas_bfloat16fS0_EviiT2_lPKT1_lilS4_lilS1_lPT3_lil,"axG",@progbits,_ZL22rocblas_gemvtsm_kernelILb0ELi256E16rocblas_bfloat16fS0_EviiT2_lPKT1_lilS4_lilS1_lPT3_lil,comdat
	.globl	_ZL22rocblas_gemvtsm_kernelILb0ELi256E16rocblas_bfloat16fS0_EviiT2_lPKT1_lilS4_lilS1_lPT3_lil ; -- Begin function _ZL22rocblas_gemvtsm_kernelILb0ELi256E16rocblas_bfloat16fS0_EviiT2_lPKT1_lilS4_lilS1_lPT3_lil
	.p2align	8
	.type	_ZL22rocblas_gemvtsm_kernelILb0ELi256E16rocblas_bfloat16fS0_EviiT2_lPKT1_lilS4_lilS1_lPT3_lil,@function
_ZL22rocblas_gemvtsm_kernelILb0ELi256E16rocblas_bfloat16fS0_EviiT2_lPKT1_lilS4_lilS1_lPT3_lil: ; @_ZL22rocblas_gemvtsm_kernelILb0ELi256E16rocblas_bfloat16fS0_EviiT2_lPKT1_lilS4_lilS1_lPT3_lil
; %bb.0:
	s_load_b128 s[4:7], s[0:1], 0x0
	s_waitcnt lgkmcnt(0)
	s_load_b32 s7, s[0:1], 0x58
	v_cmp_eq_f32_e64 s2, s6, 0
	s_waitcnt lgkmcnt(0)
	v_cmp_eq_f32_e64 s3, s7, 1.0
	s_delay_alu instid0(VALU_DEP_1) | instskip(NEXT) | instid1(SALU_CYCLE_1)
	s_and_b32 s2, s2, s3
	s_and_b32 vcc_lo, exec_lo, s2
	s_cbranch_vccnz .LBB555_70
; %bb.1:
	s_clause 0x2
	s_load_b64 s[2:3], s[0:1], 0x80
	s_load_b128 s[8:11], s[0:1], 0x68
	s_load_b32 s12, s[0:1], 0x78
	v_cmp_neq_f32_e64 s13, s6, 0
	s_delay_alu instid0(VALU_DEP_1)
	s_and_b32 vcc_lo, exec_lo, s13
	s_waitcnt lgkmcnt(0)
	s_mul_i32 s3, s15, s3
	s_mul_hi_u32 s13, s15, s2
	s_mul_i32 s20, s15, s2
	s_add_i32 s21, s13, s3
	s_cbranch_vccnz .LBB555_9
; %bb.2:
	s_cmp_gt_i32 s5, 0
	v_cmp_neq_f32_e64 s2, s7, 0
	s_cselect_b32 s14, -1, 0
	s_delay_alu instid0(SALU_CYCLE_1) | instskip(NEXT) | instid1(VALU_DEP_2)
	v_cndmask_b32_e64 v1, 0, 1, s14
	s_and_b32 vcc_lo, exec_lo, s2
	s_delay_alu instid0(VALU_DEP_1)
	v_cmp_ne_u32_e64 s2, 1, v1
	s_cbranch_vccnz .LBB555_10
; %bb.3:
	s_delay_alu instid0(VALU_DEP_1)
	s_and_b32 vcc_lo, exec_lo, s2
	s_cbranch_vccnz .LBB555_8
; %bb.4:
	v_mad_i64_i32 v[1:2], null, s12, v0, 0
	s_lshl_b64 s[16:17], s[10:11], 1
	s_ashr_i32 s13, s12, 31
	s_lshl_b64 s[2:3], s[20:21], 1
	s_add_u32 s16, s8, s16
	s_addc_u32 s17, s9, s17
	s_add_u32 s2, s16, s2
	s_delay_alu instid0(VALU_DEP_1) | instskip(SKIP_2) | instid1(VALU_DEP_2)
	v_lshlrev_b64 v[1:2], 1, v[1:2]
	s_addc_u32 s3, s17, s3
	v_mov_b32_e32 v3, 0
	v_add_co_u32 v1, vcc_lo, s2, v1
	s_delay_alu instid0(VALU_DEP_3)
	v_add_co_ci_u32_e32 v2, vcc_lo, s3, v2, vcc_lo
	s_lshl_b64 s[2:3], s[12:13], 9
	s_mov_b32 s13, 0
	s_branch .LBB555_6
.LBB555_5:                              ;   in Loop: Header=BB555_6 Depth=1
	s_or_b32 exec_lo, exec_lo, s16
	v_add_co_u32 v1, vcc_lo, v1, s2
	v_add_co_ci_u32_e32 v2, vcc_lo, s3, v2, vcc_lo
	s_addk_i32 s13, 0x100
	s_delay_alu instid0(SALU_CYCLE_1)
	s_cmp_ge_i32 s13, s5
	s_cbranch_scc1 .LBB555_8
.LBB555_6:                              ; =>This Inner Loop Header: Depth=1
	v_add_nc_u32_e32 v4, s13, v0
	s_mov_b32 s16, exec_lo
	s_delay_alu instid0(VALU_DEP_1)
	v_cmpx_gt_i32_e64 s5, v4
	s_cbranch_execz .LBB555_5
; %bb.7:                                ;   in Loop: Header=BB555_6 Depth=1
	global_store_b16 v[1:2], v3, off
	s_branch .LBB555_5
.LBB555_8:
	s_cbranch_execz .LBB555_11
	s_branch .LBB555_20
.LBB555_9:
	s_branch .LBB555_21
.LBB555_10:
.LBB555_11:
	s_and_not1_b32 vcc_lo, exec_lo, s14
	s_cbranch_vccnz .LBB555_20
; %bb.12:
	v_mad_i64_i32 v[1:2], null, s12, v0, 0
	s_lshl_b64 s[16:17], s[10:11], 1
	s_ashr_i32 s13, s12, 31
	s_lshl_b64 s[2:3], s[20:21], 1
	s_add_u32 s14, s8, s16
	s_addc_u32 s16, s9, s17
	s_add_u32 s2, s14, s2
	s_delay_alu instid0(VALU_DEP_1) | instskip(SKIP_1) | instid1(VALU_DEP_1)
	v_lshlrev_b64 v[1:2], 1, v[1:2]
	s_addc_u32 s3, s16, s3
	v_add_co_u32 v1, vcc_lo, s2, v1
	s_delay_alu instid0(VALU_DEP_2)
	v_add_co_ci_u32_e32 v2, vcc_lo, s3, v2, vcc_lo
	s_lshl_b64 s[2:3], s[12:13], 9
	s_mov_b32 s13, 0
	s_set_inst_prefetch_distance 0x1
	s_branch .LBB555_15
	.p2align	6
.LBB555_13:                             ;   in Loop: Header=BB555_15 Depth=1
	s_or_b32 exec_lo, exec_lo, s16
	global_store_d16_hi_b16 v[1:2], v4, off
.LBB555_14:                             ;   in Loop: Header=BB555_15 Depth=1
	s_or_b32 exec_lo, exec_lo, s14
	v_add_co_u32 v1, vcc_lo, v1, s2
	v_add_co_ci_u32_e32 v2, vcc_lo, s3, v2, vcc_lo
	s_addk_i32 s13, 0x100
	s_delay_alu instid0(SALU_CYCLE_1)
	s_cmp_ge_i32 s13, s5
	s_cbranch_scc1 .LBB555_20
.LBB555_15:                             ; =>This Inner Loop Header: Depth=1
	v_add_nc_u32_e32 v3, s13, v0
	s_mov_b32 s14, exec_lo
	s_delay_alu instid0(VALU_DEP_1)
	v_cmpx_gt_i32_e64 s5, v3
	s_cbranch_execz .LBB555_14
; %bb.16:                               ;   in Loop: Header=BB555_15 Depth=1
	global_load_u16 v3, v[1:2], off
	s_waitcnt vmcnt(0)
	v_lshlrev_b32_e32 v3, 16, v3
	s_delay_alu instid0(VALU_DEP_1) | instskip(NEXT) | instid1(VALU_DEP_1)
	v_mul_f32_e32 v3, s7, v3
	v_and_b32_e32 v4, 0x7f800000, v3
	s_delay_alu instid0(VALU_DEP_1) | instskip(SKIP_1) | instid1(SALU_CYCLE_1)
	v_cmp_ne_u32_e32 vcc_lo, 0x7f800000, v4
                                        ; implicit-def: $vgpr4
	s_and_saveexec_b32 s16, vcc_lo
	s_xor_b32 s16, exec_lo, s16
; %bb.17:                               ;   in Loop: Header=BB555_15 Depth=1
	v_bfe_u32 v4, v3, 16, 1
	s_delay_alu instid0(VALU_DEP_1)
	v_add3_u32 v4, v3, v4, 0x7fff
                                        ; implicit-def: $vgpr3
; %bb.18:                               ;   in Loop: Header=BB555_15 Depth=1
	s_and_not1_saveexec_b32 s16, s16
	s_cbranch_execz .LBB555_13
; %bb.19:                               ;   in Loop: Header=BB555_15 Depth=1
	v_and_b32_e32 v4, 0xffff, v3
	v_or_b32_e32 v5, 0x10000, v3
	s_delay_alu instid0(VALU_DEP_2) | instskip(NEXT) | instid1(VALU_DEP_2)
	v_cmp_eq_u32_e32 vcc_lo, 0, v4
	v_cndmask_b32_e32 v4, v5, v3, vcc_lo
	s_branch .LBB555_13
.LBB555_20:
	s_set_inst_prefetch_distance 0x2
	s_cbranch_execnz .LBB555_70
.LBB555_21:
	s_clause 0x1
	s_load_b128 s[16:19], s[0:1], 0x30
	s_load_b64 s[2:3], s[0:1], 0x40
	s_mov_b32 s13, exec_lo
	v_cmpx_gt_i32_e64 s4, v0
	s_cbranch_execz .LBB555_27
; %bb.22:
	s_clause 0x1
	s_load_b64 s[22:23], s[0:1], 0x50
	s_load_b32 s14, s[0:1], 0x48
	s_waitcnt lgkmcnt(0)
	s_mul_i32 s23, s15, s23
	v_mad_i64_i32 v[1:2], null, s14, v0, 0
	s_mul_hi_u32 s24, s15, s22
	s_mul_i32 s22, s15, s22
	s_add_i32 s23, s24, s23
	s_delay_alu instid0(SALU_CYCLE_1) | instskip(NEXT) | instid1(SALU_CYCLE_1)
	s_lshl_b64 s[22:23], s[22:23], 1
	s_add_u32 s14, s18, s22
	s_delay_alu instid0(VALU_DEP_1) | instskip(SKIP_2) | instid1(SALU_CYCLE_1)
	v_lshlrev_b64 v[1:2], 1, v[1:2]
	s_addc_u32 s18, s19, s23
	s_lshl_b64 s[2:3], s[2:3], 1
	s_add_u32 s2, s14, s2
	s_addc_u32 s3, s18, s3
	s_delay_alu instid0(VALU_DEP_1) | instskip(SKIP_4) | instid1(VALU_DEP_1)
	v_add_co_u32 v1, vcc_lo, s2, v1
	v_add_co_ci_u32_e32 v2, vcc_lo, s3, v2, vcc_lo
	global_load_u16 v1, v[1:2], off
	s_waitcnt vmcnt(0)
	v_lshlrev_b32_e32 v1, 16, v1
	v_mul_f32_e32 v1, s6, v1
	s_delay_alu instid0(VALU_DEP_1) | instskip(NEXT) | instid1(VALU_DEP_1)
	v_and_b32_e32 v2, 0x7f800000, v1
	v_cmp_ne_u32_e32 vcc_lo, 0x7f800000, v2
                                        ; implicit-def: $vgpr2
	s_and_saveexec_b32 s2, vcc_lo
	s_delay_alu instid0(SALU_CYCLE_1)
	s_xor_b32 s2, exec_lo, s2
; %bb.23:
	v_bfe_u32 v2, v1, 16, 1
	s_delay_alu instid0(VALU_DEP_1)
	v_add3_u32 v2, v1, v2, 0x7fff
                                        ; implicit-def: $vgpr1
; %bb.24:
	s_and_not1_saveexec_b32 s2, s2
; %bb.25:
	v_and_b32_e32 v2, 0xffff, v1
	v_or_b32_e32 v3, 0x10000, v1
	s_delay_alu instid0(VALU_DEP_2) | instskip(NEXT) | instid1(VALU_DEP_2)
	v_cmp_eq_u32_e32 vcc_lo, 0, v2
	v_cndmask_b32_e32 v2, v3, v1, vcc_lo
; %bb.26:
	s_or_b32 exec_lo, exec_lo, s2
	s_delay_alu instid0(VALU_DEP_1)
	v_and_b32_e32 v1, 0xffff0000, v2
	v_lshlrev_b32_e32 v2, 2, v0
	ds_store_b32 v2, v1
.LBB555_27:
	s_or_b32 exec_lo, exec_lo, s13
	s_cmp_lt_i32 s5, 1
	s_waitcnt lgkmcnt(0)
	s_waitcnt_vscnt null, 0x0
	s_barrier
	buffer_gl0_inv
	s_cbranch_scc1 .LBB555_70
; %bb.28:
	s_clause 0x1
	s_load_b32 s18, s[0:1], 0x28
	s_load_b128 s[0:3], s[0:1], 0x18
	s_lshl_b64 s[20:21], s[20:21], 1
	s_mul_i32 s17, s17, s15
	s_add_u32 s13, s8, s20
	s_addc_u32 s14, s9, s21
	s_lshl_b64 s[8:9], s[10:11], 1
	s_mul_hi_u32 s22, s16, s15
	s_add_u32 s8, s13, s8
	s_addc_u32 s9, s14, s9
	s_ashr_i32 s10, s12, 31
	s_mul_i32 s16, s16, s15
	v_cmp_neq_f32_e64 s6, s7, 0
	s_waitcnt lgkmcnt(0)
	s_ashr_i32 s19, s18, 31
	s_cmp_gt_i32 s4, 0
	v_mad_i64_i32 v[1:2], null, s18, v0, 0
	s_cselect_b32 s11, -1, 0
	s_and_b32 s13, s4, 3
	s_cmp_gt_u32 s4, 3
	s_cselect_b32 s14, -1, 0
	s_and_b32 s4, s4, 0x7ffffffc
	s_cmp_lg_u32 s13, 0
	s_delay_alu instid0(VALU_DEP_1)
	v_lshlrev_b64 v[1:2], 1, v[1:2]
	s_cselect_b32 s15, -1, 0
	s_add_i32 s17, s22, s17
	s_lshl_b64 s[2:3], s[2:3], 1
	s_lshl_b64 s[16:17], s[16:17], 1
	s_add_u32 s0, s0, s2
	s_addc_u32 s1, s1, s3
	s_add_u32 s0, s0, s16
	s_addc_u32 s1, s1, s17
	v_add_co_u32 v7, vcc_lo, s0, v1
	v_add_co_ci_u32_e32 v8, vcc_lo, s1, v2, vcc_lo
	s_mov_b32 s2, 0
	s_delay_alu instid0(VALU_DEP_2) | instskip(NEXT) | instid1(VALU_DEP_2)
	v_add_co_u32 v1, vcc_lo, v7, 4
	v_add_co_ci_u32_e32 v2, vcc_lo, 0, v8, vcc_lo
	s_lshl_b64 s[0:1], s[18:19], 9
	s_branch .LBB555_31
.LBB555_29:                             ;   in Loop: Header=BB555_31 Depth=1
	s_or_b32 exec_lo, exec_lo, s16
	v_add_co_u32 v3, vcc_lo, s8, v3
	v_add_co_ci_u32_e32 v4, vcc_lo, s9, v4, vcc_lo
	global_store_d16_hi_b16 v[3:4], v5, off
.LBB555_30:                             ;   in Loop: Header=BB555_31 Depth=1
	s_or_b32 exec_lo, exec_lo, s3
	v_add_co_u32 v1, vcc_lo, v1, s0
	v_add_co_ci_u32_e32 v2, vcc_lo, s1, v2, vcc_lo
	v_add_co_u32 v7, vcc_lo, v7, s0
	v_add_co_ci_u32_e32 v8, vcc_lo, s1, v8, vcc_lo
	s_addk_i32 s2, 0x100
	s_delay_alu instid0(SALU_CYCLE_1)
	s_cmp_ge_i32 s2, s5
	s_cbranch_scc1 .LBB555_70
.LBB555_31:                             ; =>This Loop Header: Depth=1
                                        ;     Child Loop BB555_42 Depth 2
                                        ;     Child Loop BB555_62 Depth 2
	v_add_nc_u32_e32 v3, s2, v0
	s_mov_b32 s3, exec_lo
	s_delay_alu instid0(VALU_DEP_1)
	v_cmpx_gt_i32_e64 s5, v3
	s_cbranch_execz .LBB555_30
; %bb.32:                               ;   in Loop: Header=BB555_31 Depth=1
	v_mad_u64_u32 v[4:5], null, v3, s12, 0
	s_and_not1_b32 vcc_lo, exec_lo, s6
	s_delay_alu instid0(VALU_DEP_1) | instskip(NEXT) | instid1(VALU_DEP_1)
	v_mad_u64_u32 v[9:10], null, v3, s10, v[5:6]
	v_mov_b32_e32 v5, v9
	s_delay_alu instid0(VALU_DEP_1)
	v_lshlrev_b64 v[3:4], 1, v[4:5]
	s_cbranch_vccnz .LBB555_38
; %bb.33:                               ;   in Loop: Header=BB555_31 Depth=1
	s_delay_alu instid0(VALU_DEP_1) | instskip(NEXT) | instid1(VALU_DEP_2)
	v_add_co_u32 v5, vcc_lo, s8, v3
	v_add_co_ci_u32_e32 v6, vcc_lo, s9, v4, vcc_lo
	global_load_u16 v5, v[5:6], off
	s_waitcnt vmcnt(0)
	v_lshlrev_b32_e32 v5, 16, v5
	s_delay_alu instid0(VALU_DEP_1) | instskip(NEXT) | instid1(VALU_DEP_1)
	v_mul_f32_e32 v5, s7, v5
	v_and_b32_e32 v6, 0x7f800000, v5
	s_delay_alu instid0(VALU_DEP_1) | instskip(SKIP_1) | instid1(SALU_CYCLE_1)
	v_cmp_ne_u32_e32 vcc_lo, 0x7f800000, v6
                                        ; implicit-def: $vgpr6
	s_and_saveexec_b32 s16, vcc_lo
	s_xor_b32 s16, exec_lo, s16
; %bb.34:                               ;   in Loop: Header=BB555_31 Depth=1
	v_bfe_u32 v6, v5, 16, 1
	s_delay_alu instid0(VALU_DEP_1)
	v_add3_u32 v6, v5, v6, 0x7fff
                                        ; implicit-def: $vgpr5
; %bb.35:                               ;   in Loop: Header=BB555_31 Depth=1
	s_and_not1_saveexec_b32 s16, s16
; %bb.36:                               ;   in Loop: Header=BB555_31 Depth=1
	v_and_b32_e32 v6, 0xffff, v5
	v_or_b32_e32 v9, 0x10000, v5
	s_delay_alu instid0(VALU_DEP_2) | instskip(NEXT) | instid1(VALU_DEP_2)
	v_cmp_eq_u32_e32 vcc_lo, 0, v6
	v_cndmask_b32_e32 v6, v9, v5, vcc_lo
; %bb.37:                               ;   in Loop: Header=BB555_31 Depth=1
	s_or_b32 exec_lo, exec_lo, s16
	s_delay_alu instid0(VALU_DEP_1) | instskip(NEXT) | instid1(VALU_DEP_1)
	v_and_b32_e32 v5, 0xffff0000, v6
	v_cvt_i32_f32_e32 v5, v5
	s_delay_alu instid0(VALU_DEP_1)
	v_cvt_f32_i32_e32 v9, v5
	s_and_not1_b32 vcc_lo, exec_lo, s11
	s_cbranch_vccz .LBB555_39
	s_branch .LBB555_66
.LBB555_38:                             ;   in Loop: Header=BB555_31 Depth=1
	v_mov_b32_e32 v5, 0
	s_delay_alu instid0(VALU_DEP_1)
	v_cvt_f32_i32_e32 v9, v5
	s_and_not1_b32 vcc_lo, exec_lo, s11
	s_cbranch_vccnz .LBB555_66
.LBB555_39:                             ;   in Loop: Header=BB555_31 Depth=1
	s_and_not1_b32 vcc_lo, exec_lo, s14
	s_cbranch_vccnz .LBB555_58
; %bb.40:                               ;   in Loop: Header=BB555_31 Depth=1
	v_dual_mov_b32 v6, v2 :: v_dual_mov_b32 v5, v1
	s_mov_b32 s16, 0
	s_mov_b32 s17, 0
	s_branch .LBB555_42
.LBB555_41:                             ;   in Loop: Header=BB555_42 Depth=2
	s_or_b32 exec_lo, exec_lo, s18
	v_and_b32_e32 v11, 0xffff0000, v11
	v_and_b32_e32 v10, 0xffff0000, v10
	v_add_co_u32 v5, vcc_lo, v5, 8
	v_add_co_ci_u32_e32 v6, vcc_lo, 0, v6, vcc_lo
	s_delay_alu instid0(VALU_DEP_3) | instskip(SKIP_3) | instid1(VALU_DEP_1)
	v_dual_add_f32 v9, v9, v10 :: v_dual_and_b32 v10, 0xffff0000, v12
	s_add_i32 s17, s17, 4
	s_add_i32 s16, s16, 16
	s_cmp_eq_u32 s4, s17
	v_add_f32_e32 v9, v9, v11
	v_and_b32_e32 v11, 0xffff0000, v13
	s_delay_alu instid0(VALU_DEP_2) | instskip(NEXT) | instid1(VALU_DEP_1)
	v_add_f32_e32 v9, v9, v10
	v_add_f32_e32 v9, v9, v11
	s_cbranch_scc1 .LBB555_59
.LBB555_42:                             ;   Parent Loop BB555_31 Depth=1
                                        ; =>  This Inner Loop Header: Depth=2
	global_load_u16 v10, v[5:6], off offset:-4
	s_waitcnt vmcnt(0)
	v_dual_mov_b32 v11, s16 :: v_dual_lshlrev_b32 v10, 16, v10
	ds_load_b32 v11, v11
	s_waitcnt lgkmcnt(0)
	v_mul_f32_e32 v11, v11, v10
	s_delay_alu instid0(VALU_DEP_1) | instskip(NEXT) | instid1(VALU_DEP_1)
	v_and_b32_e32 v10, 0x7f800000, v11
	v_cmp_ne_u32_e32 vcc_lo, 0x7f800000, v10
                                        ; implicit-def: $vgpr10
	s_and_saveexec_b32 s18, vcc_lo
	s_delay_alu instid0(SALU_CYCLE_1)
	s_xor_b32 s18, exec_lo, s18
; %bb.43:                               ;   in Loop: Header=BB555_42 Depth=2
	v_bfe_u32 v10, v11, 16, 1
	s_delay_alu instid0(VALU_DEP_1)
	v_add3_u32 v10, v11, v10, 0x7fff
                                        ; implicit-def: $vgpr11
; %bb.44:                               ;   in Loop: Header=BB555_42 Depth=2
	s_and_not1_saveexec_b32 s18, s18
; %bb.45:                               ;   in Loop: Header=BB555_42 Depth=2
	v_and_b32_e32 v10, 0xffff, v11
	v_or_b32_e32 v12, 0x10000, v11
	s_delay_alu instid0(VALU_DEP_2) | instskip(NEXT) | instid1(VALU_DEP_2)
	v_cmp_eq_u32_e32 vcc_lo, 0, v10
	v_cndmask_b32_e32 v10, v12, v11, vcc_lo
; %bb.46:                               ;   in Loop: Header=BB555_42 Depth=2
	s_or_b32 exec_lo, exec_lo, s18
	global_load_u16 v11, v[5:6], off offset:-2
	s_waitcnt vmcnt(0)
	v_dual_mov_b32 v12, s16 :: v_dual_lshlrev_b32 v11, 16, v11
	ds_load_b32 v12, v12 offset:4
	s_waitcnt lgkmcnt(0)
	v_mul_f32_e32 v12, v12, v11
	s_delay_alu instid0(VALU_DEP_1) | instskip(NEXT) | instid1(VALU_DEP_1)
	v_and_b32_e32 v11, 0x7f800000, v12
	v_cmp_ne_u32_e32 vcc_lo, 0x7f800000, v11
                                        ; implicit-def: $vgpr11
	s_and_saveexec_b32 s18, vcc_lo
	s_delay_alu instid0(SALU_CYCLE_1)
	s_xor_b32 s18, exec_lo, s18
; %bb.47:                               ;   in Loop: Header=BB555_42 Depth=2
	v_bfe_u32 v11, v12, 16, 1
	s_delay_alu instid0(VALU_DEP_1)
	v_add3_u32 v11, v12, v11, 0x7fff
                                        ; implicit-def: $vgpr12
; %bb.48:                               ;   in Loop: Header=BB555_42 Depth=2
	s_and_not1_saveexec_b32 s18, s18
; %bb.49:                               ;   in Loop: Header=BB555_42 Depth=2
	v_and_b32_e32 v11, 0xffff, v12
	v_or_b32_e32 v13, 0x10000, v12
	s_delay_alu instid0(VALU_DEP_2) | instskip(NEXT) | instid1(VALU_DEP_2)
	v_cmp_eq_u32_e32 vcc_lo, 0, v11
	v_cndmask_b32_e32 v11, v13, v12, vcc_lo
; %bb.50:                               ;   in Loop: Header=BB555_42 Depth=2
	s_or_b32 exec_lo, exec_lo, s18
	global_load_u16 v12, v[5:6], off
	s_waitcnt vmcnt(0)
	v_dual_mov_b32 v13, s16 :: v_dual_lshlrev_b32 v12, 16, v12
	ds_load_b32 v13, v13 offset:8
	s_waitcnt lgkmcnt(0)
	v_mul_f32_e32 v13, v13, v12
	s_delay_alu instid0(VALU_DEP_1) | instskip(NEXT) | instid1(VALU_DEP_1)
	v_and_b32_e32 v12, 0x7f800000, v13
	v_cmp_ne_u32_e32 vcc_lo, 0x7f800000, v12
                                        ; implicit-def: $vgpr12
	s_and_saveexec_b32 s18, vcc_lo
	s_delay_alu instid0(SALU_CYCLE_1)
	s_xor_b32 s18, exec_lo, s18
; %bb.51:                               ;   in Loop: Header=BB555_42 Depth=2
	v_bfe_u32 v12, v13, 16, 1
	s_delay_alu instid0(VALU_DEP_1)
	v_add3_u32 v12, v13, v12, 0x7fff
                                        ; implicit-def: $vgpr13
; %bb.52:                               ;   in Loop: Header=BB555_42 Depth=2
	s_and_not1_saveexec_b32 s18, s18
; %bb.53:                               ;   in Loop: Header=BB555_42 Depth=2
	v_and_b32_e32 v12, 0xffff, v13
	v_or_b32_e32 v14, 0x10000, v13
	s_delay_alu instid0(VALU_DEP_2) | instskip(NEXT) | instid1(VALU_DEP_2)
	v_cmp_eq_u32_e32 vcc_lo, 0, v12
	v_cndmask_b32_e32 v12, v14, v13, vcc_lo
; %bb.54:                               ;   in Loop: Header=BB555_42 Depth=2
	s_or_b32 exec_lo, exec_lo, s18
	global_load_u16 v13, v[5:6], off offset:2
	s_waitcnt vmcnt(0)
	v_dual_mov_b32 v14, s16 :: v_dual_lshlrev_b32 v13, 16, v13
	ds_load_b32 v14, v14 offset:12
	s_waitcnt lgkmcnt(0)
	v_mul_f32_e32 v14, v14, v13
	s_delay_alu instid0(VALU_DEP_1) | instskip(NEXT) | instid1(VALU_DEP_1)
	v_and_b32_e32 v13, 0x7f800000, v14
	v_cmp_ne_u32_e32 vcc_lo, 0x7f800000, v13
                                        ; implicit-def: $vgpr13
	s_and_saveexec_b32 s18, vcc_lo
	s_delay_alu instid0(SALU_CYCLE_1)
	s_xor_b32 s18, exec_lo, s18
; %bb.55:                               ;   in Loop: Header=BB555_42 Depth=2
	v_bfe_u32 v13, v14, 16, 1
	s_delay_alu instid0(VALU_DEP_1)
	v_add3_u32 v13, v14, v13, 0x7fff
                                        ; implicit-def: $vgpr14
; %bb.56:                               ;   in Loop: Header=BB555_42 Depth=2
	s_and_not1_saveexec_b32 s18, s18
	s_cbranch_execz .LBB555_41
; %bb.57:                               ;   in Loop: Header=BB555_42 Depth=2
	v_and_b32_e32 v13, 0xffff, v14
	v_or_b32_e32 v15, 0x10000, v14
	s_delay_alu instid0(VALU_DEP_2) | instskip(NEXT) | instid1(VALU_DEP_2)
	v_cmp_eq_u32_e32 vcc_lo, 0, v13
	v_cndmask_b32_e32 v13, v15, v14, vcc_lo
	s_branch .LBB555_41
.LBB555_58:                             ;   in Loop: Header=BB555_31 Depth=1
	s_mov_b32 s16, 0
	s_and_not1_b32 vcc_lo, exec_lo, s15
	s_cbranch_vccz .LBB555_60
	s_branch .LBB555_66
.LBB555_59:                             ;   in Loop: Header=BB555_31 Depth=1
	s_mov_b32 s16, s4
	s_and_not1_b32 vcc_lo, exec_lo, s15
	s_cbranch_vccnz .LBB555_66
.LBB555_60:                             ;   in Loop: Header=BB555_31 Depth=1
	s_lshl_b32 s17, s16, 1
	s_lshl_b32 s16, s16, 2
	v_add_co_u32 v5, vcc_lo, v7, s17
	v_add_co_ci_u32_e32 v6, vcc_lo, 0, v8, vcc_lo
	s_mov_b32 s17, s13
	s_set_inst_prefetch_distance 0x1
	s_branch .LBB555_62
	.p2align	6
.LBB555_61:                             ;   in Loop: Header=BB555_62 Depth=2
	s_or_b32 exec_lo, exec_lo, s18
	s_delay_alu instid0(VALU_DEP_1) | instskip(SKIP_2) | instid1(VALU_DEP_3)
	v_and_b32_e32 v10, 0xffff0000, v11
	v_add_co_u32 v5, vcc_lo, v5, 2
	v_add_co_ci_u32_e32 v6, vcc_lo, 0, v6, vcc_lo
	v_add_f32_e32 v9, v9, v10
	s_add_i32 s17, s17, -1
	s_add_i32 s16, s16, 4
	s_cmp_lg_u32 s17, 0
	s_cbranch_scc0 .LBB555_66
.LBB555_62:                             ;   Parent Loop BB555_31 Depth=1
                                        ; =>  This Inner Loop Header: Depth=2
	global_load_u16 v10, v[5:6], off
	s_waitcnt vmcnt(0)
	v_dual_mov_b32 v11, s16 :: v_dual_lshlrev_b32 v10, 16, v10
	ds_load_b32 v11, v11
	s_waitcnt lgkmcnt(0)
	v_mul_f32_e32 v10, v11, v10
	s_delay_alu instid0(VALU_DEP_1) | instskip(NEXT) | instid1(VALU_DEP_1)
	v_and_b32_e32 v11, 0x7f800000, v10
	v_cmp_ne_u32_e32 vcc_lo, 0x7f800000, v11
                                        ; implicit-def: $vgpr11
	s_and_saveexec_b32 s18, vcc_lo
	s_delay_alu instid0(SALU_CYCLE_1)
	s_xor_b32 s18, exec_lo, s18
; %bb.63:                               ;   in Loop: Header=BB555_62 Depth=2
	v_bfe_u32 v11, v10, 16, 1
	s_delay_alu instid0(VALU_DEP_1)
	v_add3_u32 v11, v10, v11, 0x7fff
                                        ; implicit-def: $vgpr10
; %bb.64:                               ;   in Loop: Header=BB555_62 Depth=2
	s_and_not1_saveexec_b32 s18, s18
	s_cbranch_execz .LBB555_61
; %bb.65:                               ;   in Loop: Header=BB555_62 Depth=2
	v_and_b32_e32 v11, 0xffff, v10
	v_or_b32_e32 v12, 0x10000, v10
	s_delay_alu instid0(VALU_DEP_2) | instskip(NEXT) | instid1(VALU_DEP_2)
	v_cmp_eq_u32_e32 vcc_lo, 0, v11
	v_cndmask_b32_e32 v11, v12, v10, vcc_lo
	s_branch .LBB555_61
.LBB555_66:                             ;   in Loop: Header=BB555_31 Depth=1
	s_set_inst_prefetch_distance 0x2
	s_delay_alu instid0(VALU_DEP_1) | instskip(NEXT) | instid1(VALU_DEP_1)
	v_and_b32_e32 v5, 0x7f800000, v9
	v_cmp_ne_u32_e32 vcc_lo, 0x7f800000, v5
                                        ; implicit-def: $vgpr5
	s_and_saveexec_b32 s16, vcc_lo
	s_delay_alu instid0(SALU_CYCLE_1)
	s_xor_b32 s16, exec_lo, s16
; %bb.67:                               ;   in Loop: Header=BB555_31 Depth=1
	v_bfe_u32 v5, v9, 16, 1
	s_delay_alu instid0(VALU_DEP_1)
	v_add3_u32 v5, v9, v5, 0x7fff
                                        ; implicit-def: $vgpr9
; %bb.68:                               ;   in Loop: Header=BB555_31 Depth=1
	s_and_not1_saveexec_b32 s16, s16
	s_cbranch_execz .LBB555_29
; %bb.69:                               ;   in Loop: Header=BB555_31 Depth=1
	v_and_b32_e32 v5, 0xffff, v9
	v_or_b32_e32 v6, 0x10000, v9
	s_delay_alu instid0(VALU_DEP_2) | instskip(NEXT) | instid1(VALU_DEP_2)
	v_cmp_eq_u32_e32 vcc_lo, 0, v5
	v_cndmask_b32_e32 v5, v6, v9, vcc_lo
	s_branch .LBB555_29
.LBB555_70:
	s_nop 0
	s_sendmsg sendmsg(MSG_DEALLOC_VGPRS)
	s_endpgm
	.section	.rodata,"a",@progbits
	.p2align	6, 0x0
	.amdhsa_kernel _ZL22rocblas_gemvtsm_kernelILb0ELi256E16rocblas_bfloat16fS0_EviiT2_lPKT1_lilS4_lilS1_lPT3_lil
		.amdhsa_group_segment_fixed_size 256
		.amdhsa_private_segment_fixed_size 0
		.amdhsa_kernarg_size 136
		.amdhsa_user_sgpr_count 15
		.amdhsa_user_sgpr_dispatch_ptr 0
		.amdhsa_user_sgpr_queue_ptr 0
		.amdhsa_user_sgpr_kernarg_segment_ptr 1
		.amdhsa_user_sgpr_dispatch_id 0
		.amdhsa_user_sgpr_private_segment_size 0
		.amdhsa_wavefront_size32 1
		.amdhsa_uses_dynamic_stack 0
		.amdhsa_enable_private_segment 0
		.amdhsa_system_sgpr_workgroup_id_x 1
		.amdhsa_system_sgpr_workgroup_id_y 0
		.amdhsa_system_sgpr_workgroup_id_z 0
		.amdhsa_system_sgpr_workgroup_info 0
		.amdhsa_system_vgpr_workitem_id 0
		.amdhsa_next_free_vgpr 16
		.amdhsa_next_free_sgpr 25
		.amdhsa_reserve_vcc 1
		.amdhsa_float_round_mode_32 0
		.amdhsa_float_round_mode_16_64 0
		.amdhsa_float_denorm_mode_32 3
		.amdhsa_float_denorm_mode_16_64 3
		.amdhsa_dx10_clamp 1
		.amdhsa_ieee_mode 1
		.amdhsa_fp16_overflow 0
		.amdhsa_workgroup_processor_mode 1
		.amdhsa_memory_ordered 1
		.amdhsa_forward_progress 0
		.amdhsa_shared_vgpr_count 0
		.amdhsa_exception_fp_ieee_invalid_op 0
		.amdhsa_exception_fp_denorm_src 0
		.amdhsa_exception_fp_ieee_div_zero 0
		.amdhsa_exception_fp_ieee_overflow 0
		.amdhsa_exception_fp_ieee_underflow 0
		.amdhsa_exception_fp_ieee_inexact 0
		.amdhsa_exception_int_div_zero 0
	.end_amdhsa_kernel
	.section	.text._ZL22rocblas_gemvtsm_kernelILb0ELi256E16rocblas_bfloat16fS0_EviiT2_lPKT1_lilS4_lilS1_lPT3_lil,"axG",@progbits,_ZL22rocblas_gemvtsm_kernelILb0ELi256E16rocblas_bfloat16fS0_EviiT2_lPKT1_lilS4_lilS1_lPT3_lil,comdat
.Lfunc_end555:
	.size	_ZL22rocblas_gemvtsm_kernelILb0ELi256E16rocblas_bfloat16fS0_EviiT2_lPKT1_lilS4_lilS1_lPT3_lil, .Lfunc_end555-_ZL22rocblas_gemvtsm_kernelILb0ELi256E16rocblas_bfloat16fS0_EviiT2_lPKT1_lilS4_lilS1_lPT3_lil
                                        ; -- End function
	.section	.AMDGPU.csdata,"",@progbits
; Kernel info:
; codeLenInByte = 2436
; NumSgprs: 27
; NumVgprs: 16
; ScratchSize: 0
; MemoryBound: 0
; FloatMode: 240
; IeeeMode: 1
; LDSByteSize: 256 bytes/workgroup (compile time only)
; SGPRBlocks: 3
; VGPRBlocks: 1
; NumSGPRsForWavesPerEU: 27
; NumVGPRsForWavesPerEU: 16
; Occupancy: 16
; WaveLimiterHint : 1
; COMPUTE_PGM_RSRC2:SCRATCH_EN: 0
; COMPUTE_PGM_RSRC2:USER_SGPR: 15
; COMPUTE_PGM_RSRC2:TRAP_HANDLER: 0
; COMPUTE_PGM_RSRC2:TGID_X_EN: 1
; COMPUTE_PGM_RSRC2:TGID_Y_EN: 0
; COMPUTE_PGM_RSRC2:TGID_Z_EN: 0
; COMPUTE_PGM_RSRC2:TIDIG_COMP_CNT: 0
	.section	.text._ZL23rocblas_gemvt_sn_kernelILb0ELi256ELi4Ei16rocblas_bfloat16PKffEviiT4_lPKT3_lilS6_lilPT5_i,"axG",@progbits,_ZL23rocblas_gemvt_sn_kernelILb0ELi256ELi4Ei16rocblas_bfloat16PKffEviiT4_lPKT3_lilS6_lilPT5_i,comdat
	.globl	_ZL23rocblas_gemvt_sn_kernelILb0ELi256ELi4Ei16rocblas_bfloat16PKffEviiT4_lPKT3_lilS6_lilPT5_i ; -- Begin function _ZL23rocblas_gemvt_sn_kernelILb0ELi256ELi4Ei16rocblas_bfloat16PKffEviiT4_lPKT3_lilS6_lilPT5_i
	.p2align	8
	.type	_ZL23rocblas_gemvt_sn_kernelILb0ELi256ELi4Ei16rocblas_bfloat16PKffEviiT4_lPKT3_lilS6_lilPT5_i,@function
_ZL23rocblas_gemvt_sn_kernelILb0ELi256ELi4Ei16rocblas_bfloat16PKffEviiT4_lPKT3_lilS6_lilPT5_i: ; @_ZL23rocblas_gemvt_sn_kernelILb0ELi256ELi4Ei16rocblas_bfloat16PKffEviiT4_lPKT3_lilS6_lilPT5_i
; %bb.0:
	s_clause 0x2
	s_load_b256 s[4:11], s[0:1], 0x8
	s_load_b64 s[12:13], s[0:1], 0x0
	s_load_b32 s16, s[0:1], 0x68
	s_waitcnt lgkmcnt(0)
	s_mul_i32 s3, s15, s7
	s_mul_hi_u32 s7, s15, s6
	s_mul_i32 s2, s15, s6
	s_add_i32 s3, s7, s3
	s_mul_i32 s17, s13, s15
	s_lshl_b64 s[2:3], s[2:3], 2
	s_delay_alu instid0(SALU_CYCLE_1)
	s_add_u32 s2, s4, s2
	s_addc_u32 s3, s5, s3
	s_load_b32 s33, s[2:3], 0x0
	s_load_b128 s[4:7], s[0:1], 0x50
	s_ashr_i32 s19, s13, 31
	s_mul_hi_u32 s2, s13, s15
	s_mul_i32 s3, s19, s15
	s_delay_alu instid0(SALU_CYCLE_1) | instskip(SKIP_4) | instid1(SALU_CYCLE_1)
	s_add_i32 s2, s2, s3
	s_mul_hi_u32 s3, s17, s16
	s_mul_i32 s18, s2, s16
	s_mul_i32 s2, s17, s16
	s_add_i32 s3, s3, s18
	s_lshl_b64 s[2:3], s[2:3], 2
	s_waitcnt lgkmcnt(0)
	v_cmp_neq_f32_e64 s17, s33, 0
	s_add_u32 s38, s6, s2
	v_cmp_eq_u32_e64 s2, 0, v0
	s_addc_u32 s37, s7, s3
	s_delay_alu instid0(VALU_DEP_2)
	s_and_b32 vcc_lo, exec_lo, s17
	s_mov_b32 s17, 0
	s_cbranch_vccnz .LBB556_5
; %bb.1:
	s_cmp_gt_i32 s13, 0
	s_cselect_b32 s3, -1, 0
	s_delay_alu instid0(SALU_CYCLE_1) | instskip(NEXT) | instid1(SALU_CYCLE_1)
	s_and_b32 s2, s2, s3
	s_and_saveexec_b32 s18, s2
	s_cbranch_execz .LBB556_4
; %bb.2:
	s_mov_b32 s2, s15
	s_mov_b32 s15, 0
	v_mov_b32_e32 v1, 0
	s_lshl_b64 s[6:7], s[14:15], 2
	s_mov_b32 s15, s2
	s_add_u32 s2, s38, s6
	s_addc_u32 s3, s37, s7
	s_lshl_b64 s[6:7], s[16:17], 2
	s_mov_b32 s17, s13
.LBB556_3:                              ; =>This Inner Loop Header: Depth=1
	s_delay_alu instid0(SALU_CYCLE_1)
	s_add_i32 s17, s17, -1
	global_store_b32 v1, v1, s[2:3]
	s_add_u32 s2, s2, s6
	s_addc_u32 s3, s3, s7
	s_cmp_eq_u32 s17, 0
	s_cbranch_scc0 .LBB556_3
.LBB556_4:
	s_or_b32 exec_lo, exec_lo, s18
	s_cbranch_execz .LBB556_6
	s_branch .LBB556_79
.LBB556_5:
.LBB556_6:
	s_clause 0x1
	s_load_b128 s[20:23], s[0:1], 0x30
	s_load_b64 s[2:3], s[0:1], 0x40
	s_mul_i32 s5, s15, s5
	s_mul_hi_u32 s6, s15, s4
	s_mul_i32 s4, s15, s4
	s_add_i32 s5, s6, s5
	s_load_b32 s17, s[0:1], 0x48
	s_lshl_b64 s[4:5], s[4:5], 1
	v_and_b32_e32 v6, 31, v0
	v_mbcnt_lo_u32_b32 v22, -1, 0
	v_lshrrev_b32_e32 v23, 3, v0
	s_waitcnt lgkmcnt(0)
	s_add_u32 s6, s22, s4
	s_addc_u32 s5, s23, s5
	s_lshl_b64 s[2:3], s[2:3], 1
	s_mul_i32 s7, s15, s21
	s_mul_hi_u32 s18, s15, s20
	s_add_u32 s34, s6, s2
	s_mul_i32 s4, s15, s20
	s_addc_u32 s35, s5, s3
	s_add_i32 s5, s18, s7
	s_load_b32 s18, s[0:1], 0x28
	s_lshl_b64 s[20:21], s[4:5], 1
	v_cmp_gt_u32_e64 s0, 32, v0
	s_add_u32 s1, s8, s20
	s_addc_u32 s2, s9, s21
	s_lshl_b64 s[10:11], s[10:11], 1
	s_delay_alu instid0(SALU_CYCLE_1)
	s_add_u32 s3, s1, s10
	s_addc_u32 s2, s2, s11
	s_lshl_b32 s1, s14, 10
	s_ashr_i32 s4, s12, 31
	v_lshl_or_b32 v1, v0, 2, s1
	s_lshr_b32 s4, s4, 30
	s_lshr_b32 s5, s19, 30
	s_add_i32 s4, s12, s4
	s_add_i32 s5, s13, s5
	v_ashrrev_i32_e32 v2, 31, v1
	s_and_b32 s4, s4, -4
	v_mul_lo_u32 v5, v1, s17
	s_sub_i32 s36, s12, s4
	v_cmp_gt_u32_e64 s1, 8, v0
	v_lshlrev_b64 v[7:8], 1, v[1:2]
	v_add_nc_u32_e32 v24, 4, v1
	v_add_nc_u32_e32 v25, s36, v1
	s_and_b32 s15, s5, -4
	s_delay_alu instid0(SALU_CYCLE_1) | instskip(NEXT) | instid1(VALU_DEP_3)
	s_cmp_lt_i32 s15, 1
	v_add_co_u32 v20, vcc_lo, s3, v7
	v_add_co_ci_u32_e32 v21, vcc_lo, s2, v8, vcc_lo
	s_cbranch_scc1 .LBB556_54
; %bb.7:
	v_cmp_gt_u32_e32 vcc_lo, 16, v22
	v_mul_lo_u32 v9, v1, s17
	s_cmp_gt_i32 s36, 0
	s_mov_b32 s23, 0
	s_cselect_b32 s39, -1, 0
	v_cndmask_b32_e64 v2, 0, 1, vcc_lo
	v_cmp_gt_u32_e32 vcc_lo, 24, v22
	s_waitcnt lgkmcnt(0)
	s_lshl_b32 s40, s18, 2
	s_lshl_b32 s22, s18, 1
	s_add_u32 s6, s20, s10
	v_dual_mov_b32 v35, 0 :: v_dual_lshlrev_b32 v2, 4, v2
	v_cndmask_b32_e64 v3, 0, 1, vcc_lo
	v_cmp_gt_u32_e32 vcc_lo, 28, v22
	s_addc_u32 s7, s21, s11
	s_delay_alu instid0(VALU_DEP_3)
	v_add_lshl_u32 v26, v2, v22, 2
	s_add_u32 s6, s8, s6
	v_lshlrev_b32_e32 v2, 3, v3
	v_cndmask_b32_e64 v4, 0, 1, vcc_lo
	v_cmp_gt_u32_e32 vcc_lo, 30, v22
	s_addc_u32 s7, s9, s7
	v_cmp_ge_i32_e64 s2, s12, v24
	v_add_lshl_u32 v27, v2, v22, 2
	v_lshlrev_b32_e32 v3, 2, v4
	v_cndmask_b32_e64 v10, 0, 1, vcc_lo
	v_cmp_ne_u32_e32 vcc_lo, 31, v22
	v_cmp_ge_i32_e64 s3, s12, v25
	v_cmp_eq_u32_e64 s4, 0, v6
	v_add_lshl_u32 v28, v3, v22, 2
	v_lshlrev_b32_e32 v1, 1, v10
	v_ashrrev_i32_e32 v10, 31, v9
	v_add_co_ci_u32_e32 v4, vcc_lo, 0, v22, vcc_lo
	v_lshlrev_b32_e32 v31, 2, v6
	s_delay_alu instid0(VALU_DEP_4)
	v_add_lshl_u32 v29, v1, v22, 2
	v_add_nc_u32_e32 v1, s17, v9
	v_lshlrev_b64 v[10:11], 1, v[9:10]
	v_lshlrev_b32_e32 v30, 2, v4
	v_and_b32_e32 v32, 28, v23
	v_cmp_eq_u32_e64 s5, 0, v0
	v_add_nc_u32_e32 v3, s17, v1
	v_ashrrev_i32_e32 v2, 31, v1
	v_add_co_u32 v10, vcc_lo, s34, v10
	v_add_co_ci_u32_e32 v11, vcc_lo, s35, v11, vcc_lo
	s_delay_alu instid0(VALU_DEP_4) | instskip(NEXT) | instid1(VALU_DEP_4)
	v_add_nc_u32_e32 v14, s17, v3
	v_lshlrev_b64 v[1:2], 1, v[1:2]
	v_ashrrev_i32_e32 v4, 31, v3
	s_mov_b32 s19, s23
	s_mul_i32 s41, s18, 3
	v_ashrrev_i32_e32 v15, 31, v14
	s_mov_b32 s42, s23
	v_lshlrev_b64 v[3:4], 1, v[3:4]
	v_add_co_u32 v12, vcc_lo, s34, v1
	v_add_co_ci_u32_e32 v13, vcc_lo, s35, v2, vcc_lo
	v_lshlrev_b64 v[1:2], 1, v[14:15]
	s_delay_alu instid0(VALU_DEP_4) | instskip(SKIP_2) | instid1(VALU_DEP_3)
	v_add_co_u32 v14, vcc_lo, s34, v3
	v_add_co_ci_u32_e32 v15, vcc_lo, s35, v4, vcc_lo
	s_mov_b32 s24, s23
	v_add_co_u32 v16, vcc_lo, s34, v1
	s_delay_alu instid0(VALU_DEP_4)
	v_add_co_ci_u32_e32 v17, vcc_lo, s35, v2, vcc_lo
	v_add_co_u32 v33, vcc_lo, s6, v7
	v_add_co_ci_u32_e32 v34, vcc_lo, s7, v8, vcc_lo
	s_mov_b64 s[26:27], s[22:23]
	s_mov_b64 s[28:29], s[18:19]
	s_mov_b32 s19, 0
                                        ; implicit-def: $vgpr1_vgpr2_vgpr3_vgpr4
	s_branch .LBB556_9
.LBB556_8:                              ;   in Loop: Header=BB556_9 Depth=1
	s_or_b32 exec_lo, exec_lo, s6
	s_add_i32 s19, s19, 4
	s_add_u32 s28, s28, s40
	s_addc_u32 s29, s29, 0
	s_add_u32 s26, s26, s40
	s_addc_u32 s27, s27, 0
	;; [unrolled: 2-line block ×3, first 2 shown]
	s_add_i32 s24, s24, s40
	s_cmp_ge_i32 s19, s15
	s_cbranch_scc1 .LBB556_55
.LBB556_9:                              ; =>This Loop Header: Depth=1
                                        ;     Child Loop BB556_40 Depth 2
                                        ;     Child Loop BB556_43 Depth 2
                                        ; implicit-def: $vgpr36
                                        ; implicit-def: $vgpr37
                                        ; implicit-def: $vgpr38
                                        ; implicit-def: $vgpr39
	s_and_saveexec_b32 s6, s2
	s_delay_alu instid0(SALU_CYCLE_1)
	s_xor_b32 s6, exec_lo, s6
	s_cbranch_execnz .LBB556_36
; %bb.10:                               ;   in Loop: Header=BB556_9 Depth=1
	s_and_not1_saveexec_b32 s22, s6
	s_cbranch_execnz .LBB556_37
.LBB556_11:                             ;   in Loop: Header=BB556_9 Depth=1
	s_or_b32 exec_lo, exec_lo, s22
	s_and_saveexec_b32 s6, s0
	s_cbranch_execz .LBB556_13
.LBB556_12:                             ;   in Loop: Header=BB556_9 Depth=1
	ds_store_b32 v31, v35
.LBB556_13:                             ;   in Loop: Header=BB556_9 Depth=1
	s_or_b32 exec_lo, exec_lo, s6
	ds_bpermute_b32 v18, v26, v39
	s_waitcnt lgkmcnt(0)
	s_waitcnt_vscnt null, 0x0
	s_barrier
	buffer_gl0_inv
	v_add_f32_e32 v18, v39, v18
	ds_bpermute_b32 v19, v27, v18
	s_waitcnt lgkmcnt(0)
	v_add_f32_e32 v18, v18, v19
	ds_bpermute_b32 v19, v28, v18
	s_waitcnt lgkmcnt(0)
	v_add_f32_e32 v18, v18, v19
	ds_bpermute_b32 v19, v29, v18
	s_waitcnt lgkmcnt(0)
	v_add_f32_e32 v18, v18, v19
	ds_bpermute_b32 v19, v30, v18
	s_and_saveexec_b32 s6, s4
	s_cbranch_execz .LBB556_15
; %bb.14:                               ;   in Loop: Header=BB556_9 Depth=1
	s_waitcnt lgkmcnt(0)
	v_add_f32_e32 v18, v18, v19
	ds_store_b32 v32, v18
.LBB556_15:                             ;   in Loop: Header=BB556_9 Depth=1
	s_or_b32 exec_lo, exec_lo, s6
	v_mov_b32_e32 v18, 0
	s_waitcnt lgkmcnt(0)
	s_barrier
	buffer_gl0_inv
	s_and_saveexec_b32 s6, s1
	s_cbranch_execnz .LBB556_45
; %bb.16:                               ;   in Loop: Header=BB556_9 Depth=1
	s_or_b32 exec_lo, exec_lo, s6
	s_and_saveexec_b32 s6, s0
	s_cbranch_execnz .LBB556_46
.LBB556_17:                             ;   in Loop: Header=BB556_9 Depth=1
	s_or_b32 exec_lo, exec_lo, s6
	s_and_saveexec_b32 s6, s0
	s_cbranch_execz .LBB556_19
.LBB556_18:                             ;   in Loop: Header=BB556_9 Depth=1
	ds_store_b32 v31, v35
.LBB556_19:                             ;   in Loop: Header=BB556_9 Depth=1
	s_or_b32 exec_lo, exec_lo, s6
	ds_bpermute_b32 v19, v26, v38
	s_waitcnt lgkmcnt(0)
	s_barrier
	buffer_gl0_inv
	v_add_f32_e32 v19, v38, v19
	ds_bpermute_b32 v38, v27, v19
	s_waitcnt lgkmcnt(0)
	v_add_f32_e32 v19, v19, v38
	ds_bpermute_b32 v38, v28, v19
	s_waitcnt lgkmcnt(0)
	;; [unrolled: 3-line block ×3, first 2 shown]
	v_add_f32_e32 v19, v19, v38
	ds_bpermute_b32 v38, v30, v19
	s_and_saveexec_b32 s6, s4
	s_cbranch_execz .LBB556_21
; %bb.20:                               ;   in Loop: Header=BB556_9 Depth=1
	s_waitcnt lgkmcnt(0)
	v_add_f32_e32 v19, v19, v38
	ds_store_b32 v32, v19
.LBB556_21:                             ;   in Loop: Header=BB556_9 Depth=1
	s_or_b32 exec_lo, exec_lo, s6
	v_mov_b32_e32 v19, 0
	s_waitcnt lgkmcnt(0)
	s_barrier
	buffer_gl0_inv
	s_and_saveexec_b32 s6, s1
	s_cbranch_execnz .LBB556_47
; %bb.22:                               ;   in Loop: Header=BB556_9 Depth=1
	s_or_b32 exec_lo, exec_lo, s6
	s_and_saveexec_b32 s6, s0
	s_cbranch_execnz .LBB556_48
.LBB556_23:                             ;   in Loop: Header=BB556_9 Depth=1
	s_or_b32 exec_lo, exec_lo, s6
	s_and_saveexec_b32 s6, s0
	s_cbranch_execz .LBB556_25
.LBB556_24:                             ;   in Loop: Header=BB556_9 Depth=1
	ds_store_b32 v31, v35
.LBB556_25:                             ;   in Loop: Header=BB556_9 Depth=1
	s_or_b32 exec_lo, exec_lo, s6
	ds_bpermute_b32 v38, v26, v37
	s_waitcnt lgkmcnt(0)
	s_barrier
	buffer_gl0_inv
	v_add_f32_e32 v37, v37, v38
	ds_bpermute_b32 v38, v27, v37
	s_waitcnt lgkmcnt(0)
	v_add_f32_e32 v37, v37, v38
	ds_bpermute_b32 v38, v28, v37
	s_waitcnt lgkmcnt(0)
	;; [unrolled: 3-line block ×3, first 2 shown]
	v_add_f32_e32 v37, v37, v38
	ds_bpermute_b32 v38, v30, v37
	s_and_saveexec_b32 s6, s4
	s_cbranch_execz .LBB556_27
; %bb.26:                               ;   in Loop: Header=BB556_9 Depth=1
	s_waitcnt lgkmcnt(0)
	v_add_f32_e32 v37, v37, v38
	ds_store_b32 v32, v37
.LBB556_27:                             ;   in Loop: Header=BB556_9 Depth=1
	s_or_b32 exec_lo, exec_lo, s6
	v_mov_b32_e32 v37, 0
	s_waitcnt lgkmcnt(0)
	s_barrier
	buffer_gl0_inv
	s_and_saveexec_b32 s6, s1
	s_cbranch_execnz .LBB556_49
; %bb.28:                               ;   in Loop: Header=BB556_9 Depth=1
	s_or_b32 exec_lo, exec_lo, s6
	s_and_saveexec_b32 s6, s0
	s_cbranch_execnz .LBB556_50
.LBB556_29:                             ;   in Loop: Header=BB556_9 Depth=1
	s_or_b32 exec_lo, exec_lo, s6
	s_and_saveexec_b32 s6, s0
	s_cbranch_execz .LBB556_31
.LBB556_30:                             ;   in Loop: Header=BB556_9 Depth=1
	ds_store_b32 v31, v35
.LBB556_31:                             ;   in Loop: Header=BB556_9 Depth=1
	s_or_b32 exec_lo, exec_lo, s6
	ds_bpermute_b32 v38, v26, v36
	s_waitcnt lgkmcnt(0)
	s_barrier
	buffer_gl0_inv
	v_add_f32_e32 v36, v36, v38
	ds_bpermute_b32 v38, v27, v36
	s_waitcnt lgkmcnt(0)
	v_add_f32_e32 v36, v36, v38
	ds_bpermute_b32 v38, v28, v36
	s_waitcnt lgkmcnt(0)
	;; [unrolled: 3-line block ×3, first 2 shown]
	v_add_f32_e32 v36, v36, v38
	ds_bpermute_b32 v38, v30, v36
	s_and_saveexec_b32 s6, s4
	s_cbranch_execz .LBB556_33
; %bb.32:                               ;   in Loop: Header=BB556_9 Depth=1
	s_waitcnt lgkmcnt(0)
	v_add_f32_e32 v36, v36, v38
	ds_store_b32 v32, v36
.LBB556_33:                             ;   in Loop: Header=BB556_9 Depth=1
	s_or_b32 exec_lo, exec_lo, s6
	v_mov_b32_e32 v36, 0
	s_waitcnt lgkmcnt(0)
	s_barrier
	buffer_gl0_inv
	s_and_saveexec_b32 s6, s1
	s_cbranch_execnz .LBB556_51
; %bb.34:                               ;   in Loop: Header=BB556_9 Depth=1
	s_or_b32 exec_lo, exec_lo, s6
	s_and_saveexec_b32 s6, s0
	s_cbranch_execnz .LBB556_52
.LBB556_35:                             ;   in Loop: Header=BB556_9 Depth=1
	s_or_b32 exec_lo, exec_lo, s6
	s_and_saveexec_b32 s6, s5
	s_cbranch_execz .LBB556_8
	s_branch .LBB556_53
.LBB556_36:                             ;   in Loop: Header=BB556_9 Depth=1
	s_mul_i32 s30, s19, s18
	s_delay_alu instid0(SALU_CYCLE_1)
	s_ashr_i32 s31, s30, 31
	s_add_i32 s44, s30, s18
	s_lshl_b64 s[30:31], s[30:31], 1
	s_ashr_i32 s45, s44, 31
	v_add_co_u32 v1, vcc_lo, v20, s30
	v_add_co_ci_u32_e32 v2, vcc_lo, s31, v21, vcc_lo
	s_lshl_b64 s[30:31], s[44:45], 1
	s_delay_alu instid0(SALU_CYCLE_1)
	v_add_co_u32 v3, vcc_lo, v20, s30
	s_add_i32 s30, s44, s18
	v_add_co_ci_u32_e32 v4, vcc_lo, s31, v21, vcc_lo
	s_ashr_i32 s31, s30, 31
	s_add_i32 s44, s30, s18
	s_lshl_b64 s[30:31], s[30:31], 1
	global_load_b64 v[18:19], v[1:2], off
	s_waitcnt lgkmcnt(0)
	global_load_b64 v[36:37], v[3:4], off
	s_ashr_i32 s45, s44, 31
	v_add_co_u32 v1, vcc_lo, v20, s30
	v_add_co_ci_u32_e32 v2, vcc_lo, s31, v21, vcc_lo
	s_lshl_b64 s[30:31], s[44:45], 1
	s_clause 0x3
	global_load_u16 v38, v[10:11], off
	global_load_u16 v43, v[12:13], off
	;; [unrolled: 1-line block ×4, first 2 shown]
	v_add_co_u32 v3, vcc_lo, v20, s30
	v_add_co_ci_u32_e32 v4, vcc_lo, s31, v21, vcc_lo
	s_clause 0x1
	global_load_b64 v[39:40], v[1:2], off
	global_load_b64 v[41:42], v[3:4], off
	s_waitcnt vmcnt(1)
	v_and_b32_e32 v48, 0xffff0000, v39
	v_lshlrev_b32_e32 v49, 16, v40
	s_waitcnt vmcnt(0)
	v_lshlrev_b32_e32 v50, 16, v41
	v_and_b32_e32 v41, 0xffff0000, v41
	v_lshlrev_b32_e32 v3, 16, v44
	v_lshlrev_b32_e32 v2, 16, v43
	;; [unrolled: 1-line block ×4, first 2 shown]
	v_and_b32_e32 v47, 0xffff0000, v37
	v_and_b32_e32 v45, 0xffff0000, v36
	v_lshlrev_b32_e32 v1, 16, v38
	v_lshlrev_b32_e32 v38, 16, v18
	;; [unrolled: 1-line block ×4, first 2 shown]
	s_delay_alu instid0(VALU_DEP_3) | instskip(SKIP_2) | instid1(VALU_DEP_2)
	v_fma_f32 v39, v1, v38, 0
	v_fma_f32 v38, v1, v44, 0
	v_lshlrev_b32_e32 v44, 16, v42
	v_fmac_f32_e32 v38, v2, v45
	v_fma_f32 v37, v1, v36, 0
	v_fma_f32 v36, v1, v50, 0
	s_delay_alu instid0(VALU_DEP_2) | instskip(NEXT) | instid1(VALU_DEP_1)
	v_fmac_f32_e32 v37, v2, v48
	v_fmac_f32_e32 v37, v3, v49
	s_delay_alu instid0(VALU_DEP_3) | instskip(SKIP_2) | instid1(VALU_DEP_3)
	v_dual_fmac_f32 v36, v2, v41 :: v_dual_lshlrev_b32 v43, 16, v19
	v_fmac_f32_e32 v38, v3, v46
	v_and_b32_e32 v18, 0xffff0000, v18
	v_dual_fmac_f32 v36, v3, v44 :: v_dual_and_b32 v19, 0xffff0000, v19
	s_delay_alu instid0(VALU_DEP_2) | instskip(NEXT) | instid1(VALU_DEP_1)
	v_dual_fmac_f32 v39, v2, v18 :: v_dual_and_b32 v18, 0xffff0000, v40
	v_dual_fmac_f32 v39, v3, v43 :: v_dual_and_b32 v40, 0xffff0000, v42
	s_delay_alu instid0(VALU_DEP_2) | instskip(NEXT) | instid1(VALU_DEP_2)
	v_fmac_f32_e32 v37, v4, v18
	v_fmac_f32_e32 v36, v4, v40
	;; [unrolled: 1-line block ×3, first 2 shown]
	s_delay_alu instid0(VALU_DEP_4)
	v_fmac_f32_e32 v39, v4, v19
	s_and_not1_saveexec_b32 s22, s6
	s_cbranch_execz .LBB556_11
.LBB556_37:                             ;   in Loop: Header=BB556_9 Depth=1
	s_waitcnt lgkmcnt(0)
	v_dual_mov_b32 v36, 0 :: v_dual_mov_b32 v37, 0
	v_dual_mov_b32 v38, 0 :: v_dual_mov_b32 v39, 0
	s_and_saveexec_b32 s43, s3
	s_cbranch_execz .LBB556_44
; %bb.38:                               ;   in Loop: Header=BB556_9 Depth=1
	s_and_not1_b32 vcc_lo, exec_lo, s39
	s_cbranch_vccnz .LBB556_41
; %bb.39:                               ;   in Loop: Header=BB556_9 Depth=1
	v_mov_b32_e32 v18, v9
	s_mov_b64 s[30:31], 0
	.p2align	6
.LBB556_40:                             ;   Parent Loop BB556_9 Depth=1
                                        ; =>  This Inner Loop Header: Depth=2
	s_delay_alu instid0(VALU_DEP_1) | instskip(SKIP_1) | instid1(VALU_DEP_1)
	v_ashrrev_i32_e32 v19, 31, v18
	s_cmp_eq_u32 s30, 3
	v_lshlrev_b64 v[36:37], 1, v[18:19]
	s_delay_alu instid0(VALU_DEP_1) | instskip(NEXT) | instid1(VALU_DEP_2)
	v_add_co_u32 v36, vcc_lo, s34, v36
	v_add_co_ci_u32_e32 v37, vcc_lo, s35, v37, vcc_lo
	s_cselect_b32 vcc_lo, -1, 0
	s_cmp_eq_u32 s30, 2
	s_cselect_b32 s6, -1, 0
	global_load_u16 v19, v[36:37], off
	s_cmp_eq_u32 s30, 1
	s_cselect_b32 s7, -1, 0
	s_cmp_eq_u32 s30, 0
	s_waitcnt vmcnt(0)
	v_lshlrev_b32_e32 v19, 16, v19
	s_delay_alu instid0(VALU_DEP_1)
	v_cndmask_b32_e32 v4, v4, v19, vcc_lo
	s_cselect_b32 vcc_lo, -1, 0
	v_dual_cndmask_b32 v1, v1, v19 :: v_dual_add_nc_u32 v18, s17, v18
	v_cndmask_b32_e64 v3, v3, v19, s6
	v_cndmask_b32_e64 v2, v2, v19, s7
	s_add_u32 s30, s30, 1
	s_addc_u32 s31, s31, 0
	s_cmp_eq_u32 s36, s30
	s_cbranch_scc0 .LBB556_40
.LBB556_41:                             ;   in Loop: Header=BB556_9 Depth=1
	v_dual_mov_b32 v36, 0 :: v_dual_mov_b32 v37, 0
	v_dual_mov_b32 v38, 0 :: v_dual_mov_b32 v39, 0
	s_and_not1_b32 vcc_lo, exec_lo, s39
	s_cbranch_vccnz .LBB556_44
; %bb.42:                               ;   in Loop: Header=BB556_9 Depth=1
	s_ashr_i32 s25, s24, 31
	v_dual_mov_b32 v39, 0 :: v_dual_mov_b32 v38, 0
	s_lshl_b64 s[6:7], s[24:25], 1
	v_dual_mov_b32 v37, 0 :: v_dual_mov_b32 v36, 0
	v_add_co_u32 v18, vcc_lo, v33, s6
	v_add_co_ci_u32_e32 v19, vcc_lo, s7, v34, vcc_lo
	s_mov_b64 s[30:31], 0
.LBB556_43:                             ;   Parent Loop BB556_9 Depth=1
                                        ; =>  This Inner Loop Header: Depth=2
	s_delay_alu instid0(SALU_CYCLE_1)
	s_cmp_eq_u32 s30, 1
	s_cselect_b32 vcc_lo, -1, 0
	s_cmp_eq_u32 s30, 2
	v_cndmask_b32_e32 v40, v1, v2, vcc_lo
	s_cselect_b32 vcc_lo, -1, 0
	s_cmp_eq_u32 s30, 3
	s_delay_alu instid0(VALU_DEP_1)
	v_cndmask_b32_e32 v46, v40, v3, vcc_lo
	s_cselect_b32 vcc_lo, -1, 0
	s_add_i32 s6, s28, s30
	s_add_i32 s44, s26, s30
	s_ashr_i32 s7, s6, 31
	s_ashr_i32 s45, s44, 31
	s_lshl_b64 s[6:7], s[6:7], 1
	s_add_i32 s46, s41, s30
	v_add_co_u32 v40, s6, v20, s6
	s_lshl_b64 s[44:45], s[44:45], 1
	s_ashr_i32 s47, s46, 31
	v_add_co_ci_u32_e64 v41, s6, s7, v21, s6
	v_add_co_u32 v42, s6, v20, s44
	s_lshl_b64 s[46:47], s[46:47], 1
	v_add_co_ci_u32_e64 v43, s6, s45, v21, s6
	v_add_co_u32 v44, s6, v20, s46
	s_delay_alu instid0(VALU_DEP_1)
	v_add_co_ci_u32_e64 v45, s6, s47, v21, s6
	global_load_u16 v47, v[18:19], off
	s_clause 0x2
	global_load_u16 v40, v[40:41], off
	global_load_u16 v41, v[42:43], off
	;; [unrolled: 1-line block ×3, first 2 shown]
	v_add_co_u32 v18, s6, v18, 2
	s_delay_alu instid0(VALU_DEP_1)
	v_add_co_ci_u32_e64 v19, s6, 0, v19, s6
	s_add_u32 s30, s30, 1
	s_addc_u32 s31, s31, 0
	s_cmp_lg_u32 s36, s30
	s_waitcnt vmcnt(2)
	v_lshlrev_b32_e32 v40, 16, v40
	s_waitcnt vmcnt(1)
	v_lshlrev_b32_e32 v41, 16, v41
	v_dual_cndmask_b32 v43, v46, v4 :: v_dual_lshlrev_b32 v44, 16, v47
	s_waitcnt vmcnt(0)
	s_delay_alu instid0(VALU_DEP_1) | instskip(NEXT) | instid1(VALU_DEP_2)
	v_dual_fmac_f32 v37, v43, v41 :: v_dual_lshlrev_b32 v42, 16, v42
	v_fmac_f32_e32 v39, v43, v44
	v_fmac_f32_e32 v38, v43, v40
	s_delay_alu instid0(VALU_DEP_3)
	v_fmac_f32_e32 v36, v43, v42
	s_cbranch_scc1 .LBB556_43
.LBB556_44:                             ;   in Loop: Header=BB556_9 Depth=1
	s_or_b32 exec_lo, exec_lo, s43
	s_delay_alu instid0(SALU_CYCLE_1)
	s_or_b32 exec_lo, exec_lo, s22
	s_and_saveexec_b32 s6, s0
	s_cbranch_execnz .LBB556_12
	s_branch .LBB556_13
.LBB556_45:                             ;   in Loop: Header=BB556_9 Depth=1
	ds_load_b32 v18, v31
	s_or_b32 exec_lo, exec_lo, s6
	s_and_saveexec_b32 s6, s0
	s_cbranch_execz .LBB556_17
.LBB556_46:                             ;   in Loop: Header=BB556_9 Depth=1
	s_waitcnt lgkmcnt(0)
	ds_bpermute_b32 v19, v28, v18
	s_waitcnt lgkmcnt(0)
	v_add_f32_e32 v18, v18, v19
	ds_bpermute_b32 v19, v29, v18
	s_waitcnt lgkmcnt(0)
	v_add_f32_e32 v18, v18, v19
	;; [unrolled: 3-line block ×3, first 2 shown]
	s_or_b32 exec_lo, exec_lo, s6
	s_and_saveexec_b32 s6, s0
	s_cbranch_execnz .LBB556_18
	s_branch .LBB556_19
.LBB556_47:                             ;   in Loop: Header=BB556_9 Depth=1
	ds_load_b32 v19, v31
	s_or_b32 exec_lo, exec_lo, s6
	s_and_saveexec_b32 s6, s0
	s_cbranch_execz .LBB556_23
.LBB556_48:                             ;   in Loop: Header=BB556_9 Depth=1
	s_waitcnt lgkmcnt(0)
	ds_bpermute_b32 v38, v28, v19
	s_waitcnt lgkmcnt(0)
	v_add_f32_e32 v19, v19, v38
	ds_bpermute_b32 v38, v29, v19
	s_waitcnt lgkmcnt(0)
	v_add_f32_e32 v19, v19, v38
	;; [unrolled: 3-line block ×3, first 2 shown]
	s_or_b32 exec_lo, exec_lo, s6
	s_and_saveexec_b32 s6, s0
	s_cbranch_execnz .LBB556_24
	s_branch .LBB556_25
.LBB556_49:                             ;   in Loop: Header=BB556_9 Depth=1
	ds_load_b32 v37, v31
	s_or_b32 exec_lo, exec_lo, s6
	s_and_saveexec_b32 s6, s0
	s_cbranch_execz .LBB556_29
.LBB556_50:                             ;   in Loop: Header=BB556_9 Depth=1
	s_waitcnt lgkmcnt(0)
	ds_bpermute_b32 v38, v28, v37
	s_waitcnt lgkmcnt(0)
	v_add_f32_e32 v37, v37, v38
	ds_bpermute_b32 v38, v29, v37
	s_waitcnt lgkmcnt(0)
	v_add_f32_e32 v37, v37, v38
	;; [unrolled: 3-line block ×3, first 2 shown]
	s_or_b32 exec_lo, exec_lo, s6
	s_and_saveexec_b32 s6, s0
	s_cbranch_execnz .LBB556_30
	s_branch .LBB556_31
.LBB556_51:                             ;   in Loop: Header=BB556_9 Depth=1
	ds_load_b32 v36, v31
	s_or_b32 exec_lo, exec_lo, s6
	s_and_saveexec_b32 s6, s0
	s_cbranch_execz .LBB556_35
.LBB556_52:                             ;   in Loop: Header=BB556_9 Depth=1
	s_waitcnt lgkmcnt(0)
	ds_bpermute_b32 v38, v28, v36
	s_waitcnt lgkmcnt(0)
	v_add_f32_e32 v36, v36, v38
	ds_bpermute_b32 v38, v29, v36
	s_waitcnt lgkmcnt(0)
	v_add_f32_e32 v36, v36, v38
	;; [unrolled: 3-line block ×3, first 2 shown]
	s_or_b32 exec_lo, exec_lo, s6
	s_and_saveexec_b32 s6, s5
	s_cbranch_execz .LBB556_8
.LBB556_53:                             ;   in Loop: Header=BB556_9 Depth=1
	s_mul_i32 s7, s19, s16
	v_dual_mul_f32 v18, s33, v18 :: v_dual_mul_f32 v19, s33, v19
	s_add_i32 s22, s7, s14
	v_mul_f32_e32 v37, s33, v37
	s_lshl_b64 s[30:31], s[22:23], 2
	s_delay_alu instid0(SALU_CYCLE_1)
	s_add_u32 s30, s38, s30
	s_addc_u32 s31, s37, s31
	s_add_i32 s22, s22, s16
	global_store_b32 v35, v18, s[30:31]
	s_waitcnt lgkmcnt(0)
	v_mul_f32_e32 v18, s33, v36
	s_lshl_b64 s[44:45], s[22:23], 2
	s_delay_alu instid0(SALU_CYCLE_1) | instskip(SKIP_4) | instid1(SALU_CYCLE_1)
	s_add_u32 s44, s38, s44
	s_addc_u32 s45, s37, s45
	s_add_i32 s22, s22, s16
	global_store_b32 v35, v19, s[44:45]
	s_lshl_b64 s[46:47], s[22:23], 2
	s_add_u32 s30, s38, s46
	s_addc_u32 s31, s37, s47
	s_add_i32 s22, s22, s16
	s_delay_alu instid0(SALU_CYCLE_1) | instskip(NEXT) | instid1(SALU_CYCLE_1)
	s_lshl_b64 s[46:47], s[22:23], 2
	s_add_u32 s44, s38, s46
	s_addc_u32 s45, s37, s47
	s_clause 0x1
	global_store_b32 v35, v37, s[30:31]
	global_store_b32 v35, v18, s[44:45]
	s_branch .LBB556_8
.LBB556_54:
	s_mov_b32 s19, 0
                                        ; implicit-def: $vgpr1_vgpr2_vgpr3_vgpr4
.LBB556_55:
	s_delay_alu instid0(SALU_CYCLE_1)
	s_cmp_ge_i32 s19, s13
	s_cbranch_scc1 .LBB556_79
; %bb.56:
	v_cmp_gt_u32_e32 vcc_lo, 16, v22
	v_lshlrev_b32_e32 v17, 2, v6
	v_cmp_eq_u32_e64 s3, 0, v6
	v_ashrrev_i32_e32 v6, 31, v5
	v_cmp_ge_i32_e64 s0, s12, v24
	v_cndmask_b32_e64 v9, 0, 1, vcc_lo
	v_cmp_gt_u32_e32 vcc_lo, 24, v22
	v_cmp_ge_i32_e64 s1, s12, v25
	s_cmp_gt_i32 s36, 0
	s_mov_b32 s15, 0
	v_lshlrev_b32_e32 v9, 4, v9
	v_cndmask_b32_e64 v10, 0, 1, vcc_lo
	v_cmp_gt_u32_e32 vcc_lo, 28, v22
	s_cselect_b32 s12, -1, 0
	s_lshl_b64 s[6:7], s[14:15], 2
	v_add_lshl_u32 v18, v9, v22, 2
	v_add_nc_u32_e32 v9, s17, v5
	v_cndmask_b32_e64 v11, 0, 1, vcc_lo
	v_cmp_gt_u32_e32 vcc_lo, 30, v22
	v_lshlrev_b32_e32 v10, 3, v10
	s_add_u32 s14, s38, s6
	s_addc_u32 s22, s37, s7
	v_lshlrev_b32_e32 v11, 2, v11
	v_cndmask_b32_e64 v12, 0, 1, vcc_lo
	v_cmp_ne_u32_e32 vcc_lo, 31, v22
	v_add_lshl_u32 v19, v10, v22, 2
	v_ashrrev_i32_e32 v10, 31, v9
	v_add_lshl_u32 v24, v11, v22, 2
	v_add_nc_u32_e32 v11, s17, v9
	v_add_co_ci_u32_e32 v13, vcc_lo, 0, v22, vcc_lo
	v_lshlrev_b32_e32 v12, 1, v12
	v_lshlrev_b64 v[15:16], 1, v[9:10]
	s_delay_alu instid0(VALU_DEP_4) | instskip(NEXT) | instid1(VALU_DEP_4)
	v_add_nc_u32_e32 v26, s17, v11
	v_lshlrev_b32_e32 v25, 2, v13
	v_lshlrev_b64 v[13:14], 1, v[5:6]
	v_add_lshl_u32 v22, v12, v22, 2
	v_ashrrev_i32_e32 v12, 31, v11
	v_ashrrev_i32_e32 v27, 31, v26
	s_add_u32 s6, s20, s10
	s_addc_u32 s7, s21, s11
	v_add_co_u32 v9, vcc_lo, s34, v13
	v_add_co_ci_u32_e32 v10, vcc_lo, s35, v14, vcc_lo
	v_lshlrev_b64 v[13:14], 1, v[11:12]
	v_add_co_u32 v11, vcc_lo, s34, v15
	v_add_co_ci_u32_e32 v12, vcc_lo, s35, v16, vcc_lo
	v_lshlrev_b64 v[15:16], 1, v[26:27]
	v_mov_b32_e32 v26, 0
	v_add_co_u32 v13, vcc_lo, s34, v13
	v_add_co_ci_u32_e32 v14, vcc_lo, s35, v14, vcc_lo
	s_delay_alu instid0(VALU_DEP_4)
	v_add_co_u32 v15, vcc_lo, s34, v15
	s_add_u32 s6, s8, s6
	v_add_co_ci_u32_e32 v16, vcc_lo, s35, v16, vcc_lo
	v_cmp_gt_u32_e64 s2, 32, v0
	v_cmp_gt_u32_e64 s4, 8, v0
	v_cmp_eq_u32_e64 s5, 0, v0
	s_addc_u32 s7, s9, s7
	v_add_co_u32 v0, vcc_lo, s6, v7
	v_and_b32_e32 v23, 28, v23
	v_add_co_ci_u32_e32 v8, vcc_lo, s7, v8, vcc_lo
	s_waitcnt lgkmcnt(0)
	s_mul_i32 s8, s19, s18
	s_branch .LBB556_58
.LBB556_57:                             ;   in Loop: Header=BB556_58 Depth=1
	s_or_b32 exec_lo, exec_lo, s6
	s_add_i32 s19, s19, 1
	s_add_i32 s8, s8, s18
	s_cmp_ge_i32 s19, s13
	s_cbranch_scc1 .LBB556_79
.LBB556_58:                             ; =>This Loop Header: Depth=1
                                        ;     Child Loop BB556_71 Depth 2
                                        ;     Child Loop BB556_74 Depth 2
	v_mov_b32_e32 v27, s15
	s_and_saveexec_b32 s6, s0
	s_delay_alu instid0(SALU_CYCLE_1)
	s_xor_b32 s6, exec_lo, s6
	s_cbranch_execnz .LBB556_67
; %bb.59:                               ;   in Loop: Header=BB556_58 Depth=1
	s_and_not1_saveexec_b32 s20, s6
	s_cbranch_execnz .LBB556_68
.LBB556_60:                             ;   in Loop: Header=BB556_58 Depth=1
	s_or_b32 exec_lo, exec_lo, s20
	s_and_saveexec_b32 s6, s2
	s_cbranch_execz .LBB556_62
.LBB556_61:                             ;   in Loop: Header=BB556_58 Depth=1
	ds_store_b32 v17, v26
.LBB556_62:                             ;   in Loop: Header=BB556_58 Depth=1
	s_or_b32 exec_lo, exec_lo, s6
	s_waitcnt lgkmcnt(0)
	ds_bpermute_b32 v6, v18, v27
	s_waitcnt lgkmcnt(0)
	s_waitcnt_vscnt null, 0x0
	s_barrier
	buffer_gl0_inv
	v_add_f32_e32 v6, v27, v6
	ds_bpermute_b32 v7, v19, v6
	s_waitcnt lgkmcnt(0)
	v_add_f32_e32 v6, v6, v7
	ds_bpermute_b32 v7, v24, v6
	s_waitcnt lgkmcnt(0)
	;; [unrolled: 3-line block ×3, first 2 shown]
	v_add_f32_e32 v6, v6, v7
	ds_bpermute_b32 v7, v25, v6
	s_and_saveexec_b32 s6, s3
	s_cbranch_execz .LBB556_64
; %bb.63:                               ;   in Loop: Header=BB556_58 Depth=1
	s_waitcnt lgkmcnt(0)
	v_add_f32_e32 v6, v6, v7
	ds_store_b32 v23, v6
.LBB556_64:                             ;   in Loop: Header=BB556_58 Depth=1
	s_or_b32 exec_lo, exec_lo, s6
	v_mov_b32_e32 v6, 0
	s_waitcnt lgkmcnt(0)
	s_barrier
	buffer_gl0_inv
	s_and_saveexec_b32 s6, s4
	s_cbranch_execnz .LBB556_76
; %bb.65:                               ;   in Loop: Header=BB556_58 Depth=1
	s_or_b32 exec_lo, exec_lo, s6
	s_and_saveexec_b32 s6, s2
	s_cbranch_execnz .LBB556_77
.LBB556_66:                             ;   in Loop: Header=BB556_58 Depth=1
	s_or_b32 exec_lo, exec_lo, s6
	s_and_saveexec_b32 s6, s5
	s_cbranch_execz .LBB556_57
	s_branch .LBB556_78
.LBB556_67:                             ;   in Loop: Header=BB556_58 Depth=1
	s_mul_i32 s10, s19, s18
	s_delay_alu instid0(SALU_CYCLE_1) | instskip(NEXT) | instid1(SALU_CYCLE_1)
	s_ashr_i32 s11, s10, 31
	s_lshl_b64 s[10:11], s[10:11], 1
	s_delay_alu instid0(SALU_CYCLE_1)
	v_add_co_u32 v1, vcc_lo, v20, s10
	v_add_co_ci_u32_e32 v2, vcc_lo, s11, v21, vcc_lo
	global_load_u16 v3, v[9:10], off
	s_waitcnt lgkmcnt(0)
	global_load_b64 v[6:7], v[1:2], off
	s_clause 0x2
	global_load_u16 v2, v[11:12], off
	global_load_u16 v4, v[13:14], off
	;; [unrolled: 1-line block ×3, first 2 shown]
	s_waitcnt vmcnt(4)
	v_lshlrev_b32_e32 v1, 16, v3
	s_waitcnt vmcnt(3)
	v_lshlrev_b32_e32 v3, 16, v6
	v_and_b32_e32 v6, 0xffff0000, v6
	s_delay_alu instid0(VALU_DEP_2)
	v_fma_f32 v27, v1, v3, 0
	s_waitcnt vmcnt(1)
	v_lshlrev_b32_e32 v3, 16, v4
	s_waitcnt vmcnt(0)
	v_lshlrev_b32_e32 v4, 16, v28
	v_lshlrev_b32_e32 v2, 16, v2
	s_delay_alu instid0(VALU_DEP_1) | instskip(SKIP_1) | instid1(VALU_DEP_2)
	v_dual_fmac_f32 v27, v2, v6 :: v_dual_lshlrev_b32 v6, 16, v7
	v_and_b32_e32 v7, 0xffff0000, v7
	v_fmac_f32_e32 v27, v3, v6
	s_delay_alu instid0(VALU_DEP_1)
	v_fmac_f32_e32 v27, v4, v7
	s_and_not1_saveexec_b32 s20, s6
	s_cbranch_execz .LBB556_60
.LBB556_68:                             ;   in Loop: Header=BB556_58 Depth=1
	s_and_saveexec_b32 s21, s1
	s_cbranch_execz .LBB556_75
; %bb.69:                               ;   in Loop: Header=BB556_58 Depth=1
	s_and_not1_b32 vcc_lo, exec_lo, s12
	s_cbranch_vccnz .LBB556_72
; %bb.70:                               ;   in Loop: Header=BB556_58 Depth=1
	s_waitcnt lgkmcnt(0)
	v_mov_b32_e32 v6, v5
	s_mov_b64 s[10:11], 0
	.p2align	6
.LBB556_71:                             ;   Parent Loop BB556_58 Depth=1
                                        ; =>  This Inner Loop Header: Depth=2
	s_delay_alu instid0(VALU_DEP_1) | instskip(SKIP_1) | instid1(VALU_DEP_1)
	v_ashrrev_i32_e32 v7, 31, v6
	s_cmp_eq_u32 s10, 3
	v_lshlrev_b64 v[28:29], 1, v[6:7]
	s_delay_alu instid0(VALU_DEP_1) | instskip(NEXT) | instid1(VALU_DEP_2)
	v_add_co_u32 v28, vcc_lo, s34, v28
	v_add_co_ci_u32_e32 v29, vcc_lo, s35, v29, vcc_lo
	s_cselect_b32 vcc_lo, -1, 0
	s_cmp_eq_u32 s10, 2
	s_cselect_b32 s6, -1, 0
	global_load_u16 v7, v[28:29], off
	s_cmp_eq_u32 s10, 1
	s_cselect_b32 s7, -1, 0
	s_cmp_eq_u32 s10, 0
	s_waitcnt vmcnt(0)
	v_lshlrev_b32_e32 v7, 16, v7
	s_delay_alu instid0(VALU_DEP_1)
	v_cndmask_b32_e32 v4, v4, v7, vcc_lo
	s_cselect_b32 vcc_lo, -1, 0
	v_dual_cndmask_b32 v1, v1, v7 :: v_dual_add_nc_u32 v6, s17, v6
	v_cndmask_b32_e64 v3, v3, v7, s6
	v_cndmask_b32_e64 v2, v2, v7, s7
	s_add_u32 s10, s10, 1
	s_addc_u32 s11, s11, 0
	s_cmp_eq_u32 s36, s10
	s_cbranch_scc0 .LBB556_71
.LBB556_72:                             ;   in Loop: Header=BB556_58 Depth=1
	s_and_not1_b32 vcc_lo, exec_lo, s12
	s_cbranch_vccnz .LBB556_75
; %bb.73:                               ;   in Loop: Header=BB556_58 Depth=1
	s_ashr_i32 s9, s8, 31
	s_delay_alu instid0(SALU_CYCLE_1)
	s_lshl_b64 s[6:7], s[8:9], 1
	s_waitcnt lgkmcnt(0)
	v_add_co_u32 v6, vcc_lo, v0, s6
	v_add_co_ci_u32_e32 v7, vcc_lo, s7, v8, vcc_lo
	s_mov_b64 s[6:7], 0
	.p2align	6
.LBB556_74:                             ;   Parent Loop BB556_58 Depth=1
                                        ; =>  This Inner Loop Header: Depth=2
	global_load_u16 v28, v[6:7], off
	s_cmp_eq_u32 s6, 1
	s_cselect_b32 vcc_lo, -1, 0
	s_cmp_eq_u32 s6, 2
	v_cndmask_b32_e32 v29, v1, v2, vcc_lo
	s_cselect_b32 vcc_lo, -1, 0
	s_cmp_eq_u32 s6, 3
	s_waitcnt vmcnt(0)
	s_delay_alu instid0(VALU_DEP_1)
	v_dual_cndmask_b32 v29, v29, v3 :: v_dual_lshlrev_b32 v28, 16, v28
	s_cselect_b32 vcc_lo, -1, 0
	s_add_u32 s6, s6, 1
	s_addc_u32 s7, s7, 0
	s_cmp_lg_u32 s36, s6
	v_cndmask_b32_e32 v29, v29, v4, vcc_lo
	v_add_co_u32 v6, vcc_lo, v6, 2
	v_add_co_ci_u32_e32 v7, vcc_lo, 0, v7, vcc_lo
	s_delay_alu instid0(VALU_DEP_3)
	v_fmac_f32_e32 v27, v29, v28
	s_cbranch_scc1 .LBB556_74
.LBB556_75:                             ;   in Loop: Header=BB556_58 Depth=1
	s_or_b32 exec_lo, exec_lo, s21
	s_delay_alu instid0(SALU_CYCLE_1)
	s_or_b32 exec_lo, exec_lo, s20
	s_and_saveexec_b32 s6, s2
	s_cbranch_execnz .LBB556_61
	s_branch .LBB556_62
.LBB556_76:                             ;   in Loop: Header=BB556_58 Depth=1
	ds_load_b32 v6, v17
	s_or_b32 exec_lo, exec_lo, s6
	s_and_saveexec_b32 s6, s2
	s_cbranch_execz .LBB556_66
.LBB556_77:                             ;   in Loop: Header=BB556_58 Depth=1
	s_waitcnt lgkmcnt(0)
	ds_bpermute_b32 v7, v24, v6
	s_waitcnt lgkmcnt(0)
	v_add_f32_e32 v6, v6, v7
	ds_bpermute_b32 v7, v22, v6
	s_waitcnt lgkmcnt(0)
	v_add_f32_e32 v6, v6, v7
	;; [unrolled: 3-line block ×3, first 2 shown]
	s_or_b32 exec_lo, exec_lo, s6
	s_and_saveexec_b32 s6, s5
	s_cbranch_execz .LBB556_57
.LBB556_78:                             ;   in Loop: Header=BB556_58 Depth=1
	s_mul_hi_u32 s11, s19, s16
	s_mul_i32 s10, s19, s16
	s_waitcnt lgkmcnt(0)
	v_mul_f32_e32 v6, s33, v6
	s_lshl_b64 s[10:11], s[10:11], 2
	s_delay_alu instid0(SALU_CYCLE_1)
	s_add_u32 s10, s14, s10
	s_addc_u32 s11, s22, s11
	global_store_b32 v26, v6, s[10:11]
	s_branch .LBB556_57
.LBB556_79:
	s_nop 0
	s_sendmsg sendmsg(MSG_DEALLOC_VGPRS)
	s_endpgm
	.section	.rodata,"a",@progbits
	.p2align	6, 0x0
	.amdhsa_kernel _ZL23rocblas_gemvt_sn_kernelILb0ELi256ELi4Ei16rocblas_bfloat16PKffEviiT4_lPKT3_lilS6_lilPT5_i
		.amdhsa_group_segment_fixed_size 128
		.amdhsa_private_segment_fixed_size 0
		.amdhsa_kernarg_size 360
		.amdhsa_user_sgpr_count 14
		.amdhsa_user_sgpr_dispatch_ptr 0
		.amdhsa_user_sgpr_queue_ptr 0
		.amdhsa_user_sgpr_kernarg_segment_ptr 1
		.amdhsa_user_sgpr_dispatch_id 0
		.amdhsa_user_sgpr_private_segment_size 0
		.amdhsa_wavefront_size32 1
		.amdhsa_uses_dynamic_stack 0
		.amdhsa_enable_private_segment 0
		.amdhsa_system_sgpr_workgroup_id_x 1
		.amdhsa_system_sgpr_workgroup_id_y 0
		.amdhsa_system_sgpr_workgroup_id_z 1
		.amdhsa_system_sgpr_workgroup_info 0
		.amdhsa_system_vgpr_workitem_id 0
		.amdhsa_next_free_vgpr 51
		.amdhsa_next_free_sgpr 48
		.amdhsa_reserve_vcc 1
		.amdhsa_float_round_mode_32 0
		.amdhsa_float_round_mode_16_64 0
		.amdhsa_float_denorm_mode_32 3
		.amdhsa_float_denorm_mode_16_64 3
		.amdhsa_dx10_clamp 1
		.amdhsa_ieee_mode 1
		.amdhsa_fp16_overflow 0
		.amdhsa_workgroup_processor_mode 1
		.amdhsa_memory_ordered 1
		.amdhsa_forward_progress 0
		.amdhsa_shared_vgpr_count 0
		.amdhsa_exception_fp_ieee_invalid_op 0
		.amdhsa_exception_fp_denorm_src 0
		.amdhsa_exception_fp_ieee_div_zero 0
		.amdhsa_exception_fp_ieee_overflow 0
		.amdhsa_exception_fp_ieee_underflow 0
		.amdhsa_exception_fp_ieee_inexact 0
		.amdhsa_exception_int_div_zero 0
	.end_amdhsa_kernel
	.section	.text._ZL23rocblas_gemvt_sn_kernelILb0ELi256ELi4Ei16rocblas_bfloat16PKffEviiT4_lPKT3_lilS6_lilPT5_i,"axG",@progbits,_ZL23rocblas_gemvt_sn_kernelILb0ELi256ELi4Ei16rocblas_bfloat16PKffEviiT4_lPKT3_lilS6_lilPT5_i,comdat
.Lfunc_end556:
	.size	_ZL23rocblas_gemvt_sn_kernelILb0ELi256ELi4Ei16rocblas_bfloat16PKffEviiT4_lPKT3_lilS6_lilPT5_i, .Lfunc_end556-_ZL23rocblas_gemvt_sn_kernelILb0ELi256ELi4Ei16rocblas_bfloat16PKffEviiT4_lPKT3_lilS6_lilPT5_i
                                        ; -- End function
	.section	.AMDGPU.csdata,"",@progbits
; Kernel info:
; codeLenInByte = 4344
; NumSgprs: 50
; NumVgprs: 51
; ScratchSize: 0
; MemoryBound: 0
; FloatMode: 240
; IeeeMode: 1
; LDSByteSize: 128 bytes/workgroup (compile time only)
; SGPRBlocks: 6
; VGPRBlocks: 6
; NumSGPRsForWavesPerEU: 50
; NumVGPRsForWavesPerEU: 51
; Occupancy: 16
; WaveLimiterHint : 1
; COMPUTE_PGM_RSRC2:SCRATCH_EN: 0
; COMPUTE_PGM_RSRC2:USER_SGPR: 14
; COMPUTE_PGM_RSRC2:TRAP_HANDLER: 0
; COMPUTE_PGM_RSRC2:TGID_X_EN: 1
; COMPUTE_PGM_RSRC2:TGID_Y_EN: 0
; COMPUTE_PGM_RSRC2:TGID_Z_EN: 1
; COMPUTE_PGM_RSRC2:TIDIG_COMP_CNT: 0
	.section	.text._ZL23rocblas_gemvt_sn_kernelILb0ELi256ELi4El16rocblas_bfloat16PKffEviiT4_lPKT3_lilS6_lilPT5_i,"axG",@progbits,_ZL23rocblas_gemvt_sn_kernelILb0ELi256ELi4El16rocblas_bfloat16PKffEviiT4_lPKT3_lilS6_lilPT5_i,comdat
	.globl	_ZL23rocblas_gemvt_sn_kernelILb0ELi256ELi4El16rocblas_bfloat16PKffEviiT4_lPKT3_lilS6_lilPT5_i ; -- Begin function _ZL23rocblas_gemvt_sn_kernelILb0ELi256ELi4El16rocblas_bfloat16PKffEviiT4_lPKT3_lilS6_lilPT5_i
	.p2align	8
	.type	_ZL23rocblas_gemvt_sn_kernelILb0ELi256ELi4El16rocblas_bfloat16PKffEviiT4_lPKT3_lilS6_lilPT5_i,@function
_ZL23rocblas_gemvt_sn_kernelILb0ELi256ELi4El16rocblas_bfloat16PKffEviiT4_lPKT3_lilS6_lilPT5_i: ; @_ZL23rocblas_gemvt_sn_kernelILb0ELi256ELi4El16rocblas_bfloat16PKffEviiT4_lPKT3_lilS6_lilPT5_i
; %bb.0:
	s_clause 0x2
	s_load_b256 s[4:11], s[0:1], 0x8
	s_load_b64 s[12:13], s[0:1], 0x0
	s_load_b32 s20, s[0:1], 0x68
	s_mov_b32 s21, 0
	s_waitcnt lgkmcnt(0)
	s_mul_i32 s3, s15, s7
	s_mul_hi_u32 s7, s15, s6
	s_mul_i32 s2, s15, s6
	s_add_i32 s3, s7, s3
	s_mul_i32 s16, s13, s15
	s_lshl_b64 s[2:3], s[2:3], 2
	s_delay_alu instid0(SALU_CYCLE_1)
	s_add_u32 s2, s4, s2
	s_addc_u32 s3, s5, s3
	s_load_b32 s33, s[2:3], 0x0
	s_load_b128 s[4:7], s[0:1], 0x50
	s_ashr_i32 s30, s13, 31
	s_mul_hi_u32 s2, s13, s15
	s_mul_i32 s3, s30, s15
	s_delay_alu instid0(SALU_CYCLE_1) | instskip(SKIP_4) | instid1(SALU_CYCLE_1)
	s_add_i32 s2, s2, s3
	s_mul_hi_u32 s3, s16, s20
	s_mul_i32 s17, s2, s20
	s_mul_i32 s2, s16, s20
	s_add_i32 s3, s3, s17
	s_lshl_b64 s[2:3], s[2:3], 2
	s_waitcnt lgkmcnt(0)
	v_cmp_neq_f32_e64 s16, s33, 0
	s_add_u32 s42, s6, s2
	v_cmp_eq_u32_e64 s2, 0, v0
	s_addc_u32 s43, s7, s3
	s_delay_alu instid0(VALU_DEP_2)
	s_and_b32 vcc_lo, exec_lo, s16
	s_cbranch_vccnz .LBB557_5
; %bb.1:
	s_cmp_gt_i32 s13, 0
	s_cselect_b32 s3, -1, 0
	s_delay_alu instid0(SALU_CYCLE_1) | instskip(NEXT) | instid1(SALU_CYCLE_1)
	s_and_b32 s2, s2, s3
	s_and_saveexec_b32 s16, s2
	s_cbranch_execz .LBB557_4
; %bb.2:
	s_mov_b32 s2, s15
	s_mov_b32 s15, 0
	v_mov_b32_e32 v1, 0
	s_lshl_b64 s[6:7], s[14:15], 2
	s_mov_b32 s15, s2
	s_add_u32 s2, s42, s6
	s_addc_u32 s3, s43, s7
	s_lshl_b64 s[6:7], s[20:21], 2
	s_mov_b32 s17, s13
.LBB557_3:                              ; =>This Inner Loop Header: Depth=1
	s_delay_alu instid0(SALU_CYCLE_1)
	s_add_i32 s17, s17, -1
	global_store_b32 v1, v1, s[2:3]
	s_add_u32 s2, s2, s6
	s_addc_u32 s3, s3, s7
	s_cmp_eq_u32 s17, 0
	s_cbranch_scc0 .LBB557_3
.LBB557_4:
	s_or_b32 exec_lo, exec_lo, s16
	s_cbranch_execz .LBB557_6
	s_branch .LBB557_79
.LBB557_5:
.LBB557_6:
	s_clause 0x3
	s_load_b32 s22, s[0:1], 0x28
	s_load_b32 s24, s[0:1], 0x48
	s_load_b128 s[16:19], s[0:1], 0x30
	s_load_b64 s[0:1], s[0:1], 0x40
	s_mul_i32 s3, s15, s5
	s_mul_hi_u32 s5, s15, s4
	s_mul_i32 s2, s15, s4
	s_add_i32 s3, s5, s3
	v_and_b32_e32 v24, 31, v0
	s_lshl_b64 s[26:27], s[2:3], 1
	v_mbcnt_lo_u32_b32 v27, -1, 0
	v_lshrrev_b32_e32 v29, 3, v0
	s_waitcnt lgkmcnt(0)
	s_ashr_i32 s23, s22, 31
	s_ashr_i32 s25, s24, 31
	s_add_u32 s5, s18, s26
	s_addc_u32 s6, s19, s27
	s_lshl_b64 s[28:29], s[0:1], 1
	s_mul_i32 s3, s15, s17
	s_mul_hi_u32 s4, s15, s16
	s_add_u32 s44, s5, s28
	s_mul_i32 s2, s15, s16
	s_addc_u32 s45, s6, s29
	s_add_i32 s3, s4, s3
	v_cmp_gt_u32_e64 s0, 32, v0
	s_lshl_b64 s[16:17], s[2:3], 1
	v_cmp_gt_u32_e64 s1, 8, v0
	s_add_u32 s2, s8, s16
	s_addc_u32 s3, s9, s17
	s_lshl_b64 s[10:11], s[10:11], 1
	s_delay_alu instid0(SALU_CYCLE_1)
	s_add_u32 s2, s2, s10
	s_addc_u32 s3, s3, s11
	s_lshl_b32 s4, s14, 10
	s_ashr_i32 s5, s12, 31
	v_lshl_or_b32 v9, v0, 2, s4
	s_lshr_b32 s4, s30, 30
	s_lshr_b32 s5, s5, 30
	s_add_i32 s4, s13, s4
	s_add_i32 s5, s12, s5
	v_ashrrev_i32_e32 v10, 31, v9
	s_and_b32 s46, s4, -4
	s_and_b32 s4, s5, -4
	v_add_nc_u32_e32 v30, 4, v9
	s_sub_i32 s21, s12, s4
	v_lshlrev_b64 v[7:8], 1, v[9:10]
	v_or_b32_e32 v28, 1, v9
	v_or_b32_e32 v26, 2, v9
	v_add_nc_u32_e32 v31, s21, v9
	v_or_b32_e32 v25, 3, v9
	s_cmp_lt_i32 s46, 1
	v_add_co_u32 v5, vcc_lo, s2, v7
	v_add_co_ci_u32_e32 v6, vcc_lo, s3, v8, vcc_lo
	s_cbranch_scc1 .LBB557_54
; %bb.7:
	v_cmp_gt_u32_e32 vcc_lo, 16, v27
	v_mad_i64_i32 v[12:13], null, s24, v26, 0
	v_mad_i64_i32 v[14:15], null, s24, v25, 0
	v_cndmask_b32_e64 v1, 0, 1, vcc_lo
	v_cmp_gt_u32_e32 vcc_lo, 24, v27
	s_mov_b32 s15, 0
	s_cmp_gt_i32 s21, 0
	s_delay_alu instid0(VALU_DEP_4)
	v_lshlrev_b64 v[16:17], 1, v[12:13]
	v_lshlrev_b32_e32 v1, 4, v1
	v_cndmask_b32_e64 v2, 0, 1, vcc_lo
	v_cmp_gt_u32_e32 vcc_lo, 28, v27
	s_cselect_b32 s47, -1, 0
	s_lshl_b64 s[6:7], s[14:15], 2
	s_delay_alu instid0(VALU_DEP_2)
	v_dual_mov_b32 v39, 0 :: v_dual_lshlrev_b32 v2, 3, v2
	v_cndmask_b32_e64 v3, 0, 1, vcc_lo
	v_cmp_gt_u32_e32 vcc_lo, 30, v27
	s_add_u32 s48, s42, s6
	s_addc_u32 s49, s43, s7
	v_add_lshl_u32 v33, v2, v27, 2
	v_lshlrev_b32_e32 v3, 2, v3
	v_cndmask_b32_e64 v4, 0, 1, vcc_lo
	v_cmp_ne_u32_e32 vcc_lo, 31, v27
	v_dual_mov_b32 v21, v6 :: v_dual_mov_b32 v20, v5
	v_add_lshl_u32 v32, v1, v27, 2
	s_delay_alu instid0(VALU_DEP_4) | instskip(SKIP_3) | instid1(VALU_DEP_4)
	v_lshlrev_b32_e32 v4, 1, v4
	v_mad_i64_i32 v[1:2], null, s24, v9, 0
	v_add_lshl_u32 v34, v3, v27, 2
	v_add_co_ci_u32_e32 v10, vcc_lo, 0, v27, vcc_lo
	v_add_lshl_u32 v35, v4, v27, 2
	v_mad_i64_i32 v[3:4], null, s24, v28, 0
	v_lshlrev_b64 v[1:2], 1, v[1:2]
	s_delay_alu instid0(VALU_DEP_4) | instskip(SKIP_4) | instid1(VALU_DEP_3)
	v_lshlrev_b32_e32 v36, 2, v10
	s_add_u32 s6, s18, s28
	s_addc_u32 s7, s19, s29
	s_add_u32 s6, s6, s26
	s_addc_u32 s7, s7, s27
	v_lshlrev_b64 v[3:4], 1, v[3:4]
	v_add_co_u32 v10, vcc_lo, s44, v1
	v_add_co_ci_u32_e32 v11, vcc_lo, s45, v2, vcc_lo
	v_cmp_ge_i32_e64 s2, s12, v30
	s_delay_alu instid0(VALU_DEP_4)
	v_add_co_u32 v12, vcc_lo, s44, v3
	v_add_co_ci_u32_e32 v13, vcc_lo, s45, v4, vcc_lo
	v_lshlrev_b64 v[3:4], 1, v[14:15]
	v_add_co_u32 v14, vcc_lo, s44, v16
	v_add_co_ci_u32_e32 v15, vcc_lo, s45, v17, vcc_lo
	v_cmp_ge_i32_e64 s3, s12, v31
	s_delay_alu instid0(VALU_DEP_4)
	v_add_co_u32 v16, vcc_lo, s44, v3
	v_add_co_ci_u32_e32 v17, vcc_lo, s45, v4, vcc_lo
	v_add_co_u32 v18, vcc_lo, s6, v1
	v_cmp_eq_u32_e64 s4, 0, v24
	v_lshlrev_b32_e32 v37, 2, v24
	v_and_b32_e32 v38, 28, v29
	v_cmp_eq_u32_e64 s5, 0, v0
	v_add_co_ci_u32_e32 v19, vcc_lo, s7, v2, vcc_lo
	s_lshl_b64 s[30:31], s[24:25], 1
	s_lshl_b64 s[34:35], s[22:23], 3
	;; [unrolled: 1-line block ×4, first 2 shown]
	s_mul_hi_i32 s50, s22, 6
	s_mul_i32 s51, s22, 6
                                        ; implicit-def: $vgpr1_vgpr2_vgpr3_vgpr4
	s_branch .LBB557_9
.LBB557_8:                              ;   in Loop: Header=BB557_9 Depth=1
	s_or_b32 exec_lo, exec_lo, s6
	v_add_co_u32 v20, vcc_lo, v20, s34
	v_add_co_ci_u32_e32 v21, vcc_lo, s35, v21, vcc_lo
	s_add_i32 s15, s15, 4
	s_delay_alu instid0(SALU_CYCLE_1)
	s_cmp_ge_i32 s15, s46
	s_cbranch_scc1 .LBB557_55
.LBB557_9:                              ; =>This Loop Header: Depth=1
                                        ;     Child Loop BB557_40 Depth 2
                                        ;     Child Loop BB557_43 Depth 2
                                        ; implicit-def: $vgpr40
                                        ; implicit-def: $vgpr41
                                        ; implicit-def: $vgpr42
                                        ; implicit-def: $vgpr43
	s_and_saveexec_b32 s6, s2
	s_delay_alu instid0(SALU_CYCLE_1)
	s_xor_b32 s6, exec_lo, s6
	s_cbranch_execnz .LBB557_36
; %bb.10:                               ;   in Loop: Header=BB557_9 Depth=1
	s_and_not1_saveexec_b32 s52, s6
	s_cbranch_execnz .LBB557_37
.LBB557_11:                             ;   in Loop: Header=BB557_9 Depth=1
	s_or_b32 exec_lo, exec_lo, s52
	s_and_saveexec_b32 s6, s0
	s_cbranch_execz .LBB557_13
.LBB557_12:                             ;   in Loop: Header=BB557_9 Depth=1
	ds_store_b32 v37, v39
.LBB557_13:                             ;   in Loop: Header=BB557_9 Depth=1
	s_or_b32 exec_lo, exec_lo, s6
	ds_bpermute_b32 v22, v32, v43
	s_waitcnt lgkmcnt(0)
	s_waitcnt_vscnt null, 0x0
	s_barrier
	buffer_gl0_inv
	v_add_f32_e32 v22, v43, v22
	ds_bpermute_b32 v23, v33, v22
	s_waitcnt lgkmcnt(0)
	v_add_f32_e32 v22, v22, v23
	ds_bpermute_b32 v23, v34, v22
	s_waitcnt lgkmcnt(0)
	;; [unrolled: 3-line block ×3, first 2 shown]
	v_add_f32_e32 v22, v22, v23
	ds_bpermute_b32 v23, v36, v22
	s_and_saveexec_b32 s6, s4
	s_cbranch_execz .LBB557_15
; %bb.14:                               ;   in Loop: Header=BB557_9 Depth=1
	s_waitcnt lgkmcnt(0)
	v_add_f32_e32 v22, v22, v23
	ds_store_b32 v38, v22
.LBB557_15:                             ;   in Loop: Header=BB557_9 Depth=1
	s_or_b32 exec_lo, exec_lo, s6
	v_mov_b32_e32 v22, 0
	s_waitcnt lgkmcnt(0)
	s_barrier
	buffer_gl0_inv
	s_and_saveexec_b32 s6, s1
	s_cbranch_execnz .LBB557_45
; %bb.16:                               ;   in Loop: Header=BB557_9 Depth=1
	s_or_b32 exec_lo, exec_lo, s6
	s_and_saveexec_b32 s6, s0
	s_cbranch_execnz .LBB557_46
.LBB557_17:                             ;   in Loop: Header=BB557_9 Depth=1
	s_or_b32 exec_lo, exec_lo, s6
	s_and_saveexec_b32 s6, s0
	s_cbranch_execz .LBB557_19
.LBB557_18:                             ;   in Loop: Header=BB557_9 Depth=1
	ds_store_b32 v37, v39
.LBB557_19:                             ;   in Loop: Header=BB557_9 Depth=1
	s_or_b32 exec_lo, exec_lo, s6
	ds_bpermute_b32 v23, v32, v42
	s_waitcnt lgkmcnt(0)
	s_barrier
	buffer_gl0_inv
	v_add_f32_e32 v23, v42, v23
	ds_bpermute_b32 v42, v33, v23
	s_waitcnt lgkmcnt(0)
	v_add_f32_e32 v23, v23, v42
	ds_bpermute_b32 v42, v34, v23
	s_waitcnt lgkmcnt(0)
	;; [unrolled: 3-line block ×3, first 2 shown]
	v_add_f32_e32 v23, v23, v42
	ds_bpermute_b32 v42, v36, v23
	s_and_saveexec_b32 s6, s4
	s_cbranch_execz .LBB557_21
; %bb.20:                               ;   in Loop: Header=BB557_9 Depth=1
	s_waitcnt lgkmcnt(0)
	v_add_f32_e32 v23, v23, v42
	ds_store_b32 v38, v23
.LBB557_21:                             ;   in Loop: Header=BB557_9 Depth=1
	s_or_b32 exec_lo, exec_lo, s6
	v_mov_b32_e32 v23, 0
	s_waitcnt lgkmcnt(0)
	s_barrier
	buffer_gl0_inv
	s_and_saveexec_b32 s6, s1
	s_cbranch_execnz .LBB557_47
; %bb.22:                               ;   in Loop: Header=BB557_9 Depth=1
	s_or_b32 exec_lo, exec_lo, s6
	s_and_saveexec_b32 s6, s0
	s_cbranch_execnz .LBB557_48
.LBB557_23:                             ;   in Loop: Header=BB557_9 Depth=1
	s_or_b32 exec_lo, exec_lo, s6
	s_and_saveexec_b32 s6, s0
	s_cbranch_execz .LBB557_25
.LBB557_24:                             ;   in Loop: Header=BB557_9 Depth=1
	ds_store_b32 v37, v39
.LBB557_25:                             ;   in Loop: Header=BB557_9 Depth=1
	s_or_b32 exec_lo, exec_lo, s6
	ds_bpermute_b32 v42, v32, v41
	s_waitcnt lgkmcnt(0)
	s_barrier
	buffer_gl0_inv
	v_add_f32_e32 v41, v41, v42
	ds_bpermute_b32 v42, v33, v41
	s_waitcnt lgkmcnt(0)
	v_add_f32_e32 v41, v41, v42
	ds_bpermute_b32 v42, v34, v41
	s_waitcnt lgkmcnt(0)
	;; [unrolled: 3-line block ×3, first 2 shown]
	v_add_f32_e32 v41, v41, v42
	ds_bpermute_b32 v42, v36, v41
	s_and_saveexec_b32 s6, s4
	s_cbranch_execz .LBB557_27
; %bb.26:                               ;   in Loop: Header=BB557_9 Depth=1
	s_waitcnt lgkmcnt(0)
	v_add_f32_e32 v41, v41, v42
	ds_store_b32 v38, v41
.LBB557_27:                             ;   in Loop: Header=BB557_9 Depth=1
	s_or_b32 exec_lo, exec_lo, s6
	v_mov_b32_e32 v41, 0
	s_waitcnt lgkmcnt(0)
	s_barrier
	buffer_gl0_inv
	s_and_saveexec_b32 s6, s1
	s_cbranch_execnz .LBB557_49
; %bb.28:                               ;   in Loop: Header=BB557_9 Depth=1
	s_or_b32 exec_lo, exec_lo, s6
	s_and_saveexec_b32 s6, s0
	s_cbranch_execnz .LBB557_50
.LBB557_29:                             ;   in Loop: Header=BB557_9 Depth=1
	s_or_b32 exec_lo, exec_lo, s6
	s_and_saveexec_b32 s6, s0
	s_cbranch_execz .LBB557_31
.LBB557_30:                             ;   in Loop: Header=BB557_9 Depth=1
	ds_store_b32 v37, v39
.LBB557_31:                             ;   in Loop: Header=BB557_9 Depth=1
	s_or_b32 exec_lo, exec_lo, s6
	ds_bpermute_b32 v42, v32, v40
	s_waitcnt lgkmcnt(0)
	s_barrier
	buffer_gl0_inv
	v_add_f32_e32 v40, v40, v42
	ds_bpermute_b32 v42, v33, v40
	s_waitcnt lgkmcnt(0)
	v_add_f32_e32 v40, v40, v42
	ds_bpermute_b32 v42, v34, v40
	s_waitcnt lgkmcnt(0)
	;; [unrolled: 3-line block ×3, first 2 shown]
	v_add_f32_e32 v40, v40, v42
	ds_bpermute_b32 v42, v36, v40
	s_and_saveexec_b32 s6, s4
	s_cbranch_execz .LBB557_33
; %bb.32:                               ;   in Loop: Header=BB557_9 Depth=1
	s_waitcnt lgkmcnt(0)
	v_add_f32_e32 v40, v40, v42
	ds_store_b32 v38, v40
.LBB557_33:                             ;   in Loop: Header=BB557_9 Depth=1
	s_or_b32 exec_lo, exec_lo, s6
	v_mov_b32_e32 v40, 0
	s_waitcnt lgkmcnt(0)
	s_barrier
	buffer_gl0_inv
	s_and_saveexec_b32 s6, s1
	s_cbranch_execnz .LBB557_51
; %bb.34:                               ;   in Loop: Header=BB557_9 Depth=1
	s_or_b32 exec_lo, exec_lo, s6
	s_and_saveexec_b32 s6, s0
	s_cbranch_execnz .LBB557_52
.LBB557_35:                             ;   in Loop: Header=BB557_9 Depth=1
	s_or_b32 exec_lo, exec_lo, s6
	s_and_saveexec_b32 s6, s5
	s_cbranch_execz .LBB557_8
	s_branch .LBB557_53
.LBB557_36:                             ;   in Loop: Header=BB557_9 Depth=1
	s_mul_i32 s7, s15, s23
	s_mul_hi_u32 s41, s15, s22
	s_mul_i32 s40, s15, s22
	s_add_i32 s41, s41, s7
	s_or_b32 s7, s15, 1
	s_lshl_b64 s[40:41], s[40:41], 1
	s_delay_alu instid0(SALU_CYCLE_1) | instskip(SKIP_3) | instid1(SALU_CYCLE_1)
	v_add_co_u32 v1, vcc_lo, v5, s40
	v_add_co_ci_u32_e32 v2, vcc_lo, s41, v6, vcc_lo
	s_mul_i32 s40, s7, s23
	s_mul_hi_u32 s41, s7, s22
	s_add_i32 s41, s41, s40
	s_mul_i32 s40, s7, s22
	s_or_b32 s7, s15, 2
	s_lshl_b64 s[40:41], s[40:41], 1
	global_load_b64 v[22:23], v[1:2], off
	s_mul_i32 s52, s7, s23
	s_mul_hi_u32 s53, s7, s22
	v_add_co_u32 v1, vcc_lo, v5, s40
	v_add_co_ci_u32_e32 v2, vcc_lo, s41, v6, vcc_lo
	s_add_i32 s41, s53, s52
	s_or_b32 s52, s15, 3
	s_mul_i32 s40, s7, s22
	s_mul_i32 s7, s52, s23
	s_mul_hi_u32 s53, s52, s22
	s_lshl_b64 s[40:41], s[40:41], 1
	s_add_i32 s53, s53, s7
	s_mul_i32 s52, s52, s22
	v_add_co_u32 v3, vcc_lo, v5, s40
	v_add_co_ci_u32_e32 v4, vcc_lo, s41, v6, vcc_lo
	s_lshl_b64 s[40:41], s[52:53], 1
	s_clause 0x3
	global_load_u16 v48, v[10:11], off
	global_load_u16 v49, v[12:13], off
	;; [unrolled: 1-line block ×4, first 2 shown]
	s_waitcnt lgkmcnt(0)
	v_add_co_u32 v40, vcc_lo, v5, s40
	v_add_co_ci_u32_e32 v41, vcc_lo, s41, v6, vcc_lo
	s_clause 0x2
	global_load_b64 v[42:43], v[1:2], off
	global_load_b64 v[44:45], v[3:4], off
	;; [unrolled: 1-line block ×3, first 2 shown]
	s_waitcnt vmcnt(7)
	v_lshlrev_b32_e32 v40, 16, v22
	s_waitcnt vmcnt(2)
	v_lshlrev_b32_e32 v52, 16, v43
	;; [unrolled: 2-line block ×3, first 2 shown]
	v_and_b32_e32 v22, 0xffff0000, v22
	v_lshlrev_b32_e32 v4, 16, v51
	v_and_b32_e32 v51, 0xffff0000, v42
	v_and_b32_e32 v55, 0xffff0000, v43
	v_lshlrev_b32_e32 v3, 16, v50
	v_lshlrev_b32_e32 v2, 16, v49
	;; [unrolled: 1-line block ×4, first 2 shown]
	v_and_b32_e32 v45, 0xffff0000, v45
	s_waitcnt vmcnt(0)
	v_lshlrev_b32_e32 v54, 16, v47
	s_delay_alu instid0(VALU_DEP_3) | instskip(NEXT) | instid1(VALU_DEP_1)
	v_fma_f32 v42, v1, v41, 0
	v_fmac_f32_e32 v42, v2, v51
	v_fma_f32 v43, v1, v40, 0
	s_delay_alu instid0(VALU_DEP_1) | instskip(SKIP_2) | instid1(VALU_DEP_2)
	v_dual_fmac_f32 v42, v3, v52 :: v_dual_fmac_f32 v43, v2, v22
	v_lshlrev_b32_e32 v48, 16, v23
	v_and_b32_e32 v22, 0xffff0000, v47
	v_dual_fmac_f32 v42, v4, v55 :: v_dual_fmac_f32 v43, v3, v48
	v_lshlrev_b32_e32 v50, 16, v46
	v_and_b32_e32 v46, 0xffff0000, v46
	s_delay_alu instid0(VALU_DEP_2) | instskip(NEXT) | instid1(VALU_DEP_1)
	v_fma_f32 v40, v1, v50, 0
	v_dual_fmac_f32 v40, v2, v46 :: v_dual_and_b32 v23, 0xffff0000, v23
	v_lshlrev_b32_e32 v49, 16, v44
	s_delay_alu instid0(VALU_DEP_2) | instskip(NEXT) | instid1(VALU_DEP_3)
	v_dual_fmac_f32 v43, v4, v23 :: v_dual_and_b32 v44, 0xffff0000, v44
	v_fmac_f32_e32 v40, v3, v54
	s_delay_alu instid0(VALU_DEP_3) | instskip(NEXT) | instid1(VALU_DEP_1)
	v_fma_f32 v41, v1, v49, 0
	v_dual_fmac_f32 v40, v4, v22 :: v_dual_fmac_f32 v41, v2, v44
	s_delay_alu instid0(VALU_DEP_1) | instskip(NEXT) | instid1(VALU_DEP_1)
	v_fmac_f32_e32 v41, v3, v53
	v_fmac_f32_e32 v41, v4, v45
	s_and_not1_saveexec_b32 s52, s6
	s_cbranch_execz .LBB557_11
.LBB557_37:                             ;   in Loop: Header=BB557_9 Depth=1
	s_waitcnt lgkmcnt(0)
	v_dual_mov_b32 v40, 0 :: v_dual_mov_b32 v41, 0
	v_dual_mov_b32 v42, 0 :: v_dual_mov_b32 v43, 0
	s_and_saveexec_b32 s53, s3
	s_cbranch_execz .LBB557_44
; %bb.38:                               ;   in Loop: Header=BB557_9 Depth=1
	s_and_not1_b32 vcc_lo, exec_lo, s47
	s_cbranch_vccnz .LBB557_41
; %bb.39:                               ;   in Loop: Header=BB557_9 Depth=1
	v_dual_mov_b32 v23, v19 :: v_dual_mov_b32 v22, v18
	s_mov_b64 s[40:41], 0
	.p2align	6
.LBB557_40:                             ;   Parent Loop BB557_9 Depth=1
                                        ; =>  This Inner Loop Header: Depth=2
	global_load_u16 v40, v[22:23], off
	v_add_co_u32 v22, vcc_lo, v22, s30
	s_cmp_eq_u32 s40, 3
	v_add_co_ci_u32_e32 v23, vcc_lo, s31, v23, vcc_lo
	s_cselect_b32 vcc_lo, -1, 0
	s_cmp_eq_u32 s40, 2
	s_cselect_b32 s6, -1, 0
	s_cmp_eq_u32 s40, 1
	s_cselect_b32 s7, -1, 0
	s_cmp_eq_u32 s40, 0
	s_waitcnt vmcnt(0)
	v_lshlrev_b32_e32 v40, 16, v40
	s_delay_alu instid0(VALU_DEP_1)
	v_cndmask_b32_e32 v4, v4, v40, vcc_lo
	s_cselect_b32 vcc_lo, -1, 0
	v_cndmask_b32_e64 v3, v3, v40, s6
	v_cndmask_b32_e64 v2, v2, v40, s7
	v_cndmask_b32_e32 v1, v1, v40, vcc_lo
	s_add_u32 s40, s40, 1
	s_addc_u32 s41, s41, 0
	s_cmp_eq_u32 s21, s40
	s_cbranch_scc0 .LBB557_40
.LBB557_41:                             ;   in Loop: Header=BB557_9 Depth=1
	v_dual_mov_b32 v40, 0 :: v_dual_mov_b32 v41, 0
	v_dual_mov_b32 v42, 0 :: v_dual_mov_b32 v43, 0
	s_and_not1_b32 vcc_lo, exec_lo, s47
	s_cbranch_vccnz .LBB557_44
; %bb.42:                               ;   in Loop: Header=BB557_9 Depth=1
	v_dual_mov_b32 v23, v21 :: v_dual_mov_b32 v42, 0
	v_dual_mov_b32 v43, 0 :: v_dual_mov_b32 v22, v20
	;; [unrolled: 1-line block ×3, first 2 shown]
	s_mov_b64 s[40:41], 0
	s_set_inst_prefetch_distance 0x1
	.p2align	6
.LBB557_43:                             ;   Parent Loop BB557_9 Depth=1
                                        ; =>  This Inner Loop Header: Depth=2
	s_delay_alu instid0(VALU_DEP_2)
	v_add_co_u32 v44, vcc_lo, v22, s36
	v_add_co_ci_u32_e32 v45, vcc_lo, s37, v23, vcc_lo
	v_add_co_u32 v46, vcc_lo, v22, s38
	v_add_co_ci_u32_e32 v47, vcc_lo, s39, v23, vcc_lo
	;; [unrolled: 2-line block ×3, first 2 shown]
	s_clause 0x3
	global_load_u16 v50, v[22:23], off
	global_load_u16 v44, v[44:45], off
	;; [unrolled: 1-line block ×4, first 2 shown]
	s_cmp_eq_u32 s40, 1
	v_add_co_u32 v22, s6, v22, 2
	s_cselect_b32 vcc_lo, -1, 0
	s_cmp_eq_u32 s40, 2
	v_cndmask_b32_e32 v47, v1, v2, vcc_lo
	s_cselect_b32 vcc_lo, -1, 0
	s_cmp_eq_u32 s40, 3
	v_add_co_ci_u32_e64 v23, s6, 0, v23, s6
	s_waitcnt vmcnt(3)
	v_lshlrev_b32_e32 v48, 16, v50
	s_waitcnt vmcnt(2)
	v_dual_cndmask_b32 v47, v47, v3 :: v_dual_lshlrev_b32 v44, 16, v44
	s_cselect_b32 vcc_lo, -1, 0
	s_waitcnt vmcnt(0)
	v_lshlrev_b32_e32 v46, 16, v46
	s_add_u32 s40, s40, 1
	s_addc_u32 s41, s41, 0
	v_cndmask_b32_e32 v47, v47, v4, vcc_lo
	v_lshlrev_b32_e32 v45, 16, v45
	s_cmp_lg_u32 s21, s40
	s_delay_alu instid0(VALU_DEP_2) | instskip(SKIP_1) | instid1(VALU_DEP_3)
	v_fmac_f32_e32 v42, v47, v44
	v_fmac_f32_e32 v43, v47, v48
	;; [unrolled: 1-line block ×4, first 2 shown]
	s_cbranch_scc1 .LBB557_43
.LBB557_44:                             ;   in Loop: Header=BB557_9 Depth=1
	s_set_inst_prefetch_distance 0x2
	s_or_b32 exec_lo, exec_lo, s53
	s_delay_alu instid0(SALU_CYCLE_1)
	s_or_b32 exec_lo, exec_lo, s52
	s_and_saveexec_b32 s6, s0
	s_cbranch_execnz .LBB557_12
	s_branch .LBB557_13
.LBB557_45:                             ;   in Loop: Header=BB557_9 Depth=1
	ds_load_b32 v22, v37
	s_or_b32 exec_lo, exec_lo, s6
	s_and_saveexec_b32 s6, s0
	s_cbranch_execz .LBB557_17
.LBB557_46:                             ;   in Loop: Header=BB557_9 Depth=1
	s_waitcnt lgkmcnt(0)
	ds_bpermute_b32 v23, v34, v22
	s_waitcnt lgkmcnt(0)
	v_add_f32_e32 v22, v22, v23
	ds_bpermute_b32 v23, v35, v22
	s_waitcnt lgkmcnt(0)
	v_add_f32_e32 v22, v22, v23
	;; [unrolled: 3-line block ×3, first 2 shown]
	s_or_b32 exec_lo, exec_lo, s6
	s_and_saveexec_b32 s6, s0
	s_cbranch_execnz .LBB557_18
	s_branch .LBB557_19
.LBB557_47:                             ;   in Loop: Header=BB557_9 Depth=1
	ds_load_b32 v23, v37
	s_or_b32 exec_lo, exec_lo, s6
	s_and_saveexec_b32 s6, s0
	s_cbranch_execz .LBB557_23
.LBB557_48:                             ;   in Loop: Header=BB557_9 Depth=1
	s_waitcnt lgkmcnt(0)
	ds_bpermute_b32 v42, v34, v23
	s_waitcnt lgkmcnt(0)
	v_add_f32_e32 v23, v23, v42
	ds_bpermute_b32 v42, v35, v23
	s_waitcnt lgkmcnt(0)
	v_add_f32_e32 v23, v23, v42
	;; [unrolled: 3-line block ×3, first 2 shown]
	s_or_b32 exec_lo, exec_lo, s6
	s_and_saveexec_b32 s6, s0
	s_cbranch_execnz .LBB557_24
	s_branch .LBB557_25
.LBB557_49:                             ;   in Loop: Header=BB557_9 Depth=1
	ds_load_b32 v41, v37
	s_or_b32 exec_lo, exec_lo, s6
	s_and_saveexec_b32 s6, s0
	s_cbranch_execz .LBB557_29
.LBB557_50:                             ;   in Loop: Header=BB557_9 Depth=1
	s_waitcnt lgkmcnt(0)
	ds_bpermute_b32 v42, v34, v41
	s_waitcnt lgkmcnt(0)
	v_add_f32_e32 v41, v41, v42
	ds_bpermute_b32 v42, v35, v41
	s_waitcnt lgkmcnt(0)
	v_add_f32_e32 v41, v41, v42
	;; [unrolled: 3-line block ×3, first 2 shown]
	s_or_b32 exec_lo, exec_lo, s6
	s_and_saveexec_b32 s6, s0
	s_cbranch_execnz .LBB557_30
	s_branch .LBB557_31
.LBB557_51:                             ;   in Loop: Header=BB557_9 Depth=1
	ds_load_b32 v40, v37
	s_or_b32 exec_lo, exec_lo, s6
	s_and_saveexec_b32 s6, s0
	s_cbranch_execz .LBB557_35
.LBB557_52:                             ;   in Loop: Header=BB557_9 Depth=1
	s_waitcnt lgkmcnt(0)
	ds_bpermute_b32 v42, v34, v40
	s_waitcnt lgkmcnt(0)
	v_add_f32_e32 v40, v40, v42
	ds_bpermute_b32 v42, v35, v40
	s_waitcnt lgkmcnt(0)
	v_add_f32_e32 v40, v40, v42
	;; [unrolled: 3-line block ×3, first 2 shown]
	s_or_b32 exec_lo, exec_lo, s6
	s_and_saveexec_b32 s6, s5
	s_cbranch_execz .LBB557_8
.LBB557_53:                             ;   in Loop: Header=BB557_9 Depth=1
	s_mul_hi_u32 s41, s15, s20
	s_mul_i32 s40, s15, s20
	v_dual_mul_f32 v22, s33, v22 :: v_dual_mul_f32 v23, s33, v23
	s_lshl_b64 s[40:41], s[40:41], 2
	s_waitcnt lgkmcnt(0)
	v_mul_f32_e32 v40, s33, v40
	s_add_u32 s40, s48, s40
	s_addc_u32 s41, s49, s41
	s_or_b32 s7, s15, 1
	global_store_b32 v39, v22, s[40:41]
	s_mul_hi_u32 s53, s7, s20
	s_mul_i32 s52, s7, s20
	v_mul_f32_e32 v22, s33, v41
	s_lshl_b64 s[52:53], s[52:53], 2
	s_delay_alu instid0(SALU_CYCLE_1)
	s_add_u32 s52, s48, s52
	s_addc_u32 s53, s49, s53
	s_or_b32 s7, s15, 2
	global_store_b32 v39, v23, s[52:53]
	s_mul_hi_u32 s55, s7, s20
	s_mul_i32 s54, s7, s20
	s_delay_alu instid0(SALU_CYCLE_1) | instskip(NEXT) | instid1(SALU_CYCLE_1)
	s_lshl_b64 s[54:55], s[54:55], 2
	s_add_u32 s40, s48, s54
	s_addc_u32 s41, s49, s55
	s_or_b32 s7, s15, 3
	s_delay_alu instid0(SALU_CYCLE_1) | instskip(SKIP_1) | instid1(SALU_CYCLE_1)
	s_mul_hi_u32 s55, s7, s20
	s_mul_i32 s54, s7, s20
	s_lshl_b64 s[54:55], s[54:55], 2
	s_delay_alu instid0(SALU_CYCLE_1)
	s_add_u32 s52, s48, s54
	s_addc_u32 s53, s49, s55
	s_clause 0x1
	global_store_b32 v39, v22, s[40:41]
	global_store_b32 v39, v40, s[52:53]
	s_branch .LBB557_8
.LBB557_54:
	s_mov_b32 s15, 0
                                        ; implicit-def: $vgpr1_vgpr2_vgpr3_vgpr4
.LBB557_55:
	s_delay_alu instid0(SALU_CYCLE_1)
	s_cmp_ge_i32 s15, s13
	s_cbranch_scc1 .LBB557_79
; %bb.56:
	v_cmp_gt_u32_e32 vcc_lo, 16, v27
	v_cmp_ge_i32_e64 s0, s12, v30
	v_cmp_ge_i32_e64 s1, s12, v31
	v_mad_i64_i32 v[19:20], null, s24, v25, 0
	v_cndmask_b32_e64 v10, 0, 1, vcc_lo
	v_cmp_gt_u32_e32 vcc_lo, 24, v27
	s_cmp_gt_i32 s21, 0
	s_mov_b32 s31, 0
	s_mov_b32 s30, s14
	v_lshlrev_b32_e32 v10, 4, v10
	v_cndmask_b32_e64 v11, 0, 1, vcc_lo
	v_cmp_gt_u32_e32 vcc_lo, 28, v27
	s_cselect_b32 s12, -1, 0
	s_lshl_b64 s[6:7], s[30:31], 2
	v_add_lshl_u32 v22, v10, v27, 2
	v_lshlrev_b32_e32 v11, 3, v11
	v_cndmask_b32_e64 v12, 0, 1, vcc_lo
	v_cmp_gt_u32_e32 vcc_lo, 30, v27
	s_add_u32 s14, s42, s6
	s_addc_u32 s30, s43, s7
	v_add_lshl_u32 v23, v11, v27, 2
	v_lshlrev_b32_e32 v12, 2, v12
	v_cndmask_b32_e64 v13, 0, 1, vcc_lo
	v_cmp_ne_u32_e32 vcc_lo, 31, v27
	v_mad_i64_i32 v[10:11], null, s24, v9, 0
	s_delay_alu instid0(VALU_DEP_4) | instskip(NEXT) | instid1(VALU_DEP_4)
	v_add_lshl_u32 v30, v12, v27, 2
	v_lshlrev_b32_e32 v13, 1, v13
	v_add_co_ci_u32_e32 v14, vcc_lo, 0, v27, vcc_lo
	s_add_u32 s6, s18, s28
	s_addc_u32 s7, s19, s29
	s_delay_alu instid0(VALU_DEP_2)
	v_add_lshl_u32 v27, v13, v27, 2
	v_mad_i64_i32 v[12:13], null, s24, v28, 0
	v_lshlrev_b32_e32 v31, 2, v14
	v_mad_i64_i32 v[14:15], null, s24, v26, 0
	v_lshlrev_b64 v[17:18], 1, v[10:11]
	s_add_u32 s18, s6, s26
	s_mul_i32 s6, s23, s15
	s_delay_alu instid0(VALU_DEP_4)
	v_lshlrev_b64 v[11:12], 1, v[12:13]
	s_mul_hi_u32 s19, s22, s15
	s_addc_u32 s26, s7, s27
	v_add_co_u32 v9, vcc_lo, s44, v17
	v_lshlrev_b64 v[13:14], 1, v[14:15]
	v_add_co_ci_u32_e32 v10, vcc_lo, s45, v18, vcc_lo
	v_add_co_u32 v11, vcc_lo, s44, v11
	v_lshlrev_b64 v[15:16], 1, v[19:20]
	v_add_co_ci_u32_e32 v12, vcc_lo, s45, v12, vcc_lo
	v_add_co_u32 v13, vcc_lo, s44, v13
	v_add_co_ci_u32_e32 v14, vcc_lo, s45, v14, vcc_lo
	s_delay_alu instid0(VALU_DEP_4)
	v_add_co_u32 v15, vcc_lo, s44, v15
	s_add_i32 s7, s19, s6
	s_mul_i32 s6, s22, s15
	v_add_co_ci_u32_e32 v16, vcc_lo, s45, v16, vcc_lo
	s_lshl_b64 s[6:7], s[6:7], 1
	v_add_co_u32 v17, vcc_lo, s18, v17
	s_lshl_b64 s[18:19], s[24:25], 1
	s_add_u32 s6, s16, s6
	s_addc_u32 s7, s17, s7
	s_add_u32 s6, s6, s10
	s_addc_u32 s7, s7, s11
	s_add_u32 s6, s8, s6
	v_add_co_ci_u32_e32 v18, vcc_lo, s26, v18, vcc_lo
	s_addc_u32 s7, s9, s7
	v_add_co_u32 v7, vcc_lo, s6, v7
	v_cmp_gt_u32_e64 s2, 32, v0
	v_lshlrev_b32_e32 v21, 2, v24
	v_cmp_eq_u32_e64 s3, 0, v24
	v_and_b32_e32 v24, 28, v29
	v_cmp_gt_u32_e64 s4, 8, v0
	v_cmp_eq_u32_e64 s5, 0, v0
	v_mov_b32_e32 v0, 0
	v_add_co_ci_u32_e32 v8, vcc_lo, s7, v8, vcc_lo
	s_lshl_b64 s[8:9], s[22:23], 1
	s_branch .LBB557_58
.LBB557_57:                             ;   in Loop: Header=BB557_58 Depth=1
	s_or_b32 exec_lo, exec_lo, s6
	v_add_co_u32 v7, vcc_lo, v7, s8
	v_add_co_ci_u32_e32 v8, vcc_lo, s9, v8, vcc_lo
	s_add_i32 s15, s15, 1
	s_delay_alu instid0(SALU_CYCLE_1)
	s_cmp_ge_i32 s15, s13
	s_cbranch_scc1 .LBB557_79
.LBB557_58:                             ; =>This Loop Header: Depth=1
                                        ;     Child Loop BB557_71 Depth 2
                                        ;     Child Loop BB557_74 Depth 2
	v_mov_b32_e32 v25, s31
	s_and_saveexec_b32 s6, s0
	s_delay_alu instid0(SALU_CYCLE_1)
	s_xor_b32 s6, exec_lo, s6
	s_cbranch_execnz .LBB557_67
; %bb.59:                               ;   in Loop: Header=BB557_58 Depth=1
	s_and_not1_saveexec_b32 s16, s6
	s_cbranch_execnz .LBB557_68
.LBB557_60:                             ;   in Loop: Header=BB557_58 Depth=1
	s_or_b32 exec_lo, exec_lo, s16
	s_and_saveexec_b32 s6, s2
	s_cbranch_execz .LBB557_62
.LBB557_61:                             ;   in Loop: Header=BB557_58 Depth=1
	ds_store_b32 v21, v0
.LBB557_62:                             ;   in Loop: Header=BB557_58 Depth=1
	s_or_b32 exec_lo, exec_lo, s6
	s_waitcnt lgkmcnt(0)
	ds_bpermute_b32 v19, v22, v25
	s_waitcnt lgkmcnt(0)
	s_waitcnt_vscnt null, 0x0
	s_barrier
	buffer_gl0_inv
	v_add_f32_e32 v19, v25, v19
	ds_bpermute_b32 v20, v23, v19
	s_waitcnt lgkmcnt(0)
	v_add_f32_e32 v19, v19, v20
	ds_bpermute_b32 v20, v30, v19
	s_waitcnt lgkmcnt(0)
	;; [unrolled: 3-line block ×3, first 2 shown]
	v_add_f32_e32 v19, v19, v20
	ds_bpermute_b32 v20, v31, v19
	s_and_saveexec_b32 s6, s3
	s_cbranch_execz .LBB557_64
; %bb.63:                               ;   in Loop: Header=BB557_58 Depth=1
	s_waitcnt lgkmcnt(0)
	v_add_f32_e32 v19, v19, v20
	ds_store_b32 v24, v19
.LBB557_64:                             ;   in Loop: Header=BB557_58 Depth=1
	s_or_b32 exec_lo, exec_lo, s6
	v_mov_b32_e32 v19, 0
	s_waitcnt lgkmcnt(0)
	s_barrier
	buffer_gl0_inv
	s_and_saveexec_b32 s6, s4
	s_cbranch_execnz .LBB557_76
; %bb.65:                               ;   in Loop: Header=BB557_58 Depth=1
	s_or_b32 exec_lo, exec_lo, s6
	s_and_saveexec_b32 s6, s2
	s_cbranch_execnz .LBB557_77
.LBB557_66:                             ;   in Loop: Header=BB557_58 Depth=1
	s_or_b32 exec_lo, exec_lo, s6
	s_and_saveexec_b32 s6, s5
	s_cbranch_execz .LBB557_57
	s_branch .LBB557_78
.LBB557_67:                             ;   in Loop: Header=BB557_58 Depth=1
	s_mul_i32 s7, s15, s23
	s_mul_hi_u32 s11, s15, s22
	s_mul_i32 s10, s15, s22
	s_add_i32 s11, s11, s7
	s_delay_alu instid0(SALU_CYCLE_1) | instskip(NEXT) | instid1(SALU_CYCLE_1)
	s_lshl_b64 s[10:11], s[10:11], 1
	v_add_co_u32 v1, vcc_lo, v5, s10
	v_add_co_ci_u32_e32 v2, vcc_lo, s11, v6, vcc_lo
	global_load_u16 v3, v[9:10], off
	s_waitcnt lgkmcnt(0)
	global_load_b64 v[19:20], v[1:2], off
	s_clause 0x2
	global_load_u16 v2, v[11:12], off
	global_load_u16 v4, v[13:14], off
	;; [unrolled: 1-line block ×3, first 2 shown]
	s_waitcnt vmcnt(4)
	v_lshlrev_b32_e32 v1, 16, v3
	s_waitcnt vmcnt(3)
	v_lshlrev_b32_e32 v3, 16, v19
	v_and_b32_e32 v19, 0xffff0000, v19
	s_delay_alu instid0(VALU_DEP_2) | instskip(SKIP_4) | instid1(VALU_DEP_1)
	v_fma_f32 v25, v1, v3, 0
	s_waitcnt vmcnt(1)
	v_lshlrev_b32_e32 v3, 16, v4
	v_lshlrev_b32_e32 v2, 16, v2
	s_waitcnt vmcnt(0)
	v_dual_fmac_f32 v25, v2, v19 :: v_dual_lshlrev_b32 v4, 16, v26
	v_lshlrev_b32_e32 v19, 16, v20
	s_delay_alu instid0(VALU_DEP_1) | instskip(NEXT) | instid1(VALU_DEP_1)
	v_dual_fmac_f32 v25, v3, v19 :: v_dual_and_b32 v20, 0xffff0000, v20
	v_fmac_f32_e32 v25, v4, v20
	s_and_not1_saveexec_b32 s16, s6
	s_cbranch_execz .LBB557_60
.LBB557_68:                             ;   in Loop: Header=BB557_58 Depth=1
	s_and_saveexec_b32 s17, s1
	s_cbranch_execz .LBB557_75
; %bb.69:                               ;   in Loop: Header=BB557_58 Depth=1
	s_and_not1_b32 vcc_lo, exec_lo, s12
	s_cbranch_vccnz .LBB557_72
; %bb.70:                               ;   in Loop: Header=BB557_58 Depth=1
	s_waitcnt lgkmcnt(0)
	v_dual_mov_b32 v20, v18 :: v_dual_mov_b32 v19, v17
	s_mov_b64 s[10:11], 0
	.p2align	6
.LBB557_71:                             ;   Parent Loop BB557_58 Depth=1
                                        ; =>  This Inner Loop Header: Depth=2
	global_load_u16 v26, v[19:20], off
	v_add_co_u32 v19, vcc_lo, v19, s18
	s_cmp_eq_u32 s10, 3
	v_add_co_ci_u32_e32 v20, vcc_lo, s19, v20, vcc_lo
	s_cselect_b32 vcc_lo, -1, 0
	s_cmp_eq_u32 s10, 2
	s_cselect_b32 s6, -1, 0
	s_cmp_eq_u32 s10, 1
	s_cselect_b32 s7, -1, 0
	s_cmp_eq_u32 s10, 0
	s_waitcnt vmcnt(0)
	v_lshlrev_b32_e32 v26, 16, v26
	s_delay_alu instid0(VALU_DEP_1)
	v_cndmask_b32_e32 v4, v4, v26, vcc_lo
	s_cselect_b32 vcc_lo, -1, 0
	v_cndmask_b32_e64 v3, v3, v26, s6
	v_cndmask_b32_e64 v2, v2, v26, s7
	v_cndmask_b32_e32 v1, v1, v26, vcc_lo
	s_add_u32 s10, s10, 1
	s_addc_u32 s11, s11, 0
	s_cmp_eq_u32 s21, s10
	s_cbranch_scc0 .LBB557_71
.LBB557_72:                             ;   in Loop: Header=BB557_58 Depth=1
	s_and_not1_b32 vcc_lo, exec_lo, s12
	s_cbranch_vccnz .LBB557_75
; %bb.73:                               ;   in Loop: Header=BB557_58 Depth=1
	s_waitcnt lgkmcnt(0)
	v_dual_mov_b32 v20, v8 :: v_dual_mov_b32 v19, v7
	s_mov_b64 s[6:7], 0
	.p2align	6
.LBB557_74:                             ;   Parent Loop BB557_58 Depth=1
                                        ; =>  This Inner Loop Header: Depth=2
	global_load_u16 v26, v[19:20], off
	s_cmp_eq_u32 s6, 1
	s_cselect_b32 vcc_lo, -1, 0
	s_cmp_eq_u32 s6, 2
	v_cndmask_b32_e32 v28, v1, v2, vcc_lo
	s_cselect_b32 vcc_lo, -1, 0
	s_cmp_eq_u32 s6, 3
	s_delay_alu instid0(VALU_DEP_1)
	v_cndmask_b32_e32 v28, v28, v3, vcc_lo
	s_cselect_b32 vcc_lo, -1, 0
	s_add_u32 s6, s6, 1
	s_addc_u32 s7, s7, 0
	s_cmp_lg_u32 s21, s6
	v_cndmask_b32_e32 v28, v28, v4, vcc_lo
	v_add_co_u32 v19, vcc_lo, v19, 2
	v_add_co_ci_u32_e32 v20, vcc_lo, 0, v20, vcc_lo
	s_waitcnt vmcnt(0)
	v_lshlrev_b32_e32 v26, 16, v26
	s_delay_alu instid0(VALU_DEP_1)
	v_fmac_f32_e32 v25, v28, v26
	s_cbranch_scc1 .LBB557_74
.LBB557_75:                             ;   in Loop: Header=BB557_58 Depth=1
	s_or_b32 exec_lo, exec_lo, s17
	s_delay_alu instid0(SALU_CYCLE_1)
	s_or_b32 exec_lo, exec_lo, s16
	s_and_saveexec_b32 s6, s2
	s_cbranch_execnz .LBB557_61
	s_branch .LBB557_62
.LBB557_76:                             ;   in Loop: Header=BB557_58 Depth=1
	ds_load_b32 v19, v21
	s_or_b32 exec_lo, exec_lo, s6
	s_and_saveexec_b32 s6, s2
	s_cbranch_execz .LBB557_66
.LBB557_77:                             ;   in Loop: Header=BB557_58 Depth=1
	s_waitcnt lgkmcnt(0)
	ds_bpermute_b32 v20, v30, v19
	s_waitcnt lgkmcnt(0)
	v_add_f32_e32 v19, v19, v20
	ds_bpermute_b32 v20, v27, v19
	s_waitcnt lgkmcnt(0)
	v_add_f32_e32 v19, v19, v20
	;; [unrolled: 3-line block ×3, first 2 shown]
	s_or_b32 exec_lo, exec_lo, s6
	s_and_saveexec_b32 s6, s5
	s_cbranch_execz .LBB557_57
.LBB557_78:                             ;   in Loop: Header=BB557_58 Depth=1
	s_mul_hi_u32 s11, s15, s20
	s_mul_i32 s10, s15, s20
	s_waitcnt lgkmcnt(0)
	v_mul_f32_e32 v19, s33, v19
	s_lshl_b64 s[10:11], s[10:11], 2
	s_delay_alu instid0(SALU_CYCLE_1)
	s_add_u32 s10, s14, s10
	s_addc_u32 s11, s30, s11
	global_store_b32 v0, v19, s[10:11]
	s_branch .LBB557_57
.LBB557_79:
	s_nop 0
	s_sendmsg sendmsg(MSG_DEALLOC_VGPRS)
	s_endpgm
	.section	.rodata,"a",@progbits
	.p2align	6, 0x0
	.amdhsa_kernel _ZL23rocblas_gemvt_sn_kernelILb0ELi256ELi4El16rocblas_bfloat16PKffEviiT4_lPKT3_lilS6_lilPT5_i
		.amdhsa_group_segment_fixed_size 128
		.amdhsa_private_segment_fixed_size 0
		.amdhsa_kernarg_size 360
		.amdhsa_user_sgpr_count 14
		.amdhsa_user_sgpr_dispatch_ptr 0
		.amdhsa_user_sgpr_queue_ptr 0
		.amdhsa_user_sgpr_kernarg_segment_ptr 1
		.amdhsa_user_sgpr_dispatch_id 0
		.amdhsa_user_sgpr_private_segment_size 0
		.amdhsa_wavefront_size32 1
		.amdhsa_uses_dynamic_stack 0
		.amdhsa_enable_private_segment 0
		.amdhsa_system_sgpr_workgroup_id_x 1
		.amdhsa_system_sgpr_workgroup_id_y 0
		.amdhsa_system_sgpr_workgroup_id_z 1
		.amdhsa_system_sgpr_workgroup_info 0
		.amdhsa_system_vgpr_workitem_id 0
		.amdhsa_next_free_vgpr 56
		.amdhsa_next_free_sgpr 56
		.amdhsa_reserve_vcc 1
		.amdhsa_float_round_mode_32 0
		.amdhsa_float_round_mode_16_64 0
		.amdhsa_float_denorm_mode_32 3
		.amdhsa_float_denorm_mode_16_64 3
		.amdhsa_dx10_clamp 1
		.amdhsa_ieee_mode 1
		.amdhsa_fp16_overflow 0
		.amdhsa_workgroup_processor_mode 1
		.amdhsa_memory_ordered 1
		.amdhsa_forward_progress 0
		.amdhsa_shared_vgpr_count 0
		.amdhsa_exception_fp_ieee_invalid_op 0
		.amdhsa_exception_fp_denorm_src 0
		.amdhsa_exception_fp_ieee_div_zero 0
		.amdhsa_exception_fp_ieee_overflow 0
		.amdhsa_exception_fp_ieee_underflow 0
		.amdhsa_exception_fp_ieee_inexact 0
		.amdhsa_exception_int_div_zero 0
	.end_amdhsa_kernel
	.section	.text._ZL23rocblas_gemvt_sn_kernelILb0ELi256ELi4El16rocblas_bfloat16PKffEviiT4_lPKT3_lilS6_lilPT5_i,"axG",@progbits,_ZL23rocblas_gemvt_sn_kernelILb0ELi256ELi4El16rocblas_bfloat16PKffEviiT4_lPKT3_lilS6_lilPT5_i,comdat
.Lfunc_end557:
	.size	_ZL23rocblas_gemvt_sn_kernelILb0ELi256ELi4El16rocblas_bfloat16PKffEviiT4_lPKT3_lilS6_lilPT5_i, .Lfunc_end557-_ZL23rocblas_gemvt_sn_kernelILb0ELi256ELi4El16rocblas_bfloat16PKffEviiT4_lPKT3_lilS6_lilPT5_i
                                        ; -- End function
	.section	.AMDGPU.csdata,"",@progbits
; Kernel info:
; codeLenInByte = 4380
; NumSgprs: 58
; NumVgprs: 56
; ScratchSize: 0
; MemoryBound: 0
; FloatMode: 240
; IeeeMode: 1
; LDSByteSize: 128 bytes/workgroup (compile time only)
; SGPRBlocks: 7
; VGPRBlocks: 6
; NumSGPRsForWavesPerEU: 58
; NumVGPRsForWavesPerEU: 56
; Occupancy: 16
; WaveLimiterHint : 1
; COMPUTE_PGM_RSRC2:SCRATCH_EN: 0
; COMPUTE_PGM_RSRC2:USER_SGPR: 14
; COMPUTE_PGM_RSRC2:TRAP_HANDLER: 0
; COMPUTE_PGM_RSRC2:TGID_X_EN: 1
; COMPUTE_PGM_RSRC2:TGID_Y_EN: 0
; COMPUTE_PGM_RSRC2:TGID_Z_EN: 1
; COMPUTE_PGM_RSRC2:TIDIG_COMP_CNT: 0
	.section	.text._ZL23rocblas_gemvt_sn_reduceILi256ELi8EfPKf16rocblas_bfloat16EviT2_lPT3_lilPT1_i,"axG",@progbits,_ZL23rocblas_gemvt_sn_reduceILi256ELi8EfPKf16rocblas_bfloat16EviT2_lPT3_lilPT1_i,comdat
	.globl	_ZL23rocblas_gemvt_sn_reduceILi256ELi8EfPKf16rocblas_bfloat16EviT2_lPT3_lilPT1_i ; -- Begin function _ZL23rocblas_gemvt_sn_reduceILi256ELi8EfPKf16rocblas_bfloat16EviT2_lPT3_lilPT1_i
	.p2align	8
	.type	_ZL23rocblas_gemvt_sn_reduceILi256ELi8EfPKf16rocblas_bfloat16EviT2_lPT3_lilPT1_i,@function
_ZL23rocblas_gemvt_sn_reduceILi256ELi8EfPKf16rocblas_bfloat16EviT2_lPT3_lilPT1_i: ; @_ZL23rocblas_gemvt_sn_reduceILi256ELi8EfPKf16rocblas_bfloat16EviT2_lPT3_lilPT1_i
; %bb.0:
	s_clause 0x2
	s_load_b256 s[4:11], s[0:1], 0x8
	s_load_b32 s13, s[0:1], 0x0
	s_load_b32 s16, s[0:1], 0x4c
	v_dual_mov_b32 v3, 0 :: v_dual_lshlrev_b32 v4, 3, v0
	s_mov_b32 s18, 0
	s_waitcnt lgkmcnt(0)
	s_mul_i32 s2, s15, s7
	s_mul_hi_u32 s3, s15, s6
	s_mul_i32 s7, s16, s15
	s_add_i32 s3, s3, s2
	s_mul_i32 s2, s15, s6
	s_ashr_i32 s6, s13, 31
	s_lshl_b64 s[2:3], s[2:3], 2
	s_delay_alu instid0(SALU_CYCLE_1)
	s_add_u32 s2, s4, s2
	s_addc_u32 s3, s5, s3
	s_load_b64 s[4:5], s[0:1], 0x38
	s_load_b32 s12, s[2:3], 0x0
	s_add_u32 s2, s0, 0x48
	s_addc_u32 s3, s1, 0
	s_add_i32 s17, s7, s14
	s_lshr_b32 s7, s6, 29
	s_mul_i32 s6, s17, s6
	s_add_i32 s7, s13, s7
	s_delay_alu instid0(SALU_CYCLE_1) | instskip(SKIP_1) | instid1(SALU_CYCLE_1)
	s_and_b32 s16, s7, -8
	s_mul_hi_u32 s7, s17, s13
	s_add_i32 s7, s7, s6
	s_mul_i32 s6, s17, s13
	s_mov_b32 s17, exec_lo
	v_cmpx_gt_i32_e64 s16, v4
	s_cbranch_execz .LBB558_4
; %bb.1:
	s_load_b32 s2, s[2:3], 0xc
	v_lshlrev_b32_e32 v1, 5, v0
	s_lshl_b64 s[20:21], s[6:7], 2
	v_mov_b32_e32 v3, 0
	s_waitcnt lgkmcnt(0)
	s_and_b32 s2, s2, 0xffff
	s_delay_alu instid0(SALU_CYCLE_1) | instskip(SKIP_3) | instid1(VALU_DEP_1)
	s_lshl_b32 s3, s2, 3
	s_add_u32 s19, s4, s20
	s_addc_u32 s20, s5, s21
	v_add_co_u32 v1, s19, s19, v1
	v_add_co_ci_u32_e64 v2, null, s20, 0, s19
	s_lshl_b32 s19, s2, 5
	s_delay_alu instid0(VALU_DEP_2) | instskip(NEXT) | instid1(VALU_DEP_2)
	v_add_co_u32 v1, vcc_lo, v1, 28
	v_add_co_ci_u32_e32 v2, vcc_lo, 0, v2, vcc_lo
	.p2align	6
.LBB558_2:                              ; =>This Inner Loop Header: Depth=1
	s_clause 0x1
	global_load_b128 v[5:8], v[1:2], off offset:-28
	global_load_b128 v[9:12], v[1:2], off offset:-12
	v_add_co_u32 v1, vcc_lo, v1, s19
	v_add_co_ci_u32_e32 v2, vcc_lo, 0, v2, vcc_lo
	v_add_nc_u32_e32 v4, s3, v4
	s_delay_alu instid0(VALU_DEP_1) | instskip(NEXT) | instid1(VALU_DEP_1)
	v_cmp_le_i32_e64 s2, s16, v4
	s_or_b32 s18, s2, s18
	s_waitcnt vmcnt(1)
	v_add_f32_e32 v3, v3, v5
	s_delay_alu instid0(VALU_DEP_1) | instskip(NEXT) | instid1(VALU_DEP_1)
	v_add_f32_e32 v3, v3, v6
	v_add_f32_e32 v3, v3, v7
	s_delay_alu instid0(VALU_DEP_1) | instskip(SKIP_1) | instid1(VALU_DEP_1)
	v_add_f32_e32 v3, v3, v8
	s_waitcnt vmcnt(0)
	v_add_f32_e32 v3, v3, v9
	s_delay_alu instid0(VALU_DEP_1) | instskip(NEXT) | instid1(VALU_DEP_1)
	v_add_f32_e32 v3, v3, v10
	v_add_f32_e32 v3, v3, v11
	s_delay_alu instid0(VALU_DEP_1)
	v_add_f32_e32 v3, v3, v12
	s_and_not1_b32 exec_lo, exec_lo, s18
	s_cbranch_execnz .LBB558_2
; %bb.3:
	s_or_b32 exec_lo, exec_lo, s18
.LBB558_4:
	s_delay_alu instid0(SALU_CYCLE_1) | instskip(SKIP_1) | instid1(SALU_CYCLE_1)
	s_or_b32 exec_lo, exec_lo, s17
	s_sub_i32 s2, s13, s16
	v_cmp_gt_u32_e32 vcc_lo, s2, v0
	s_and_saveexec_b32 s2, vcc_lo
	s_cbranch_execz .LBB558_6
; %bb.5:
	v_xad_u32 v1, v0, -1, s13
	v_mov_b32_e32 v2, 0
	s_lshl_b64 s[6:7], s[6:7], 2
	s_waitcnt lgkmcnt(0)
	s_add_u32 s3, s4, s6
	s_addc_u32 s4, s5, s7
	v_lshlrev_b64 v[1:2], 2, v[1:2]
	s_delay_alu instid0(VALU_DEP_1) | instskip(NEXT) | instid1(VALU_DEP_2)
	v_add_co_u32 v1, vcc_lo, s3, v1
	v_add_co_ci_u32_e32 v2, vcc_lo, s4, v2, vcc_lo
	global_load_b32 v1, v[1:2], off
	s_waitcnt vmcnt(0)
	v_add_f32_e32 v3, v3, v1
.LBB558_6:
	s_or_b32 exec_lo, exec_lo, s2
	v_and_b32_e32 v1, 31, v0
	v_cmp_gt_u32_e32 vcc_lo, 32, v0
	s_delay_alu instid0(VALU_DEP_2)
	v_lshlrev_b32_e32 v2, 2, v1
	s_and_saveexec_b32 s2, vcc_lo
	s_cbranch_execz .LBB558_8
; %bb.7:
	v_mov_b32_e32 v4, 0
	ds_store_b32 v2, v4
.LBB558_8:
	s_or_b32 exec_lo, exec_lo, s2
	v_mbcnt_lo_u32_b32 v5, -1, 0
	s_mov_b32 s3, exec_lo
	s_waitcnt lgkmcnt(0)
	s_barrier
	buffer_gl0_inv
	v_cmp_gt_u32_e64 s2, 16, v5
	s_delay_alu instid0(VALU_DEP_1) | instskip(SKIP_1) | instid1(VALU_DEP_2)
	v_cndmask_b32_e64 v4, 0, 1, s2
	v_cmp_gt_u32_e64 s2, 24, v5
	v_lshlrev_b32_e32 v4, 4, v4
	s_delay_alu instid0(VALU_DEP_2) | instskip(SKIP_1) | instid1(VALU_DEP_3)
	v_cndmask_b32_e64 v6, 0, 1, s2
	v_cmp_gt_u32_e64 s2, 28, v5
	v_add_lshl_u32 v4, v4, v5, 2
	s_delay_alu instid0(VALU_DEP_3)
	v_lshlrev_b32_e32 v6, 3, v6
	ds_bpermute_b32 v4, v4, v3
	v_add_lshl_u32 v6, v6, v5, 2
	s_waitcnt lgkmcnt(0)
	v_add_f32_e32 v4, v3, v4
	v_cndmask_b32_e64 v3, 0, 1, s2
	v_cmp_gt_u32_e64 s2, 30, v5
	s_delay_alu instid0(VALU_DEP_2)
	v_lshlrev_b32_e32 v3, 2, v3
	ds_bpermute_b32 v6, v6, v4
	v_add_lshl_u32 v3, v3, v5, 2
	s_waitcnt lgkmcnt(0)
	v_add_f32_e32 v6, v4, v6
	v_cndmask_b32_e64 v4, 0, 1, s2
	v_cmp_ne_u32_e64 s2, 31, v5
	s_delay_alu instid0(VALU_DEP_2) | instskip(NEXT) | instid1(VALU_DEP_1)
	v_lshlrev_b32_e32 v4, 1, v4
	v_add_lshl_u32 v4, v4, v5, 2
	s_delay_alu instid0(VALU_DEP_3) | instskip(NEXT) | instid1(VALU_DEP_1)
	v_add_co_ci_u32_e64 v5, s2, 0, v5, s2
	v_lshlrev_b32_e32 v5, 2, v5
	ds_bpermute_b32 v7, v3, v6
	s_waitcnt lgkmcnt(0)
	v_add_f32_e32 v6, v6, v7
	ds_bpermute_b32 v7, v4, v6
	s_waitcnt lgkmcnt(0)
	v_add_f32_e32 v6, v6, v7
	ds_bpermute_b32 v7, v5, v6
	v_cmpx_eq_u32_e32 0, v1
	s_cbranch_execz .LBB558_10
; %bb.9:
	v_lshrrev_b32_e32 v1, 3, v0
	s_waitcnt lgkmcnt(0)
	s_delay_alu instid0(VALU_DEP_1)
	v_dual_add_f32 v6, v6, v7 :: v_dual_and_b32 v1, 28, v1
	ds_store_b32 v1, v6
.LBB558_10:
	s_or_b32 exec_lo, exec_lo, s3
	v_mov_b32_e32 v1, 0
	s_mov_b32 s3, exec_lo
	s_waitcnt lgkmcnt(0)
	s_barrier
	buffer_gl0_inv
	v_cmpx_gt_u32_e32 8, v0
	s_cbranch_execz .LBB558_12
; %bb.11:
	ds_load_b32 v1, v2
.LBB558_12:
	s_or_b32 exec_lo, exec_lo, s3
	s_and_saveexec_b32 s2, vcc_lo
	s_cbranch_execz .LBB558_14
; %bb.13:
	s_waitcnt lgkmcnt(0)
	ds_bpermute_b32 v2, v3, v1
	s_waitcnt lgkmcnt(0)
	v_add_f32_e32 v1, v1, v2
	ds_bpermute_b32 v2, v4, v1
	s_waitcnt lgkmcnt(0)
	v_add_f32_e32 v1, v1, v2
	;; [unrolled: 3-line block ×3, first 2 shown]
.LBB558_14:
	s_or_b32 exec_lo, exec_lo, s2
	s_delay_alu instid0(SALU_CYCLE_1)
	s_mov_b32 s2, exec_lo
	v_cmpx_eq_u32_e32 0, v0
	s_cbranch_execz .LBB558_28
; %bb.15:
	s_clause 0x1
	s_load_b64 s[4:5], s[0:1], 0x30
	s_load_b32 s2, s[0:1], 0x28
	s_waitcnt lgkmcnt(0)
	s_mul_i32 s1, s15, s5
	s_mul_hi_u32 s3, s15, s4
	s_mul_i32 s0, s15, s4
	s_add_i32 s1, s3, s1
	v_cmp_eq_f32_e64 s5, s12, 0
	s_lshl_b64 s[0:1], s[0:1], 1
	s_delay_alu instid0(SALU_CYCLE_1) | instskip(SKIP_2) | instid1(SALU_CYCLE_1)
	s_add_u32 s3, s8, s0
	s_addc_u32 s4, s9, s1
	s_lshl_b64 s[0:1], s[10:11], 1
	s_add_u32 s3, s3, s0
	s_addc_u32 s4, s4, s1
	s_and_b32 vcc_lo, exec_lo, s5
	s_cbranch_vccz .LBB558_21
; %bb.16:
	v_and_b32_e32 v0, 0x7f800000, v1
	s_delay_alu instid0(VALU_DEP_1) | instskip(SKIP_1) | instid1(SALU_CYCLE_1)
	v_cmp_ne_u32_e32 vcc_lo, 0x7f800000, v0
                                        ; implicit-def: $vgpr0
	s_and_saveexec_b32 s0, vcc_lo
	s_xor_b32 s0, exec_lo, s0
; %bb.17:
	v_bfe_u32 v0, v1, 16, 1
	s_delay_alu instid0(VALU_DEP_1)
	v_add3_u32 v0, v1, v0, 0x7fff
; %bb.18:
	s_and_not1_saveexec_b32 s0, s0
; %bb.19:
	v_and_b32_e32 v0, 0xffff, v1
	v_or_b32_e32 v2, 0x10000, v1
	s_delay_alu instid0(VALU_DEP_2) | instskip(NEXT) | instid1(VALU_DEP_2)
	v_cmp_eq_u32_e32 vcc_lo, 0, v0
	v_cndmask_b32_e32 v0, v2, v1, vcc_lo
; %bb.20:
	s_or_b32 exec_lo, exec_lo, s0
	s_mul_hi_u32 s5, s2, s14
	s_mul_i32 s0, s2, s14
	s_cbranch_execz .LBB558_22
	s_branch .LBB558_27
.LBB558_21:
                                        ; implicit-def: $vgpr0
	s_mul_hi_u32 s5, s2, s14
	s_mul_i32 s0, s2, s14
.LBB558_22:
	s_ashr_i32 s1, s2, 31
	v_mov_b32_e32 v0, 0
	s_mul_i32 s1, s1, s14
	s_delay_alu instid0(SALU_CYCLE_1) | instskip(NEXT) | instid1(SALU_CYCLE_1)
	s_add_i32 s1, s5, s1
	s_lshl_b64 s[6:7], s[0:1], 1
	s_delay_alu instid0(SALU_CYCLE_1) | instskip(SKIP_4) | instid1(VALU_DEP_1)
	s_add_u32 s6, s3, s6
	s_addc_u32 s7, s4, s7
	global_load_u16 v0, v0, s[6:7]
	s_waitcnt vmcnt(0)
	v_lshlrev_b32_e32 v0, 16, v0
	v_fmac_f32_e32 v1, s12, v0
	s_delay_alu instid0(VALU_DEP_1) | instskip(NEXT) | instid1(VALU_DEP_1)
	v_and_b32_e32 v0, 0x7f800000, v1
	v_cmp_ne_u32_e32 vcc_lo, 0x7f800000, v0
                                        ; implicit-def: $vgpr0
	s_and_saveexec_b32 s1, vcc_lo
	s_delay_alu instid0(SALU_CYCLE_1)
	s_xor_b32 s1, exec_lo, s1
; %bb.23:
	v_bfe_u32 v0, v1, 16, 1
	s_delay_alu instid0(VALU_DEP_1)
	v_add3_u32 v0, v1, v0, 0x7fff
                                        ; implicit-def: $vgpr1
; %bb.24:
	s_and_not1_saveexec_b32 s1, s1
; %bb.25:
	v_and_b32_e32 v0, 0xffff, v1
	v_or_b32_e32 v2, 0x10000, v1
	s_delay_alu instid0(VALU_DEP_2) | instskip(NEXT) | instid1(VALU_DEP_2)
	v_cmp_eq_u32_e32 vcc_lo, 0, v0
	v_cndmask_b32_e32 v0, v2, v1, vcc_lo
; %bb.26:
	s_or_b32 exec_lo, exec_lo, s1
.LBB558_27:
	s_ashr_i32 s1, s2, 31
	v_mov_b32_e32 v1, 0
	s_mul_i32 s1, s1, s14
	s_delay_alu instid0(SALU_CYCLE_1) | instskip(NEXT) | instid1(SALU_CYCLE_1)
	s_add_i32 s1, s5, s1
	s_lshl_b64 s[0:1], s[0:1], 1
	s_delay_alu instid0(SALU_CYCLE_1)
	s_add_u32 s0, s3, s0
	s_addc_u32 s1, s4, s1
	global_store_d16_hi_b16 v1, v0, s[0:1]
.LBB558_28:
	s_nop 0
	s_sendmsg sendmsg(MSG_DEALLOC_VGPRS)
	s_endpgm
	.section	.rodata,"a",@progbits
	.p2align	6, 0x0
	.amdhsa_kernel _ZL23rocblas_gemvt_sn_reduceILi256ELi8EfPKf16rocblas_bfloat16EviT2_lPT3_lilPT1_i
		.amdhsa_group_segment_fixed_size 128
		.amdhsa_private_segment_fixed_size 0
		.amdhsa_kernarg_size 328
		.amdhsa_user_sgpr_count 13
		.amdhsa_user_sgpr_dispatch_ptr 0
		.amdhsa_user_sgpr_queue_ptr 0
		.amdhsa_user_sgpr_kernarg_segment_ptr 1
		.amdhsa_user_sgpr_dispatch_id 0
		.amdhsa_user_sgpr_private_segment_size 0
		.amdhsa_wavefront_size32 1
		.amdhsa_uses_dynamic_stack 0
		.amdhsa_enable_private_segment 0
		.amdhsa_system_sgpr_workgroup_id_x 1
		.amdhsa_system_sgpr_workgroup_id_y 1
		.amdhsa_system_sgpr_workgroup_id_z 1
		.amdhsa_system_sgpr_workgroup_info 0
		.amdhsa_system_vgpr_workitem_id 0
		.amdhsa_next_free_vgpr 13
		.amdhsa_next_free_sgpr 22
		.amdhsa_reserve_vcc 1
		.amdhsa_float_round_mode_32 0
		.amdhsa_float_round_mode_16_64 0
		.amdhsa_float_denorm_mode_32 3
		.amdhsa_float_denorm_mode_16_64 3
		.amdhsa_dx10_clamp 1
		.amdhsa_ieee_mode 1
		.amdhsa_fp16_overflow 0
		.amdhsa_workgroup_processor_mode 1
		.amdhsa_memory_ordered 1
		.amdhsa_forward_progress 0
		.amdhsa_shared_vgpr_count 0
		.amdhsa_exception_fp_ieee_invalid_op 0
		.amdhsa_exception_fp_denorm_src 0
		.amdhsa_exception_fp_ieee_div_zero 0
		.amdhsa_exception_fp_ieee_overflow 0
		.amdhsa_exception_fp_ieee_underflow 0
		.amdhsa_exception_fp_ieee_inexact 0
		.amdhsa_exception_int_div_zero 0
	.end_amdhsa_kernel
	.section	.text._ZL23rocblas_gemvt_sn_reduceILi256ELi8EfPKf16rocblas_bfloat16EviT2_lPT3_lilPT1_i,"axG",@progbits,_ZL23rocblas_gemvt_sn_reduceILi256ELi8EfPKf16rocblas_bfloat16EviT2_lPT3_lilPT1_i,comdat
.Lfunc_end558:
	.size	_ZL23rocblas_gemvt_sn_reduceILi256ELi8EfPKf16rocblas_bfloat16EviT2_lPT3_lilPT1_i, .Lfunc_end558-_ZL23rocblas_gemvt_sn_reduceILi256ELi8EfPKf16rocblas_bfloat16EviT2_lPT3_lilPT1_i
                                        ; -- End function
	.section	.AMDGPU.csdata,"",@progbits
; Kernel info:
; codeLenInByte = 1324
; NumSgprs: 24
; NumVgprs: 13
; ScratchSize: 0
; MemoryBound: 0
; FloatMode: 240
; IeeeMode: 1
; LDSByteSize: 128 bytes/workgroup (compile time only)
; SGPRBlocks: 2
; VGPRBlocks: 1
; NumSGPRsForWavesPerEU: 24
; NumVGPRsForWavesPerEU: 13
; Occupancy: 16
; WaveLimiterHint : 0
; COMPUTE_PGM_RSRC2:SCRATCH_EN: 0
; COMPUTE_PGM_RSRC2:USER_SGPR: 13
; COMPUTE_PGM_RSRC2:TRAP_HANDLER: 0
; COMPUTE_PGM_RSRC2:TGID_X_EN: 1
; COMPUTE_PGM_RSRC2:TGID_Y_EN: 1
; COMPUTE_PGM_RSRC2:TGID_Z_EN: 1
; COMPUTE_PGM_RSRC2:TIDIG_COMP_CNT: 0
	.section	.text._ZL23rocblas_gemvt_sn_kernelILb0ELi256ELi4Ei16rocblas_bfloat16ffEviiT4_lPKT3_lilS4_lilPT5_i,"axG",@progbits,_ZL23rocblas_gemvt_sn_kernelILb0ELi256ELi4Ei16rocblas_bfloat16ffEviiT4_lPKT3_lilS4_lilPT5_i,comdat
	.globl	_ZL23rocblas_gemvt_sn_kernelILb0ELi256ELi4Ei16rocblas_bfloat16ffEviiT4_lPKT3_lilS4_lilPT5_i ; -- Begin function _ZL23rocblas_gemvt_sn_kernelILb0ELi256ELi4Ei16rocblas_bfloat16ffEviiT4_lPKT3_lilS4_lilPT5_i
	.p2align	8
	.type	_ZL23rocblas_gemvt_sn_kernelILb0ELi256ELi4Ei16rocblas_bfloat16ffEviiT4_lPKT3_lilS4_lilPT5_i,@function
_ZL23rocblas_gemvt_sn_kernelILb0ELi256ELi4Ei16rocblas_bfloat16ffEviiT4_lPKT3_lilS4_lilPT5_i: ; @_ZL23rocblas_gemvt_sn_kernelILb0ELi256ELi4Ei16rocblas_bfloat16ffEviiT4_lPKT3_lilS4_lilPT5_i
; %bb.0:
	s_clause 0x2
	s_load_b128 s[8:11], s[0:1], 0x0
	s_load_b32 s12, s[0:1], 0x68
	s_load_b128 s[4:7], s[0:1], 0x50
	s_waitcnt lgkmcnt(0)
	s_ashr_i32 s21, s9, 31
	s_mul_hi_u32 s2, s9, s15
	s_mul_i32 s3, s21, s15
	s_mul_i32 s11, s9, s15
	s_add_i32 s2, s2, s3
	s_mul_hi_u32 s3, s11, s12
	s_mul_i32 s13, s2, s12
	s_mul_i32 s2, s11, s12
	s_add_i32 s3, s3, s13
	v_cmp_neq_f32_e64 s11, s10, 0
	s_lshl_b64 s[2:3], s[2:3], 2
	s_mov_b32 s13, 0
	s_add_u32 s38, s6, s2
	v_cmp_eq_u32_e64 s2, 0, v0
	s_addc_u32 s37, s7, s3
	s_and_b32 vcc_lo, exec_lo, s11
	s_cbranch_vccnz .LBB559_5
; %bb.1:
	s_cmp_gt_i32 s9, 0
	s_cselect_b32 s3, -1, 0
	s_delay_alu instid0(SALU_CYCLE_1) | instskip(NEXT) | instid1(SALU_CYCLE_1)
	s_and_b32 s2, s2, s3
	s_and_saveexec_b32 s11, s2
	s_cbranch_execz .LBB559_4
; %bb.2:
	s_mov_b32 s2, s15
	s_mov_b32 s15, 0
	v_mov_b32_e32 v1, 0
	s_lshl_b64 s[6:7], s[14:15], 2
	s_mov_b32 s15, s2
	s_add_u32 s2, s38, s6
	s_addc_u32 s3, s37, s7
	s_lshl_b64 s[6:7], s[12:13], 2
	s_mov_b32 s13, s9
.LBB559_3:                              ; =>This Inner Loop Header: Depth=1
	s_delay_alu instid0(SALU_CYCLE_1)
	s_add_i32 s13, s13, -1
	global_store_b32 v1, v1, s[2:3]
	s_add_u32 s2, s2, s6
	s_addc_u32 s3, s3, s7
	s_cmp_eq_u32 s13, 0
	s_cbranch_scc0 .LBB559_3
.LBB559_4:
	s_or_b32 exec_lo, exec_lo, s11
	s_cbranch_execz .LBB559_6
	s_branch .LBB559_79
.LBB559_5:
.LBB559_6:
	s_clause 0x2
	s_load_b128 s[24:27], s[0:1], 0x30
	s_load_b64 s[2:3], s[0:1], 0x40
	s_load_b128 s[16:19], s[0:1], 0x18
	s_mul_i32 s5, s15, s5
	s_mul_hi_u32 s6, s15, s4
	s_mul_i32 s4, s15, s4
	s_add_i32 s5, s6, s5
	s_clause 0x1
	s_load_b32 s20, s[0:1], 0x28
	s_load_b32 s33, s[0:1], 0x48
	s_lshl_b64 s[4:5], s[4:5], 1
	v_and_b32_e32 v6, 31, v0
	v_cmp_gt_u32_e64 s0, 32, v0
	v_mbcnt_lo_u32_b32 v22, -1, 0
	v_lshrrev_b32_e32 v23, 3, v0
	s_waitcnt lgkmcnt(0)
	s_add_u32 s6, s26, s4
	s_addc_u32 s5, s27, s5
	s_lshl_b64 s[2:3], s[2:3], 1
	s_mul_i32 s7, s15, s25
	s_mul_hi_u32 s22, s15, s24
	s_add_u32 s11, s6, s2
	s_mul_i32 s4, s15, s24
	s_addc_u32 s13, s5, s3
	s_add_i32 s5, s22, s7
	s_delay_alu instid0(SALU_CYCLE_1) | instskip(NEXT) | instid1(SALU_CYCLE_1)
	s_lshl_b64 s[22:23], s[4:5], 1
	s_add_u32 s1, s16, s22
	s_addc_u32 s2, s17, s23
	s_lshl_b64 s[18:19], s[18:19], 1
	s_delay_alu instid0(SALU_CYCLE_1)
	s_add_u32 s3, s1, s18
	s_addc_u32 s2, s2, s19
	s_lshl_b32 s1, s14, 10
	s_ashr_i32 s4, s8, 31
	v_lshl_or_b32 v1, v0, 2, s1
	s_lshr_b32 s4, s4, 30
	s_lshr_b32 s5, s21, 30
	s_add_i32 s4, s8, s4
	s_add_i32 s5, s9, s5
	v_ashrrev_i32_e32 v2, 31, v1
	s_and_b32 s4, s4, -4
	v_mul_lo_u32 v5, v1, s33
	s_sub_i32 s36, s8, s4
	v_cmp_gt_u32_e64 s1, 8, v0
	v_lshlrev_b64 v[7:8], 1, v[1:2]
	v_add_nc_u32_e32 v24, 4, v1
	v_add_nc_u32_e32 v25, s36, v1
	s_and_b32 s15, s5, -4
	s_delay_alu instid0(SALU_CYCLE_1) | instskip(NEXT) | instid1(VALU_DEP_3)
	s_cmp_lt_i32 s15, 1
	v_add_co_u32 v20, vcc_lo, s3, v7
	v_add_co_ci_u32_e32 v21, vcc_lo, s2, v8, vcc_lo
	s_cbranch_scc1 .LBB559_54
; %bb.7:
	v_cmp_gt_u32_e32 vcc_lo, 16, v22
	v_mul_lo_u32 v9, v1, s33
	s_cmp_gt_i32 s36, 0
	s_mov_b32 s25, 0
	s_cselect_b32 s39, -1, 0
	v_cndmask_b32_e64 v2, 0, 1, vcc_lo
	v_cmp_gt_u32_e32 vcc_lo, 24, v22
	s_lshl_b32 s40, s20, 2
	s_lshl_b32 s24, s20, 1
	s_add_u32 s6, s22, s18
	v_dual_mov_b32 v35, 0 :: v_dual_lshlrev_b32 v2, 4, v2
	v_cndmask_b32_e64 v3, 0, 1, vcc_lo
	v_cmp_gt_u32_e32 vcc_lo, 28, v22
	s_addc_u32 s7, s23, s19
	s_delay_alu instid0(VALU_DEP_3)
	v_add_lshl_u32 v26, v2, v22, 2
	s_add_u32 s6, s16, s6
	v_lshlrev_b32_e32 v2, 3, v3
	v_cndmask_b32_e64 v4, 0, 1, vcc_lo
	v_cmp_gt_u32_e32 vcc_lo, 30, v22
	s_addc_u32 s7, s17, s7
	v_cmp_ge_i32_e64 s2, s8, v24
	v_add_lshl_u32 v27, v2, v22, 2
	v_lshlrev_b32_e32 v3, 2, v4
	v_cndmask_b32_e64 v10, 0, 1, vcc_lo
	v_cmp_ne_u32_e32 vcc_lo, 31, v22
	v_cmp_ge_i32_e64 s3, s8, v25
	v_cmp_eq_u32_e64 s4, 0, v6
	v_add_lshl_u32 v28, v3, v22, 2
	v_lshlrev_b32_e32 v1, 1, v10
	v_ashrrev_i32_e32 v10, 31, v9
	v_add_co_ci_u32_e32 v4, vcc_lo, 0, v22, vcc_lo
	v_lshlrev_b32_e32 v31, 2, v6
	s_delay_alu instid0(VALU_DEP_4)
	v_add_lshl_u32 v29, v1, v22, 2
	v_add_nc_u32_e32 v1, s33, v9
	v_lshlrev_b64 v[10:11], 1, v[9:10]
	v_lshlrev_b32_e32 v30, 2, v4
	v_and_b32_e32 v32, 28, v23
	v_cmp_eq_u32_e64 s5, 0, v0
	v_add_nc_u32_e32 v3, s33, v1
	v_ashrrev_i32_e32 v2, 31, v1
	v_add_co_u32 v10, vcc_lo, s11, v10
	v_add_co_ci_u32_e32 v11, vcc_lo, s13, v11, vcc_lo
	s_delay_alu instid0(VALU_DEP_4) | instskip(NEXT) | instid1(VALU_DEP_4)
	v_add_nc_u32_e32 v14, s33, v3
	v_lshlrev_b64 v[1:2], 1, v[1:2]
	v_ashrrev_i32_e32 v4, 31, v3
	s_mov_b32 s21, s25
	s_mul_i32 s41, s20, 3
	v_ashrrev_i32_e32 v15, 31, v14
	s_mov_b32 s42, s25
	v_lshlrev_b64 v[3:4], 1, v[3:4]
	v_add_co_u32 v12, vcc_lo, s11, v1
	v_add_co_ci_u32_e32 v13, vcc_lo, s13, v2, vcc_lo
	v_lshlrev_b64 v[1:2], 1, v[14:15]
	s_delay_alu instid0(VALU_DEP_4) | instskip(SKIP_2) | instid1(VALU_DEP_3)
	v_add_co_u32 v14, vcc_lo, s11, v3
	v_add_co_ci_u32_e32 v15, vcc_lo, s13, v4, vcc_lo
	s_mov_b32 s26, s25
	v_add_co_u32 v16, vcc_lo, s11, v1
	s_delay_alu instid0(VALU_DEP_4)
	v_add_co_ci_u32_e32 v17, vcc_lo, s13, v2, vcc_lo
	v_add_co_u32 v33, vcc_lo, s6, v7
	v_add_co_ci_u32_e32 v34, vcc_lo, s7, v8, vcc_lo
	s_mov_b64 s[28:29], s[24:25]
	s_mov_b64 s[30:31], s[20:21]
	s_mov_b32 s21, 0
                                        ; implicit-def: $vgpr1_vgpr2_vgpr3_vgpr4
	s_branch .LBB559_9
.LBB559_8:                              ;   in Loop: Header=BB559_9 Depth=1
	s_or_b32 exec_lo, exec_lo, s6
	s_add_i32 s21, s21, 4
	s_add_u32 s30, s30, s40
	s_addc_u32 s31, s31, 0
	s_add_u32 s28, s28, s40
	s_addc_u32 s29, s29, 0
	;; [unrolled: 2-line block ×3, first 2 shown]
	s_add_i32 s26, s26, s40
	s_cmp_ge_i32 s21, s15
	s_cbranch_scc1 .LBB559_55
.LBB559_9:                              ; =>This Loop Header: Depth=1
                                        ;     Child Loop BB559_40 Depth 2
                                        ;     Child Loop BB559_43 Depth 2
                                        ; implicit-def: $vgpr36
                                        ; implicit-def: $vgpr37
                                        ; implicit-def: $vgpr38
                                        ; implicit-def: $vgpr39
	s_and_saveexec_b32 s6, s2
	s_delay_alu instid0(SALU_CYCLE_1)
	s_xor_b32 s6, exec_lo, s6
	s_cbranch_execnz .LBB559_36
; %bb.10:                               ;   in Loop: Header=BB559_9 Depth=1
	s_and_not1_saveexec_b32 s24, s6
	s_cbranch_execnz .LBB559_37
.LBB559_11:                             ;   in Loop: Header=BB559_9 Depth=1
	s_or_b32 exec_lo, exec_lo, s24
	s_and_saveexec_b32 s6, s0
	s_cbranch_execz .LBB559_13
.LBB559_12:                             ;   in Loop: Header=BB559_9 Depth=1
	ds_store_b32 v31, v35
.LBB559_13:                             ;   in Loop: Header=BB559_9 Depth=1
	s_or_b32 exec_lo, exec_lo, s6
	ds_bpermute_b32 v18, v26, v39
	s_waitcnt lgkmcnt(0)
	s_waitcnt_vscnt null, 0x0
	s_barrier
	buffer_gl0_inv
	v_add_f32_e32 v18, v39, v18
	ds_bpermute_b32 v19, v27, v18
	s_waitcnt lgkmcnt(0)
	v_add_f32_e32 v18, v18, v19
	ds_bpermute_b32 v19, v28, v18
	s_waitcnt lgkmcnt(0)
	v_add_f32_e32 v18, v18, v19
	ds_bpermute_b32 v19, v29, v18
	s_waitcnt lgkmcnt(0)
	v_add_f32_e32 v18, v18, v19
	ds_bpermute_b32 v19, v30, v18
	s_and_saveexec_b32 s6, s4
	s_cbranch_execz .LBB559_15
; %bb.14:                               ;   in Loop: Header=BB559_9 Depth=1
	s_waitcnt lgkmcnt(0)
	v_add_f32_e32 v18, v18, v19
	ds_store_b32 v32, v18
.LBB559_15:                             ;   in Loop: Header=BB559_9 Depth=1
	s_or_b32 exec_lo, exec_lo, s6
	v_mov_b32_e32 v18, 0
	s_waitcnt lgkmcnt(0)
	s_barrier
	buffer_gl0_inv
	s_and_saveexec_b32 s6, s1
	s_cbranch_execnz .LBB559_45
; %bb.16:                               ;   in Loop: Header=BB559_9 Depth=1
	s_or_b32 exec_lo, exec_lo, s6
	s_and_saveexec_b32 s6, s0
	s_cbranch_execnz .LBB559_46
.LBB559_17:                             ;   in Loop: Header=BB559_9 Depth=1
	s_or_b32 exec_lo, exec_lo, s6
	s_and_saveexec_b32 s6, s0
	s_cbranch_execz .LBB559_19
.LBB559_18:                             ;   in Loop: Header=BB559_9 Depth=1
	ds_store_b32 v31, v35
.LBB559_19:                             ;   in Loop: Header=BB559_9 Depth=1
	s_or_b32 exec_lo, exec_lo, s6
	ds_bpermute_b32 v19, v26, v38
	s_waitcnt lgkmcnt(0)
	s_barrier
	buffer_gl0_inv
	v_add_f32_e32 v19, v38, v19
	ds_bpermute_b32 v38, v27, v19
	s_waitcnt lgkmcnt(0)
	v_add_f32_e32 v19, v19, v38
	ds_bpermute_b32 v38, v28, v19
	s_waitcnt lgkmcnt(0)
	;; [unrolled: 3-line block ×3, first 2 shown]
	v_add_f32_e32 v19, v19, v38
	ds_bpermute_b32 v38, v30, v19
	s_and_saveexec_b32 s6, s4
	s_cbranch_execz .LBB559_21
; %bb.20:                               ;   in Loop: Header=BB559_9 Depth=1
	s_waitcnt lgkmcnt(0)
	v_add_f32_e32 v19, v19, v38
	ds_store_b32 v32, v19
.LBB559_21:                             ;   in Loop: Header=BB559_9 Depth=1
	s_or_b32 exec_lo, exec_lo, s6
	v_mov_b32_e32 v19, 0
	s_waitcnt lgkmcnt(0)
	s_barrier
	buffer_gl0_inv
	s_and_saveexec_b32 s6, s1
	s_cbranch_execnz .LBB559_47
; %bb.22:                               ;   in Loop: Header=BB559_9 Depth=1
	s_or_b32 exec_lo, exec_lo, s6
	s_and_saveexec_b32 s6, s0
	s_cbranch_execnz .LBB559_48
.LBB559_23:                             ;   in Loop: Header=BB559_9 Depth=1
	s_or_b32 exec_lo, exec_lo, s6
	s_and_saveexec_b32 s6, s0
	s_cbranch_execz .LBB559_25
.LBB559_24:                             ;   in Loop: Header=BB559_9 Depth=1
	ds_store_b32 v31, v35
.LBB559_25:                             ;   in Loop: Header=BB559_9 Depth=1
	s_or_b32 exec_lo, exec_lo, s6
	ds_bpermute_b32 v38, v26, v37
	s_waitcnt lgkmcnt(0)
	s_barrier
	buffer_gl0_inv
	v_add_f32_e32 v37, v37, v38
	ds_bpermute_b32 v38, v27, v37
	s_waitcnt lgkmcnt(0)
	v_add_f32_e32 v37, v37, v38
	ds_bpermute_b32 v38, v28, v37
	s_waitcnt lgkmcnt(0)
	;; [unrolled: 3-line block ×3, first 2 shown]
	v_add_f32_e32 v37, v37, v38
	ds_bpermute_b32 v38, v30, v37
	s_and_saveexec_b32 s6, s4
	s_cbranch_execz .LBB559_27
; %bb.26:                               ;   in Loop: Header=BB559_9 Depth=1
	s_waitcnt lgkmcnt(0)
	v_add_f32_e32 v37, v37, v38
	ds_store_b32 v32, v37
.LBB559_27:                             ;   in Loop: Header=BB559_9 Depth=1
	s_or_b32 exec_lo, exec_lo, s6
	v_mov_b32_e32 v37, 0
	s_waitcnt lgkmcnt(0)
	s_barrier
	buffer_gl0_inv
	s_and_saveexec_b32 s6, s1
	s_cbranch_execnz .LBB559_49
; %bb.28:                               ;   in Loop: Header=BB559_9 Depth=1
	s_or_b32 exec_lo, exec_lo, s6
	s_and_saveexec_b32 s6, s0
	s_cbranch_execnz .LBB559_50
.LBB559_29:                             ;   in Loop: Header=BB559_9 Depth=1
	s_or_b32 exec_lo, exec_lo, s6
	s_and_saveexec_b32 s6, s0
	s_cbranch_execz .LBB559_31
.LBB559_30:                             ;   in Loop: Header=BB559_9 Depth=1
	ds_store_b32 v31, v35
.LBB559_31:                             ;   in Loop: Header=BB559_9 Depth=1
	s_or_b32 exec_lo, exec_lo, s6
	ds_bpermute_b32 v38, v26, v36
	s_waitcnt lgkmcnt(0)
	s_barrier
	buffer_gl0_inv
	v_add_f32_e32 v36, v36, v38
	ds_bpermute_b32 v38, v27, v36
	s_waitcnt lgkmcnt(0)
	v_add_f32_e32 v36, v36, v38
	ds_bpermute_b32 v38, v28, v36
	s_waitcnt lgkmcnt(0)
	;; [unrolled: 3-line block ×3, first 2 shown]
	v_add_f32_e32 v36, v36, v38
	ds_bpermute_b32 v38, v30, v36
	s_and_saveexec_b32 s6, s4
	s_cbranch_execz .LBB559_33
; %bb.32:                               ;   in Loop: Header=BB559_9 Depth=1
	s_waitcnt lgkmcnt(0)
	v_add_f32_e32 v36, v36, v38
	ds_store_b32 v32, v36
.LBB559_33:                             ;   in Loop: Header=BB559_9 Depth=1
	s_or_b32 exec_lo, exec_lo, s6
	v_mov_b32_e32 v36, 0
	s_waitcnt lgkmcnt(0)
	s_barrier
	buffer_gl0_inv
	s_and_saveexec_b32 s6, s1
	s_cbranch_execnz .LBB559_51
; %bb.34:                               ;   in Loop: Header=BB559_9 Depth=1
	s_or_b32 exec_lo, exec_lo, s6
	s_and_saveexec_b32 s6, s0
	s_cbranch_execnz .LBB559_52
.LBB559_35:                             ;   in Loop: Header=BB559_9 Depth=1
	s_or_b32 exec_lo, exec_lo, s6
	s_and_saveexec_b32 s6, s5
	s_cbranch_execz .LBB559_8
	s_branch .LBB559_53
.LBB559_36:                             ;   in Loop: Header=BB559_9 Depth=1
	s_mul_i32 s34, s21, s20
	s_delay_alu instid0(SALU_CYCLE_1)
	s_ashr_i32 s35, s34, 31
	s_add_i32 s44, s34, s20
	s_lshl_b64 s[34:35], s[34:35], 1
	s_ashr_i32 s45, s44, 31
	v_add_co_u32 v1, vcc_lo, v20, s34
	v_add_co_ci_u32_e32 v2, vcc_lo, s35, v21, vcc_lo
	s_lshl_b64 s[34:35], s[44:45], 1
	s_delay_alu instid0(SALU_CYCLE_1)
	v_add_co_u32 v3, vcc_lo, v20, s34
	s_add_i32 s34, s44, s20
	v_add_co_ci_u32_e32 v4, vcc_lo, s35, v21, vcc_lo
	s_ashr_i32 s35, s34, 31
	s_add_i32 s44, s34, s20
	s_lshl_b64 s[34:35], s[34:35], 1
	global_load_b64 v[18:19], v[1:2], off
	s_waitcnt lgkmcnt(0)
	global_load_b64 v[36:37], v[3:4], off
	s_ashr_i32 s45, s44, 31
	v_add_co_u32 v1, vcc_lo, v20, s34
	v_add_co_ci_u32_e32 v2, vcc_lo, s35, v21, vcc_lo
	s_lshl_b64 s[34:35], s[44:45], 1
	s_clause 0x3
	global_load_u16 v38, v[10:11], off
	global_load_u16 v43, v[12:13], off
	;; [unrolled: 1-line block ×4, first 2 shown]
	v_add_co_u32 v3, vcc_lo, v20, s34
	v_add_co_ci_u32_e32 v4, vcc_lo, s35, v21, vcc_lo
	s_clause 0x1
	global_load_b64 v[39:40], v[1:2], off
	global_load_b64 v[41:42], v[3:4], off
	s_waitcnt vmcnt(1)
	v_and_b32_e32 v48, 0xffff0000, v39
	v_lshlrev_b32_e32 v49, 16, v40
	s_waitcnt vmcnt(0)
	v_lshlrev_b32_e32 v50, 16, v41
	v_and_b32_e32 v41, 0xffff0000, v41
	v_lshlrev_b32_e32 v3, 16, v44
	v_lshlrev_b32_e32 v2, 16, v43
	;; [unrolled: 1-line block ×4, first 2 shown]
	v_and_b32_e32 v47, 0xffff0000, v37
	v_and_b32_e32 v45, 0xffff0000, v36
	v_lshlrev_b32_e32 v1, 16, v38
	v_lshlrev_b32_e32 v38, 16, v18
	;; [unrolled: 1-line block ×4, first 2 shown]
	s_delay_alu instid0(VALU_DEP_3) | instskip(SKIP_2) | instid1(VALU_DEP_2)
	v_fma_f32 v39, v1, v38, 0
	v_fma_f32 v38, v1, v44, 0
	v_lshlrev_b32_e32 v44, 16, v42
	v_fmac_f32_e32 v38, v2, v45
	v_fma_f32 v37, v1, v36, 0
	v_fma_f32 v36, v1, v50, 0
	s_delay_alu instid0(VALU_DEP_2) | instskip(NEXT) | instid1(VALU_DEP_1)
	v_fmac_f32_e32 v37, v2, v48
	v_fmac_f32_e32 v37, v3, v49
	s_delay_alu instid0(VALU_DEP_3) | instskip(SKIP_2) | instid1(VALU_DEP_3)
	v_dual_fmac_f32 v36, v2, v41 :: v_dual_lshlrev_b32 v43, 16, v19
	v_fmac_f32_e32 v38, v3, v46
	v_and_b32_e32 v18, 0xffff0000, v18
	v_dual_fmac_f32 v36, v3, v44 :: v_dual_and_b32 v19, 0xffff0000, v19
	s_delay_alu instid0(VALU_DEP_2) | instskip(NEXT) | instid1(VALU_DEP_1)
	v_dual_fmac_f32 v39, v2, v18 :: v_dual_and_b32 v18, 0xffff0000, v40
	v_dual_fmac_f32 v39, v3, v43 :: v_dual_and_b32 v40, 0xffff0000, v42
	s_delay_alu instid0(VALU_DEP_2) | instskip(NEXT) | instid1(VALU_DEP_2)
	v_fmac_f32_e32 v37, v4, v18
	v_fmac_f32_e32 v36, v4, v40
	;; [unrolled: 1-line block ×3, first 2 shown]
	s_delay_alu instid0(VALU_DEP_4)
	v_fmac_f32_e32 v39, v4, v19
	s_and_not1_saveexec_b32 s24, s6
	s_cbranch_execz .LBB559_11
.LBB559_37:                             ;   in Loop: Header=BB559_9 Depth=1
	s_waitcnt lgkmcnt(0)
	v_dual_mov_b32 v36, 0 :: v_dual_mov_b32 v37, 0
	v_dual_mov_b32 v38, 0 :: v_dual_mov_b32 v39, 0
	s_and_saveexec_b32 s43, s3
	s_cbranch_execz .LBB559_44
; %bb.38:                               ;   in Loop: Header=BB559_9 Depth=1
	s_and_not1_b32 vcc_lo, exec_lo, s39
	s_cbranch_vccnz .LBB559_41
; %bb.39:                               ;   in Loop: Header=BB559_9 Depth=1
	v_mov_b32_e32 v18, v9
	s_mov_b64 s[34:35], 0
	.p2align	6
.LBB559_40:                             ;   Parent Loop BB559_9 Depth=1
                                        ; =>  This Inner Loop Header: Depth=2
	s_delay_alu instid0(VALU_DEP_1) | instskip(SKIP_1) | instid1(VALU_DEP_1)
	v_ashrrev_i32_e32 v19, 31, v18
	s_cmp_eq_u32 s34, 3
	v_lshlrev_b64 v[36:37], 1, v[18:19]
	s_delay_alu instid0(VALU_DEP_1) | instskip(NEXT) | instid1(VALU_DEP_2)
	v_add_co_u32 v36, vcc_lo, s11, v36
	v_add_co_ci_u32_e32 v37, vcc_lo, s13, v37, vcc_lo
	s_cselect_b32 vcc_lo, -1, 0
	s_cmp_eq_u32 s34, 2
	s_cselect_b32 s6, -1, 0
	global_load_u16 v19, v[36:37], off
	s_cmp_eq_u32 s34, 1
	s_cselect_b32 s7, -1, 0
	s_cmp_eq_u32 s34, 0
	s_waitcnt vmcnt(0)
	v_lshlrev_b32_e32 v19, 16, v19
	s_delay_alu instid0(VALU_DEP_1)
	v_cndmask_b32_e32 v4, v4, v19, vcc_lo
	s_cselect_b32 vcc_lo, -1, 0
	v_dual_cndmask_b32 v1, v1, v19 :: v_dual_add_nc_u32 v18, s33, v18
	v_cndmask_b32_e64 v3, v3, v19, s6
	v_cndmask_b32_e64 v2, v2, v19, s7
	s_add_u32 s34, s34, 1
	s_addc_u32 s35, s35, 0
	s_cmp_eq_u32 s36, s34
	s_cbranch_scc0 .LBB559_40
.LBB559_41:                             ;   in Loop: Header=BB559_9 Depth=1
	v_dual_mov_b32 v36, 0 :: v_dual_mov_b32 v37, 0
	v_dual_mov_b32 v38, 0 :: v_dual_mov_b32 v39, 0
	s_and_not1_b32 vcc_lo, exec_lo, s39
	s_cbranch_vccnz .LBB559_44
; %bb.42:                               ;   in Loop: Header=BB559_9 Depth=1
	s_ashr_i32 s27, s26, 31
	v_dual_mov_b32 v39, 0 :: v_dual_mov_b32 v38, 0
	s_lshl_b64 s[6:7], s[26:27], 1
	v_dual_mov_b32 v37, 0 :: v_dual_mov_b32 v36, 0
	v_add_co_u32 v18, vcc_lo, v33, s6
	v_add_co_ci_u32_e32 v19, vcc_lo, s7, v34, vcc_lo
	s_mov_b64 s[34:35], 0
.LBB559_43:                             ;   Parent Loop BB559_9 Depth=1
                                        ; =>  This Inner Loop Header: Depth=2
	s_delay_alu instid0(SALU_CYCLE_1)
	s_cmp_eq_u32 s34, 1
	s_cselect_b32 vcc_lo, -1, 0
	s_cmp_eq_u32 s34, 2
	v_cndmask_b32_e32 v40, v1, v2, vcc_lo
	s_cselect_b32 vcc_lo, -1, 0
	s_cmp_eq_u32 s34, 3
	s_delay_alu instid0(VALU_DEP_1)
	v_cndmask_b32_e32 v46, v40, v3, vcc_lo
	s_cselect_b32 vcc_lo, -1, 0
	s_add_i32 s6, s30, s34
	s_add_i32 s44, s28, s34
	s_ashr_i32 s7, s6, 31
	s_ashr_i32 s45, s44, 31
	s_lshl_b64 s[6:7], s[6:7], 1
	s_add_i32 s46, s41, s34
	v_add_co_u32 v40, s6, v20, s6
	s_lshl_b64 s[44:45], s[44:45], 1
	s_ashr_i32 s47, s46, 31
	v_add_co_ci_u32_e64 v41, s6, s7, v21, s6
	v_add_co_u32 v42, s6, v20, s44
	s_lshl_b64 s[46:47], s[46:47], 1
	v_add_co_ci_u32_e64 v43, s6, s45, v21, s6
	v_add_co_u32 v44, s6, v20, s46
	s_delay_alu instid0(VALU_DEP_1)
	v_add_co_ci_u32_e64 v45, s6, s47, v21, s6
	global_load_u16 v47, v[18:19], off
	s_clause 0x2
	global_load_u16 v40, v[40:41], off
	global_load_u16 v41, v[42:43], off
	;; [unrolled: 1-line block ×3, first 2 shown]
	v_add_co_u32 v18, s6, v18, 2
	s_delay_alu instid0(VALU_DEP_1)
	v_add_co_ci_u32_e64 v19, s6, 0, v19, s6
	s_add_u32 s34, s34, 1
	s_addc_u32 s35, s35, 0
	s_cmp_lg_u32 s36, s34
	s_waitcnt vmcnt(2)
	v_lshlrev_b32_e32 v40, 16, v40
	s_waitcnt vmcnt(1)
	v_lshlrev_b32_e32 v41, 16, v41
	v_dual_cndmask_b32 v43, v46, v4 :: v_dual_lshlrev_b32 v44, 16, v47
	s_waitcnt vmcnt(0)
	s_delay_alu instid0(VALU_DEP_1) | instskip(NEXT) | instid1(VALU_DEP_2)
	v_dual_fmac_f32 v37, v43, v41 :: v_dual_lshlrev_b32 v42, 16, v42
	v_fmac_f32_e32 v39, v43, v44
	v_fmac_f32_e32 v38, v43, v40
	s_delay_alu instid0(VALU_DEP_3)
	v_fmac_f32_e32 v36, v43, v42
	s_cbranch_scc1 .LBB559_43
.LBB559_44:                             ;   in Loop: Header=BB559_9 Depth=1
	s_or_b32 exec_lo, exec_lo, s43
	s_delay_alu instid0(SALU_CYCLE_1)
	s_or_b32 exec_lo, exec_lo, s24
	s_and_saveexec_b32 s6, s0
	s_cbranch_execnz .LBB559_12
	s_branch .LBB559_13
.LBB559_45:                             ;   in Loop: Header=BB559_9 Depth=1
	ds_load_b32 v18, v31
	s_or_b32 exec_lo, exec_lo, s6
	s_and_saveexec_b32 s6, s0
	s_cbranch_execz .LBB559_17
.LBB559_46:                             ;   in Loop: Header=BB559_9 Depth=1
	s_waitcnt lgkmcnt(0)
	ds_bpermute_b32 v19, v28, v18
	s_waitcnt lgkmcnt(0)
	v_add_f32_e32 v18, v18, v19
	ds_bpermute_b32 v19, v29, v18
	s_waitcnt lgkmcnt(0)
	v_add_f32_e32 v18, v18, v19
	;; [unrolled: 3-line block ×3, first 2 shown]
	s_or_b32 exec_lo, exec_lo, s6
	s_and_saveexec_b32 s6, s0
	s_cbranch_execnz .LBB559_18
	s_branch .LBB559_19
.LBB559_47:                             ;   in Loop: Header=BB559_9 Depth=1
	ds_load_b32 v19, v31
	s_or_b32 exec_lo, exec_lo, s6
	s_and_saveexec_b32 s6, s0
	s_cbranch_execz .LBB559_23
.LBB559_48:                             ;   in Loop: Header=BB559_9 Depth=1
	s_waitcnt lgkmcnt(0)
	ds_bpermute_b32 v38, v28, v19
	s_waitcnt lgkmcnt(0)
	v_add_f32_e32 v19, v19, v38
	ds_bpermute_b32 v38, v29, v19
	s_waitcnt lgkmcnt(0)
	v_add_f32_e32 v19, v19, v38
	;; [unrolled: 3-line block ×3, first 2 shown]
	s_or_b32 exec_lo, exec_lo, s6
	s_and_saveexec_b32 s6, s0
	s_cbranch_execnz .LBB559_24
	s_branch .LBB559_25
.LBB559_49:                             ;   in Loop: Header=BB559_9 Depth=1
	ds_load_b32 v37, v31
	s_or_b32 exec_lo, exec_lo, s6
	s_and_saveexec_b32 s6, s0
	s_cbranch_execz .LBB559_29
.LBB559_50:                             ;   in Loop: Header=BB559_9 Depth=1
	s_waitcnt lgkmcnt(0)
	ds_bpermute_b32 v38, v28, v37
	s_waitcnt lgkmcnt(0)
	v_add_f32_e32 v37, v37, v38
	ds_bpermute_b32 v38, v29, v37
	s_waitcnt lgkmcnt(0)
	v_add_f32_e32 v37, v37, v38
	;; [unrolled: 3-line block ×3, first 2 shown]
	s_or_b32 exec_lo, exec_lo, s6
	s_and_saveexec_b32 s6, s0
	s_cbranch_execnz .LBB559_30
	s_branch .LBB559_31
.LBB559_51:                             ;   in Loop: Header=BB559_9 Depth=1
	ds_load_b32 v36, v31
	s_or_b32 exec_lo, exec_lo, s6
	s_and_saveexec_b32 s6, s0
	s_cbranch_execz .LBB559_35
.LBB559_52:                             ;   in Loop: Header=BB559_9 Depth=1
	s_waitcnt lgkmcnt(0)
	ds_bpermute_b32 v38, v28, v36
	s_waitcnt lgkmcnt(0)
	v_add_f32_e32 v36, v36, v38
	ds_bpermute_b32 v38, v29, v36
	s_waitcnt lgkmcnt(0)
	v_add_f32_e32 v36, v36, v38
	;; [unrolled: 3-line block ×3, first 2 shown]
	s_or_b32 exec_lo, exec_lo, s6
	s_and_saveexec_b32 s6, s5
	s_cbranch_execz .LBB559_8
.LBB559_53:                             ;   in Loop: Header=BB559_9 Depth=1
	s_mul_i32 s7, s21, s12
	v_dual_mul_f32 v18, s10, v18 :: v_dual_mul_f32 v19, s10, v19
	s_add_i32 s24, s7, s14
	v_mul_f32_e32 v37, s10, v37
	s_lshl_b64 s[34:35], s[24:25], 2
	s_delay_alu instid0(SALU_CYCLE_1)
	s_add_u32 s34, s38, s34
	s_addc_u32 s35, s37, s35
	s_add_i32 s24, s24, s12
	global_store_b32 v35, v18, s[34:35]
	s_waitcnt lgkmcnt(0)
	v_mul_f32_e32 v18, s10, v36
	s_lshl_b64 s[44:45], s[24:25], 2
	s_delay_alu instid0(SALU_CYCLE_1) | instskip(SKIP_4) | instid1(SALU_CYCLE_1)
	s_add_u32 s44, s38, s44
	s_addc_u32 s45, s37, s45
	s_add_i32 s24, s24, s12
	global_store_b32 v35, v19, s[44:45]
	s_lshl_b64 s[46:47], s[24:25], 2
	s_add_u32 s34, s38, s46
	s_addc_u32 s35, s37, s47
	s_add_i32 s24, s24, s12
	s_delay_alu instid0(SALU_CYCLE_1) | instskip(NEXT) | instid1(SALU_CYCLE_1)
	s_lshl_b64 s[46:47], s[24:25], 2
	s_add_u32 s44, s38, s46
	s_addc_u32 s45, s37, s47
	s_clause 0x1
	global_store_b32 v35, v37, s[34:35]
	global_store_b32 v35, v18, s[44:45]
	s_branch .LBB559_8
.LBB559_54:
	s_mov_b32 s21, 0
                                        ; implicit-def: $vgpr1_vgpr2_vgpr3_vgpr4
.LBB559_55:
	s_delay_alu instid0(SALU_CYCLE_1)
	s_cmp_ge_i32 s21, s9
	s_cbranch_scc1 .LBB559_79
; %bb.56:
	v_cmp_gt_u32_e32 vcc_lo, 16, v22
	v_lshlrev_b32_e32 v17, 2, v6
	v_cmp_eq_u32_e64 s3, 0, v6
	v_ashrrev_i32_e32 v6, 31, v5
	v_cmp_ge_i32_e64 s0, s8, v24
	v_cndmask_b32_e64 v9, 0, 1, vcc_lo
	v_cmp_gt_u32_e32 vcc_lo, 24, v22
	v_cmp_ge_i32_e64 s1, s8, v25
	s_cmp_gt_i32 s36, 0
	s_mov_b32 s15, 0
	v_lshlrev_b32_e32 v9, 4, v9
	v_cndmask_b32_e64 v10, 0, 1, vcc_lo
	v_cmp_gt_u32_e32 vcc_lo, 28, v22
	s_cselect_b32 s8, -1, 0
	s_lshl_b64 s[6:7], s[14:15], 2
	v_add_lshl_u32 v18, v9, v22, 2
	v_add_nc_u32_e32 v9, s33, v5
	v_cndmask_b32_e64 v11, 0, 1, vcc_lo
	v_cmp_gt_u32_e32 vcc_lo, 30, v22
	v_lshlrev_b32_e32 v10, 3, v10
	s_add_u32 s14, s38, s6
	s_addc_u32 s24, s37, s7
	v_lshlrev_b32_e32 v11, 2, v11
	v_cndmask_b32_e64 v12, 0, 1, vcc_lo
	v_cmp_ne_u32_e32 vcc_lo, 31, v22
	v_add_lshl_u32 v19, v10, v22, 2
	v_ashrrev_i32_e32 v10, 31, v9
	v_add_lshl_u32 v24, v11, v22, 2
	v_add_nc_u32_e32 v11, s33, v9
	v_add_co_ci_u32_e32 v13, vcc_lo, 0, v22, vcc_lo
	v_lshlrev_b32_e32 v12, 1, v12
	v_lshlrev_b64 v[15:16], 1, v[9:10]
	s_delay_alu instid0(VALU_DEP_4) | instskip(NEXT) | instid1(VALU_DEP_4)
	v_add_nc_u32_e32 v26, s33, v11
	v_lshlrev_b32_e32 v25, 2, v13
	v_lshlrev_b64 v[13:14], 1, v[5:6]
	v_add_lshl_u32 v22, v12, v22, 2
	v_ashrrev_i32_e32 v12, 31, v11
	v_ashrrev_i32_e32 v27, 31, v26
	s_add_u32 s6, s22, s18
	s_addc_u32 s7, s23, s19
	v_add_co_u32 v9, vcc_lo, s11, v13
	v_add_co_ci_u32_e32 v10, vcc_lo, s13, v14, vcc_lo
	v_lshlrev_b64 v[13:14], 1, v[11:12]
	v_add_co_u32 v11, vcc_lo, s11, v15
	v_add_co_ci_u32_e32 v12, vcc_lo, s13, v16, vcc_lo
	v_lshlrev_b64 v[15:16], 1, v[26:27]
	v_mov_b32_e32 v26, 0
	v_add_co_u32 v13, vcc_lo, s11, v13
	v_add_co_ci_u32_e32 v14, vcc_lo, s13, v14, vcc_lo
	s_delay_alu instid0(VALU_DEP_4)
	v_add_co_u32 v15, vcc_lo, s11, v15
	s_add_u32 s6, s16, s6
	v_add_co_ci_u32_e32 v16, vcc_lo, s13, v16, vcc_lo
	v_cmp_gt_u32_e64 s2, 32, v0
	v_cmp_gt_u32_e64 s4, 8, v0
	v_cmp_eq_u32_e64 s5, 0, v0
	s_addc_u32 s7, s17, s7
	v_add_co_u32 v0, vcc_lo, s6, v7
	v_and_b32_e32 v23, 28, v23
	v_add_co_ci_u32_e32 v8, vcc_lo, s7, v8, vcc_lo
	s_mul_i32 s16, s21, s20
	s_branch .LBB559_58
.LBB559_57:                             ;   in Loop: Header=BB559_58 Depth=1
	s_or_b32 exec_lo, exec_lo, s6
	s_add_i32 s21, s21, 1
	s_add_i32 s16, s16, s20
	s_cmp_ge_i32 s21, s9
	s_cbranch_scc1 .LBB559_79
.LBB559_58:                             ; =>This Loop Header: Depth=1
                                        ;     Child Loop BB559_71 Depth 2
                                        ;     Child Loop BB559_74 Depth 2
	v_mov_b32_e32 v27, s15
	s_and_saveexec_b32 s6, s0
	s_delay_alu instid0(SALU_CYCLE_1)
	s_xor_b32 s6, exec_lo, s6
	s_cbranch_execnz .LBB559_67
; %bb.59:                               ;   in Loop: Header=BB559_58 Depth=1
	s_and_not1_saveexec_b32 s22, s6
	s_cbranch_execnz .LBB559_68
.LBB559_60:                             ;   in Loop: Header=BB559_58 Depth=1
	s_or_b32 exec_lo, exec_lo, s22
	s_and_saveexec_b32 s6, s2
	s_cbranch_execz .LBB559_62
.LBB559_61:                             ;   in Loop: Header=BB559_58 Depth=1
	ds_store_b32 v17, v26
.LBB559_62:                             ;   in Loop: Header=BB559_58 Depth=1
	s_or_b32 exec_lo, exec_lo, s6
	s_waitcnt lgkmcnt(0)
	ds_bpermute_b32 v6, v18, v27
	s_waitcnt lgkmcnt(0)
	s_waitcnt_vscnt null, 0x0
	s_barrier
	buffer_gl0_inv
	v_add_f32_e32 v6, v27, v6
	ds_bpermute_b32 v7, v19, v6
	s_waitcnt lgkmcnt(0)
	v_add_f32_e32 v6, v6, v7
	ds_bpermute_b32 v7, v24, v6
	s_waitcnt lgkmcnt(0)
	;; [unrolled: 3-line block ×3, first 2 shown]
	v_add_f32_e32 v6, v6, v7
	ds_bpermute_b32 v7, v25, v6
	s_and_saveexec_b32 s6, s3
	s_cbranch_execz .LBB559_64
; %bb.63:                               ;   in Loop: Header=BB559_58 Depth=1
	s_waitcnt lgkmcnt(0)
	v_add_f32_e32 v6, v6, v7
	ds_store_b32 v23, v6
.LBB559_64:                             ;   in Loop: Header=BB559_58 Depth=1
	s_or_b32 exec_lo, exec_lo, s6
	v_mov_b32_e32 v6, 0
	s_waitcnt lgkmcnt(0)
	s_barrier
	buffer_gl0_inv
	s_and_saveexec_b32 s6, s4
	s_cbranch_execnz .LBB559_76
; %bb.65:                               ;   in Loop: Header=BB559_58 Depth=1
	s_or_b32 exec_lo, exec_lo, s6
	s_and_saveexec_b32 s6, s2
	s_cbranch_execnz .LBB559_77
.LBB559_66:                             ;   in Loop: Header=BB559_58 Depth=1
	s_or_b32 exec_lo, exec_lo, s6
	s_and_saveexec_b32 s6, s5
	s_cbranch_execz .LBB559_57
	s_branch .LBB559_78
.LBB559_67:                             ;   in Loop: Header=BB559_58 Depth=1
	s_mul_i32 s18, s21, s20
	s_delay_alu instid0(SALU_CYCLE_1) | instskip(NEXT) | instid1(SALU_CYCLE_1)
	s_ashr_i32 s19, s18, 31
	s_lshl_b64 s[18:19], s[18:19], 1
	s_delay_alu instid0(SALU_CYCLE_1)
	v_add_co_u32 v1, vcc_lo, v20, s18
	v_add_co_ci_u32_e32 v2, vcc_lo, s19, v21, vcc_lo
	global_load_u16 v3, v[9:10], off
	s_waitcnt lgkmcnt(0)
	global_load_b64 v[6:7], v[1:2], off
	s_clause 0x2
	global_load_u16 v2, v[11:12], off
	global_load_u16 v4, v[13:14], off
	;; [unrolled: 1-line block ×3, first 2 shown]
	s_waitcnt vmcnt(4)
	v_lshlrev_b32_e32 v1, 16, v3
	s_waitcnt vmcnt(3)
	v_lshlrev_b32_e32 v3, 16, v6
	v_and_b32_e32 v6, 0xffff0000, v6
	s_delay_alu instid0(VALU_DEP_2)
	v_fma_f32 v27, v1, v3, 0
	s_waitcnt vmcnt(1)
	v_lshlrev_b32_e32 v3, 16, v4
	s_waitcnt vmcnt(0)
	v_lshlrev_b32_e32 v4, 16, v28
	v_lshlrev_b32_e32 v2, 16, v2
	s_delay_alu instid0(VALU_DEP_1) | instskip(SKIP_1) | instid1(VALU_DEP_2)
	v_dual_fmac_f32 v27, v2, v6 :: v_dual_lshlrev_b32 v6, 16, v7
	v_and_b32_e32 v7, 0xffff0000, v7
	v_fmac_f32_e32 v27, v3, v6
	s_delay_alu instid0(VALU_DEP_1)
	v_fmac_f32_e32 v27, v4, v7
	s_and_not1_saveexec_b32 s22, s6
	s_cbranch_execz .LBB559_60
.LBB559_68:                             ;   in Loop: Header=BB559_58 Depth=1
	s_and_saveexec_b32 s23, s1
	s_cbranch_execz .LBB559_75
; %bb.69:                               ;   in Loop: Header=BB559_58 Depth=1
	s_and_not1_b32 vcc_lo, exec_lo, s8
	s_cbranch_vccnz .LBB559_72
; %bb.70:                               ;   in Loop: Header=BB559_58 Depth=1
	s_waitcnt lgkmcnt(0)
	v_mov_b32_e32 v6, v5
	s_mov_b64 s[18:19], 0
	.p2align	6
.LBB559_71:                             ;   Parent Loop BB559_58 Depth=1
                                        ; =>  This Inner Loop Header: Depth=2
	s_delay_alu instid0(VALU_DEP_1) | instskip(SKIP_1) | instid1(VALU_DEP_1)
	v_ashrrev_i32_e32 v7, 31, v6
	s_cmp_eq_u32 s18, 3
	v_lshlrev_b64 v[28:29], 1, v[6:7]
	s_delay_alu instid0(VALU_DEP_1) | instskip(NEXT) | instid1(VALU_DEP_2)
	v_add_co_u32 v28, vcc_lo, s11, v28
	v_add_co_ci_u32_e32 v29, vcc_lo, s13, v29, vcc_lo
	s_cselect_b32 vcc_lo, -1, 0
	s_cmp_eq_u32 s18, 2
	s_cselect_b32 s6, -1, 0
	global_load_u16 v7, v[28:29], off
	s_cmp_eq_u32 s18, 1
	s_cselect_b32 s7, -1, 0
	s_cmp_eq_u32 s18, 0
	s_waitcnt vmcnt(0)
	v_lshlrev_b32_e32 v7, 16, v7
	s_delay_alu instid0(VALU_DEP_1)
	v_cndmask_b32_e32 v4, v4, v7, vcc_lo
	s_cselect_b32 vcc_lo, -1, 0
	v_dual_cndmask_b32 v1, v1, v7 :: v_dual_add_nc_u32 v6, s33, v6
	v_cndmask_b32_e64 v3, v3, v7, s6
	v_cndmask_b32_e64 v2, v2, v7, s7
	s_add_u32 s18, s18, 1
	s_addc_u32 s19, s19, 0
	s_cmp_eq_u32 s36, s18
	s_cbranch_scc0 .LBB559_71
.LBB559_72:                             ;   in Loop: Header=BB559_58 Depth=1
	s_and_not1_b32 vcc_lo, exec_lo, s8
	s_cbranch_vccnz .LBB559_75
; %bb.73:                               ;   in Loop: Header=BB559_58 Depth=1
	s_ashr_i32 s17, s16, 31
	s_delay_alu instid0(SALU_CYCLE_1)
	s_lshl_b64 s[6:7], s[16:17], 1
	s_waitcnt lgkmcnt(0)
	v_add_co_u32 v6, vcc_lo, v0, s6
	v_add_co_ci_u32_e32 v7, vcc_lo, s7, v8, vcc_lo
	s_mov_b64 s[6:7], 0
	.p2align	6
.LBB559_74:                             ;   Parent Loop BB559_58 Depth=1
                                        ; =>  This Inner Loop Header: Depth=2
	global_load_u16 v28, v[6:7], off
	s_cmp_eq_u32 s6, 1
	s_cselect_b32 vcc_lo, -1, 0
	s_cmp_eq_u32 s6, 2
	v_cndmask_b32_e32 v29, v1, v2, vcc_lo
	s_cselect_b32 vcc_lo, -1, 0
	s_cmp_eq_u32 s6, 3
	s_waitcnt vmcnt(0)
	s_delay_alu instid0(VALU_DEP_1)
	v_dual_cndmask_b32 v29, v29, v3 :: v_dual_lshlrev_b32 v28, 16, v28
	s_cselect_b32 vcc_lo, -1, 0
	s_add_u32 s6, s6, 1
	s_addc_u32 s7, s7, 0
	s_cmp_lg_u32 s36, s6
	v_cndmask_b32_e32 v29, v29, v4, vcc_lo
	v_add_co_u32 v6, vcc_lo, v6, 2
	v_add_co_ci_u32_e32 v7, vcc_lo, 0, v7, vcc_lo
	s_delay_alu instid0(VALU_DEP_3)
	v_fmac_f32_e32 v27, v29, v28
	s_cbranch_scc1 .LBB559_74
.LBB559_75:                             ;   in Loop: Header=BB559_58 Depth=1
	s_or_b32 exec_lo, exec_lo, s23
	s_delay_alu instid0(SALU_CYCLE_1)
	s_or_b32 exec_lo, exec_lo, s22
	s_and_saveexec_b32 s6, s2
	s_cbranch_execnz .LBB559_61
	s_branch .LBB559_62
.LBB559_76:                             ;   in Loop: Header=BB559_58 Depth=1
	ds_load_b32 v6, v17
	s_or_b32 exec_lo, exec_lo, s6
	s_and_saveexec_b32 s6, s2
	s_cbranch_execz .LBB559_66
.LBB559_77:                             ;   in Loop: Header=BB559_58 Depth=1
	s_waitcnt lgkmcnt(0)
	ds_bpermute_b32 v7, v24, v6
	s_waitcnt lgkmcnt(0)
	v_add_f32_e32 v6, v6, v7
	ds_bpermute_b32 v7, v22, v6
	s_waitcnt lgkmcnt(0)
	v_add_f32_e32 v6, v6, v7
	;; [unrolled: 3-line block ×3, first 2 shown]
	s_or_b32 exec_lo, exec_lo, s6
	s_and_saveexec_b32 s6, s5
	s_cbranch_execz .LBB559_57
.LBB559_78:                             ;   in Loop: Header=BB559_58 Depth=1
	s_mul_hi_u32 s19, s21, s12
	s_mul_i32 s18, s21, s12
	s_waitcnt lgkmcnt(0)
	v_mul_f32_e32 v6, s10, v6
	s_lshl_b64 s[18:19], s[18:19], 2
	s_delay_alu instid0(SALU_CYCLE_1)
	s_add_u32 s18, s14, s18
	s_addc_u32 s19, s24, s19
	global_store_b32 v26, v6, s[18:19]
	s_branch .LBB559_57
.LBB559_79:
	s_nop 0
	s_sendmsg sendmsg(MSG_DEALLOC_VGPRS)
	s_endpgm
	.section	.rodata,"a",@progbits
	.p2align	6, 0x0
	.amdhsa_kernel _ZL23rocblas_gemvt_sn_kernelILb0ELi256ELi4Ei16rocblas_bfloat16ffEviiT4_lPKT3_lilS4_lilPT5_i
		.amdhsa_group_segment_fixed_size 128
		.amdhsa_private_segment_fixed_size 0
		.amdhsa_kernarg_size 360
		.amdhsa_user_sgpr_count 14
		.amdhsa_user_sgpr_dispatch_ptr 0
		.amdhsa_user_sgpr_queue_ptr 0
		.amdhsa_user_sgpr_kernarg_segment_ptr 1
		.amdhsa_user_sgpr_dispatch_id 0
		.amdhsa_user_sgpr_private_segment_size 0
		.amdhsa_wavefront_size32 1
		.amdhsa_uses_dynamic_stack 0
		.amdhsa_enable_private_segment 0
		.amdhsa_system_sgpr_workgroup_id_x 1
		.amdhsa_system_sgpr_workgroup_id_y 0
		.amdhsa_system_sgpr_workgroup_id_z 1
		.amdhsa_system_sgpr_workgroup_info 0
		.amdhsa_system_vgpr_workitem_id 0
		.amdhsa_next_free_vgpr 51
		.amdhsa_next_free_sgpr 48
		.amdhsa_reserve_vcc 1
		.amdhsa_float_round_mode_32 0
		.amdhsa_float_round_mode_16_64 0
		.amdhsa_float_denorm_mode_32 3
		.amdhsa_float_denorm_mode_16_64 3
		.amdhsa_dx10_clamp 1
		.amdhsa_ieee_mode 1
		.amdhsa_fp16_overflow 0
		.amdhsa_workgroup_processor_mode 1
		.amdhsa_memory_ordered 1
		.amdhsa_forward_progress 0
		.amdhsa_shared_vgpr_count 0
		.amdhsa_exception_fp_ieee_invalid_op 0
		.amdhsa_exception_fp_denorm_src 0
		.amdhsa_exception_fp_ieee_div_zero 0
		.amdhsa_exception_fp_ieee_overflow 0
		.amdhsa_exception_fp_ieee_underflow 0
		.amdhsa_exception_fp_ieee_inexact 0
		.amdhsa_exception_int_div_zero 0
	.end_amdhsa_kernel
	.section	.text._ZL23rocblas_gemvt_sn_kernelILb0ELi256ELi4Ei16rocblas_bfloat16ffEviiT4_lPKT3_lilS4_lilPT5_i,"axG",@progbits,_ZL23rocblas_gemvt_sn_kernelILb0ELi256ELi4Ei16rocblas_bfloat16ffEviiT4_lPKT3_lilS4_lilPT5_i,comdat
.Lfunc_end559:
	.size	_ZL23rocblas_gemvt_sn_kernelILb0ELi256ELi4Ei16rocblas_bfloat16ffEviiT4_lPKT3_lilS4_lilPT5_i, .Lfunc_end559-_ZL23rocblas_gemvt_sn_kernelILb0ELi256ELi4Ei16rocblas_bfloat16ffEviiT4_lPKT3_lilS4_lilPT5_i
                                        ; -- End function
	.section	.AMDGPU.csdata,"",@progbits
; Kernel info:
; codeLenInByte = 4292
; NumSgprs: 50
; NumVgprs: 51
; ScratchSize: 0
; MemoryBound: 0
; FloatMode: 240
; IeeeMode: 1
; LDSByteSize: 128 bytes/workgroup (compile time only)
; SGPRBlocks: 6
; VGPRBlocks: 6
; NumSGPRsForWavesPerEU: 50
; NumVGPRsForWavesPerEU: 51
; Occupancy: 16
; WaveLimiterHint : 1
; COMPUTE_PGM_RSRC2:SCRATCH_EN: 0
; COMPUTE_PGM_RSRC2:USER_SGPR: 14
; COMPUTE_PGM_RSRC2:TRAP_HANDLER: 0
; COMPUTE_PGM_RSRC2:TGID_X_EN: 1
; COMPUTE_PGM_RSRC2:TGID_Y_EN: 0
; COMPUTE_PGM_RSRC2:TGID_Z_EN: 1
; COMPUTE_PGM_RSRC2:TIDIG_COMP_CNT: 0
	.section	.text._ZL23rocblas_gemvt_sn_kernelILb0ELi256ELi4El16rocblas_bfloat16ffEviiT4_lPKT3_lilS4_lilPT5_i,"axG",@progbits,_ZL23rocblas_gemvt_sn_kernelILb0ELi256ELi4El16rocblas_bfloat16ffEviiT4_lPKT3_lilS4_lilPT5_i,comdat
	.globl	_ZL23rocblas_gemvt_sn_kernelILb0ELi256ELi4El16rocblas_bfloat16ffEviiT4_lPKT3_lilS4_lilPT5_i ; -- Begin function _ZL23rocblas_gemvt_sn_kernelILb0ELi256ELi4El16rocblas_bfloat16ffEviiT4_lPKT3_lilS4_lilPT5_i
	.p2align	8
	.type	_ZL23rocblas_gemvt_sn_kernelILb0ELi256ELi4El16rocblas_bfloat16ffEviiT4_lPKT3_lilS4_lilPT5_i,@function
_ZL23rocblas_gemvt_sn_kernelILb0ELi256ELi4El16rocblas_bfloat16ffEviiT4_lPKT3_lilS4_lilPT5_i: ; @_ZL23rocblas_gemvt_sn_kernelILb0ELi256ELi4El16rocblas_bfloat16ffEviiT4_lPKT3_lilS4_lilPT5_i
; %bb.0:
	s_clause 0x2
	s_load_b128 s[8:11], s[0:1], 0x0
	s_load_b32 s12, s[0:1], 0x68
	s_load_b128 s[4:7], s[0:1], 0x50
	s_waitcnt lgkmcnt(0)
	s_ashr_i32 s11, s9, 31
	s_mul_hi_u32 s2, s9, s15
	s_mul_i32 s3, s11, s15
	s_mul_i32 s13, s9, s15
	s_add_i32 s2, s2, s3
	s_mul_hi_u32 s3, s13, s12
	s_mul_i32 s16, s2, s12
	s_mul_i32 s2, s13, s12
	s_add_i32 s3, s3, s16
	v_cmp_neq_f32_e64 s13, s10, 0
	s_lshl_b64 s[2:3], s[2:3], 2
	s_delay_alu instid0(SALU_CYCLE_1)
	s_add_u32 s33, s6, s2
	v_cmp_eq_u32_e64 s2, 0, v0
	s_addc_u32 s44, s7, s3
	s_and_b32 vcc_lo, exec_lo, s13
	s_mov_b32 s13, 0
	s_cbranch_vccnz .LBB560_5
; %bb.1:
	s_cmp_gt_i32 s9, 0
	s_cselect_b32 s3, -1, 0
	s_delay_alu instid0(SALU_CYCLE_1) | instskip(NEXT) | instid1(SALU_CYCLE_1)
	s_and_b32 s2, s2, s3
	s_and_saveexec_b32 s16, s2
	s_cbranch_execz .LBB560_4
; %bb.2:
	s_mov_b32 s2, s15
	s_mov_b32 s15, 0
	v_mov_b32_e32 v1, 0
	s_lshl_b64 s[6:7], s[14:15], 2
	s_mov_b32 s15, s2
	s_add_u32 s2, s33, s6
	s_addc_u32 s3, s44, s7
	s_lshl_b64 s[6:7], s[12:13], 2
	s_mov_b32 s13, s9
.LBB560_3:                              ; =>This Inner Loop Header: Depth=1
	s_delay_alu instid0(SALU_CYCLE_1)
	s_add_i32 s13, s13, -1
	global_store_b32 v1, v1, s[2:3]
	s_add_u32 s2, s2, s6
	s_addc_u32 s3, s3, s7
	s_cmp_eq_u32 s13, 0
	s_cbranch_scc0 .LBB560_3
.LBB560_4:
	s_or_b32 exec_lo, exec_lo, s16
	s_cbranch_execz .LBB560_6
	s_branch .LBB560_79
.LBB560_5:
.LBB560_6:
	s_clause 0x4
	s_load_b32 s24, s[0:1], 0x28
	s_load_b32 s26, s[0:1], 0x48
	s_load_b128 s[20:23], s[0:1], 0x30
	s_load_b64 s[2:3], s[0:1], 0x40
	s_load_b128 s[16:19], s[0:1], 0x18
	s_mul_i32 s1, s15, s5
	s_mul_hi_u32 s5, s15, s4
	s_mul_i32 s0, s15, s4
	s_add_i32 s1, s5, s1
	v_and_b32_e32 v24, 31, v0
	s_lshl_b64 s[28:29], s[0:1], 1
	v_mbcnt_lo_u32_b32 v27, -1, 0
	v_lshrrev_b32_e32 v29, 3, v0
	s_waitcnt lgkmcnt(0)
	s_ashr_i32 s25, s24, 31
	s_ashr_i32 s27, s26, 31
	s_add_u32 s4, s22, s28
	s_addc_u32 s5, s23, s29
	s_lshl_b64 s[30:31], s[2:3], 1
	s_mul_i32 s0, s15, s21
	s_mul_hi_u32 s1, s15, s20
	s_add_u32 s13, s4, s30
	s_mul_i32 s2, s15, s20
	s_addc_u32 s45, s5, s31
	s_add_i32 s3, s1, s0
	v_cmp_gt_u32_e64 s0, 32, v0
	s_lshl_b64 s[20:21], s[2:3], 1
	v_cmp_gt_u32_e64 s1, 8, v0
	s_add_u32 s2, s16, s20
	s_addc_u32 s3, s17, s21
	s_lshl_b64 s[18:19], s[18:19], 1
	s_delay_alu instid0(SALU_CYCLE_1)
	s_add_u32 s2, s2, s18
	s_addc_u32 s3, s3, s19
	s_lshl_b32 s4, s14, 10
	s_ashr_i32 s5, s8, 31
	v_lshl_or_b32 v9, v0, 2, s4
	s_lshr_b32 s4, s11, 30
	s_lshr_b32 s5, s5, 30
	s_add_i32 s4, s9, s4
	s_add_i32 s5, s8, s5
	v_ashrrev_i32_e32 v10, 31, v9
	s_and_b32 s46, s4, -4
	s_and_b32 s4, s5, -4
	v_add_nc_u32_e32 v30, 4, v9
	s_sub_i32 s11, s8, s4
	v_lshlrev_b64 v[7:8], 1, v[9:10]
	v_or_b32_e32 v28, 1, v9
	v_or_b32_e32 v26, 2, v9
	v_add_nc_u32_e32 v31, s11, v9
	v_or_b32_e32 v25, 3, v9
	s_cmp_lt_i32 s46, 1
	v_add_co_u32 v5, vcc_lo, s2, v7
	v_add_co_ci_u32_e32 v6, vcc_lo, s3, v8, vcc_lo
	s_cbranch_scc1 .LBB560_54
; %bb.7:
	v_cmp_gt_u32_e32 vcc_lo, 16, v27
	v_mad_i64_i32 v[12:13], null, s26, v26, 0
	v_mad_i64_i32 v[14:15], null, s26, v25, 0
	v_cndmask_b32_e64 v1, 0, 1, vcc_lo
	v_cmp_gt_u32_e32 vcc_lo, 24, v27
	s_mov_b32 s15, 0
	s_cmp_gt_i32 s11, 0
	s_delay_alu instid0(VALU_DEP_4)
	v_lshlrev_b64 v[16:17], 1, v[12:13]
	v_lshlrev_b32_e32 v1, 4, v1
	v_cndmask_b32_e64 v2, 0, 1, vcc_lo
	v_cmp_gt_u32_e32 vcc_lo, 28, v27
	s_cselect_b32 s47, -1, 0
	s_lshl_b64 s[6:7], s[14:15], 2
	s_delay_alu instid0(VALU_DEP_2)
	v_dual_mov_b32 v39, 0 :: v_dual_lshlrev_b32 v2, 3, v2
	v_cndmask_b32_e64 v3, 0, 1, vcc_lo
	v_cmp_gt_u32_e32 vcc_lo, 30, v27
	s_add_u32 s48, s33, s6
	s_addc_u32 s49, s44, s7
	v_add_lshl_u32 v33, v2, v27, 2
	v_lshlrev_b32_e32 v3, 2, v3
	v_cndmask_b32_e64 v4, 0, 1, vcc_lo
	v_cmp_ne_u32_e32 vcc_lo, 31, v27
	v_dual_mov_b32 v21, v6 :: v_dual_mov_b32 v20, v5
	v_add_lshl_u32 v32, v1, v27, 2
	s_delay_alu instid0(VALU_DEP_4) | instskip(SKIP_3) | instid1(VALU_DEP_4)
	v_lshlrev_b32_e32 v4, 1, v4
	v_mad_i64_i32 v[1:2], null, s26, v9, 0
	v_add_lshl_u32 v34, v3, v27, 2
	v_add_co_ci_u32_e32 v10, vcc_lo, 0, v27, vcc_lo
	v_add_lshl_u32 v35, v4, v27, 2
	v_mad_i64_i32 v[3:4], null, s26, v28, 0
	v_lshlrev_b64 v[1:2], 1, v[1:2]
	s_delay_alu instid0(VALU_DEP_4) | instskip(SKIP_4) | instid1(VALU_DEP_3)
	v_lshlrev_b32_e32 v36, 2, v10
	s_add_u32 s6, s22, s30
	s_addc_u32 s7, s23, s31
	s_add_u32 s6, s6, s28
	s_addc_u32 s7, s7, s29
	v_lshlrev_b64 v[3:4], 1, v[3:4]
	v_add_co_u32 v10, vcc_lo, s13, v1
	v_add_co_ci_u32_e32 v11, vcc_lo, s45, v2, vcc_lo
	v_cmp_ge_i32_e64 s2, s8, v30
	s_delay_alu instid0(VALU_DEP_4)
	v_add_co_u32 v12, vcc_lo, s13, v3
	v_add_co_ci_u32_e32 v13, vcc_lo, s45, v4, vcc_lo
	v_lshlrev_b64 v[3:4], 1, v[14:15]
	v_add_co_u32 v14, vcc_lo, s13, v16
	v_add_co_ci_u32_e32 v15, vcc_lo, s45, v17, vcc_lo
	v_cmp_ge_i32_e64 s3, s8, v31
	s_delay_alu instid0(VALU_DEP_4)
	v_add_co_u32 v16, vcc_lo, s13, v3
	v_add_co_ci_u32_e32 v17, vcc_lo, s45, v4, vcc_lo
	v_add_co_u32 v18, vcc_lo, s6, v1
	v_cmp_eq_u32_e64 s4, 0, v24
	v_lshlrev_b32_e32 v37, 2, v24
	v_and_b32_e32 v38, 28, v29
	v_cmp_eq_u32_e64 s5, 0, v0
	v_add_co_ci_u32_e32 v19, vcc_lo, s7, v2, vcc_lo
	s_lshl_b64 s[34:35], s[26:27], 1
	s_lshl_b64 s[36:37], s[24:25], 3
	;; [unrolled: 1-line block ×4, first 2 shown]
	s_mul_hi_i32 s50, s24, 6
	s_mul_i32 s51, s24, 6
                                        ; implicit-def: $vgpr1_vgpr2_vgpr3_vgpr4
	s_branch .LBB560_9
.LBB560_8:                              ;   in Loop: Header=BB560_9 Depth=1
	s_or_b32 exec_lo, exec_lo, s6
	v_add_co_u32 v20, vcc_lo, v20, s36
	v_add_co_ci_u32_e32 v21, vcc_lo, s37, v21, vcc_lo
	s_add_i32 s15, s15, 4
	s_delay_alu instid0(SALU_CYCLE_1)
	s_cmp_ge_i32 s15, s46
	s_cbranch_scc1 .LBB560_55
.LBB560_9:                              ; =>This Loop Header: Depth=1
                                        ;     Child Loop BB560_40 Depth 2
                                        ;     Child Loop BB560_43 Depth 2
                                        ; implicit-def: $vgpr40
                                        ; implicit-def: $vgpr41
                                        ; implicit-def: $vgpr42
                                        ; implicit-def: $vgpr43
	s_and_saveexec_b32 s6, s2
	s_delay_alu instid0(SALU_CYCLE_1)
	s_xor_b32 s6, exec_lo, s6
	s_cbranch_execnz .LBB560_36
; %bb.10:                               ;   in Loop: Header=BB560_9 Depth=1
	s_and_not1_saveexec_b32 s52, s6
	s_cbranch_execnz .LBB560_37
.LBB560_11:                             ;   in Loop: Header=BB560_9 Depth=1
	s_or_b32 exec_lo, exec_lo, s52
	s_and_saveexec_b32 s6, s0
	s_cbranch_execz .LBB560_13
.LBB560_12:                             ;   in Loop: Header=BB560_9 Depth=1
	ds_store_b32 v37, v39
.LBB560_13:                             ;   in Loop: Header=BB560_9 Depth=1
	s_or_b32 exec_lo, exec_lo, s6
	ds_bpermute_b32 v22, v32, v43
	s_waitcnt lgkmcnt(0)
	s_waitcnt_vscnt null, 0x0
	s_barrier
	buffer_gl0_inv
	v_add_f32_e32 v22, v43, v22
	ds_bpermute_b32 v23, v33, v22
	s_waitcnt lgkmcnt(0)
	v_add_f32_e32 v22, v22, v23
	ds_bpermute_b32 v23, v34, v22
	s_waitcnt lgkmcnt(0)
	;; [unrolled: 3-line block ×3, first 2 shown]
	v_add_f32_e32 v22, v22, v23
	ds_bpermute_b32 v23, v36, v22
	s_and_saveexec_b32 s6, s4
	s_cbranch_execz .LBB560_15
; %bb.14:                               ;   in Loop: Header=BB560_9 Depth=1
	s_waitcnt lgkmcnt(0)
	v_add_f32_e32 v22, v22, v23
	ds_store_b32 v38, v22
.LBB560_15:                             ;   in Loop: Header=BB560_9 Depth=1
	s_or_b32 exec_lo, exec_lo, s6
	v_mov_b32_e32 v22, 0
	s_waitcnt lgkmcnt(0)
	s_barrier
	buffer_gl0_inv
	s_and_saveexec_b32 s6, s1
	s_cbranch_execnz .LBB560_45
; %bb.16:                               ;   in Loop: Header=BB560_9 Depth=1
	s_or_b32 exec_lo, exec_lo, s6
	s_and_saveexec_b32 s6, s0
	s_cbranch_execnz .LBB560_46
.LBB560_17:                             ;   in Loop: Header=BB560_9 Depth=1
	s_or_b32 exec_lo, exec_lo, s6
	s_and_saveexec_b32 s6, s0
	s_cbranch_execz .LBB560_19
.LBB560_18:                             ;   in Loop: Header=BB560_9 Depth=1
	ds_store_b32 v37, v39
.LBB560_19:                             ;   in Loop: Header=BB560_9 Depth=1
	s_or_b32 exec_lo, exec_lo, s6
	ds_bpermute_b32 v23, v32, v42
	s_waitcnt lgkmcnt(0)
	s_barrier
	buffer_gl0_inv
	v_add_f32_e32 v23, v42, v23
	ds_bpermute_b32 v42, v33, v23
	s_waitcnt lgkmcnt(0)
	v_add_f32_e32 v23, v23, v42
	ds_bpermute_b32 v42, v34, v23
	s_waitcnt lgkmcnt(0)
	;; [unrolled: 3-line block ×3, first 2 shown]
	v_add_f32_e32 v23, v23, v42
	ds_bpermute_b32 v42, v36, v23
	s_and_saveexec_b32 s6, s4
	s_cbranch_execz .LBB560_21
; %bb.20:                               ;   in Loop: Header=BB560_9 Depth=1
	s_waitcnt lgkmcnt(0)
	v_add_f32_e32 v23, v23, v42
	ds_store_b32 v38, v23
.LBB560_21:                             ;   in Loop: Header=BB560_9 Depth=1
	s_or_b32 exec_lo, exec_lo, s6
	v_mov_b32_e32 v23, 0
	s_waitcnt lgkmcnt(0)
	s_barrier
	buffer_gl0_inv
	s_and_saveexec_b32 s6, s1
	s_cbranch_execnz .LBB560_47
; %bb.22:                               ;   in Loop: Header=BB560_9 Depth=1
	s_or_b32 exec_lo, exec_lo, s6
	s_and_saveexec_b32 s6, s0
	s_cbranch_execnz .LBB560_48
.LBB560_23:                             ;   in Loop: Header=BB560_9 Depth=1
	s_or_b32 exec_lo, exec_lo, s6
	s_and_saveexec_b32 s6, s0
	s_cbranch_execz .LBB560_25
.LBB560_24:                             ;   in Loop: Header=BB560_9 Depth=1
	ds_store_b32 v37, v39
.LBB560_25:                             ;   in Loop: Header=BB560_9 Depth=1
	s_or_b32 exec_lo, exec_lo, s6
	ds_bpermute_b32 v42, v32, v41
	s_waitcnt lgkmcnt(0)
	s_barrier
	buffer_gl0_inv
	v_add_f32_e32 v41, v41, v42
	ds_bpermute_b32 v42, v33, v41
	s_waitcnt lgkmcnt(0)
	v_add_f32_e32 v41, v41, v42
	ds_bpermute_b32 v42, v34, v41
	s_waitcnt lgkmcnt(0)
	;; [unrolled: 3-line block ×3, first 2 shown]
	v_add_f32_e32 v41, v41, v42
	ds_bpermute_b32 v42, v36, v41
	s_and_saveexec_b32 s6, s4
	s_cbranch_execz .LBB560_27
; %bb.26:                               ;   in Loop: Header=BB560_9 Depth=1
	s_waitcnt lgkmcnt(0)
	v_add_f32_e32 v41, v41, v42
	ds_store_b32 v38, v41
.LBB560_27:                             ;   in Loop: Header=BB560_9 Depth=1
	s_or_b32 exec_lo, exec_lo, s6
	v_mov_b32_e32 v41, 0
	s_waitcnt lgkmcnt(0)
	s_barrier
	buffer_gl0_inv
	s_and_saveexec_b32 s6, s1
	s_cbranch_execnz .LBB560_49
; %bb.28:                               ;   in Loop: Header=BB560_9 Depth=1
	s_or_b32 exec_lo, exec_lo, s6
	s_and_saveexec_b32 s6, s0
	s_cbranch_execnz .LBB560_50
.LBB560_29:                             ;   in Loop: Header=BB560_9 Depth=1
	s_or_b32 exec_lo, exec_lo, s6
	s_and_saveexec_b32 s6, s0
	s_cbranch_execz .LBB560_31
.LBB560_30:                             ;   in Loop: Header=BB560_9 Depth=1
	ds_store_b32 v37, v39
.LBB560_31:                             ;   in Loop: Header=BB560_9 Depth=1
	s_or_b32 exec_lo, exec_lo, s6
	ds_bpermute_b32 v42, v32, v40
	s_waitcnt lgkmcnt(0)
	s_barrier
	buffer_gl0_inv
	v_add_f32_e32 v40, v40, v42
	ds_bpermute_b32 v42, v33, v40
	s_waitcnt lgkmcnt(0)
	v_add_f32_e32 v40, v40, v42
	ds_bpermute_b32 v42, v34, v40
	s_waitcnt lgkmcnt(0)
	;; [unrolled: 3-line block ×3, first 2 shown]
	v_add_f32_e32 v40, v40, v42
	ds_bpermute_b32 v42, v36, v40
	s_and_saveexec_b32 s6, s4
	s_cbranch_execz .LBB560_33
; %bb.32:                               ;   in Loop: Header=BB560_9 Depth=1
	s_waitcnt lgkmcnt(0)
	v_add_f32_e32 v40, v40, v42
	ds_store_b32 v38, v40
.LBB560_33:                             ;   in Loop: Header=BB560_9 Depth=1
	s_or_b32 exec_lo, exec_lo, s6
	v_mov_b32_e32 v40, 0
	s_waitcnt lgkmcnt(0)
	s_barrier
	buffer_gl0_inv
	s_and_saveexec_b32 s6, s1
	s_cbranch_execnz .LBB560_51
; %bb.34:                               ;   in Loop: Header=BB560_9 Depth=1
	s_or_b32 exec_lo, exec_lo, s6
	s_and_saveexec_b32 s6, s0
	s_cbranch_execnz .LBB560_52
.LBB560_35:                             ;   in Loop: Header=BB560_9 Depth=1
	s_or_b32 exec_lo, exec_lo, s6
	s_and_saveexec_b32 s6, s5
	s_cbranch_execz .LBB560_8
	s_branch .LBB560_53
.LBB560_36:                             ;   in Loop: Header=BB560_9 Depth=1
	s_mul_i32 s7, s15, s25
	s_mul_hi_u32 s43, s15, s24
	s_mul_i32 s42, s15, s24
	s_add_i32 s43, s43, s7
	s_or_b32 s7, s15, 1
	s_lshl_b64 s[42:43], s[42:43], 1
	s_delay_alu instid0(SALU_CYCLE_1) | instskip(SKIP_3) | instid1(SALU_CYCLE_1)
	v_add_co_u32 v1, vcc_lo, v5, s42
	v_add_co_ci_u32_e32 v2, vcc_lo, s43, v6, vcc_lo
	s_mul_i32 s42, s7, s25
	s_mul_hi_u32 s43, s7, s24
	s_add_i32 s43, s43, s42
	s_mul_i32 s42, s7, s24
	s_or_b32 s7, s15, 2
	s_lshl_b64 s[42:43], s[42:43], 1
	global_load_b64 v[22:23], v[1:2], off
	s_mul_i32 s52, s7, s25
	s_mul_hi_u32 s53, s7, s24
	v_add_co_u32 v1, vcc_lo, v5, s42
	v_add_co_ci_u32_e32 v2, vcc_lo, s43, v6, vcc_lo
	s_add_i32 s43, s53, s52
	s_or_b32 s52, s15, 3
	s_mul_i32 s42, s7, s24
	s_mul_i32 s7, s52, s25
	s_mul_hi_u32 s53, s52, s24
	s_lshl_b64 s[42:43], s[42:43], 1
	s_add_i32 s53, s53, s7
	s_mul_i32 s52, s52, s24
	v_add_co_u32 v3, vcc_lo, v5, s42
	v_add_co_ci_u32_e32 v4, vcc_lo, s43, v6, vcc_lo
	s_lshl_b64 s[42:43], s[52:53], 1
	s_clause 0x3
	global_load_u16 v48, v[10:11], off
	global_load_u16 v49, v[12:13], off
	;; [unrolled: 1-line block ×4, first 2 shown]
	s_waitcnt lgkmcnt(0)
	v_add_co_u32 v40, vcc_lo, v5, s42
	v_add_co_ci_u32_e32 v41, vcc_lo, s43, v6, vcc_lo
	s_clause 0x2
	global_load_b64 v[42:43], v[1:2], off
	global_load_b64 v[44:45], v[3:4], off
	;; [unrolled: 1-line block ×3, first 2 shown]
	s_waitcnt vmcnt(7)
	v_lshlrev_b32_e32 v40, 16, v22
	s_waitcnt vmcnt(2)
	v_lshlrev_b32_e32 v52, 16, v43
	;; [unrolled: 2-line block ×3, first 2 shown]
	v_and_b32_e32 v22, 0xffff0000, v22
	v_lshlrev_b32_e32 v4, 16, v51
	v_and_b32_e32 v51, 0xffff0000, v42
	v_and_b32_e32 v55, 0xffff0000, v43
	v_lshlrev_b32_e32 v3, 16, v50
	v_lshlrev_b32_e32 v2, 16, v49
	;; [unrolled: 1-line block ×4, first 2 shown]
	v_and_b32_e32 v45, 0xffff0000, v45
	s_waitcnt vmcnt(0)
	v_lshlrev_b32_e32 v54, 16, v47
	s_delay_alu instid0(VALU_DEP_3) | instskip(NEXT) | instid1(VALU_DEP_1)
	v_fma_f32 v42, v1, v41, 0
	v_fmac_f32_e32 v42, v2, v51
	v_fma_f32 v43, v1, v40, 0
	s_delay_alu instid0(VALU_DEP_1) | instskip(SKIP_2) | instid1(VALU_DEP_2)
	v_dual_fmac_f32 v42, v3, v52 :: v_dual_fmac_f32 v43, v2, v22
	v_lshlrev_b32_e32 v48, 16, v23
	v_and_b32_e32 v22, 0xffff0000, v47
	v_dual_fmac_f32 v42, v4, v55 :: v_dual_fmac_f32 v43, v3, v48
	v_lshlrev_b32_e32 v50, 16, v46
	v_and_b32_e32 v46, 0xffff0000, v46
	s_delay_alu instid0(VALU_DEP_2) | instskip(NEXT) | instid1(VALU_DEP_1)
	v_fma_f32 v40, v1, v50, 0
	v_dual_fmac_f32 v40, v2, v46 :: v_dual_and_b32 v23, 0xffff0000, v23
	v_lshlrev_b32_e32 v49, 16, v44
	s_delay_alu instid0(VALU_DEP_2) | instskip(NEXT) | instid1(VALU_DEP_3)
	v_dual_fmac_f32 v43, v4, v23 :: v_dual_and_b32 v44, 0xffff0000, v44
	v_fmac_f32_e32 v40, v3, v54
	s_delay_alu instid0(VALU_DEP_3) | instskip(NEXT) | instid1(VALU_DEP_1)
	v_fma_f32 v41, v1, v49, 0
	v_dual_fmac_f32 v40, v4, v22 :: v_dual_fmac_f32 v41, v2, v44
	s_delay_alu instid0(VALU_DEP_1) | instskip(NEXT) | instid1(VALU_DEP_1)
	v_fmac_f32_e32 v41, v3, v53
	v_fmac_f32_e32 v41, v4, v45
	s_and_not1_saveexec_b32 s52, s6
	s_cbranch_execz .LBB560_11
.LBB560_37:                             ;   in Loop: Header=BB560_9 Depth=1
	s_waitcnt lgkmcnt(0)
	v_dual_mov_b32 v40, 0 :: v_dual_mov_b32 v41, 0
	v_dual_mov_b32 v42, 0 :: v_dual_mov_b32 v43, 0
	s_and_saveexec_b32 s53, s3
	s_cbranch_execz .LBB560_44
; %bb.38:                               ;   in Loop: Header=BB560_9 Depth=1
	s_and_not1_b32 vcc_lo, exec_lo, s47
	s_cbranch_vccnz .LBB560_41
; %bb.39:                               ;   in Loop: Header=BB560_9 Depth=1
	v_dual_mov_b32 v23, v19 :: v_dual_mov_b32 v22, v18
	s_mov_b64 s[42:43], 0
	.p2align	6
.LBB560_40:                             ;   Parent Loop BB560_9 Depth=1
                                        ; =>  This Inner Loop Header: Depth=2
	global_load_u16 v40, v[22:23], off
	v_add_co_u32 v22, vcc_lo, v22, s34
	s_cmp_eq_u32 s42, 3
	v_add_co_ci_u32_e32 v23, vcc_lo, s35, v23, vcc_lo
	s_cselect_b32 vcc_lo, -1, 0
	s_cmp_eq_u32 s42, 2
	s_cselect_b32 s6, -1, 0
	s_cmp_eq_u32 s42, 1
	s_cselect_b32 s7, -1, 0
	s_cmp_eq_u32 s42, 0
	s_waitcnt vmcnt(0)
	v_lshlrev_b32_e32 v40, 16, v40
	s_delay_alu instid0(VALU_DEP_1)
	v_cndmask_b32_e32 v4, v4, v40, vcc_lo
	s_cselect_b32 vcc_lo, -1, 0
	v_cndmask_b32_e64 v3, v3, v40, s6
	v_cndmask_b32_e64 v2, v2, v40, s7
	v_cndmask_b32_e32 v1, v1, v40, vcc_lo
	s_add_u32 s42, s42, 1
	s_addc_u32 s43, s43, 0
	s_cmp_eq_u32 s11, s42
	s_cbranch_scc0 .LBB560_40
.LBB560_41:                             ;   in Loop: Header=BB560_9 Depth=1
	v_dual_mov_b32 v40, 0 :: v_dual_mov_b32 v41, 0
	v_dual_mov_b32 v42, 0 :: v_dual_mov_b32 v43, 0
	s_and_not1_b32 vcc_lo, exec_lo, s47
	s_cbranch_vccnz .LBB560_44
; %bb.42:                               ;   in Loop: Header=BB560_9 Depth=1
	v_dual_mov_b32 v23, v21 :: v_dual_mov_b32 v42, 0
	v_dual_mov_b32 v43, 0 :: v_dual_mov_b32 v22, v20
	;; [unrolled: 1-line block ×3, first 2 shown]
	s_mov_b64 s[42:43], 0
	s_set_inst_prefetch_distance 0x1
	.p2align	6
.LBB560_43:                             ;   Parent Loop BB560_9 Depth=1
                                        ; =>  This Inner Loop Header: Depth=2
	s_delay_alu instid0(VALU_DEP_2)
	v_add_co_u32 v44, vcc_lo, v22, s38
	v_add_co_ci_u32_e32 v45, vcc_lo, s39, v23, vcc_lo
	v_add_co_u32 v46, vcc_lo, v22, s40
	v_add_co_ci_u32_e32 v47, vcc_lo, s41, v23, vcc_lo
	;; [unrolled: 2-line block ×3, first 2 shown]
	s_clause 0x3
	global_load_u16 v50, v[22:23], off
	global_load_u16 v44, v[44:45], off
	;; [unrolled: 1-line block ×4, first 2 shown]
	s_cmp_eq_u32 s42, 1
	v_add_co_u32 v22, s6, v22, 2
	s_cselect_b32 vcc_lo, -1, 0
	s_cmp_eq_u32 s42, 2
	v_cndmask_b32_e32 v47, v1, v2, vcc_lo
	s_cselect_b32 vcc_lo, -1, 0
	s_cmp_eq_u32 s42, 3
	v_add_co_ci_u32_e64 v23, s6, 0, v23, s6
	s_waitcnt vmcnt(3)
	v_lshlrev_b32_e32 v48, 16, v50
	s_waitcnt vmcnt(2)
	v_dual_cndmask_b32 v47, v47, v3 :: v_dual_lshlrev_b32 v44, 16, v44
	s_cselect_b32 vcc_lo, -1, 0
	s_waitcnt vmcnt(0)
	v_lshlrev_b32_e32 v46, 16, v46
	s_add_u32 s42, s42, 1
	s_addc_u32 s43, s43, 0
	v_cndmask_b32_e32 v47, v47, v4, vcc_lo
	v_lshlrev_b32_e32 v45, 16, v45
	s_cmp_lg_u32 s11, s42
	s_delay_alu instid0(VALU_DEP_2) | instskip(SKIP_1) | instid1(VALU_DEP_3)
	v_fmac_f32_e32 v42, v47, v44
	v_fmac_f32_e32 v43, v47, v48
	;; [unrolled: 1-line block ×4, first 2 shown]
	s_cbranch_scc1 .LBB560_43
.LBB560_44:                             ;   in Loop: Header=BB560_9 Depth=1
	s_set_inst_prefetch_distance 0x2
	s_or_b32 exec_lo, exec_lo, s53
	s_delay_alu instid0(SALU_CYCLE_1)
	s_or_b32 exec_lo, exec_lo, s52
	s_and_saveexec_b32 s6, s0
	s_cbranch_execnz .LBB560_12
	s_branch .LBB560_13
.LBB560_45:                             ;   in Loop: Header=BB560_9 Depth=1
	ds_load_b32 v22, v37
	s_or_b32 exec_lo, exec_lo, s6
	s_and_saveexec_b32 s6, s0
	s_cbranch_execz .LBB560_17
.LBB560_46:                             ;   in Loop: Header=BB560_9 Depth=1
	s_waitcnt lgkmcnt(0)
	ds_bpermute_b32 v23, v34, v22
	s_waitcnt lgkmcnt(0)
	v_add_f32_e32 v22, v22, v23
	ds_bpermute_b32 v23, v35, v22
	s_waitcnt lgkmcnt(0)
	v_add_f32_e32 v22, v22, v23
	;; [unrolled: 3-line block ×3, first 2 shown]
	s_or_b32 exec_lo, exec_lo, s6
	s_and_saveexec_b32 s6, s0
	s_cbranch_execnz .LBB560_18
	s_branch .LBB560_19
.LBB560_47:                             ;   in Loop: Header=BB560_9 Depth=1
	ds_load_b32 v23, v37
	s_or_b32 exec_lo, exec_lo, s6
	s_and_saveexec_b32 s6, s0
	s_cbranch_execz .LBB560_23
.LBB560_48:                             ;   in Loop: Header=BB560_9 Depth=1
	s_waitcnt lgkmcnt(0)
	ds_bpermute_b32 v42, v34, v23
	s_waitcnt lgkmcnt(0)
	v_add_f32_e32 v23, v23, v42
	ds_bpermute_b32 v42, v35, v23
	s_waitcnt lgkmcnt(0)
	v_add_f32_e32 v23, v23, v42
	;; [unrolled: 3-line block ×3, first 2 shown]
	s_or_b32 exec_lo, exec_lo, s6
	s_and_saveexec_b32 s6, s0
	s_cbranch_execnz .LBB560_24
	s_branch .LBB560_25
.LBB560_49:                             ;   in Loop: Header=BB560_9 Depth=1
	ds_load_b32 v41, v37
	s_or_b32 exec_lo, exec_lo, s6
	s_and_saveexec_b32 s6, s0
	s_cbranch_execz .LBB560_29
.LBB560_50:                             ;   in Loop: Header=BB560_9 Depth=1
	s_waitcnt lgkmcnt(0)
	ds_bpermute_b32 v42, v34, v41
	s_waitcnt lgkmcnt(0)
	v_add_f32_e32 v41, v41, v42
	ds_bpermute_b32 v42, v35, v41
	s_waitcnt lgkmcnt(0)
	v_add_f32_e32 v41, v41, v42
	;; [unrolled: 3-line block ×3, first 2 shown]
	s_or_b32 exec_lo, exec_lo, s6
	s_and_saveexec_b32 s6, s0
	s_cbranch_execnz .LBB560_30
	s_branch .LBB560_31
.LBB560_51:                             ;   in Loop: Header=BB560_9 Depth=1
	ds_load_b32 v40, v37
	s_or_b32 exec_lo, exec_lo, s6
	s_and_saveexec_b32 s6, s0
	s_cbranch_execz .LBB560_35
.LBB560_52:                             ;   in Loop: Header=BB560_9 Depth=1
	s_waitcnt lgkmcnt(0)
	ds_bpermute_b32 v42, v34, v40
	s_waitcnt lgkmcnt(0)
	v_add_f32_e32 v40, v40, v42
	ds_bpermute_b32 v42, v35, v40
	s_waitcnt lgkmcnt(0)
	v_add_f32_e32 v40, v40, v42
	;; [unrolled: 3-line block ×3, first 2 shown]
	s_or_b32 exec_lo, exec_lo, s6
	s_and_saveexec_b32 s6, s5
	s_cbranch_execz .LBB560_8
.LBB560_53:                             ;   in Loop: Header=BB560_9 Depth=1
	s_mul_hi_u32 s43, s15, s12
	s_mul_i32 s42, s15, s12
	v_dual_mul_f32 v22, s10, v22 :: v_dual_mul_f32 v23, s10, v23
	s_lshl_b64 s[42:43], s[42:43], 2
	s_waitcnt lgkmcnt(0)
	v_mul_f32_e32 v40, s10, v40
	s_add_u32 s42, s48, s42
	s_addc_u32 s43, s49, s43
	s_or_b32 s7, s15, 1
	global_store_b32 v39, v22, s[42:43]
	s_mul_hi_u32 s53, s7, s12
	s_mul_i32 s52, s7, s12
	v_mul_f32_e32 v22, s10, v41
	s_lshl_b64 s[52:53], s[52:53], 2
	s_delay_alu instid0(SALU_CYCLE_1)
	s_add_u32 s52, s48, s52
	s_addc_u32 s53, s49, s53
	s_or_b32 s7, s15, 2
	global_store_b32 v39, v23, s[52:53]
	s_mul_hi_u32 s55, s7, s12
	s_mul_i32 s54, s7, s12
	s_delay_alu instid0(SALU_CYCLE_1) | instskip(NEXT) | instid1(SALU_CYCLE_1)
	s_lshl_b64 s[54:55], s[54:55], 2
	s_add_u32 s42, s48, s54
	s_addc_u32 s43, s49, s55
	s_or_b32 s7, s15, 3
	s_delay_alu instid0(SALU_CYCLE_1) | instskip(SKIP_1) | instid1(SALU_CYCLE_1)
	s_mul_hi_u32 s55, s7, s12
	s_mul_i32 s54, s7, s12
	s_lshl_b64 s[54:55], s[54:55], 2
	s_delay_alu instid0(SALU_CYCLE_1)
	s_add_u32 s52, s48, s54
	s_addc_u32 s53, s49, s55
	s_clause 0x1
	global_store_b32 v39, v22, s[42:43]
	global_store_b32 v39, v40, s[52:53]
	s_branch .LBB560_8
.LBB560_54:
	s_mov_b32 s15, 0
                                        ; implicit-def: $vgpr1_vgpr2_vgpr3_vgpr4
.LBB560_55:
	s_delay_alu instid0(SALU_CYCLE_1)
	s_cmp_ge_i32 s15, s9
	s_cbranch_scc1 .LBB560_79
; %bb.56:
	v_cmp_gt_u32_e32 vcc_lo, 16, v27
	v_cmp_ge_i32_e64 s0, s8, v30
	v_cmp_ge_i32_e64 s1, s8, v31
	v_mad_i64_i32 v[19:20], null, s26, v25, 0
	v_cndmask_b32_e64 v10, 0, 1, vcc_lo
	v_cmp_gt_u32_e32 vcc_lo, 24, v27
	s_cmp_gt_i32 s11, 0
	s_mov_b32 s35, 0
	s_mov_b32 s34, s14
	v_lshlrev_b32_e32 v10, 4, v10
	v_cndmask_b32_e64 v11, 0, 1, vcc_lo
	v_cmp_gt_u32_e32 vcc_lo, 28, v27
	s_cselect_b32 s8, -1, 0
	s_lshl_b64 s[6:7], s[34:35], 2
	v_add_lshl_u32 v22, v10, v27, 2
	v_lshlrev_b32_e32 v11, 3, v11
	v_cndmask_b32_e64 v12, 0, 1, vcc_lo
	v_cmp_gt_u32_e32 vcc_lo, 30, v27
	s_add_u32 s14, s33, s6
	s_addc_u32 s33, s44, s7
	v_add_lshl_u32 v23, v11, v27, 2
	v_lshlrev_b32_e32 v12, 2, v12
	v_cndmask_b32_e64 v13, 0, 1, vcc_lo
	v_cmp_ne_u32_e32 vcc_lo, 31, v27
	v_mad_i64_i32 v[10:11], null, s26, v9, 0
	s_delay_alu instid0(VALU_DEP_4) | instskip(NEXT) | instid1(VALU_DEP_4)
	v_add_lshl_u32 v30, v12, v27, 2
	v_lshlrev_b32_e32 v13, 1, v13
	v_add_co_ci_u32_e32 v14, vcc_lo, 0, v27, vcc_lo
	s_add_u32 s6, s22, s30
	s_addc_u32 s7, s23, s31
	s_delay_alu instid0(VALU_DEP_2)
	v_add_lshl_u32 v27, v13, v27, 2
	v_mad_i64_i32 v[12:13], null, s26, v28, 0
	v_lshlrev_b32_e32 v31, 2, v14
	v_mad_i64_i32 v[14:15], null, s26, v26, 0
	v_lshlrev_b64 v[17:18], 1, v[10:11]
	s_mul_hi_u32 s22, s24, s15
	v_cmp_gt_u32_e64 s2, 32, v0
	v_lshlrev_b64 v[11:12], 1, v[12:13]
	v_lshlrev_b32_e32 v21, 2, v24
	v_cmp_eq_u32_e64 s3, 0, v24
	v_add_co_u32 v9, vcc_lo, s13, v17
	v_lshlrev_b64 v[13:14], 1, v[14:15]
	v_add_co_ci_u32_e32 v10, vcc_lo, s45, v18, vcc_lo
	v_add_co_u32 v11, vcc_lo, s13, v11
	v_lshlrev_b64 v[15:16], 1, v[19:20]
	v_add_co_ci_u32_e32 v12, vcc_lo, s45, v12, vcc_lo
	v_add_co_u32 v13, vcc_lo, s13, v13
	v_add_co_ci_u32_e32 v14, vcc_lo, s45, v14, vcc_lo
	s_delay_alu instid0(VALU_DEP_4)
	v_add_co_u32 v15, vcc_lo, s13, v15
	s_add_u32 s13, s6, s28
	s_mul_i32 s6, s25, s15
	v_add_co_ci_u32_e32 v16, vcc_lo, s45, v16, vcc_lo
	s_addc_u32 s23, s7, s29
	s_add_i32 s7, s22, s6
	s_mul_i32 s6, s24, s15
	v_add_co_u32 v17, vcc_lo, s13, v17
	s_lshl_b64 s[6:7], s[6:7], 1
	v_add_co_ci_u32_e32 v18, vcc_lo, s23, v18, vcc_lo
	s_lshl_b64 s[22:23], s[26:27], 1
	s_add_u32 s6, s20, s6
	s_addc_u32 s7, s21, s7
	s_add_u32 s6, s6, s18
	s_addc_u32 s7, s7, s19
	;; [unrolled: 2-line block ×3, first 2 shown]
	v_add_co_u32 v7, vcc_lo, s6, v7
	v_and_b32_e32 v24, 28, v29
	v_cmp_gt_u32_e64 s4, 8, v0
	v_cmp_eq_u32_e64 s5, 0, v0
	v_mov_b32_e32 v0, 0
	v_add_co_ci_u32_e32 v8, vcc_lo, s7, v8, vcc_lo
	s_lshl_b64 s[16:17], s[24:25], 1
	s_branch .LBB560_58
.LBB560_57:                             ;   in Loop: Header=BB560_58 Depth=1
	s_or_b32 exec_lo, exec_lo, s6
	v_add_co_u32 v7, vcc_lo, v7, s16
	v_add_co_ci_u32_e32 v8, vcc_lo, s17, v8, vcc_lo
	s_add_i32 s15, s15, 1
	s_delay_alu instid0(SALU_CYCLE_1)
	s_cmp_ge_i32 s15, s9
	s_cbranch_scc1 .LBB560_79
.LBB560_58:                             ; =>This Loop Header: Depth=1
                                        ;     Child Loop BB560_71 Depth 2
                                        ;     Child Loop BB560_74 Depth 2
	v_mov_b32_e32 v25, s35
	s_and_saveexec_b32 s6, s0
	s_delay_alu instid0(SALU_CYCLE_1)
	s_xor_b32 s6, exec_lo, s6
	s_cbranch_execnz .LBB560_67
; %bb.59:                               ;   in Loop: Header=BB560_58 Depth=1
	s_and_not1_saveexec_b32 s13, s6
	s_cbranch_execnz .LBB560_68
.LBB560_60:                             ;   in Loop: Header=BB560_58 Depth=1
	s_or_b32 exec_lo, exec_lo, s13
	s_and_saveexec_b32 s6, s2
	s_cbranch_execz .LBB560_62
.LBB560_61:                             ;   in Loop: Header=BB560_58 Depth=1
	ds_store_b32 v21, v0
.LBB560_62:                             ;   in Loop: Header=BB560_58 Depth=1
	s_or_b32 exec_lo, exec_lo, s6
	s_waitcnt lgkmcnt(0)
	ds_bpermute_b32 v19, v22, v25
	s_waitcnt lgkmcnt(0)
	s_waitcnt_vscnt null, 0x0
	s_barrier
	buffer_gl0_inv
	v_add_f32_e32 v19, v25, v19
	ds_bpermute_b32 v20, v23, v19
	s_waitcnt lgkmcnt(0)
	v_add_f32_e32 v19, v19, v20
	ds_bpermute_b32 v20, v30, v19
	s_waitcnt lgkmcnt(0)
	;; [unrolled: 3-line block ×3, first 2 shown]
	v_add_f32_e32 v19, v19, v20
	ds_bpermute_b32 v20, v31, v19
	s_and_saveexec_b32 s6, s3
	s_cbranch_execz .LBB560_64
; %bb.63:                               ;   in Loop: Header=BB560_58 Depth=1
	s_waitcnt lgkmcnt(0)
	v_add_f32_e32 v19, v19, v20
	ds_store_b32 v24, v19
.LBB560_64:                             ;   in Loop: Header=BB560_58 Depth=1
	s_or_b32 exec_lo, exec_lo, s6
	v_mov_b32_e32 v19, 0
	s_waitcnt lgkmcnt(0)
	s_barrier
	buffer_gl0_inv
	s_and_saveexec_b32 s6, s4
	s_cbranch_execnz .LBB560_76
; %bb.65:                               ;   in Loop: Header=BB560_58 Depth=1
	s_or_b32 exec_lo, exec_lo, s6
	s_and_saveexec_b32 s6, s2
	s_cbranch_execnz .LBB560_77
.LBB560_66:                             ;   in Loop: Header=BB560_58 Depth=1
	s_or_b32 exec_lo, exec_lo, s6
	s_and_saveexec_b32 s6, s5
	s_cbranch_execz .LBB560_57
	s_branch .LBB560_78
.LBB560_67:                             ;   in Loop: Header=BB560_58 Depth=1
	s_mul_i32 s7, s15, s25
	s_mul_hi_u32 s13, s15, s24
	s_mul_i32 s18, s15, s24
	s_add_i32 s19, s13, s7
	s_delay_alu instid0(SALU_CYCLE_1) | instskip(NEXT) | instid1(SALU_CYCLE_1)
	s_lshl_b64 s[18:19], s[18:19], 1
	v_add_co_u32 v1, vcc_lo, v5, s18
	v_add_co_ci_u32_e32 v2, vcc_lo, s19, v6, vcc_lo
	global_load_u16 v3, v[9:10], off
	s_waitcnt lgkmcnt(0)
	global_load_b64 v[19:20], v[1:2], off
	s_clause 0x2
	global_load_u16 v2, v[11:12], off
	global_load_u16 v4, v[13:14], off
	;; [unrolled: 1-line block ×3, first 2 shown]
	s_waitcnt vmcnt(4)
	v_lshlrev_b32_e32 v1, 16, v3
	s_waitcnt vmcnt(3)
	v_lshlrev_b32_e32 v3, 16, v19
	v_and_b32_e32 v19, 0xffff0000, v19
	s_delay_alu instid0(VALU_DEP_2) | instskip(SKIP_4) | instid1(VALU_DEP_1)
	v_fma_f32 v25, v1, v3, 0
	s_waitcnt vmcnt(1)
	v_lshlrev_b32_e32 v3, 16, v4
	v_lshlrev_b32_e32 v2, 16, v2
	s_waitcnt vmcnt(0)
	v_dual_fmac_f32 v25, v2, v19 :: v_dual_lshlrev_b32 v4, 16, v26
	v_lshlrev_b32_e32 v19, 16, v20
	s_delay_alu instid0(VALU_DEP_1) | instskip(NEXT) | instid1(VALU_DEP_1)
	v_dual_fmac_f32 v25, v3, v19 :: v_dual_and_b32 v20, 0xffff0000, v20
	v_fmac_f32_e32 v25, v4, v20
	s_and_not1_saveexec_b32 s13, s6
	s_cbranch_execz .LBB560_60
.LBB560_68:                             ;   in Loop: Header=BB560_58 Depth=1
	s_and_saveexec_b32 s20, s1
	s_cbranch_execz .LBB560_75
; %bb.69:                               ;   in Loop: Header=BB560_58 Depth=1
	s_and_not1_b32 vcc_lo, exec_lo, s8
	s_cbranch_vccnz .LBB560_72
; %bb.70:                               ;   in Loop: Header=BB560_58 Depth=1
	s_waitcnt lgkmcnt(0)
	v_dual_mov_b32 v20, v18 :: v_dual_mov_b32 v19, v17
	s_mov_b64 s[18:19], 0
	.p2align	6
.LBB560_71:                             ;   Parent Loop BB560_58 Depth=1
                                        ; =>  This Inner Loop Header: Depth=2
	global_load_u16 v26, v[19:20], off
	v_add_co_u32 v19, vcc_lo, v19, s22
	s_cmp_eq_u32 s18, 3
	v_add_co_ci_u32_e32 v20, vcc_lo, s23, v20, vcc_lo
	s_cselect_b32 vcc_lo, -1, 0
	s_cmp_eq_u32 s18, 2
	s_cselect_b32 s6, -1, 0
	s_cmp_eq_u32 s18, 1
	s_cselect_b32 s7, -1, 0
	s_cmp_eq_u32 s18, 0
	s_waitcnt vmcnt(0)
	v_lshlrev_b32_e32 v26, 16, v26
	s_delay_alu instid0(VALU_DEP_1)
	v_cndmask_b32_e32 v4, v4, v26, vcc_lo
	s_cselect_b32 vcc_lo, -1, 0
	v_cndmask_b32_e64 v3, v3, v26, s6
	v_cndmask_b32_e64 v2, v2, v26, s7
	v_cndmask_b32_e32 v1, v1, v26, vcc_lo
	s_add_u32 s18, s18, 1
	s_addc_u32 s19, s19, 0
	s_cmp_eq_u32 s11, s18
	s_cbranch_scc0 .LBB560_71
.LBB560_72:                             ;   in Loop: Header=BB560_58 Depth=1
	s_and_not1_b32 vcc_lo, exec_lo, s8
	s_cbranch_vccnz .LBB560_75
; %bb.73:                               ;   in Loop: Header=BB560_58 Depth=1
	s_waitcnt lgkmcnt(0)
	v_dual_mov_b32 v20, v8 :: v_dual_mov_b32 v19, v7
	s_mov_b64 s[6:7], 0
	.p2align	6
.LBB560_74:                             ;   Parent Loop BB560_58 Depth=1
                                        ; =>  This Inner Loop Header: Depth=2
	global_load_u16 v26, v[19:20], off
	s_cmp_eq_u32 s6, 1
	s_cselect_b32 vcc_lo, -1, 0
	s_cmp_eq_u32 s6, 2
	v_cndmask_b32_e32 v28, v1, v2, vcc_lo
	s_cselect_b32 vcc_lo, -1, 0
	s_cmp_eq_u32 s6, 3
	s_delay_alu instid0(VALU_DEP_1)
	v_cndmask_b32_e32 v28, v28, v3, vcc_lo
	s_cselect_b32 vcc_lo, -1, 0
	s_add_u32 s6, s6, 1
	s_addc_u32 s7, s7, 0
	s_cmp_lg_u32 s11, s6
	v_cndmask_b32_e32 v28, v28, v4, vcc_lo
	v_add_co_u32 v19, vcc_lo, v19, 2
	v_add_co_ci_u32_e32 v20, vcc_lo, 0, v20, vcc_lo
	s_waitcnt vmcnt(0)
	v_lshlrev_b32_e32 v26, 16, v26
	s_delay_alu instid0(VALU_DEP_1)
	v_fmac_f32_e32 v25, v28, v26
	s_cbranch_scc1 .LBB560_74
.LBB560_75:                             ;   in Loop: Header=BB560_58 Depth=1
	s_or_b32 exec_lo, exec_lo, s20
	s_delay_alu instid0(SALU_CYCLE_1)
	s_or_b32 exec_lo, exec_lo, s13
	s_and_saveexec_b32 s6, s2
	s_cbranch_execnz .LBB560_61
	s_branch .LBB560_62
.LBB560_76:                             ;   in Loop: Header=BB560_58 Depth=1
	ds_load_b32 v19, v21
	s_or_b32 exec_lo, exec_lo, s6
	s_and_saveexec_b32 s6, s2
	s_cbranch_execz .LBB560_66
.LBB560_77:                             ;   in Loop: Header=BB560_58 Depth=1
	s_waitcnt lgkmcnt(0)
	ds_bpermute_b32 v20, v30, v19
	s_waitcnt lgkmcnt(0)
	v_add_f32_e32 v19, v19, v20
	ds_bpermute_b32 v20, v27, v19
	s_waitcnt lgkmcnt(0)
	v_add_f32_e32 v19, v19, v20
	;; [unrolled: 3-line block ×3, first 2 shown]
	s_or_b32 exec_lo, exec_lo, s6
	s_and_saveexec_b32 s6, s5
	s_cbranch_execz .LBB560_57
.LBB560_78:                             ;   in Loop: Header=BB560_58 Depth=1
	s_mul_hi_u32 s19, s15, s12
	s_mul_i32 s18, s15, s12
	s_waitcnt lgkmcnt(0)
	v_mul_f32_e32 v19, s10, v19
	s_lshl_b64 s[18:19], s[18:19], 2
	s_delay_alu instid0(SALU_CYCLE_1)
	s_add_u32 s18, s14, s18
	s_addc_u32 s19, s33, s19
	global_store_b32 v0, v19, s[18:19]
	s_branch .LBB560_57
.LBB560_79:
	s_nop 0
	s_sendmsg sendmsg(MSG_DEALLOC_VGPRS)
	s_endpgm
	.section	.rodata,"a",@progbits
	.p2align	6, 0x0
	.amdhsa_kernel _ZL23rocblas_gemvt_sn_kernelILb0ELi256ELi4El16rocblas_bfloat16ffEviiT4_lPKT3_lilS4_lilPT5_i
		.amdhsa_group_segment_fixed_size 128
		.amdhsa_private_segment_fixed_size 0
		.amdhsa_kernarg_size 360
		.amdhsa_user_sgpr_count 14
		.amdhsa_user_sgpr_dispatch_ptr 0
		.amdhsa_user_sgpr_queue_ptr 0
		.amdhsa_user_sgpr_kernarg_segment_ptr 1
		.amdhsa_user_sgpr_dispatch_id 0
		.amdhsa_user_sgpr_private_segment_size 0
		.amdhsa_wavefront_size32 1
		.amdhsa_uses_dynamic_stack 0
		.amdhsa_enable_private_segment 0
		.amdhsa_system_sgpr_workgroup_id_x 1
		.amdhsa_system_sgpr_workgroup_id_y 0
		.amdhsa_system_sgpr_workgroup_id_z 1
		.amdhsa_system_sgpr_workgroup_info 0
		.amdhsa_system_vgpr_workitem_id 0
		.amdhsa_next_free_vgpr 56
		.amdhsa_next_free_sgpr 56
		.amdhsa_reserve_vcc 1
		.amdhsa_float_round_mode_32 0
		.amdhsa_float_round_mode_16_64 0
		.amdhsa_float_denorm_mode_32 3
		.amdhsa_float_denorm_mode_16_64 3
		.amdhsa_dx10_clamp 1
		.amdhsa_ieee_mode 1
		.amdhsa_fp16_overflow 0
		.amdhsa_workgroup_processor_mode 1
		.amdhsa_memory_ordered 1
		.amdhsa_forward_progress 0
		.amdhsa_shared_vgpr_count 0
		.amdhsa_exception_fp_ieee_invalid_op 0
		.amdhsa_exception_fp_denorm_src 0
		.amdhsa_exception_fp_ieee_div_zero 0
		.amdhsa_exception_fp_ieee_overflow 0
		.amdhsa_exception_fp_ieee_underflow 0
		.amdhsa_exception_fp_ieee_inexact 0
		.amdhsa_exception_int_div_zero 0
	.end_amdhsa_kernel
	.section	.text._ZL23rocblas_gemvt_sn_kernelILb0ELi256ELi4El16rocblas_bfloat16ffEviiT4_lPKT3_lilS4_lilPT5_i,"axG",@progbits,_ZL23rocblas_gemvt_sn_kernelILb0ELi256ELi4El16rocblas_bfloat16ffEviiT4_lPKT3_lilS4_lilPT5_i,comdat
.Lfunc_end560:
	.size	_ZL23rocblas_gemvt_sn_kernelILb0ELi256ELi4El16rocblas_bfloat16ffEviiT4_lPKT3_lilS4_lilPT5_i, .Lfunc_end560-_ZL23rocblas_gemvt_sn_kernelILb0ELi256ELi4El16rocblas_bfloat16ffEviiT4_lPKT3_lilS4_lilPT5_i
                                        ; -- End function
	.section	.AMDGPU.csdata,"",@progbits
; Kernel info:
; codeLenInByte = 4328
; NumSgprs: 58
; NumVgprs: 56
; ScratchSize: 0
; MemoryBound: 0
; FloatMode: 240
; IeeeMode: 1
; LDSByteSize: 128 bytes/workgroup (compile time only)
; SGPRBlocks: 7
; VGPRBlocks: 6
; NumSGPRsForWavesPerEU: 58
; NumVGPRsForWavesPerEU: 56
; Occupancy: 16
; WaveLimiterHint : 1
; COMPUTE_PGM_RSRC2:SCRATCH_EN: 0
; COMPUTE_PGM_RSRC2:USER_SGPR: 14
; COMPUTE_PGM_RSRC2:TRAP_HANDLER: 0
; COMPUTE_PGM_RSRC2:TGID_X_EN: 1
; COMPUTE_PGM_RSRC2:TGID_Y_EN: 0
; COMPUTE_PGM_RSRC2:TGID_Z_EN: 1
; COMPUTE_PGM_RSRC2:TIDIG_COMP_CNT: 0
	.section	.text._ZL23rocblas_gemvt_sn_reduceILi256ELi8Eff16rocblas_bfloat16EviT2_lPT3_lilPT1_i,"axG",@progbits,_ZL23rocblas_gemvt_sn_reduceILi256ELi8Eff16rocblas_bfloat16EviT2_lPT3_lilPT1_i,comdat
	.globl	_ZL23rocblas_gemvt_sn_reduceILi256ELi8Eff16rocblas_bfloat16EviT2_lPT3_lilPT1_i ; -- Begin function _ZL23rocblas_gemvt_sn_reduceILi256ELi8Eff16rocblas_bfloat16EviT2_lPT3_lilPT1_i
	.p2align	8
	.type	_ZL23rocblas_gemvt_sn_reduceILi256ELi8Eff16rocblas_bfloat16EviT2_lPT3_lilPT1_i,@function
_ZL23rocblas_gemvt_sn_reduceILi256ELi8Eff16rocblas_bfloat16EviT2_lPT3_lilPT1_i: ; @_ZL23rocblas_gemvt_sn_reduceILi256ELi8Eff16rocblas_bfloat16EviT2_lPT3_lilPT1_i
; %bb.0:
	s_clause 0x2
	s_load_b64 s[4:5], s[0:1], 0x0
	s_load_b32 s2, s[0:1], 0x44
	s_load_b64 s[6:7], s[0:1], 0x30
	v_dual_mov_b32 v3, 0 :: v_dual_lshlrev_b32 v4, 3, v0
	s_waitcnt lgkmcnt(0)
	s_ashr_i32 s8, s4, 31
	s_mul_i32 s9, s2, s15
	s_add_u32 s2, s0, 64
	s_addc_u32 s3, s1, 0
	s_lshr_b32 s10, s8, 29
	s_add_i32 s11, s9, s14
	s_add_i32 s9, s4, s10
	s_mul_i32 s8, s11, s8
	s_and_b32 s10, s9, -8
	s_mul_hi_u32 s9, s11, s4
	s_delay_alu instid0(SALU_CYCLE_1)
	s_add_i32 s9, s9, s8
	s_mul_i32 s8, s11, s4
	s_mov_b32 s11, exec_lo
	v_cmpx_gt_i32_e64 s10, v4
	s_cbranch_execz .LBB561_4
; %bb.1:
	s_load_b32 s2, s[2:3], 0xc
	v_lshlrev_b32_e32 v1, 5, v0
	s_lshl_b64 s[12:13], s[8:9], 2
	v_mov_b32_e32 v3, 0
	s_waitcnt lgkmcnt(0)
	s_and_b32 s2, s2, 0xffff
	s_delay_alu instid0(SALU_CYCLE_1) | instskip(SKIP_3) | instid1(VALU_DEP_1)
	s_lshl_b32 s3, s2, 3
	s_add_u32 s12, s6, s12
	s_addc_u32 s13, s7, s13
	v_add_co_u32 v1, s12, s12, v1
	v_add_co_ci_u32_e64 v2, null, s13, 0, s12
	s_mov_b32 s12, 0
	s_delay_alu instid0(VALU_DEP_2) | instskip(NEXT) | instid1(VALU_DEP_2)
	v_add_co_u32 v1, vcc_lo, v1, 28
	v_add_co_ci_u32_e32 v2, vcc_lo, 0, v2, vcc_lo
	s_lshl_b32 s13, s2, 5
	.p2align	6
.LBB561_2:                              ; =>This Inner Loop Header: Depth=1
	s_clause 0x1
	global_load_b128 v[5:8], v[1:2], off offset:-28
	global_load_b128 v[9:12], v[1:2], off offset:-12
	v_add_co_u32 v1, vcc_lo, v1, s13
	v_add_co_ci_u32_e32 v2, vcc_lo, 0, v2, vcc_lo
	v_add_nc_u32_e32 v4, s3, v4
	s_delay_alu instid0(VALU_DEP_1) | instskip(NEXT) | instid1(VALU_DEP_1)
	v_cmp_le_i32_e64 s2, s10, v4
	s_or_b32 s12, s2, s12
	s_waitcnt vmcnt(1)
	v_add_f32_e32 v3, v3, v5
	s_delay_alu instid0(VALU_DEP_1) | instskip(NEXT) | instid1(VALU_DEP_1)
	v_add_f32_e32 v3, v3, v6
	v_add_f32_e32 v3, v3, v7
	s_delay_alu instid0(VALU_DEP_1) | instskip(SKIP_1) | instid1(VALU_DEP_1)
	v_add_f32_e32 v3, v3, v8
	s_waitcnt vmcnt(0)
	v_add_f32_e32 v3, v3, v9
	s_delay_alu instid0(VALU_DEP_1) | instskip(NEXT) | instid1(VALU_DEP_1)
	v_add_f32_e32 v3, v3, v10
	v_add_f32_e32 v3, v3, v11
	s_delay_alu instid0(VALU_DEP_1)
	v_add_f32_e32 v3, v3, v12
	s_and_not1_b32 exec_lo, exec_lo, s12
	s_cbranch_execnz .LBB561_2
; %bb.3:
	s_or_b32 exec_lo, exec_lo, s12
.LBB561_4:
	s_delay_alu instid0(SALU_CYCLE_1) | instskip(SKIP_1) | instid1(SALU_CYCLE_1)
	s_or_b32 exec_lo, exec_lo, s11
	s_sub_i32 s2, s4, s10
	v_cmp_gt_u32_e32 vcc_lo, s2, v0
	s_and_saveexec_b32 s2, vcc_lo
	s_cbranch_execz .LBB561_6
; %bb.5:
	v_xad_u32 v1, v0, -1, s4
	v_mov_b32_e32 v2, 0
	s_lshl_b64 s[8:9], s[8:9], 2
	s_delay_alu instid0(SALU_CYCLE_1) | instskip(SKIP_1) | instid1(VALU_DEP_1)
	s_add_u32 s3, s6, s8
	s_addc_u32 s4, s7, s9
	v_lshlrev_b64 v[1:2], 2, v[1:2]
	s_delay_alu instid0(VALU_DEP_1) | instskip(NEXT) | instid1(VALU_DEP_2)
	v_add_co_u32 v1, vcc_lo, s3, v1
	v_add_co_ci_u32_e32 v2, vcc_lo, s4, v2, vcc_lo
	global_load_b32 v1, v[1:2], off
	s_waitcnt vmcnt(0)
	v_add_f32_e32 v3, v3, v1
.LBB561_6:
	s_or_b32 exec_lo, exec_lo, s2
	v_and_b32_e32 v1, 31, v0
	v_cmp_gt_u32_e32 vcc_lo, 32, v0
	s_delay_alu instid0(VALU_DEP_2)
	v_lshlrev_b32_e32 v2, 2, v1
	s_and_saveexec_b32 s2, vcc_lo
	s_cbranch_execz .LBB561_8
; %bb.7:
	v_mov_b32_e32 v4, 0
	ds_store_b32 v2, v4
.LBB561_8:
	s_or_b32 exec_lo, exec_lo, s2
	v_mbcnt_lo_u32_b32 v5, -1, 0
	s_mov_b32 s3, exec_lo
	s_waitcnt lgkmcnt(0)
	s_barrier
	buffer_gl0_inv
	v_cmp_gt_u32_e64 s2, 16, v5
	s_delay_alu instid0(VALU_DEP_1) | instskip(SKIP_1) | instid1(VALU_DEP_2)
	v_cndmask_b32_e64 v4, 0, 1, s2
	v_cmp_gt_u32_e64 s2, 24, v5
	v_lshlrev_b32_e32 v4, 4, v4
	s_delay_alu instid0(VALU_DEP_2) | instskip(SKIP_1) | instid1(VALU_DEP_3)
	v_cndmask_b32_e64 v6, 0, 1, s2
	v_cmp_gt_u32_e64 s2, 28, v5
	v_add_lshl_u32 v4, v4, v5, 2
	s_delay_alu instid0(VALU_DEP_3)
	v_lshlrev_b32_e32 v6, 3, v6
	ds_bpermute_b32 v4, v4, v3
	v_add_lshl_u32 v6, v6, v5, 2
	s_waitcnt lgkmcnt(0)
	v_add_f32_e32 v4, v3, v4
	v_cndmask_b32_e64 v3, 0, 1, s2
	v_cmp_gt_u32_e64 s2, 30, v5
	s_delay_alu instid0(VALU_DEP_2)
	v_lshlrev_b32_e32 v3, 2, v3
	ds_bpermute_b32 v6, v6, v4
	v_add_lshl_u32 v3, v3, v5, 2
	s_waitcnt lgkmcnt(0)
	v_add_f32_e32 v6, v4, v6
	v_cndmask_b32_e64 v4, 0, 1, s2
	v_cmp_ne_u32_e64 s2, 31, v5
	s_delay_alu instid0(VALU_DEP_2) | instskip(NEXT) | instid1(VALU_DEP_1)
	v_lshlrev_b32_e32 v4, 1, v4
	v_add_lshl_u32 v4, v4, v5, 2
	s_delay_alu instid0(VALU_DEP_3) | instskip(NEXT) | instid1(VALU_DEP_1)
	v_add_co_ci_u32_e64 v5, s2, 0, v5, s2
	v_lshlrev_b32_e32 v5, 2, v5
	ds_bpermute_b32 v7, v3, v6
	s_waitcnt lgkmcnt(0)
	v_add_f32_e32 v6, v6, v7
	ds_bpermute_b32 v7, v4, v6
	s_waitcnt lgkmcnt(0)
	v_add_f32_e32 v6, v6, v7
	ds_bpermute_b32 v7, v5, v6
	v_cmpx_eq_u32_e32 0, v1
	s_cbranch_execz .LBB561_10
; %bb.9:
	v_lshrrev_b32_e32 v1, 3, v0
	s_waitcnt lgkmcnt(0)
	s_delay_alu instid0(VALU_DEP_1)
	v_dual_add_f32 v6, v6, v7 :: v_dual_and_b32 v1, 28, v1
	ds_store_b32 v1, v6
.LBB561_10:
	s_or_b32 exec_lo, exec_lo, s3
	v_mov_b32_e32 v1, 0
	s_mov_b32 s3, exec_lo
	s_waitcnt lgkmcnt(0)
	s_barrier
	buffer_gl0_inv
	v_cmpx_gt_u32_e32 8, v0
	s_cbranch_execz .LBB561_12
; %bb.11:
	ds_load_b32 v1, v2
.LBB561_12:
	s_or_b32 exec_lo, exec_lo, s3
	s_and_saveexec_b32 s2, vcc_lo
	s_cbranch_execz .LBB561_14
; %bb.13:
	s_waitcnt lgkmcnt(0)
	ds_bpermute_b32 v2, v3, v1
	s_waitcnt lgkmcnt(0)
	v_add_f32_e32 v1, v1, v2
	ds_bpermute_b32 v2, v4, v1
	s_waitcnt lgkmcnt(0)
	v_add_f32_e32 v1, v1, v2
	;; [unrolled: 3-line block ×3, first 2 shown]
.LBB561_14:
	s_or_b32 exec_lo, exec_lo, s2
	s_delay_alu instid0(SALU_CYCLE_1)
	s_mov_b32 s2, exec_lo
	v_cmpx_eq_u32_e32 0, v0
	s_cbranch_execz .LBB561_28
; %bb.15:
	s_clause 0x2
	s_load_b64 s[6:7], s[0:1], 0x28
	s_load_b128 s[8:11], s[0:1], 0x10
	s_load_b32 s2, s[0:1], 0x20
	s_waitcnt lgkmcnt(0)
	s_mul_i32 s1, s15, s7
	s_mul_hi_u32 s3, s15, s6
	s_mul_i32 s0, s15, s6
	s_add_i32 s1, s3, s1
	v_cmp_eq_f32_e64 s6, s5, 0
	s_lshl_b64 s[0:1], s[0:1], 1
	s_delay_alu instid0(SALU_CYCLE_1) | instskip(SKIP_2) | instid1(SALU_CYCLE_1)
	s_add_u32 s3, s8, s0
	s_addc_u32 s4, s9, s1
	s_lshl_b64 s[0:1], s[10:11], 1
	s_add_u32 s3, s3, s0
	s_addc_u32 s4, s4, s1
	s_and_b32 vcc_lo, exec_lo, s6
	s_cbranch_vccz .LBB561_21
; %bb.16:
	v_and_b32_e32 v0, 0x7f800000, v1
	s_delay_alu instid0(VALU_DEP_1) | instskip(SKIP_1) | instid1(SALU_CYCLE_1)
	v_cmp_ne_u32_e32 vcc_lo, 0x7f800000, v0
                                        ; implicit-def: $vgpr0
	s_and_saveexec_b32 s0, vcc_lo
	s_xor_b32 s0, exec_lo, s0
; %bb.17:
	v_bfe_u32 v0, v1, 16, 1
	s_delay_alu instid0(VALU_DEP_1)
	v_add3_u32 v0, v1, v0, 0x7fff
; %bb.18:
	s_and_not1_saveexec_b32 s0, s0
; %bb.19:
	v_and_b32_e32 v0, 0xffff, v1
	v_or_b32_e32 v2, 0x10000, v1
	s_delay_alu instid0(VALU_DEP_2) | instskip(NEXT) | instid1(VALU_DEP_2)
	v_cmp_eq_u32_e32 vcc_lo, 0, v0
	v_cndmask_b32_e32 v0, v2, v1, vcc_lo
; %bb.20:
	s_or_b32 exec_lo, exec_lo, s0
	s_mul_hi_u32 s6, s2, s14
	s_mul_i32 s0, s2, s14
	s_cbranch_execz .LBB561_22
	s_branch .LBB561_27
.LBB561_21:
                                        ; implicit-def: $vgpr0
	s_mul_hi_u32 s6, s2, s14
	s_mul_i32 s0, s2, s14
.LBB561_22:
	s_ashr_i32 s1, s2, 31
	v_mov_b32_e32 v0, 0
	s_mul_i32 s1, s1, s14
	s_delay_alu instid0(SALU_CYCLE_1) | instskip(NEXT) | instid1(SALU_CYCLE_1)
	s_add_i32 s1, s6, s1
	s_lshl_b64 s[8:9], s[0:1], 1
	s_delay_alu instid0(SALU_CYCLE_1) | instskip(SKIP_4) | instid1(VALU_DEP_1)
	s_add_u32 s8, s3, s8
	s_addc_u32 s9, s4, s9
	global_load_u16 v0, v0, s[8:9]
	s_waitcnt vmcnt(0)
	v_lshlrev_b32_e32 v0, 16, v0
	v_fmac_f32_e32 v1, s5, v0
	s_delay_alu instid0(VALU_DEP_1) | instskip(NEXT) | instid1(VALU_DEP_1)
	v_and_b32_e32 v0, 0x7f800000, v1
	v_cmp_ne_u32_e32 vcc_lo, 0x7f800000, v0
                                        ; implicit-def: $vgpr0
	s_and_saveexec_b32 s1, vcc_lo
	s_delay_alu instid0(SALU_CYCLE_1)
	s_xor_b32 s1, exec_lo, s1
; %bb.23:
	v_bfe_u32 v0, v1, 16, 1
	s_delay_alu instid0(VALU_DEP_1)
	v_add3_u32 v0, v1, v0, 0x7fff
                                        ; implicit-def: $vgpr1
; %bb.24:
	s_and_not1_saveexec_b32 s1, s1
; %bb.25:
	v_and_b32_e32 v0, 0xffff, v1
	v_or_b32_e32 v2, 0x10000, v1
	s_delay_alu instid0(VALU_DEP_2) | instskip(NEXT) | instid1(VALU_DEP_2)
	v_cmp_eq_u32_e32 vcc_lo, 0, v0
	v_cndmask_b32_e32 v0, v2, v1, vcc_lo
; %bb.26:
	s_or_b32 exec_lo, exec_lo, s1
.LBB561_27:
	s_ashr_i32 s1, s2, 31
	v_mov_b32_e32 v1, 0
	s_mul_i32 s1, s1, s14
	s_delay_alu instid0(SALU_CYCLE_1) | instskip(NEXT) | instid1(SALU_CYCLE_1)
	s_add_i32 s1, s6, s1
	s_lshl_b64 s[0:1], s[0:1], 1
	s_delay_alu instid0(SALU_CYCLE_1)
	s_add_u32 s0, s3, s0
	s_addc_u32 s1, s4, s1
	global_store_d16_hi_b16 v1, v0, s[0:1]
.LBB561_28:
	s_nop 0
	s_sendmsg sendmsg(MSG_DEALLOC_VGPRS)
	s_endpgm
	.section	.rodata,"a",@progbits
	.p2align	6, 0x0
	.amdhsa_kernel _ZL23rocblas_gemvt_sn_reduceILi256ELi8Eff16rocblas_bfloat16EviT2_lPT3_lilPT1_i
		.amdhsa_group_segment_fixed_size 128
		.amdhsa_private_segment_fixed_size 0
		.amdhsa_kernarg_size 320
		.amdhsa_user_sgpr_count 13
		.amdhsa_user_sgpr_dispatch_ptr 0
		.amdhsa_user_sgpr_queue_ptr 0
		.amdhsa_user_sgpr_kernarg_segment_ptr 1
		.amdhsa_user_sgpr_dispatch_id 0
		.amdhsa_user_sgpr_private_segment_size 0
		.amdhsa_wavefront_size32 1
		.amdhsa_uses_dynamic_stack 0
		.amdhsa_enable_private_segment 0
		.amdhsa_system_sgpr_workgroup_id_x 1
		.amdhsa_system_sgpr_workgroup_id_y 1
		.amdhsa_system_sgpr_workgroup_id_z 1
		.amdhsa_system_sgpr_workgroup_info 0
		.amdhsa_system_vgpr_workitem_id 0
		.amdhsa_next_free_vgpr 13
		.amdhsa_next_free_sgpr 16
		.amdhsa_reserve_vcc 1
		.amdhsa_float_round_mode_32 0
		.amdhsa_float_round_mode_16_64 0
		.amdhsa_float_denorm_mode_32 3
		.amdhsa_float_denorm_mode_16_64 3
		.amdhsa_dx10_clamp 1
		.amdhsa_ieee_mode 1
		.amdhsa_fp16_overflow 0
		.amdhsa_workgroup_processor_mode 1
		.amdhsa_memory_ordered 1
		.amdhsa_forward_progress 0
		.amdhsa_shared_vgpr_count 0
		.amdhsa_exception_fp_ieee_invalid_op 0
		.amdhsa_exception_fp_denorm_src 0
		.amdhsa_exception_fp_ieee_div_zero 0
		.amdhsa_exception_fp_ieee_overflow 0
		.amdhsa_exception_fp_ieee_underflow 0
		.amdhsa_exception_fp_ieee_inexact 0
		.amdhsa_exception_int_div_zero 0
	.end_amdhsa_kernel
	.section	.text._ZL23rocblas_gemvt_sn_reduceILi256ELi8Eff16rocblas_bfloat16EviT2_lPT3_lilPT1_i,"axG",@progbits,_ZL23rocblas_gemvt_sn_reduceILi256ELi8Eff16rocblas_bfloat16EviT2_lPT3_lilPT1_i,comdat
.Lfunc_end561:
	.size	_ZL23rocblas_gemvt_sn_reduceILi256ELi8Eff16rocblas_bfloat16EviT2_lPT3_lilPT1_i, .Lfunc_end561-_ZL23rocblas_gemvt_sn_reduceILi256ELi8Eff16rocblas_bfloat16EviT2_lPT3_lilPT1_i
                                        ; -- End function
	.section	.AMDGPU.csdata,"",@progbits
; Kernel info:
; codeLenInByte = 1280
; NumSgprs: 18
; NumVgprs: 13
; ScratchSize: 0
; MemoryBound: 0
; FloatMode: 240
; IeeeMode: 1
; LDSByteSize: 128 bytes/workgroup (compile time only)
; SGPRBlocks: 2
; VGPRBlocks: 1
; NumSGPRsForWavesPerEU: 18
; NumVGPRsForWavesPerEU: 13
; Occupancy: 16
; WaveLimiterHint : 0
; COMPUTE_PGM_RSRC2:SCRATCH_EN: 0
; COMPUTE_PGM_RSRC2:USER_SGPR: 13
; COMPUTE_PGM_RSRC2:TRAP_HANDLER: 0
; COMPUTE_PGM_RSRC2:TGID_X_EN: 1
; COMPUTE_PGM_RSRC2:TGID_Y_EN: 1
; COMPUTE_PGM_RSRC2:TGID_Z_EN: 1
; COMPUTE_PGM_RSRC2:TIDIG_COMP_CNT: 0
	.section	.text._ZL32rocblas_gemvt_warp_reduce_kernelILb0ELi256Ei16rocblas_bfloat16PKfS0_EviiT3_lPKT2_lT1_lS6_lS7_lS3_lPT4_lS7_li,"axG",@progbits,_ZL32rocblas_gemvt_warp_reduce_kernelILb0ELi256Ei16rocblas_bfloat16PKfS0_EviiT3_lPKT2_lT1_lS6_lS7_lS3_lPT4_lS7_li,comdat
	.globl	_ZL32rocblas_gemvt_warp_reduce_kernelILb0ELi256Ei16rocblas_bfloat16PKfS0_EviiT3_lPKT2_lT1_lS6_lS7_lS3_lPT4_lS7_li ; -- Begin function _ZL32rocblas_gemvt_warp_reduce_kernelILb0ELi256Ei16rocblas_bfloat16PKfS0_EviiT3_lPKT2_lT1_lS6_lS7_lS3_lPT4_lS7_li
	.p2align	8
	.type	_ZL32rocblas_gemvt_warp_reduce_kernelILb0ELi256Ei16rocblas_bfloat16PKfS0_EviiT3_lPKT2_lT1_lS6_lS7_lS3_lPT4_lS7_li,@function
_ZL32rocblas_gemvt_warp_reduce_kernelILb0ELi256Ei16rocblas_bfloat16PKfS0_EviiT3_lPKT2_lT1_lS6_lS7_lS3_lPT4_lS7_li: ; @_ZL32rocblas_gemvt_warp_reduce_kernelILb0ELi256Ei16rocblas_bfloat16PKfS0_EviiT3_lPKT2_lT1_lS6_lS7_lS3_lPT4_lS7_li
; %bb.0:
	s_clause 0x1
	s_load_b256 s[4:11], s[0:1], 0x8
	s_load_b256 s[16:23], s[0:1], 0x50
	s_mov_b32 s12, 0
	s_waitcnt lgkmcnt(0)
	s_mul_i32 s3, s15, s7
	s_mul_hi_u32 s7, s15, s6
	s_mul_i32 s2, s15, s6
	s_add_i32 s3, s7, s3
	s_mul_i32 s6, s15, s21
	s_lshl_b64 s[2:3], s[2:3], 2
	s_mul_hi_u32 s7, s15, s20
	s_add_u32 s2, s4, s2
	s_addc_u32 s3, s5, s3
	s_add_i32 s5, s7, s6
	s_mul_i32 s4, s15, s20
	s_delay_alu instid0(SALU_CYCLE_1) | instskip(NEXT) | instid1(SALU_CYCLE_1)
	s_lshl_b64 s[4:5], s[4:5], 2
	s_add_u32 s4, s18, s4
	s_addc_u32 s5, s19, s5
	s_load_b32 s19, s[2:3], 0x0
	s_load_b32 s13, s[4:5], 0x0
	s_waitcnt lgkmcnt(0)
	v_cmp_eq_f32_e64 s2, s19, 0
	v_cmp_eq_f32_e64 s3, s13, 1.0
	s_delay_alu instid0(VALU_DEP_1) | instskip(NEXT) | instid1(SALU_CYCLE_1)
	s_and_b32 s2, s2, s3
	s_and_b32 vcc_lo, exec_lo, s2
	s_cbranch_vccnz .LBB562_56
; %bb.1:
	s_clause 0x2
	s_load_b64 s[2:3], s[0:1], 0x80
	s_load_b64 s[4:5], s[0:1], 0x70
	s_load_b32 s18, s[0:1], 0x78
	v_cmp_neq_f32_e64 s20, s19, 0
	s_waitcnt lgkmcnt(0)
	s_mul_i32 s3, s15, s3
	s_mul_hi_u32 s6, s15, s2
	s_mul_i32 s2, s15, s2
	s_add_i32 s3, s6, s3
	s_delay_alu instid0(SALU_CYCLE_1) | instskip(NEXT) | instid1(SALU_CYCLE_1)
	s_lshl_b64 s[2:3], s[2:3], 1
	s_add_u32 s6, s22, s2
	s_addc_u32 s7, s23, s3
	s_lshl_b64 s[2:3], s[4:5], 1
	s_delay_alu instid0(SALU_CYCLE_1)
	s_add_u32 s6, s6, s2
	v_cmp_eq_u32_e64 s2, 0, v0
	s_addc_u32 s7, s7, s3
	s_and_b32 vcc_lo, exec_lo, s20
	s_cbranch_vccnz .LBB562_6
; %bb.2:
	s_mov_b32 s3, 0
                                        ; implicit-def: $sgpr21
                                        ; implicit-def: $sgpr4_sgpr5
	s_and_saveexec_b32 s20, s2
	s_cbranch_execz .LBB562_7
; %bb.3:
	v_cmp_eq_f32_e64 s2, s13, 0
	s_mul_i32 s4, s14, s18
	s_mov_b32 s21, 0
	s_ashr_i32 s5, s4, 31
	s_delay_alu instid0(VALU_DEP_1)
	s_and_b32 vcc_lo, exec_lo, s2
	s_cbranch_vccnz .LBB562_12
; %bb.4:
	s_lshl_b64 s[22:23], s[4:5], 1
	v_mov_b32_e32 v1, 0
	s_add_u32 s22, s6, s22
	s_addc_u32 s23, s7, s23
	global_load_u16 v1, v1, s[22:23]
	s_waitcnt vmcnt(0)
	v_lshlrev_b32_e32 v1, 16, v1
	s_delay_alu instid0(VALU_DEP_1) | instskip(NEXT) | instid1(VALU_DEP_1)
	v_mul_f32_e32 v1, s13, v1
	v_and_b32_e32 v2, 0x7f800000, v1
	v_readfirstlane_b32 s2, v1
	s_delay_alu instid0(VALU_DEP_2)
	v_cmp_eq_u32_e32 vcc_lo, 0x7f800000, v2
	s_cbranch_vccnz .LBB562_9
; %bb.5:
	s_delay_alu instid0(VALU_DEP_2) | instskip(NEXT) | instid1(SALU_CYCLE_1)
	s_bfe_u32 s12, s2, 0x10010
	s_add_i32 s12, s2, s12
	s_delay_alu instid0(SALU_CYCLE_1)
	s_addk_i32 s12, 0x7fff
	s_and_not1_b32 vcc_lo, exec_lo, s21
	s_cbranch_vccz .LBB562_10
	s_branch .LBB562_11
.LBB562_6:
                                        ; implicit-def: $sgpr21
                                        ; implicit-def: $sgpr4_sgpr5
	s_cbranch_execz .LBB562_8
	s_branch .LBB562_13
.LBB562_7:
	s_or_b32 exec_lo, exec_lo, s20
	s_delay_alu instid0(SALU_CYCLE_1)
	s_and_b32 vcc_lo, exec_lo, s3
	s_cbranch_vccnz .LBB562_13
.LBB562_8:
	v_mov_b32_e32 v1, s21
	s_and_saveexec_b32 s0, s12
	s_cbranch_execnz .LBB562_55
	s_branch .LBB562_56
.LBB562_9:
                                        ; implicit-def: $sgpr12
.LBB562_10:
	s_delay_alu instid0(VALU_DEP_2)
	s_and_b32 s12, s2, 0xffff
	s_or_b32 s21, s2, 0x10000
	s_cmp_eq_u32 s12, 0
	s_cselect_b32 s12, s2, s21
.LBB562_11:
	s_delay_alu instid0(SALU_CYCLE_1)
	s_lshr_b32 s21, s12, 16
.LBB562_12:
	s_mov_b32 s12, exec_lo
	s_or_b32 exec_lo, exec_lo, s20
	s_delay_alu instid0(SALU_CYCLE_1)
	s_and_b32 vcc_lo, exec_lo, s3
	s_cbranch_vccz .LBB562_8
.LBB562_13:
	s_mul_i32 s3, s15, s17
	s_mul_hi_u32 s17, s15, s16
	s_mul_i32 s2, s15, s16
	s_add_i32 s3, s17, s3
	s_clause 0x2
	s_load_b128 s[20:23], s[0:1], 0x30
	s_load_b64 s[4:5], s[0:1], 0x40
	s_load_b32 s24, s[0:1], 0x28
	s_lshl_b64 s[16:17], s[2:3], 1
	s_clause 0x1
	s_load_b32 s3, s[0:1], 0x0
	s_load_b32 s1, s[0:1], 0x48
	v_mov_b32_e32 v7, 0
	s_waitcnt lgkmcnt(0)
	s_add_u32 s2, s22, s16
	s_addc_u32 s17, s23, s17
	s_lshl_b64 s[4:5], s[4:5], 1
	s_mul_i32 s21, s15, s21
	s_mul_hi_u32 s22, s15, s20
	s_add_u32 s4, s2, s4
	v_cmp_gt_i32_e32 vcc_lo, s3, v0
	s_mul_i32 s16, s15, s20
	s_addc_u32 s5, s17, s5
	s_add_i32 s17, s22, s21
	s_delay_alu instid0(SALU_CYCLE_1)
	s_lshl_b64 s[16:17], s[16:17], 1
	v_cndmask_b32_e32 v1, 0, v0, vcc_lo
	s_add_u32 s2, s8, s16
	s_addc_u32 s15, s9, s17
	s_lshl_b64 s[8:9], s[10:11], 1
	s_mul_i32 s10, s14, s24
	s_add_u32 s2, s2, s8
	s_addc_u32 s15, s15, s9
	s_ashr_i32 s11, s10, 31
	v_lshlrev_b32_e32 v1, 1, v1
	s_lshl_b64 s[8:9], s[10:11], 1
	s_delay_alu instid0(SALU_CYCLE_1)
	s_add_u32 s0, s8, s2
	s_addc_u32 s8, s9, s15
	s_ashr_i32 s2, s3, 31
	v_add_co_u32 v1, s0, s0, v1
	s_lshr_b32 s2, s2, 24
	v_add_co_ci_u32_e64 v2, null, s8, 0, s0
	s_add_i32 s2, s3, s2
	s_mov_b32 s9, 0
	s_and_b32 s2, s2, 0xffffff00
	s_mov_b32 s8, exec_lo
	v_cmpx_gt_i32_e64 s2, v0
	s_cbranch_execz .LBB562_21
; %bb.14:
	v_mul_lo_u32 v3, v0, s1
	v_dual_mov_b32 v7, 0 :: v_dual_mov_b32 v6, v2
	v_dual_mov_b32 v5, v1 :: v_dual_mov_b32 v8, v0
	s_lshl_b32 s10, s1, 8
	s_branch .LBB562_16
.LBB562_15:                             ;   in Loop: Header=BB562_16 Depth=1
	s_or_b32 exec_lo, exec_lo, s0
	v_add_nc_u32_e32 v8, 0x100, v8
	s_delay_alu instid0(VALU_DEP_2) | instskip(SKIP_1) | instid1(VALU_DEP_1)
	v_and_b32_e32 v4, 0xffff0000, v9
	v_add_co_u32 v5, s0, 0x200, v5
	v_add_co_ci_u32_e64 v6, s0, 0, v6, s0
	s_delay_alu instid0(VALU_DEP_4) | instskip(NEXT) | instid1(VALU_DEP_4)
	v_cmp_le_i32_e32 vcc_lo, s2, v8
	v_add_f32_e32 v7, v7, v4
	v_add_nc_u32_e32 v3, s10, v3
	s_or_b32 s9, vcc_lo, s9
	s_delay_alu instid0(SALU_CYCLE_1)
	s_and_not1_b32 exec_lo, exec_lo, s9
	s_cbranch_execz .LBB562_20
.LBB562_16:                             ; =>This Inner Loop Header: Depth=1
	s_delay_alu instid0(VALU_DEP_1) | instskip(NEXT) | instid1(VALU_DEP_1)
	v_ashrrev_i32_e32 v4, 31, v3
	v_lshlrev_b64 v[9:10], 1, v[3:4]
	s_delay_alu instid0(VALU_DEP_1) | instskip(NEXT) | instid1(VALU_DEP_2)
	v_add_co_u32 v9, vcc_lo, s4, v9
	v_add_co_ci_u32_e32 v10, vcc_lo, s5, v10, vcc_lo
	global_load_u16 v4, v[5:6], off
	global_load_u16 v9, v[9:10], off
	s_waitcnt vmcnt(1)
	v_lshlrev_b32_e32 v4, 16, v4
	s_waitcnt vmcnt(0)
	v_lshlrev_b32_e32 v9, 16, v9
	s_delay_alu instid0(VALU_DEP_1) | instskip(NEXT) | instid1(VALU_DEP_1)
	v_mul_f32_e32 v4, v4, v9
	v_and_b32_e32 v9, 0x7f800000, v4
	s_delay_alu instid0(VALU_DEP_1) | instskip(SKIP_1) | instid1(SALU_CYCLE_1)
	v_cmp_ne_u32_e32 vcc_lo, 0x7f800000, v9
                                        ; implicit-def: $vgpr9
	s_and_saveexec_b32 s0, vcc_lo
	s_xor_b32 s0, exec_lo, s0
; %bb.17:                               ;   in Loop: Header=BB562_16 Depth=1
	v_bfe_u32 v9, v4, 16, 1
	s_delay_alu instid0(VALU_DEP_1)
	v_add3_u32 v9, v4, v9, 0x7fff
                                        ; implicit-def: $vgpr4
; %bb.18:                               ;   in Loop: Header=BB562_16 Depth=1
	s_and_not1_saveexec_b32 s0, s0
	s_cbranch_execz .LBB562_15
; %bb.19:                               ;   in Loop: Header=BB562_16 Depth=1
	v_and_b32_e32 v9, 0xffff, v4
	v_or_b32_e32 v10, 0x10000, v4
	s_delay_alu instid0(VALU_DEP_2) | instskip(NEXT) | instid1(VALU_DEP_2)
	v_cmp_eq_u32_e32 vcc_lo, 0, v9
	v_cndmask_b32_e32 v9, v10, v4, vcc_lo
	s_branch .LBB562_15
.LBB562_20:
	s_or_b32 exec_lo, exec_lo, s9
.LBB562_21:
	s_delay_alu instid0(SALU_CYCLE_1) | instskip(SKIP_2) | instid1(VALU_DEP_1)
	s_or_b32 exec_lo, exec_lo, s8
	v_add_nc_u32_e32 v3, s2, v0
	s_mov_b32 s0, exec_lo
	v_cmpx_gt_i32_e64 s3, v3
	s_cbranch_execz .LBB562_27
; %bb.22:
	v_mul_lo_u32 v3, v3, s1
	s_ashr_i32 s3, s2, 31
	s_delay_alu instid0(SALU_CYCLE_1) | instskip(NEXT) | instid1(VALU_DEP_1)
	s_lshl_b64 s[2:3], s[2:3], 1
	v_ashrrev_i32_e32 v4, 31, v3
	s_delay_alu instid0(VALU_DEP_1) | instskip(NEXT) | instid1(VALU_DEP_1)
	v_lshlrev_b64 v[3:4], 1, v[3:4]
	v_add_co_u32 v3, vcc_lo, s4, v3
	s_delay_alu instid0(VALU_DEP_2)
	v_add_co_ci_u32_e32 v4, vcc_lo, s5, v4, vcc_lo
	v_add_co_u32 v1, vcc_lo, v1, s2
	v_add_co_ci_u32_e32 v2, vcc_lo, s3, v2, vcc_lo
	global_load_u16 v3, v[3:4], off
	global_load_u16 v1, v[1:2], off
	s_waitcnt vmcnt(1)
	v_lshlrev_b32_e32 v2, 16, v3
	s_waitcnt vmcnt(0)
	v_lshlrev_b32_e32 v1, 16, v1
	s_delay_alu instid0(VALU_DEP_1) | instskip(NEXT) | instid1(VALU_DEP_1)
	v_mul_f32_e32 v1, v1, v2
	v_and_b32_e32 v2, 0x7f800000, v1
	s_delay_alu instid0(VALU_DEP_1) | instskip(SKIP_1) | instid1(SALU_CYCLE_1)
	v_cmp_ne_u32_e32 vcc_lo, 0x7f800000, v2
                                        ; implicit-def: $vgpr2
	s_and_saveexec_b32 s1, vcc_lo
	s_xor_b32 s1, exec_lo, s1
; %bb.23:
	v_bfe_u32 v2, v1, 16, 1
	s_delay_alu instid0(VALU_DEP_1)
	v_add3_u32 v2, v1, v2, 0x7fff
                                        ; implicit-def: $vgpr1
; %bb.24:
	s_and_not1_saveexec_b32 s1, s1
; %bb.25:
	v_and_b32_e32 v2, 0xffff, v1
	v_or_b32_e32 v3, 0x10000, v1
	s_delay_alu instid0(VALU_DEP_2) | instskip(NEXT) | instid1(VALU_DEP_2)
	v_cmp_eq_u32_e32 vcc_lo, 0, v2
	v_cndmask_b32_e32 v2, v3, v1, vcc_lo
; %bb.26:
	s_or_b32 exec_lo, exec_lo, s1
	s_delay_alu instid0(VALU_DEP_1) | instskip(NEXT) | instid1(VALU_DEP_1)
	v_and_b32_e32 v1, 0xffff0000, v2
	v_add_f32_e32 v7, v7, v1
.LBB562_27:
	s_or_b32 exec_lo, exec_lo, s0
	v_and_b32_e32 v4, 31, v0
	v_cmp_gt_u32_e32 vcc_lo, 32, v0
	s_delay_alu instid0(VALU_DEP_2)
	v_lshlrev_b32_e32 v1, 2, v4
	s_and_saveexec_b32 s0, vcc_lo
	s_cbranch_execz .LBB562_29
; %bb.28:
	v_mov_b32_e32 v2, 0
	ds_store_b32 v1, v2
.LBB562_29:
	s_or_b32 exec_lo, exec_lo, s0
	v_mbcnt_lo_u32_b32 v5, -1, 0
	s_mov_b32 s1, exec_lo
	s_waitcnt lgkmcnt(0)
	s_barrier
	buffer_gl0_inv
	v_cmp_gt_u32_e64 s0, 16, v5
	s_delay_alu instid0(VALU_DEP_1) | instskip(SKIP_1) | instid1(VALU_DEP_2)
	v_cndmask_b32_e64 v2, 0, 1, s0
	v_cmp_gt_u32_e64 s0, 24, v5
	v_lshlrev_b32_e32 v2, 4, v2
	s_delay_alu instid0(VALU_DEP_2) | instskip(SKIP_1) | instid1(VALU_DEP_3)
	v_cndmask_b32_e64 v3, 0, 1, s0
	v_cmp_gt_u32_e64 s0, 28, v5
	v_add_lshl_u32 v2, v2, v5, 2
	ds_bpermute_b32 v2, v2, v7
	s_waitcnt lgkmcnt(0)
	v_dual_add_f32 v6, v7, v2 :: v_dual_lshlrev_b32 v3, 3, v3
	s_delay_alu instid0(VALU_DEP_1) | instskip(SKIP_4) | instid1(VALU_DEP_1)
	v_add_lshl_u32 v3, v3, v5, 2
	v_cndmask_b32_e64 v2, 0, 1, s0
	v_cmp_gt_u32_e64 s0, 30, v5
	ds_bpermute_b32 v3, v3, v6
	v_lshlrev_b32_e32 v2, 2, v2
	v_add_lshl_u32 v2, v2, v5, 2
	s_waitcnt lgkmcnt(0)
	v_add_f32_e32 v6, v6, v3
	v_cndmask_b32_e64 v3, 0, 1, s0
	v_cmp_ne_u32_e64 s0, 31, v5
	s_delay_alu instid0(VALU_DEP_2) | instskip(NEXT) | instid1(VALU_DEP_1)
	v_lshlrev_b32_e32 v3, 1, v3
	v_add_lshl_u32 v3, v3, v5, 2
	s_delay_alu instid0(VALU_DEP_3) | instskip(NEXT) | instid1(VALU_DEP_1)
	v_add_co_ci_u32_e64 v5, s0, 0, v5, s0
	v_lshlrev_b32_e32 v5, 2, v5
	ds_bpermute_b32 v7, v2, v6
	s_waitcnt lgkmcnt(0)
	v_add_f32_e32 v6, v6, v7
	ds_bpermute_b32 v7, v3, v6
	s_waitcnt lgkmcnt(0)
	v_add_f32_e32 v6, v6, v7
	ds_bpermute_b32 v7, v5, v6
	v_cmpx_eq_u32_e32 0, v4
	s_cbranch_execz .LBB562_31
; %bb.30:
	v_lshrrev_b32_e32 v4, 3, v0
	s_waitcnt lgkmcnt(0)
	v_add_f32_e32 v6, v6, v7
	s_delay_alu instid0(VALU_DEP_2)
	v_and_b32_e32 v4, 28, v4
	ds_store_b32 v4, v6
.LBB562_31:
	s_or_b32 exec_lo, exec_lo, s1
	v_mov_b32_e32 v4, 0
	s_mov_b32 s1, exec_lo
	s_waitcnt lgkmcnt(0)
	s_barrier
	buffer_gl0_inv
	v_cmpx_gt_u32_e32 8, v0
	s_cbranch_execz .LBB562_33
; %bb.32:
	ds_load_b32 v4, v1
.LBB562_33:
	s_or_b32 exec_lo, exec_lo, s1
	s_and_saveexec_b32 s0, vcc_lo
	s_cbranch_execz .LBB562_35
; %bb.34:
	s_waitcnt lgkmcnt(0)
	ds_bpermute_b32 v1, v2, v4
	s_waitcnt lgkmcnt(0)
	v_add_f32_e32 v1, v4, v1
	ds_bpermute_b32 v2, v3, v1
	s_waitcnt lgkmcnt(0)
	v_add_f32_e32 v1, v1, v2
	;; [unrolled: 3-line block ×3, first 2 shown]
.LBB562_35:
	s_or_b32 exec_lo, exec_lo, s0
	s_delay_alu instid0(SALU_CYCLE_1)
	s_mov_b32 s0, exec_lo
                                        ; implicit-def: $vgpr1
                                        ; implicit-def: $sgpr4_sgpr5
	v_cmpx_eq_u32_e32 0, v0
	s_cbranch_execz .LBB562_54
; %bb.36:
	v_cmp_eq_f32_e64 s1, s13, 0
	s_waitcnt lgkmcnt(0)
	v_mul_f32_e32 v0, s19, v4
	s_delay_alu instid0(VALU_DEP_2)
	s_and_b32 vcc_lo, exec_lo, s1
	s_cbranch_vccz .LBB562_42
; %bb.37:
	s_delay_alu instid0(VALU_DEP_1) | instskip(NEXT) | instid1(VALU_DEP_1)
	v_and_b32_e32 v1, 0x7f800000, v0
	v_cmp_ne_u32_e32 vcc_lo, 0x7f800000, v1
                                        ; implicit-def: $vgpr1
	s_and_saveexec_b32 s1, vcc_lo
	s_delay_alu instid0(SALU_CYCLE_1)
	s_xor_b32 s1, exec_lo, s1
; %bb.38:
	v_bfe_u32 v1, v0, 16, 1
	s_delay_alu instid0(VALU_DEP_1)
	v_add3_u32 v1, v0, v1, 0x7fff
; %bb.39:
	s_and_not1_saveexec_b32 s1, s1
; %bb.40:
	v_and_b32_e32 v1, 0xffff, v0
	v_or_b32_e32 v2, 0x10000, v0
	s_delay_alu instid0(VALU_DEP_2) | instskip(NEXT) | instid1(VALU_DEP_2)
	v_cmp_eq_u32_e32 vcc_lo, 0, v1
	v_cndmask_b32_e32 v1, v2, v0, vcc_lo
; %bb.41:
	s_or_b32 exec_lo, exec_lo, s1
	s_mul_i32 s4, s14, s18
	s_cbranch_execz .LBB562_43
	s_branch .LBB562_53
.LBB562_42:
                                        ; implicit-def: $vgpr1
	s_mul_i32 s4, s14, s18
.LBB562_43:
	s_delay_alu instid0(SALU_CYCLE_1) | instskip(SKIP_2) | instid1(SALU_CYCLE_1)
	s_ashr_i32 s5, s4, 31
	v_mov_b32_e32 v1, 0
	s_lshl_b64 s[2:3], s[4:5], 1
	s_add_u32 s2, s6, s2
	s_addc_u32 s3, s7, s3
	global_load_u16 v1, v1, s[2:3]
	s_waitcnt vmcnt(0)
	v_lshlrev_b32_e32 v1, 16, v1
	s_delay_alu instid0(VALU_DEP_1) | instskip(NEXT) | instid1(VALU_DEP_1)
	v_mul_f32_e32 v1, s13, v1
	v_and_b32_e32 v2, 0x7f800000, v1
	v_readfirstlane_b32 s1, v1
	s_delay_alu instid0(VALU_DEP_2)
	v_cmp_eq_u32_e32 vcc_lo, 0x7f800000, v2
	s_cbranch_vccnz .LBB562_45
; %bb.44:
	s_delay_alu instid0(VALU_DEP_2) | instskip(SKIP_2) | instid1(SALU_CYCLE_1)
	s_bfe_u32 s2, s1, 0x10010
	s_mov_b32 s3, 0
	s_add_i32 s2, s1, s2
	s_addk_i32 s2, 0x7fff
	s_branch .LBB562_46
.LBB562_45:
	s_mov_b32 s3, -1
                                        ; implicit-def: $sgpr2
.LBB562_46:
	s_delay_alu instid0(SALU_CYCLE_1)
	s_and_not1_b32 vcc_lo, exec_lo, s3
	s_cbranch_vccnz .LBB562_48
; %bb.47:
	s_and_b32 s2, s1, 0xffff
	s_or_b32 s3, s1, 0x10000
	s_cmp_eq_u32 s2, 0
	s_cselect_b32 s2, s1, s3
.LBB562_48:
	s_delay_alu instid0(SALU_CYCLE_1) | instskip(NEXT) | instid1(SALU_CYCLE_1)
	s_and_b32 s1, s2, 0xffff0000
	v_add_f32_e32 v0, s1, v0
	s_delay_alu instid0(VALU_DEP_1) | instskip(NEXT) | instid1(VALU_DEP_1)
	v_and_b32_e32 v1, 0x7f800000, v0
	v_cmp_ne_u32_e32 vcc_lo, 0x7f800000, v1
                                        ; implicit-def: $vgpr1
	s_and_saveexec_b32 s1, vcc_lo
	s_delay_alu instid0(SALU_CYCLE_1)
	s_xor_b32 s1, exec_lo, s1
; %bb.49:
	v_bfe_u32 v1, v0, 16, 1
	s_delay_alu instid0(VALU_DEP_1)
	v_add3_u32 v1, v0, v1, 0x7fff
                                        ; implicit-def: $vgpr0
; %bb.50:
	s_and_not1_saveexec_b32 s1, s1
; %bb.51:
	v_and_b32_e32 v1, 0xffff, v0
	v_or_b32_e32 v2, 0x10000, v0
	s_delay_alu instid0(VALU_DEP_2) | instskip(NEXT) | instid1(VALU_DEP_2)
	v_cmp_eq_u32_e32 vcc_lo, 0, v1
	v_cndmask_b32_e32 v1, v2, v0, vcc_lo
; %bb.52:
	s_or_b32 exec_lo, exec_lo, s1
.LBB562_53:
	s_delay_alu instid0(VALU_DEP_1)
	v_lshrrev_b32_e32 v1, 16, v1
	s_ashr_i32 s5, s4, 31
	s_or_b32 s12, s12, exec_lo
.LBB562_54:
	s_or_b32 exec_lo, exec_lo, s0
	s_and_saveexec_b32 s0, s12
	s_cbranch_execz .LBB562_56
.LBB562_55:
	s_lshl_b64 s[0:1], s[4:5], 1
	v_mov_b32_e32 v0, 0
	s_add_u32 s0, s6, s0
	s_addc_u32 s1, s7, s1
	global_store_b16 v0, v1, s[0:1]
.LBB562_56:
	s_nop 0
	s_sendmsg sendmsg(MSG_DEALLOC_VGPRS)
	s_endpgm
	.section	.rodata,"a",@progbits
	.p2align	6, 0x0
	.amdhsa_kernel _ZL32rocblas_gemvt_warp_reduce_kernelILb0ELi256Ei16rocblas_bfloat16PKfS0_EviiT3_lPKT2_lT1_lS6_lS7_lS3_lPT4_lS7_li
		.amdhsa_group_segment_fixed_size 128
		.amdhsa_private_segment_fixed_size 0
		.amdhsa_kernarg_size 140
		.amdhsa_user_sgpr_count 14
		.amdhsa_user_sgpr_dispatch_ptr 0
		.amdhsa_user_sgpr_queue_ptr 0
		.amdhsa_user_sgpr_kernarg_segment_ptr 1
		.amdhsa_user_sgpr_dispatch_id 0
		.amdhsa_user_sgpr_private_segment_size 0
		.amdhsa_wavefront_size32 1
		.amdhsa_uses_dynamic_stack 0
		.amdhsa_enable_private_segment 0
		.amdhsa_system_sgpr_workgroup_id_x 1
		.amdhsa_system_sgpr_workgroup_id_y 0
		.amdhsa_system_sgpr_workgroup_id_z 1
		.amdhsa_system_sgpr_workgroup_info 0
		.amdhsa_system_vgpr_workitem_id 0
		.amdhsa_next_free_vgpr 11
		.amdhsa_next_free_sgpr 25
		.amdhsa_reserve_vcc 1
		.amdhsa_float_round_mode_32 0
		.amdhsa_float_round_mode_16_64 0
		.amdhsa_float_denorm_mode_32 3
		.amdhsa_float_denorm_mode_16_64 3
		.amdhsa_dx10_clamp 1
		.amdhsa_ieee_mode 1
		.amdhsa_fp16_overflow 0
		.amdhsa_workgroup_processor_mode 1
		.amdhsa_memory_ordered 1
		.amdhsa_forward_progress 0
		.amdhsa_shared_vgpr_count 0
		.amdhsa_exception_fp_ieee_invalid_op 0
		.amdhsa_exception_fp_denorm_src 0
		.amdhsa_exception_fp_ieee_div_zero 0
		.amdhsa_exception_fp_ieee_overflow 0
		.amdhsa_exception_fp_ieee_underflow 0
		.amdhsa_exception_fp_ieee_inexact 0
		.amdhsa_exception_int_div_zero 0
	.end_amdhsa_kernel
	.section	.text._ZL32rocblas_gemvt_warp_reduce_kernelILb0ELi256Ei16rocblas_bfloat16PKfS0_EviiT3_lPKT2_lT1_lS6_lS7_lS3_lPT4_lS7_li,"axG",@progbits,_ZL32rocblas_gemvt_warp_reduce_kernelILb0ELi256Ei16rocblas_bfloat16PKfS0_EviiT3_lPKT2_lT1_lS6_lS7_lS3_lPT4_lS7_li,comdat
.Lfunc_end562:
	.size	_ZL32rocblas_gemvt_warp_reduce_kernelILb0ELi256Ei16rocblas_bfloat16PKfS0_EviiT3_lPKT2_lT1_lS6_lS7_lS3_lPT4_lS7_li, .Lfunc_end562-_ZL32rocblas_gemvt_warp_reduce_kernelILb0ELi256Ei16rocblas_bfloat16PKfS0_EviiT3_lPKT2_lT1_lS6_lS7_lS3_lPT4_lS7_li
                                        ; -- End function
	.section	.AMDGPU.csdata,"",@progbits
; Kernel info:
; codeLenInByte = 2144
; NumSgprs: 27
; NumVgprs: 11
; ScratchSize: 0
; MemoryBound: 0
; FloatMode: 240
; IeeeMode: 1
; LDSByteSize: 128 bytes/workgroup (compile time only)
; SGPRBlocks: 3
; VGPRBlocks: 1
; NumSGPRsForWavesPerEU: 27
; NumVGPRsForWavesPerEU: 11
; Occupancy: 16
; WaveLimiterHint : 1
; COMPUTE_PGM_RSRC2:SCRATCH_EN: 0
; COMPUTE_PGM_RSRC2:USER_SGPR: 14
; COMPUTE_PGM_RSRC2:TRAP_HANDLER: 0
; COMPUTE_PGM_RSRC2:TGID_X_EN: 1
; COMPUTE_PGM_RSRC2:TGID_Y_EN: 0
; COMPUTE_PGM_RSRC2:TGID_Z_EN: 1
; COMPUTE_PGM_RSRC2:TIDIG_COMP_CNT: 0
	.section	.text._ZL32rocblas_gemvt_warp_reduce_kernelILb0ELi256El16rocblas_bfloat16PKfS0_EviiT3_lPKT2_lT1_lS6_lS7_lS3_lPT4_lS7_li,"axG",@progbits,_ZL32rocblas_gemvt_warp_reduce_kernelILb0ELi256El16rocblas_bfloat16PKfS0_EviiT3_lPKT2_lT1_lS6_lS7_lS3_lPT4_lS7_li,comdat
	.globl	_ZL32rocblas_gemvt_warp_reduce_kernelILb0ELi256El16rocblas_bfloat16PKfS0_EviiT3_lPKT2_lT1_lS6_lS7_lS3_lPT4_lS7_li ; -- Begin function _ZL32rocblas_gemvt_warp_reduce_kernelILb0ELi256El16rocblas_bfloat16PKfS0_EviiT3_lPKT2_lT1_lS6_lS7_lS3_lPT4_lS7_li
	.p2align	8
	.type	_ZL32rocblas_gemvt_warp_reduce_kernelILb0ELi256El16rocblas_bfloat16PKfS0_EviiT3_lPKT2_lT1_lS6_lS7_lS3_lPT4_lS7_li,@function
_ZL32rocblas_gemvt_warp_reduce_kernelILb0ELi256El16rocblas_bfloat16PKfS0_EviiT3_lPKT2_lT1_lS6_lS7_lS3_lPT4_lS7_li: ; @_ZL32rocblas_gemvt_warp_reduce_kernelILb0ELi256El16rocblas_bfloat16PKfS0_EviiT3_lPKT2_lT1_lS6_lS7_lS3_lPT4_lS7_li
; %bb.0:
	s_clause 0x1
	s_load_b512 s[36:51], s[0:1], 0x8
	s_load_b512 s[16:31], s[0:1], 0x48
	s_mov_b32 s10, 0
	s_waitcnt lgkmcnt(0)
	s_mul_i32 s3, s15, s39
	s_mul_hi_u32 s4, s15, s38
	s_mul_i32 s2, s15, s38
	s_add_i32 s3, s4, s3
	s_mul_i32 s4, s15, s23
	s_lshl_b64 s[2:3], s[2:3], 2
	s_mul_hi_u32 s5, s15, s22
	s_add_u32 s2, s36, s2
	s_addc_u32 s3, s37, s3
	s_add_i32 s5, s5, s4
	s_mul_i32 s4, s15, s22
	s_delay_alu instid0(SALU_CYCLE_1) | instskip(NEXT) | instid1(SALU_CYCLE_1)
	s_lshl_b64 s[4:5], s[4:5], 2
	s_add_u32 s4, s20, s4
	s_addc_u32 s5, s21, s5
	s_load_b32 s12, s[2:3], 0x0
	s_load_b32 s11, s[4:5], 0x0
	s_waitcnt lgkmcnt(0)
	v_cmp_eq_f32_e64 s2, s12, 0
	v_cmp_eq_f32_e64 s3, s11, 1.0
	s_delay_alu instid0(VALU_DEP_1) | instskip(NEXT) | instid1(SALU_CYCLE_1)
	s_and_b32 s2, s2, s3
	s_and_b32 vcc_lo, exec_lo, s2
	s_cbranch_vccnz .LBB563_57
; %bb.1:
	s_mul_i32 s3, s15, s31
	s_mul_hi_u32 s4, s15, s30
	s_mul_i32 s2, s15, s30
	s_add_i32 s3, s4, s3
	v_cmp_neq_f32_e64 s4, s12, 0
	s_lshl_b64 s[2:3], s[2:3], 1
	s_delay_alu instid0(SALU_CYCLE_1) | instskip(SKIP_2) | instid1(SALU_CYCLE_1)
	s_add_u32 s5, s24, s2
	s_addc_u32 s6, s25, s3
	s_lshl_b64 s[2:3], s[26:27], 1
	s_add_u32 s8, s5, s2
	v_cmp_eq_u32_e64 s2, 0, v0
	s_addc_u32 s9, s6, s3
	s_and_b32 vcc_lo, exec_lo, s4
	s_cbranch_vccnz .LBB563_6
; %bb.2:
	s_mov_b32 s3, 0
                                        ; implicit-def: $sgpr7
                                        ; implicit-def: $sgpr4_sgpr5
	s_and_saveexec_b32 s6, s2
	s_cbranch_execz .LBB563_7
; %bb.3:
	v_cmp_eq_f32_e64 s2, s11, 0
	s_mul_i32 s4, s14, s29
	s_mul_hi_u32 s5, s14, s28
	s_ashr_i32 s7, s14, 31
	s_add_i32 s4, s5, s4
	s_mul_i32 s5, s7, s28
	s_mov_b32 s7, 0
	s_add_i32 s5, s4, s5
	s_and_b32 vcc_lo, exec_lo, s2
	s_mul_i32 s4, s14, s28
	s_cbranch_vccnz .LBB563_12
; %bb.4:
	s_lshl_b64 s[20:21], s[4:5], 1
	v_mov_b32_e32 v1, 0
	s_add_u32 s20, s8, s20
	s_addc_u32 s21, s9, s21
	global_load_u16 v1, v1, s[20:21]
	s_waitcnt vmcnt(0)
	v_lshlrev_b32_e32 v1, 16, v1
	s_delay_alu instid0(VALU_DEP_1) | instskip(NEXT) | instid1(VALU_DEP_1)
	v_mul_f32_e32 v1, s11, v1
	v_and_b32_e32 v2, 0x7f800000, v1
	v_readfirstlane_b32 s2, v1
	s_delay_alu instid0(VALU_DEP_2)
	v_cmp_eq_u32_e32 vcc_lo, 0x7f800000, v2
	s_cbranch_vccnz .LBB563_9
; %bb.5:
	s_delay_alu instid0(VALU_DEP_2) | instskip(NEXT) | instid1(SALU_CYCLE_1)
	s_bfe_u32 s7, s2, 0x10010
	s_add_i32 s7, s2, s7
	s_delay_alu instid0(SALU_CYCLE_1)
	s_addk_i32 s7, 0x7fff
	s_and_not1_b32 vcc_lo, exec_lo, s10
	s_cbranch_vccz .LBB563_10
	s_branch .LBB563_11
.LBB563_6:
                                        ; implicit-def: $sgpr7
                                        ; implicit-def: $sgpr4_sgpr5
	s_cbranch_execz .LBB563_8
	s_branch .LBB563_13
.LBB563_7:
	s_or_b32 exec_lo, exec_lo, s6
	s_delay_alu instid0(SALU_CYCLE_1)
	s_and_b32 vcc_lo, exec_lo, s3
	s_cbranch_vccnz .LBB563_13
.LBB563_8:
	v_mov_b32_e32 v1, s7
	s_and_saveexec_b32 s0, s10
	s_cbranch_execnz .LBB563_56
	s_branch .LBB563_57
.LBB563_9:
                                        ; implicit-def: $sgpr7
.LBB563_10:
	s_delay_alu instid0(VALU_DEP_2)
	s_and_b32 s7, s2, 0xffff
	s_or_b32 s10, s2, 0x10000
	s_cmp_eq_u32 s7, 0
	s_cselect_b32 s7, s2, s10
.LBB563_11:
	s_delay_alu instid0(SALU_CYCLE_1)
	s_lshr_b32 s7, s7, 16
.LBB563_12:
	s_mov_b32 s10, exec_lo
	s_or_b32 exec_lo, exec_lo, s6
	s_delay_alu instid0(SALU_CYCLE_1)
	s_and_b32 vcc_lo, exec_lo, s3
	s_cbranch_vccz .LBB563_8
.LBB563_13:
	s_load_b32 s5, s[0:1], 0x0
	s_mul_i32 s3, s15, s47
	s_mul_hi_u32 s4, s15, s46
	s_mul_i32 s0, s15, s46
	s_add_i32 s1, s4, s3
	s_mul_i32 s2, s15, s19
	s_mul_hi_u32 s3, s15, s18
	s_lshl_b64 s[0:1], s[0:1], 1
	s_add_i32 s3, s3, s2
	s_add_u32 s2, s40, s0
	s_addc_u32 s4, s41, s1
	s_lshl_b64 s[0:1], s[42:43], 1
	s_mul_hi_u32 s6, s14, s44
	s_add_u32 s0, s2, s0
	s_addc_u32 s2, s4, s1
	s_mul_i32 s4, s14, s45
	s_ashr_i32 s1, s14, 31
	s_add_i32 s4, s6, s4
	s_mul_i32 s6, s1, s44
	v_mov_b32_e32 v7, 0
	s_waitcnt lgkmcnt(0)
	v_cmp_gt_i32_e32 vcc_lo, s5, v0
	s_add_i32 s7, s4, s6
	s_mul_i32 s6, s14, s44
	s_mov_b32 s13, exec_lo
	s_lshl_b64 s[6:7], s[6:7], 1
	v_cndmask_b32_e32 v1, 0, v0, vcc_lo
	s_add_u32 s0, s6, s0
	s_addc_u32 s2, s7, s2
	s_ashr_i32 s4, s5, 31
	s_delay_alu instid0(SALU_CYCLE_1) | instskip(SKIP_2) | instid1(SALU_CYCLE_1)
	s_lshr_b32 s4, s4, 24
	v_lshlrev_b32_e32 v1, 1, v1
	s_add_i32 s4, s5, s4
	s_and_b32 s4, s4, 0xffffff00
	s_delay_alu instid0(VALU_DEP_1) | instskip(NEXT) | instid1(VALU_DEP_1)
	v_add_co_u32 v1, s0, s0, v1
	v_add_co_ci_u32_e64 v2, null, s2, 0, s0
	s_mul_i32 s2, s15, s18
	s_mov_b32 s15, 0
	v_cmpx_gt_i32_e64 s4, v0
	s_cbranch_execz .LBB563_21
; %bb.14:
	v_mad_u64_u32 v[5:6], null, s16, v0, 0
	s_lshl_b64 s[18:19], s[50:51], 1
	s_lshl_b64 s[6:7], s[2:3], 1
	s_add_u32 s0, s48, s18
	s_addc_u32 s18, s49, s19
	s_add_u32 s0, s0, s6
	s_addc_u32 s6, s18, s7
	s_delay_alu instid0(VALU_DEP_1) | instskip(NEXT) | instid1(VALU_DEP_1)
	v_dual_mov_b32 v3, v6 :: v_dual_mov_b32 v8, v0
	v_mad_u64_u32 v[6:7], null, s17, v0, v[3:4]
	v_dual_mov_b32 v7, 0 :: v_dual_mov_b32 v4, v2
	v_mov_b32_e32 v3, v1
	s_delay_alu instid0(VALU_DEP_3) | instskip(NEXT) | instid1(VALU_DEP_1)
	v_lshlrev_b64 v[5:6], 1, v[5:6]
	v_add_co_u32 v5, vcc_lo, s0, v5
	s_delay_alu instid0(VALU_DEP_2)
	v_add_co_ci_u32_e32 v6, vcc_lo, s6, v6, vcc_lo
	s_lshl_b64 s[6:7], s[16:17], 9
	s_set_inst_prefetch_distance 0x1
	s_branch .LBB563_16
	.p2align	6
.LBB563_15:                             ;   in Loop: Header=BB563_16 Depth=1
	s_or_b32 exec_lo, exec_lo, s0
	s_delay_alu instid0(VALU_DEP_1) | instskip(SKIP_3) | instid1(VALU_DEP_4)
	v_and_b32_e32 v9, 0xffff0000, v10
	v_add_nc_u32_e32 v8, 0x100, v8
	v_add_co_u32 v3, vcc_lo, 0x200, v3
	v_add_co_ci_u32_e32 v4, vcc_lo, 0, v4, vcc_lo
	v_add_f32_e32 v7, v7, v9
	s_delay_alu instid0(VALU_DEP_4) | instskip(SKIP_1) | instid1(VALU_DEP_1)
	v_cmp_le_i32_e32 vcc_lo, s4, v8
	v_add_co_u32 v5, s0, v5, s6
	v_add_co_ci_u32_e64 v6, s0, s7, v6, s0
	s_or_b32 s15, vcc_lo, s15
	s_delay_alu instid0(SALU_CYCLE_1)
	s_and_not1_b32 exec_lo, exec_lo, s15
	s_cbranch_execz .LBB563_20
.LBB563_16:                             ; =>This Inner Loop Header: Depth=1
	global_load_u16 v9, v[5:6], off
	global_load_u16 v10, v[3:4], off
	s_waitcnt vmcnt(1)
	v_lshlrev_b32_e32 v9, 16, v9
	s_waitcnt vmcnt(0)
	v_lshlrev_b32_e32 v10, 16, v10
	s_delay_alu instid0(VALU_DEP_1) | instskip(NEXT) | instid1(VALU_DEP_1)
	v_mul_f32_e32 v9, v10, v9
	v_and_b32_e32 v10, 0x7f800000, v9
	s_delay_alu instid0(VALU_DEP_1) | instskip(SKIP_1) | instid1(SALU_CYCLE_1)
	v_cmp_ne_u32_e32 vcc_lo, 0x7f800000, v10
                                        ; implicit-def: $vgpr10
	s_and_saveexec_b32 s0, vcc_lo
	s_xor_b32 s0, exec_lo, s0
; %bb.17:                               ;   in Loop: Header=BB563_16 Depth=1
	v_bfe_u32 v10, v9, 16, 1
	s_delay_alu instid0(VALU_DEP_1)
	v_add3_u32 v10, v9, v10, 0x7fff
                                        ; implicit-def: $vgpr9
; %bb.18:                               ;   in Loop: Header=BB563_16 Depth=1
	s_and_not1_saveexec_b32 s0, s0
	s_cbranch_execz .LBB563_15
; %bb.19:                               ;   in Loop: Header=BB563_16 Depth=1
	v_and_b32_e32 v10, 0xffff, v9
	v_or_b32_e32 v11, 0x10000, v9
	s_delay_alu instid0(VALU_DEP_2) | instskip(NEXT) | instid1(VALU_DEP_2)
	v_cmp_eq_u32_e32 vcc_lo, 0, v10
	v_cndmask_b32_e32 v10, v11, v9, vcc_lo
	s_branch .LBB563_15
.LBB563_20:
	s_set_inst_prefetch_distance 0x2
	s_or_b32 exec_lo, exec_lo, s15
.LBB563_21:
	s_delay_alu instid0(SALU_CYCLE_1) | instskip(SKIP_2) | instid1(VALU_DEP_1)
	s_or_b32 exec_lo, exec_lo, s13
	v_add_nc_u32_e32 v3, s4, v0
	s_mov_b32 s0, exec_lo
	v_cmpx_gt_i32_e64 s5, v3
	s_cbranch_execz .LBB563_27
; %bb.22:
	v_ashrrev_i32_e32 v6, 31, v3
	v_mul_lo_u32 v8, v3, s17
	v_mad_u64_u32 v[4:5], null, v3, s16, 0
	s_lshl_b64 s[2:3], s[2:3], 1
	s_delay_alu instid0(VALU_DEP_3) | instskip(SKIP_3) | instid1(SALU_CYCLE_1)
	v_mul_lo_u32 v3, v6, s16
	s_add_u32 s5, s48, s2
	s_addc_u32 s6, s49, s3
	s_lshl_b64 s[2:3], s[50:51], 1
	s_add_u32 s7, s5, s2
	s_addc_u32 s6, s6, s3
	s_ashr_i32 s5, s4, 31
	s_delay_alu instid0(VALU_DEP_1) | instskip(SKIP_1) | instid1(VALU_DEP_1)
	v_add3_u32 v5, v5, v8, v3
	s_lshl_b64 s[2:3], s[4:5], 1
	v_lshlrev_b64 v[3:4], 1, v[4:5]
	s_delay_alu instid0(VALU_DEP_1) | instskip(NEXT) | instid1(VALU_DEP_2)
	v_add_co_u32 v3, vcc_lo, s7, v3
	v_add_co_ci_u32_e32 v4, vcc_lo, s6, v4, vcc_lo
	v_add_co_u32 v1, vcc_lo, v1, s2
	v_add_co_ci_u32_e32 v2, vcc_lo, s3, v2, vcc_lo
	global_load_u16 v3, v[3:4], off
	global_load_u16 v1, v[1:2], off
	s_waitcnt vmcnt(1)
	v_lshlrev_b32_e32 v2, 16, v3
	s_waitcnt vmcnt(0)
	v_lshlrev_b32_e32 v1, 16, v1
	s_delay_alu instid0(VALU_DEP_1) | instskip(NEXT) | instid1(VALU_DEP_1)
	v_mul_f32_e32 v1, v1, v2
	v_and_b32_e32 v2, 0x7f800000, v1
	s_delay_alu instid0(VALU_DEP_1) | instskip(SKIP_1) | instid1(SALU_CYCLE_1)
	v_cmp_ne_u32_e32 vcc_lo, 0x7f800000, v2
                                        ; implicit-def: $vgpr2
	s_and_saveexec_b32 s2, vcc_lo
	s_xor_b32 s2, exec_lo, s2
; %bb.23:
	v_bfe_u32 v2, v1, 16, 1
	s_delay_alu instid0(VALU_DEP_1)
	v_add3_u32 v2, v1, v2, 0x7fff
                                        ; implicit-def: $vgpr1
; %bb.24:
	s_and_not1_saveexec_b32 s2, s2
; %bb.25:
	v_and_b32_e32 v2, 0xffff, v1
	v_or_b32_e32 v3, 0x10000, v1
	s_delay_alu instid0(VALU_DEP_2) | instskip(NEXT) | instid1(VALU_DEP_2)
	v_cmp_eq_u32_e32 vcc_lo, 0, v2
	v_cndmask_b32_e32 v2, v3, v1, vcc_lo
; %bb.26:
	s_or_b32 exec_lo, exec_lo, s2
	s_delay_alu instid0(VALU_DEP_1) | instskip(NEXT) | instid1(VALU_DEP_1)
	v_and_b32_e32 v1, 0xffff0000, v2
	v_add_f32_e32 v7, v7, v1
.LBB563_27:
	s_or_b32 exec_lo, exec_lo, s0
	v_and_b32_e32 v4, 31, v0
	v_cmp_gt_u32_e32 vcc_lo, 32, v0
	s_delay_alu instid0(VALU_DEP_2)
	v_lshlrev_b32_e32 v1, 2, v4
	s_and_saveexec_b32 s0, vcc_lo
	s_cbranch_execz .LBB563_29
; %bb.28:
	v_mov_b32_e32 v2, 0
	ds_store_b32 v1, v2
.LBB563_29:
	s_or_b32 exec_lo, exec_lo, s0
	v_mbcnt_lo_u32_b32 v5, -1, 0
	s_mov_b32 s2, exec_lo
	s_waitcnt lgkmcnt(0)
	s_barrier
	buffer_gl0_inv
	v_cmp_gt_u32_e64 s0, 16, v5
	s_delay_alu instid0(VALU_DEP_1) | instskip(SKIP_1) | instid1(VALU_DEP_2)
	v_cndmask_b32_e64 v2, 0, 1, s0
	v_cmp_gt_u32_e64 s0, 24, v5
	v_lshlrev_b32_e32 v2, 4, v2
	s_delay_alu instid0(VALU_DEP_2) | instskip(SKIP_1) | instid1(VALU_DEP_3)
	v_cndmask_b32_e64 v3, 0, 1, s0
	v_cmp_gt_u32_e64 s0, 28, v5
	v_add_lshl_u32 v2, v2, v5, 2
	ds_bpermute_b32 v2, v2, v7
	s_waitcnt lgkmcnt(0)
	v_dual_add_f32 v6, v7, v2 :: v_dual_lshlrev_b32 v3, 3, v3
	s_delay_alu instid0(VALU_DEP_1) | instskip(SKIP_4) | instid1(VALU_DEP_1)
	v_add_lshl_u32 v3, v3, v5, 2
	v_cndmask_b32_e64 v2, 0, 1, s0
	v_cmp_gt_u32_e64 s0, 30, v5
	ds_bpermute_b32 v3, v3, v6
	v_lshlrev_b32_e32 v2, 2, v2
	v_add_lshl_u32 v2, v2, v5, 2
	s_waitcnt lgkmcnt(0)
	v_add_f32_e32 v6, v6, v3
	v_cndmask_b32_e64 v3, 0, 1, s0
	v_cmp_ne_u32_e64 s0, 31, v5
	s_delay_alu instid0(VALU_DEP_2) | instskip(NEXT) | instid1(VALU_DEP_1)
	v_lshlrev_b32_e32 v3, 1, v3
	v_add_lshl_u32 v3, v3, v5, 2
	s_delay_alu instid0(VALU_DEP_3) | instskip(NEXT) | instid1(VALU_DEP_1)
	v_add_co_ci_u32_e64 v5, s0, 0, v5, s0
	v_lshlrev_b32_e32 v5, 2, v5
	ds_bpermute_b32 v7, v2, v6
	s_waitcnt lgkmcnt(0)
	v_add_f32_e32 v6, v6, v7
	ds_bpermute_b32 v7, v3, v6
	s_waitcnt lgkmcnt(0)
	v_add_f32_e32 v6, v6, v7
	ds_bpermute_b32 v7, v5, v6
	v_cmpx_eq_u32_e32 0, v4
	s_cbranch_execz .LBB563_31
; %bb.30:
	v_lshrrev_b32_e32 v4, 3, v0
	s_waitcnt lgkmcnt(0)
	v_add_f32_e32 v6, v6, v7
	s_delay_alu instid0(VALU_DEP_2)
	v_and_b32_e32 v4, 28, v4
	ds_store_b32 v4, v6
.LBB563_31:
	s_or_b32 exec_lo, exec_lo, s2
	v_mov_b32_e32 v4, 0
	s_mov_b32 s2, exec_lo
	s_waitcnt lgkmcnt(0)
	s_barrier
	buffer_gl0_inv
	v_cmpx_gt_u32_e32 8, v0
	s_cbranch_execz .LBB563_33
; %bb.32:
	ds_load_b32 v4, v1
.LBB563_33:
	s_or_b32 exec_lo, exec_lo, s2
	s_and_saveexec_b32 s0, vcc_lo
	s_cbranch_execz .LBB563_35
; %bb.34:
	s_waitcnt lgkmcnt(0)
	ds_bpermute_b32 v1, v2, v4
	s_waitcnt lgkmcnt(0)
	v_add_f32_e32 v1, v4, v1
	ds_bpermute_b32 v2, v3, v1
	s_waitcnt lgkmcnt(0)
	v_add_f32_e32 v1, v1, v2
	;; [unrolled: 3-line block ×3, first 2 shown]
.LBB563_35:
	s_or_b32 exec_lo, exec_lo, s0
	s_delay_alu instid0(SALU_CYCLE_1)
	s_mov_b32 s0, exec_lo
                                        ; implicit-def: $vgpr1
                                        ; implicit-def: $sgpr4_sgpr5
	v_cmpx_eq_u32_e32 0, v0
	s_cbranch_execz .LBB563_55
; %bb.36:
	v_cmp_eq_f32_e64 s2, s11, 0
	s_waitcnt lgkmcnt(0)
	v_mul_f32_e32 v0, s12, v4
	s_delay_alu instid0(VALU_DEP_2)
	s_and_b32 vcc_lo, exec_lo, s2
	s_cbranch_vccz .LBB563_42
; %bb.37:
	s_delay_alu instid0(VALU_DEP_1) | instskip(NEXT) | instid1(VALU_DEP_1)
	v_and_b32_e32 v1, 0x7f800000, v0
	v_cmp_ne_u32_e32 vcc_lo, 0x7f800000, v1
                                        ; implicit-def: $vgpr1
	s_and_saveexec_b32 s2, vcc_lo
	s_delay_alu instid0(SALU_CYCLE_1)
	s_xor_b32 s2, exec_lo, s2
; %bb.38:
	v_bfe_u32 v1, v0, 16, 1
	s_delay_alu instid0(VALU_DEP_1)
	v_add3_u32 v1, v0, v1, 0x7fff
; %bb.39:
	s_and_not1_saveexec_b32 s2, s2
; %bb.40:
	v_and_b32_e32 v1, 0xffff, v0
	v_or_b32_e32 v2, 0x10000, v0
	s_delay_alu instid0(VALU_DEP_2) | instskip(NEXT) | instid1(VALU_DEP_2)
	v_cmp_eq_u32_e32 vcc_lo, 0, v1
	v_cndmask_b32_e32 v1, v2, v0, vcc_lo
; %bb.41:
	s_or_b32 exec_lo, exec_lo, s2
	s_mov_b32 s4, 0
	s_branch .LBB563_43
.LBB563_42:
	s_mov_b32 s4, -1
                                        ; implicit-def: $vgpr1
.LBB563_43:
	s_mul_i32 s2, s14, s29
	s_mul_hi_u32 s3, s14, s28
	s_and_not1_b32 vcc_lo, exec_lo, s4
	s_mul_i32 s1, s1, s28
	s_mul_i32 s4, s14, s28
	s_cbranch_vccnz .LBB563_54
; %bb.44:
	s_add_i32 s5, s3, s2
	v_mov_b32_e32 v1, 0
	s_add_i32 s5, s5, s1
	s_delay_alu instid0(SALU_CYCLE_1) | instskip(NEXT) | instid1(SALU_CYCLE_1)
	s_lshl_b64 s[6:7], s[4:5], 1
	s_add_u32 s6, s8, s6
	s_addc_u32 s7, s9, s7
	global_load_u16 v1, v1, s[6:7]
	s_waitcnt vmcnt(0)
	v_lshlrev_b32_e32 v1, 16, v1
	s_delay_alu instid0(VALU_DEP_1) | instskip(NEXT) | instid1(VALU_DEP_1)
	v_mul_f32_e32 v1, s11, v1
	v_and_b32_e32 v2, 0x7f800000, v1
	v_readfirstlane_b32 s5, v1
	s_delay_alu instid0(VALU_DEP_2)
	v_cmp_eq_u32_e32 vcc_lo, 0x7f800000, v2
	s_cbranch_vccnz .LBB563_46
; %bb.45:
	s_delay_alu instid0(VALU_DEP_2) | instskip(SKIP_2) | instid1(SALU_CYCLE_1)
	s_bfe_u32 s6, s5, 0x10010
	s_mov_b32 s7, 0
	s_add_i32 s6, s5, s6
	s_addk_i32 s6, 0x7fff
	s_branch .LBB563_47
.LBB563_46:
	s_mov_b32 s7, -1
                                        ; implicit-def: $sgpr6
.LBB563_47:
	s_delay_alu instid0(SALU_CYCLE_1)
	s_and_not1_b32 vcc_lo, exec_lo, s7
	s_cbranch_vccnz .LBB563_49
; %bb.48:
	s_and_b32 s6, s5, 0xffff
	s_or_b32 s7, s5, 0x10000
	s_cmp_eq_u32 s6, 0
	s_cselect_b32 s6, s5, s7
.LBB563_49:
	s_delay_alu instid0(SALU_CYCLE_1) | instskip(NEXT) | instid1(SALU_CYCLE_1)
	s_and_b32 s5, s6, 0xffff0000
	v_add_f32_e32 v0, s5, v0
	s_delay_alu instid0(VALU_DEP_1) | instskip(NEXT) | instid1(VALU_DEP_1)
	v_and_b32_e32 v1, 0x7f800000, v0
	v_cmp_ne_u32_e32 vcc_lo, 0x7f800000, v1
                                        ; implicit-def: $vgpr1
	s_and_saveexec_b32 s5, vcc_lo
	s_delay_alu instid0(SALU_CYCLE_1)
	s_xor_b32 s5, exec_lo, s5
; %bb.50:
	v_bfe_u32 v1, v0, 16, 1
	s_delay_alu instid0(VALU_DEP_1)
	v_add3_u32 v1, v0, v1, 0x7fff
                                        ; implicit-def: $vgpr0
; %bb.51:
	s_and_not1_saveexec_b32 s5, s5
; %bb.52:
	v_and_b32_e32 v1, 0xffff, v0
	v_or_b32_e32 v2, 0x10000, v0
	s_delay_alu instid0(VALU_DEP_2) | instskip(NEXT) | instid1(VALU_DEP_2)
	v_cmp_eq_u32_e32 vcc_lo, 0, v1
	v_cndmask_b32_e32 v1, v2, v0, vcc_lo
; %bb.53:
	s_or_b32 exec_lo, exec_lo, s5
.LBB563_54:
	s_delay_alu instid0(VALU_DEP_1)
	v_lshrrev_b32_e32 v1, 16, v1
	s_add_i32 s2, s3, s2
	s_or_b32 s10, s10, exec_lo
	s_add_i32 s5, s2, s1
.LBB563_55:
	s_or_b32 exec_lo, exec_lo, s0
	s_and_saveexec_b32 s0, s10
	s_cbranch_execz .LBB563_57
.LBB563_56:
	s_lshl_b64 s[0:1], s[4:5], 1
	v_mov_b32_e32 v0, 0
	s_add_u32 s0, s8, s0
	s_addc_u32 s1, s9, s1
	global_store_b16 v0, v1, s[0:1]
.LBB563_57:
	s_nop 0
	s_sendmsg sendmsg(MSG_DEALLOC_VGPRS)
	s_endpgm
	.section	.rodata,"a",@progbits
	.p2align	6, 0x0
	.amdhsa_kernel _ZL32rocblas_gemvt_warp_reduce_kernelILb0ELi256El16rocblas_bfloat16PKfS0_EviiT3_lPKT2_lT1_lS6_lS7_lS3_lPT4_lS7_li
		.amdhsa_group_segment_fixed_size 128
		.amdhsa_private_segment_fixed_size 0
		.amdhsa_kernarg_size 140
		.amdhsa_user_sgpr_count 14
		.amdhsa_user_sgpr_dispatch_ptr 0
		.amdhsa_user_sgpr_queue_ptr 0
		.amdhsa_user_sgpr_kernarg_segment_ptr 1
		.amdhsa_user_sgpr_dispatch_id 0
		.amdhsa_user_sgpr_private_segment_size 0
		.amdhsa_wavefront_size32 1
		.amdhsa_uses_dynamic_stack 0
		.amdhsa_enable_private_segment 0
		.amdhsa_system_sgpr_workgroup_id_x 1
		.amdhsa_system_sgpr_workgroup_id_y 0
		.amdhsa_system_sgpr_workgroup_id_z 1
		.amdhsa_system_sgpr_workgroup_info 0
		.amdhsa_system_vgpr_workitem_id 0
		.amdhsa_next_free_vgpr 12
		.amdhsa_next_free_sgpr 52
		.amdhsa_reserve_vcc 1
		.amdhsa_float_round_mode_32 0
		.amdhsa_float_round_mode_16_64 0
		.amdhsa_float_denorm_mode_32 3
		.amdhsa_float_denorm_mode_16_64 3
		.amdhsa_dx10_clamp 1
		.amdhsa_ieee_mode 1
		.amdhsa_fp16_overflow 0
		.amdhsa_workgroup_processor_mode 1
		.amdhsa_memory_ordered 1
		.amdhsa_forward_progress 0
		.amdhsa_shared_vgpr_count 0
		.amdhsa_exception_fp_ieee_invalid_op 0
		.amdhsa_exception_fp_denorm_src 0
		.amdhsa_exception_fp_ieee_div_zero 0
		.amdhsa_exception_fp_ieee_overflow 0
		.amdhsa_exception_fp_ieee_underflow 0
		.amdhsa_exception_fp_ieee_inexact 0
		.amdhsa_exception_int_div_zero 0
	.end_amdhsa_kernel
	.section	.text._ZL32rocblas_gemvt_warp_reduce_kernelILb0ELi256El16rocblas_bfloat16PKfS0_EviiT3_lPKT2_lT1_lS6_lS7_lS3_lPT4_lS7_li,"axG",@progbits,_ZL32rocblas_gemvt_warp_reduce_kernelILb0ELi256El16rocblas_bfloat16PKfS0_EviiT3_lPKT2_lT1_lS6_lS7_lS3_lPT4_lS7_li,comdat
.Lfunc_end563:
	.size	_ZL32rocblas_gemvt_warp_reduce_kernelILb0ELi256El16rocblas_bfloat16PKfS0_EviiT3_lPKT2_lT1_lS6_lS7_lS3_lPT4_lS7_li, .Lfunc_end563-_ZL32rocblas_gemvt_warp_reduce_kernelILb0ELi256El16rocblas_bfloat16PKfS0_EviiT3_lPKT2_lT1_lS6_lS7_lS3_lPT4_lS7_li
                                        ; -- End function
	.section	.AMDGPU.csdata,"",@progbits
; Kernel info:
; codeLenInByte = 2208
; NumSgprs: 54
; NumVgprs: 12
; ScratchSize: 0
; MemoryBound: 0
; FloatMode: 240
; IeeeMode: 1
; LDSByteSize: 128 bytes/workgroup (compile time only)
; SGPRBlocks: 6
; VGPRBlocks: 1
; NumSGPRsForWavesPerEU: 54
; NumVGPRsForWavesPerEU: 12
; Occupancy: 16
; WaveLimiterHint : 0
; COMPUTE_PGM_RSRC2:SCRATCH_EN: 0
; COMPUTE_PGM_RSRC2:USER_SGPR: 14
; COMPUTE_PGM_RSRC2:TRAP_HANDLER: 0
; COMPUTE_PGM_RSRC2:TGID_X_EN: 1
; COMPUTE_PGM_RSRC2:TGID_Y_EN: 0
; COMPUTE_PGM_RSRC2:TGID_Z_EN: 1
; COMPUTE_PGM_RSRC2:TIDIG_COMP_CNT: 0
	.section	.text._ZL32rocblas_gemvt_warp_reduce_kernelILb0ELi256Ei16rocblas_bfloat16fS0_EviiT3_lPKT2_lT1_lS4_lS5_lS1_lPT4_lS5_li,"axG",@progbits,_ZL32rocblas_gemvt_warp_reduce_kernelILb0ELi256Ei16rocblas_bfloat16fS0_EviiT3_lPKT2_lT1_lS4_lS5_lS1_lPT4_lS5_li,comdat
	.globl	_ZL32rocblas_gemvt_warp_reduce_kernelILb0ELi256Ei16rocblas_bfloat16fS0_EviiT3_lPKT2_lT1_lS4_lS5_lS1_lPT4_lS5_li ; -- Begin function _ZL32rocblas_gemvt_warp_reduce_kernelILb0ELi256Ei16rocblas_bfloat16fS0_EviiT3_lPKT2_lT1_lS4_lS5_lS1_lPT4_lS5_li
	.p2align	8
	.type	_ZL32rocblas_gemvt_warp_reduce_kernelILb0ELi256Ei16rocblas_bfloat16fS0_EviiT3_lPKT2_lT1_lS4_lS5_lS1_lPT4_lS5_li,@function
_ZL32rocblas_gemvt_warp_reduce_kernelILb0ELi256Ei16rocblas_bfloat16fS0_EviiT3_lPKT2_lT1_lS4_lS5_lS1_lPT4_lS5_li: ; @_ZL32rocblas_gemvt_warp_reduce_kernelILb0ELi256Ei16rocblas_bfloat16fS0_EviiT3_lPKT2_lT1_lS4_lS5_lS1_lPT4_lS5_li
; %bb.0:
	s_clause 0x1
	s_load_b32 s11, s[0:1], 0x8
	s_load_b32 s9, s[0:1], 0x58
	s_mov_b32 s8, 0
	s_waitcnt lgkmcnt(0)
	v_cmp_eq_f32_e64 s2, s11, 0
	v_cmp_eq_f32_e64 s3, s9, 1.0
	s_delay_alu instid0(VALU_DEP_1) | instskip(NEXT) | instid1(SALU_CYCLE_1)
	s_and_b32 s2, s2, s3
	s_and_b32 vcc_lo, exec_lo, s2
	s_cbranch_vccnz .LBB564_56
; %bb.1:
	s_clause 0x2
	s_load_b64 s[2:3], s[0:1], 0x80
	s_load_b128 s[4:7], s[0:1], 0x68
	s_load_b32 s10, s[0:1], 0x78
	s_waitcnt lgkmcnt(0)
	s_mul_i32 s3, s15, s3
	s_mul_hi_u32 s12, s15, s2
	s_mul_i32 s2, s15, s2
	s_add_i32 s3, s12, s3
	v_cmp_neq_f32_e64 s12, s11, 0
	s_lshl_b64 s[2:3], s[2:3], 1
	s_delay_alu instid0(SALU_CYCLE_1) | instskip(SKIP_2) | instid1(SALU_CYCLE_1)
	s_add_u32 s4, s4, s2
	s_addc_u32 s5, s5, s3
	s_lshl_b64 s[2:3], s[6:7], 1
	s_add_u32 s6, s4, s2
	v_cmp_eq_u32_e64 s2, 0, v0
	s_addc_u32 s7, s5, s3
	s_and_b32 vcc_lo, exec_lo, s12
	s_cbranch_vccnz .LBB564_6
; %bb.2:
	s_mov_b32 s3, 0
                                        ; implicit-def: $sgpr13
                                        ; implicit-def: $sgpr4_sgpr5
	s_and_saveexec_b32 s12, s2
	s_cbranch_execz .LBB564_7
; %bb.3:
	v_cmp_eq_f32_e64 s2, s9, 0
	s_mul_i32 s4, s14, s10
	s_mov_b32 s13, 0
	s_ashr_i32 s5, s4, 31
	s_delay_alu instid0(VALU_DEP_1)
	s_and_b32 vcc_lo, exec_lo, s2
	s_cbranch_vccnz .LBB564_12
; %bb.4:
	s_lshl_b64 s[16:17], s[4:5], 1
	v_mov_b32_e32 v1, 0
	s_add_u32 s16, s6, s16
	s_addc_u32 s17, s7, s17
	global_load_u16 v1, v1, s[16:17]
	s_waitcnt vmcnt(0)
	v_lshlrev_b32_e32 v1, 16, v1
	s_delay_alu instid0(VALU_DEP_1) | instskip(NEXT) | instid1(VALU_DEP_1)
	v_mul_f32_e32 v1, s9, v1
	v_and_b32_e32 v2, 0x7f800000, v1
	v_readfirstlane_b32 s2, v1
	s_delay_alu instid0(VALU_DEP_2)
	v_cmp_eq_u32_e32 vcc_lo, 0x7f800000, v2
	s_cbranch_vccnz .LBB564_9
; %bb.5:
	s_delay_alu instid0(VALU_DEP_2) | instskip(NEXT) | instid1(SALU_CYCLE_1)
	s_bfe_u32 s8, s2, 0x10010
	s_add_i32 s8, s2, s8
	s_delay_alu instid0(SALU_CYCLE_1)
	s_addk_i32 s8, 0x7fff
	s_and_not1_b32 vcc_lo, exec_lo, s13
	s_cbranch_vccz .LBB564_10
	s_branch .LBB564_11
.LBB564_6:
                                        ; implicit-def: $sgpr13
                                        ; implicit-def: $sgpr4_sgpr5
	s_cbranch_execz .LBB564_8
	s_branch .LBB564_13
.LBB564_7:
	s_or_b32 exec_lo, exec_lo, s12
	s_delay_alu instid0(SALU_CYCLE_1)
	s_and_b32 vcc_lo, exec_lo, s3
	s_cbranch_vccnz .LBB564_13
.LBB564_8:
	v_mov_b32_e32 v1, s13
	s_and_saveexec_b32 s0, s8
	s_cbranch_execnz .LBB564_55
	s_branch .LBB564_56
.LBB564_9:
                                        ; implicit-def: $sgpr8
.LBB564_10:
	s_delay_alu instid0(VALU_DEP_2)
	s_and_b32 s8, s2, 0xffff
	s_or_b32 s13, s2, 0x10000
	s_cmp_eq_u32 s8, 0
	s_cselect_b32 s8, s2, s13
.LBB564_11:
	s_delay_alu instid0(SALU_CYCLE_1)
	s_lshr_b32 s13, s8, 16
.LBB564_12:
	s_mov_b32 s8, exec_lo
	s_or_b32 exec_lo, exec_lo, s12
	s_delay_alu instid0(SALU_CYCLE_1)
	s_and_b32 vcc_lo, exec_lo, s3
	s_cbranch_vccz .LBB564_8
.LBB564_13:
	s_clause 0x6
	s_load_b64 s[4:5], s[0:1], 0x50
	s_load_b128 s[16:19], s[0:1], 0x30
	s_load_b64 s[12:13], s[0:1], 0x40
	s_load_b32 s3, s[0:1], 0x0
	s_load_b128 s[20:23], s[0:1], 0x18
	s_load_b32 s2, s[0:1], 0x28
	s_load_b32 s1, s[0:1], 0x48
	v_mov_b32_e32 v7, 0
	s_waitcnt lgkmcnt(0)
	s_mul_i32 s0, s15, s5
	s_mul_hi_u32 s5, s15, s4
	s_mul_i32 s4, s15, s4
	s_add_i32 s5, s5, s0
	s_mul_i32 s0, s15, s17
	s_lshl_b64 s[4:5], s[4:5], 1
	s_mul_hi_u32 s17, s15, s16
	s_add_u32 s18, s18, s4
	s_addc_u32 s19, s19, s5
	s_lshl_b64 s[4:5], s[12:13], 1
	v_cmp_gt_i32_e32 vcc_lo, s3, v0
	s_add_u32 s4, s18, s4
	s_mul_i32 s12, s15, s16
	s_addc_u32 s5, s19, s5
	s_add_i32 s13, s17, s0
	v_cndmask_b32_e32 v1, 0, v0, vcc_lo
	s_lshl_b64 s[12:13], s[12:13], 1
	s_mul_i32 s16, s14, s2
	s_add_u32 s0, s20, s12
	s_addc_u32 s15, s21, s13
	s_lshl_b64 s[12:13], s[22:23], 1
	v_lshlrev_b32_e32 v1, 1, v1
	s_add_u32 s0, s0, s12
	s_addc_u32 s2, s15, s13
	s_ashr_i32 s17, s16, 31
	s_delay_alu instid0(SALU_CYCLE_1) | instskip(NEXT) | instid1(SALU_CYCLE_1)
	s_lshl_b64 s[12:13], s[16:17], 1
	s_add_u32 s0, s12, s0
	s_addc_u32 s12, s13, s2
	s_ashr_i32 s2, s3, 31
	v_add_co_u32 v1, s0, s0, v1
	s_lshr_b32 s2, s2, 24
	v_add_co_ci_u32_e64 v2, null, s12, 0, s0
	s_add_i32 s2, s3, s2
	s_mov_b32 s13, 0
	s_and_b32 s2, s2, 0xffffff00
	s_mov_b32 s12, exec_lo
	v_cmpx_gt_i32_e64 s2, v0
	s_cbranch_execz .LBB564_21
; %bb.14:
	v_mul_lo_u32 v3, v0, s1
	v_dual_mov_b32 v7, 0 :: v_dual_mov_b32 v6, v2
	v_dual_mov_b32 v5, v1 :: v_dual_mov_b32 v8, v0
	s_lshl_b32 s15, s1, 8
	s_branch .LBB564_16
.LBB564_15:                             ;   in Loop: Header=BB564_16 Depth=1
	s_or_b32 exec_lo, exec_lo, s0
	v_add_nc_u32_e32 v8, 0x100, v8
	s_delay_alu instid0(VALU_DEP_2) | instskip(SKIP_1) | instid1(VALU_DEP_1)
	v_and_b32_e32 v4, 0xffff0000, v9
	v_add_co_u32 v5, s0, 0x200, v5
	v_add_co_ci_u32_e64 v6, s0, 0, v6, s0
	s_delay_alu instid0(VALU_DEP_4) | instskip(NEXT) | instid1(VALU_DEP_4)
	v_cmp_le_i32_e32 vcc_lo, s2, v8
	v_add_f32_e32 v7, v7, v4
	v_add_nc_u32_e32 v3, s15, v3
	s_or_b32 s13, vcc_lo, s13
	s_delay_alu instid0(SALU_CYCLE_1)
	s_and_not1_b32 exec_lo, exec_lo, s13
	s_cbranch_execz .LBB564_20
.LBB564_16:                             ; =>This Inner Loop Header: Depth=1
	s_delay_alu instid0(VALU_DEP_1) | instskip(NEXT) | instid1(VALU_DEP_1)
	v_ashrrev_i32_e32 v4, 31, v3
	v_lshlrev_b64 v[9:10], 1, v[3:4]
	s_delay_alu instid0(VALU_DEP_1) | instskip(NEXT) | instid1(VALU_DEP_2)
	v_add_co_u32 v9, vcc_lo, s4, v9
	v_add_co_ci_u32_e32 v10, vcc_lo, s5, v10, vcc_lo
	global_load_u16 v4, v[5:6], off
	global_load_u16 v9, v[9:10], off
	s_waitcnt vmcnt(1)
	v_lshlrev_b32_e32 v4, 16, v4
	s_waitcnt vmcnt(0)
	v_lshlrev_b32_e32 v9, 16, v9
	s_delay_alu instid0(VALU_DEP_1) | instskip(NEXT) | instid1(VALU_DEP_1)
	v_mul_f32_e32 v4, v4, v9
	v_and_b32_e32 v9, 0x7f800000, v4
	s_delay_alu instid0(VALU_DEP_1) | instskip(SKIP_1) | instid1(SALU_CYCLE_1)
	v_cmp_ne_u32_e32 vcc_lo, 0x7f800000, v9
                                        ; implicit-def: $vgpr9
	s_and_saveexec_b32 s0, vcc_lo
	s_xor_b32 s0, exec_lo, s0
; %bb.17:                               ;   in Loop: Header=BB564_16 Depth=1
	v_bfe_u32 v9, v4, 16, 1
	s_delay_alu instid0(VALU_DEP_1)
	v_add3_u32 v9, v4, v9, 0x7fff
                                        ; implicit-def: $vgpr4
; %bb.18:                               ;   in Loop: Header=BB564_16 Depth=1
	s_and_not1_saveexec_b32 s0, s0
	s_cbranch_execz .LBB564_15
; %bb.19:                               ;   in Loop: Header=BB564_16 Depth=1
	v_and_b32_e32 v9, 0xffff, v4
	v_or_b32_e32 v10, 0x10000, v4
	s_delay_alu instid0(VALU_DEP_2) | instskip(NEXT) | instid1(VALU_DEP_2)
	v_cmp_eq_u32_e32 vcc_lo, 0, v9
	v_cndmask_b32_e32 v9, v10, v4, vcc_lo
	s_branch .LBB564_15
.LBB564_20:
	s_or_b32 exec_lo, exec_lo, s13
.LBB564_21:
	s_delay_alu instid0(SALU_CYCLE_1) | instskip(SKIP_2) | instid1(VALU_DEP_1)
	s_or_b32 exec_lo, exec_lo, s12
	v_add_nc_u32_e32 v3, s2, v0
	s_mov_b32 s0, exec_lo
	v_cmpx_gt_i32_e64 s3, v3
	s_cbranch_execz .LBB564_27
; %bb.22:
	v_mul_lo_u32 v3, v3, s1
	s_ashr_i32 s3, s2, 31
	s_delay_alu instid0(SALU_CYCLE_1) | instskip(NEXT) | instid1(VALU_DEP_1)
	s_lshl_b64 s[2:3], s[2:3], 1
	v_ashrrev_i32_e32 v4, 31, v3
	s_delay_alu instid0(VALU_DEP_1) | instskip(NEXT) | instid1(VALU_DEP_1)
	v_lshlrev_b64 v[3:4], 1, v[3:4]
	v_add_co_u32 v3, vcc_lo, s4, v3
	s_delay_alu instid0(VALU_DEP_2)
	v_add_co_ci_u32_e32 v4, vcc_lo, s5, v4, vcc_lo
	v_add_co_u32 v1, vcc_lo, v1, s2
	v_add_co_ci_u32_e32 v2, vcc_lo, s3, v2, vcc_lo
	global_load_u16 v3, v[3:4], off
	global_load_u16 v1, v[1:2], off
	s_waitcnt vmcnt(1)
	v_lshlrev_b32_e32 v2, 16, v3
	s_waitcnt vmcnt(0)
	v_lshlrev_b32_e32 v1, 16, v1
	s_delay_alu instid0(VALU_DEP_1) | instskip(NEXT) | instid1(VALU_DEP_1)
	v_mul_f32_e32 v1, v1, v2
	v_and_b32_e32 v2, 0x7f800000, v1
	s_delay_alu instid0(VALU_DEP_1) | instskip(SKIP_1) | instid1(SALU_CYCLE_1)
	v_cmp_ne_u32_e32 vcc_lo, 0x7f800000, v2
                                        ; implicit-def: $vgpr2
	s_and_saveexec_b32 s1, vcc_lo
	s_xor_b32 s1, exec_lo, s1
; %bb.23:
	v_bfe_u32 v2, v1, 16, 1
	s_delay_alu instid0(VALU_DEP_1)
	v_add3_u32 v2, v1, v2, 0x7fff
                                        ; implicit-def: $vgpr1
; %bb.24:
	s_and_not1_saveexec_b32 s1, s1
; %bb.25:
	v_and_b32_e32 v2, 0xffff, v1
	v_or_b32_e32 v3, 0x10000, v1
	s_delay_alu instid0(VALU_DEP_2) | instskip(NEXT) | instid1(VALU_DEP_2)
	v_cmp_eq_u32_e32 vcc_lo, 0, v2
	v_cndmask_b32_e32 v2, v3, v1, vcc_lo
; %bb.26:
	s_or_b32 exec_lo, exec_lo, s1
	s_delay_alu instid0(VALU_DEP_1) | instskip(NEXT) | instid1(VALU_DEP_1)
	v_and_b32_e32 v1, 0xffff0000, v2
	v_add_f32_e32 v7, v7, v1
.LBB564_27:
	s_or_b32 exec_lo, exec_lo, s0
	v_and_b32_e32 v4, 31, v0
	v_cmp_gt_u32_e32 vcc_lo, 32, v0
	s_delay_alu instid0(VALU_DEP_2)
	v_lshlrev_b32_e32 v1, 2, v4
	s_and_saveexec_b32 s0, vcc_lo
	s_cbranch_execz .LBB564_29
; %bb.28:
	v_mov_b32_e32 v2, 0
	ds_store_b32 v1, v2
.LBB564_29:
	s_or_b32 exec_lo, exec_lo, s0
	v_mbcnt_lo_u32_b32 v5, -1, 0
	s_mov_b32 s1, exec_lo
	s_waitcnt lgkmcnt(0)
	s_barrier
	buffer_gl0_inv
	v_cmp_gt_u32_e64 s0, 16, v5
	s_delay_alu instid0(VALU_DEP_1) | instskip(SKIP_1) | instid1(VALU_DEP_2)
	v_cndmask_b32_e64 v2, 0, 1, s0
	v_cmp_gt_u32_e64 s0, 24, v5
	v_lshlrev_b32_e32 v2, 4, v2
	s_delay_alu instid0(VALU_DEP_2) | instskip(SKIP_1) | instid1(VALU_DEP_3)
	v_cndmask_b32_e64 v3, 0, 1, s0
	v_cmp_gt_u32_e64 s0, 28, v5
	v_add_lshl_u32 v2, v2, v5, 2
	ds_bpermute_b32 v2, v2, v7
	s_waitcnt lgkmcnt(0)
	v_dual_add_f32 v6, v7, v2 :: v_dual_lshlrev_b32 v3, 3, v3
	s_delay_alu instid0(VALU_DEP_1) | instskip(SKIP_4) | instid1(VALU_DEP_1)
	v_add_lshl_u32 v3, v3, v5, 2
	v_cndmask_b32_e64 v2, 0, 1, s0
	v_cmp_gt_u32_e64 s0, 30, v5
	ds_bpermute_b32 v3, v3, v6
	v_lshlrev_b32_e32 v2, 2, v2
	v_add_lshl_u32 v2, v2, v5, 2
	s_waitcnt lgkmcnt(0)
	v_add_f32_e32 v6, v6, v3
	v_cndmask_b32_e64 v3, 0, 1, s0
	v_cmp_ne_u32_e64 s0, 31, v5
	s_delay_alu instid0(VALU_DEP_2) | instskip(NEXT) | instid1(VALU_DEP_1)
	v_lshlrev_b32_e32 v3, 1, v3
	v_add_lshl_u32 v3, v3, v5, 2
	s_delay_alu instid0(VALU_DEP_3) | instskip(NEXT) | instid1(VALU_DEP_1)
	v_add_co_ci_u32_e64 v5, s0, 0, v5, s0
	v_lshlrev_b32_e32 v5, 2, v5
	ds_bpermute_b32 v7, v2, v6
	s_waitcnt lgkmcnt(0)
	v_add_f32_e32 v6, v6, v7
	ds_bpermute_b32 v7, v3, v6
	s_waitcnt lgkmcnt(0)
	v_add_f32_e32 v6, v6, v7
	ds_bpermute_b32 v7, v5, v6
	v_cmpx_eq_u32_e32 0, v4
	s_cbranch_execz .LBB564_31
; %bb.30:
	v_lshrrev_b32_e32 v4, 3, v0
	s_waitcnt lgkmcnt(0)
	v_add_f32_e32 v6, v6, v7
	s_delay_alu instid0(VALU_DEP_2)
	v_and_b32_e32 v4, 28, v4
	ds_store_b32 v4, v6
.LBB564_31:
	s_or_b32 exec_lo, exec_lo, s1
	v_mov_b32_e32 v4, 0
	s_mov_b32 s1, exec_lo
	s_waitcnt lgkmcnt(0)
	s_barrier
	buffer_gl0_inv
	v_cmpx_gt_u32_e32 8, v0
	s_cbranch_execz .LBB564_33
; %bb.32:
	ds_load_b32 v4, v1
.LBB564_33:
	s_or_b32 exec_lo, exec_lo, s1
	s_and_saveexec_b32 s0, vcc_lo
	s_cbranch_execz .LBB564_35
; %bb.34:
	s_waitcnt lgkmcnt(0)
	ds_bpermute_b32 v1, v2, v4
	s_waitcnt lgkmcnt(0)
	v_add_f32_e32 v1, v4, v1
	ds_bpermute_b32 v2, v3, v1
	s_waitcnt lgkmcnt(0)
	v_add_f32_e32 v1, v1, v2
	;; [unrolled: 3-line block ×3, first 2 shown]
.LBB564_35:
	s_or_b32 exec_lo, exec_lo, s0
	s_delay_alu instid0(SALU_CYCLE_1)
	s_mov_b32 s0, exec_lo
                                        ; implicit-def: $vgpr1
                                        ; implicit-def: $sgpr4_sgpr5
	v_cmpx_eq_u32_e32 0, v0
	s_cbranch_execz .LBB564_54
; %bb.36:
	v_cmp_eq_f32_e64 s1, s9, 0
	s_waitcnt lgkmcnt(0)
	v_mul_f32_e32 v0, s11, v4
	s_delay_alu instid0(VALU_DEP_2)
	s_and_b32 vcc_lo, exec_lo, s1
	s_cbranch_vccz .LBB564_42
; %bb.37:
	s_delay_alu instid0(VALU_DEP_1) | instskip(NEXT) | instid1(VALU_DEP_1)
	v_and_b32_e32 v1, 0x7f800000, v0
	v_cmp_ne_u32_e32 vcc_lo, 0x7f800000, v1
                                        ; implicit-def: $vgpr1
	s_and_saveexec_b32 s1, vcc_lo
	s_delay_alu instid0(SALU_CYCLE_1)
	s_xor_b32 s1, exec_lo, s1
; %bb.38:
	v_bfe_u32 v1, v0, 16, 1
	s_delay_alu instid0(VALU_DEP_1)
	v_add3_u32 v1, v0, v1, 0x7fff
; %bb.39:
	s_and_not1_saveexec_b32 s1, s1
; %bb.40:
	v_and_b32_e32 v1, 0xffff, v0
	v_or_b32_e32 v2, 0x10000, v0
	s_delay_alu instid0(VALU_DEP_2) | instskip(NEXT) | instid1(VALU_DEP_2)
	v_cmp_eq_u32_e32 vcc_lo, 0, v1
	v_cndmask_b32_e32 v1, v2, v0, vcc_lo
; %bb.41:
	s_or_b32 exec_lo, exec_lo, s1
	s_mul_i32 s4, s14, s10
	s_cbranch_execz .LBB564_43
	s_branch .LBB564_53
.LBB564_42:
                                        ; implicit-def: $vgpr1
	s_mul_i32 s4, s14, s10
.LBB564_43:
	s_delay_alu instid0(SALU_CYCLE_1) | instskip(SKIP_2) | instid1(SALU_CYCLE_1)
	s_ashr_i32 s5, s4, 31
	v_mov_b32_e32 v1, 0
	s_lshl_b64 s[2:3], s[4:5], 1
	s_add_u32 s2, s6, s2
	s_addc_u32 s3, s7, s3
	global_load_u16 v1, v1, s[2:3]
	s_waitcnt vmcnt(0)
	v_lshlrev_b32_e32 v1, 16, v1
	s_delay_alu instid0(VALU_DEP_1) | instskip(NEXT) | instid1(VALU_DEP_1)
	v_mul_f32_e32 v1, s9, v1
	v_and_b32_e32 v2, 0x7f800000, v1
	v_readfirstlane_b32 s1, v1
	s_delay_alu instid0(VALU_DEP_2)
	v_cmp_eq_u32_e32 vcc_lo, 0x7f800000, v2
	s_cbranch_vccnz .LBB564_45
; %bb.44:
	s_delay_alu instid0(VALU_DEP_2) | instskip(SKIP_2) | instid1(SALU_CYCLE_1)
	s_bfe_u32 s2, s1, 0x10010
	s_mov_b32 s3, 0
	s_add_i32 s2, s1, s2
	s_addk_i32 s2, 0x7fff
	s_branch .LBB564_46
.LBB564_45:
	s_mov_b32 s3, -1
                                        ; implicit-def: $sgpr2
.LBB564_46:
	s_delay_alu instid0(SALU_CYCLE_1)
	s_and_not1_b32 vcc_lo, exec_lo, s3
	s_cbranch_vccnz .LBB564_48
; %bb.47:
	s_and_b32 s2, s1, 0xffff
	s_or_b32 s3, s1, 0x10000
	s_cmp_eq_u32 s2, 0
	s_cselect_b32 s2, s1, s3
.LBB564_48:
	s_delay_alu instid0(SALU_CYCLE_1) | instskip(NEXT) | instid1(SALU_CYCLE_1)
	s_and_b32 s1, s2, 0xffff0000
	v_add_f32_e32 v0, s1, v0
	s_delay_alu instid0(VALU_DEP_1) | instskip(NEXT) | instid1(VALU_DEP_1)
	v_and_b32_e32 v1, 0x7f800000, v0
	v_cmp_ne_u32_e32 vcc_lo, 0x7f800000, v1
                                        ; implicit-def: $vgpr1
	s_and_saveexec_b32 s1, vcc_lo
	s_delay_alu instid0(SALU_CYCLE_1)
	s_xor_b32 s1, exec_lo, s1
; %bb.49:
	v_bfe_u32 v1, v0, 16, 1
	s_delay_alu instid0(VALU_DEP_1)
	v_add3_u32 v1, v0, v1, 0x7fff
                                        ; implicit-def: $vgpr0
; %bb.50:
	s_and_not1_saveexec_b32 s1, s1
; %bb.51:
	v_and_b32_e32 v1, 0xffff, v0
	v_or_b32_e32 v2, 0x10000, v0
	s_delay_alu instid0(VALU_DEP_2) | instskip(NEXT) | instid1(VALU_DEP_2)
	v_cmp_eq_u32_e32 vcc_lo, 0, v1
	v_cndmask_b32_e32 v1, v2, v0, vcc_lo
; %bb.52:
	s_or_b32 exec_lo, exec_lo, s1
.LBB564_53:
	s_delay_alu instid0(VALU_DEP_1)
	v_lshrrev_b32_e32 v1, 16, v1
	s_ashr_i32 s5, s4, 31
	s_or_b32 s8, s8, exec_lo
.LBB564_54:
	s_or_b32 exec_lo, exec_lo, s0
	s_and_saveexec_b32 s0, s8
	s_cbranch_execz .LBB564_56
.LBB564_55:
	s_lshl_b64 s[0:1], s[4:5], 1
	v_mov_b32_e32 v0, 0
	s_add_u32 s0, s6, s0
	s_addc_u32 s1, s7, s1
	global_store_b16 v0, v1, s[0:1]
.LBB564_56:
	s_nop 0
	s_sendmsg sendmsg(MSG_DEALLOC_VGPRS)
	s_endpgm
	.section	.rodata,"a",@progbits
	.p2align	6, 0x0
	.amdhsa_kernel _ZL32rocblas_gemvt_warp_reduce_kernelILb0ELi256Ei16rocblas_bfloat16fS0_EviiT3_lPKT2_lT1_lS4_lS5_lS1_lPT4_lS5_li
		.amdhsa_group_segment_fixed_size 128
		.amdhsa_private_segment_fixed_size 0
		.amdhsa_kernarg_size 140
		.amdhsa_user_sgpr_count 14
		.amdhsa_user_sgpr_dispatch_ptr 0
		.amdhsa_user_sgpr_queue_ptr 0
		.amdhsa_user_sgpr_kernarg_segment_ptr 1
		.amdhsa_user_sgpr_dispatch_id 0
		.amdhsa_user_sgpr_private_segment_size 0
		.amdhsa_wavefront_size32 1
		.amdhsa_uses_dynamic_stack 0
		.amdhsa_enable_private_segment 0
		.amdhsa_system_sgpr_workgroup_id_x 1
		.amdhsa_system_sgpr_workgroup_id_y 0
		.amdhsa_system_sgpr_workgroup_id_z 1
		.amdhsa_system_sgpr_workgroup_info 0
		.amdhsa_system_vgpr_workitem_id 0
		.amdhsa_next_free_vgpr 11
		.amdhsa_next_free_sgpr 24
		.amdhsa_reserve_vcc 1
		.amdhsa_float_round_mode_32 0
		.amdhsa_float_round_mode_16_64 0
		.amdhsa_float_denorm_mode_32 3
		.amdhsa_float_denorm_mode_16_64 3
		.amdhsa_dx10_clamp 1
		.amdhsa_ieee_mode 1
		.amdhsa_fp16_overflow 0
		.amdhsa_workgroup_processor_mode 1
		.amdhsa_memory_ordered 1
		.amdhsa_forward_progress 0
		.amdhsa_shared_vgpr_count 0
		.amdhsa_exception_fp_ieee_invalid_op 0
		.amdhsa_exception_fp_denorm_src 0
		.amdhsa_exception_fp_ieee_div_zero 0
		.amdhsa_exception_fp_ieee_overflow 0
		.amdhsa_exception_fp_ieee_underflow 0
		.amdhsa_exception_fp_ieee_inexact 0
		.amdhsa_exception_int_div_zero 0
	.end_amdhsa_kernel
	.section	.text._ZL32rocblas_gemvt_warp_reduce_kernelILb0ELi256Ei16rocblas_bfloat16fS0_EviiT3_lPKT2_lT1_lS4_lS5_lS1_lPT4_lS5_li,"axG",@progbits,_ZL32rocblas_gemvt_warp_reduce_kernelILb0ELi256Ei16rocblas_bfloat16fS0_EviiT3_lPKT2_lT1_lS4_lS5_lS1_lPT4_lS5_li,comdat
.Lfunc_end564:
	.size	_ZL32rocblas_gemvt_warp_reduce_kernelILb0ELi256Ei16rocblas_bfloat16fS0_EviiT3_lPKT2_lT1_lS4_lS5_lS1_lPT4_lS5_li, .Lfunc_end564-_ZL32rocblas_gemvt_warp_reduce_kernelILb0ELi256Ei16rocblas_bfloat16fS0_EviiT3_lPKT2_lT1_lS4_lS5_lS1_lPT4_lS5_li
                                        ; -- End function
	.section	.AMDGPU.csdata,"",@progbits
; Kernel info:
; codeLenInByte = 2068
; NumSgprs: 26
; NumVgprs: 11
; ScratchSize: 0
; MemoryBound: 0
; FloatMode: 240
; IeeeMode: 1
; LDSByteSize: 128 bytes/workgroup (compile time only)
; SGPRBlocks: 3
; VGPRBlocks: 1
; NumSGPRsForWavesPerEU: 26
; NumVGPRsForWavesPerEU: 11
; Occupancy: 16
; WaveLimiterHint : 1
; COMPUTE_PGM_RSRC2:SCRATCH_EN: 0
; COMPUTE_PGM_RSRC2:USER_SGPR: 14
; COMPUTE_PGM_RSRC2:TRAP_HANDLER: 0
; COMPUTE_PGM_RSRC2:TGID_X_EN: 1
; COMPUTE_PGM_RSRC2:TGID_Y_EN: 0
; COMPUTE_PGM_RSRC2:TGID_Z_EN: 1
; COMPUTE_PGM_RSRC2:TIDIG_COMP_CNT: 0
	.section	.text._ZL32rocblas_gemvt_warp_reduce_kernelILb0ELi256El16rocblas_bfloat16fS0_EviiT3_lPKT2_lT1_lS4_lS5_lS1_lPT4_lS5_li,"axG",@progbits,_ZL32rocblas_gemvt_warp_reduce_kernelILb0ELi256El16rocblas_bfloat16fS0_EviiT3_lPKT2_lT1_lS4_lS5_lS1_lPT4_lS5_li,comdat
	.globl	_ZL32rocblas_gemvt_warp_reduce_kernelILb0ELi256El16rocblas_bfloat16fS0_EviiT3_lPKT2_lT1_lS4_lS5_lS1_lPT4_lS5_li ; -- Begin function _ZL32rocblas_gemvt_warp_reduce_kernelILb0ELi256El16rocblas_bfloat16fS0_EviiT3_lPKT2_lT1_lS4_lS5_lS1_lPT4_lS5_li
	.p2align	8
	.type	_ZL32rocblas_gemvt_warp_reduce_kernelILb0ELi256El16rocblas_bfloat16fS0_EviiT3_lPKT2_lT1_lS4_lS5_lS1_lPT4_lS5_li,@function
_ZL32rocblas_gemvt_warp_reduce_kernelILb0ELi256El16rocblas_bfloat16fS0_EviiT3_lPKT2_lT1_lS4_lS5_lS1_lPT4_lS5_li: ; @_ZL32rocblas_gemvt_warp_reduce_kernelILb0ELi256El16rocblas_bfloat16fS0_EviiT3_lPKT2_lT1_lS4_lS5_lS1_lPT4_lS5_li
; %bb.0:
	s_clause 0x1
	s_load_b32 s33, s[0:1], 0x8
	s_load_b32 s13, s[0:1], 0x58
	s_mov_b32 s12, 0
	s_waitcnt lgkmcnt(0)
	v_cmp_eq_f32_e64 s2, s33, 0
	v_cmp_eq_f32_e64 s3, s13, 1.0
	s_delay_alu instid0(VALU_DEP_1) | instskip(NEXT) | instid1(SALU_CYCLE_1)
	s_and_b32 s2, s2, s3
	s_and_b32 vcc_lo, exec_lo, s2
	s_cbranch_vccnz .LBB565_57
; %bb.1:
	s_load_b256 s[4:11], s[0:1], 0x68
	v_cmp_neq_f32_e64 s16, s33, 0
	s_waitcnt lgkmcnt(0)
	s_mul_i32 s3, s15, s11
	s_mul_hi_u32 s11, s15, s10
	s_mul_i32 s2, s15, s10
	s_add_i32 s3, s11, s3
	s_delay_alu instid0(SALU_CYCLE_1) | instskip(NEXT) | instid1(SALU_CYCLE_1)
	s_lshl_b64 s[2:3], s[2:3], 1
	s_add_u32 s4, s4, s2
	s_addc_u32 s5, s5, s3
	s_lshl_b64 s[2:3], s[6:7], 1
	s_delay_alu instid0(SALU_CYCLE_1)
	s_add_u32 s10, s4, s2
	v_cmp_eq_u32_e64 s2, 0, v0
	s_addc_u32 s11, s5, s3
	s_and_b32 vcc_lo, exec_lo, s16
	s_cbranch_vccnz .LBB565_6
; %bb.2:
	s_mov_b32 s3, 0
                                        ; implicit-def: $sgpr7
                                        ; implicit-def: $sgpr4_sgpr5
	s_and_saveexec_b32 s6, s2
	s_cbranch_execz .LBB565_7
; %bb.3:
	v_cmp_eq_f32_e64 s2, s13, 0
	s_mul_i32 s4, s14, s9
	s_mul_hi_u32 s5, s14, s8
	s_ashr_i32 s7, s14, 31
	s_add_i32 s4, s5, s4
	s_mul_i32 s5, s7, s8
	s_mov_b32 s7, 0
	s_add_i32 s5, s4, s5
	s_and_b32 vcc_lo, exec_lo, s2
	s_mul_i32 s4, s14, s8
	s_cbranch_vccnz .LBB565_12
; %bb.4:
	s_lshl_b64 s[16:17], s[4:5], 1
	v_mov_b32_e32 v1, 0
	s_add_u32 s16, s10, s16
	s_addc_u32 s17, s11, s17
	global_load_u16 v1, v1, s[16:17]
	s_waitcnt vmcnt(0)
	v_lshlrev_b32_e32 v1, 16, v1
	s_delay_alu instid0(VALU_DEP_1) | instskip(NEXT) | instid1(VALU_DEP_1)
	v_mul_f32_e32 v1, s13, v1
	v_and_b32_e32 v2, 0x7f800000, v1
	v_readfirstlane_b32 s2, v1
	s_delay_alu instid0(VALU_DEP_2)
	v_cmp_eq_u32_e32 vcc_lo, 0x7f800000, v2
	s_cbranch_vccnz .LBB565_9
; %bb.5:
	s_delay_alu instid0(VALU_DEP_2) | instskip(NEXT) | instid1(SALU_CYCLE_1)
	s_bfe_u32 s7, s2, 0x10010
	s_add_i32 s7, s2, s7
	s_delay_alu instid0(SALU_CYCLE_1)
	s_addk_i32 s7, 0x7fff
	s_and_not1_b32 vcc_lo, exec_lo, s12
	s_cbranch_vccz .LBB565_10
	s_branch .LBB565_11
.LBB565_6:
                                        ; implicit-def: $sgpr7
                                        ; implicit-def: $sgpr4_sgpr5
	s_cbranch_execz .LBB565_8
	s_branch .LBB565_13
.LBB565_7:
	s_or_b32 exec_lo, exec_lo, s6
	s_delay_alu instid0(SALU_CYCLE_1)
	s_and_b32 vcc_lo, exec_lo, s3
	s_cbranch_vccnz .LBB565_13
.LBB565_8:
	v_mov_b32_e32 v1, s7
	s_and_saveexec_b32 s0, s12
	s_cbranch_execnz .LBB565_56
	s_branch .LBB565_57
.LBB565_9:
                                        ; implicit-def: $sgpr7
.LBB565_10:
	s_delay_alu instid0(VALU_DEP_2)
	s_and_b32 s7, s2, 0xffff
	s_or_b32 s12, s2, 0x10000
	s_cmp_eq_u32 s7, 0
	s_cselect_b32 s7, s2, s12
.LBB565_11:
	s_delay_alu instid0(SALU_CYCLE_1)
	s_lshr_b32 s7, s7, 16
.LBB565_12:
	s_mov_b32 s12, exec_lo
	s_or_b32 exec_lo, exec_lo, s6
	s_delay_alu instid0(SALU_CYCLE_1)
	s_and_b32 vcc_lo, exec_lo, s3
	s_cbranch_vccz .LBB565_8
.LBB565_13:
	s_clause 0x1
	s_load_b512 s[16:31], s[0:1], 0x18
	s_load_b32 s5, s[0:1], 0x0
	v_mov_b32_e32 v7, 0
	s_waitcnt lgkmcnt(0)
	s_mul_i32 s1, s15, s23
	s_mul_hi_u32 s4, s15, s22
	s_mul_i32 s0, s15, s22
	s_add_i32 s1, s4, s1
	s_mul_i32 s2, s15, s31
	s_mul_hi_u32 s3, s15, s30
	s_lshl_b64 s[0:1], s[0:1], 1
	s_add_i32 s3, s3, s2
	v_cmp_gt_i32_e32 vcc_lo, s5, v0
	s_add_u32 s2, s16, s0
	s_addc_u32 s6, s17, s1
	s_lshl_b64 s[0:1], s[18:19], 1
	s_mul_i32 s4, s14, s21
	s_add_u32 s0, s2, s0
	s_mul_hi_u32 s7, s14, s20
	s_addc_u32 s2, s6, s1
	s_ashr_i32 s1, s14, 31
	v_cndmask_b32_e32 v1, 0, v0, vcc_lo
	s_add_i32 s4, s7, s4
	s_mul_i32 s7, s1, s20
	s_mul_i32 s6, s14, s20
	s_add_i32 s7, s4, s7
	v_lshlrev_b32_e32 v1, 1, v1
	s_lshl_b64 s[6:7], s[6:7], 1
	s_mov_b32 s16, 0
	s_add_u32 s0, s6, s0
	s_addc_u32 s2, s7, s2
	s_ashr_i32 s4, s5, 31
	v_add_co_u32 v1, s0, s0, v1
	s_lshr_b32 s4, s4, 24
	v_add_co_ci_u32_e64 v2, null, s2, 0, s0
	s_add_i32 s4, s5, s4
	s_mul_i32 s2, s15, s30
	s_and_b32 s4, s4, 0xffffff00
	s_mov_b32 s15, exec_lo
	v_cmpx_gt_i32_e64 s4, v0
	s_cbranch_execz .LBB565_21
; %bb.14:
	v_mad_u64_u32 v[5:6], null, s28, v0, 0
	s_lshl_b64 s[18:19], s[26:27], 1
	s_lshl_b64 s[6:7], s[2:3], 1
	s_add_u32 s0, s24, s18
	s_addc_u32 s17, s25, s19
	s_add_u32 s0, s0, s6
	s_addc_u32 s6, s17, s7
	s_delay_alu instid0(VALU_DEP_1) | instskip(NEXT) | instid1(VALU_DEP_1)
	v_dual_mov_b32 v3, v6 :: v_dual_mov_b32 v8, v0
	v_mad_u64_u32 v[6:7], null, s29, v0, v[3:4]
	v_dual_mov_b32 v7, 0 :: v_dual_mov_b32 v4, v2
	v_mov_b32_e32 v3, v1
	s_delay_alu instid0(VALU_DEP_3) | instskip(NEXT) | instid1(VALU_DEP_1)
	v_lshlrev_b64 v[5:6], 1, v[5:6]
	v_add_co_u32 v5, vcc_lo, s0, v5
	s_delay_alu instid0(VALU_DEP_2)
	v_add_co_ci_u32_e32 v6, vcc_lo, s6, v6, vcc_lo
	s_lshl_b64 s[6:7], s[28:29], 9
	s_set_inst_prefetch_distance 0x1
	s_branch .LBB565_16
	.p2align	6
.LBB565_15:                             ;   in Loop: Header=BB565_16 Depth=1
	s_or_b32 exec_lo, exec_lo, s0
	s_delay_alu instid0(VALU_DEP_1) | instskip(SKIP_3) | instid1(VALU_DEP_4)
	v_and_b32_e32 v9, 0xffff0000, v10
	v_add_nc_u32_e32 v8, 0x100, v8
	v_add_co_u32 v3, vcc_lo, 0x200, v3
	v_add_co_ci_u32_e32 v4, vcc_lo, 0, v4, vcc_lo
	v_add_f32_e32 v7, v7, v9
	s_delay_alu instid0(VALU_DEP_4) | instskip(SKIP_1) | instid1(VALU_DEP_1)
	v_cmp_le_i32_e32 vcc_lo, s4, v8
	v_add_co_u32 v5, s0, v5, s6
	v_add_co_ci_u32_e64 v6, s0, s7, v6, s0
	s_or_b32 s16, vcc_lo, s16
	s_delay_alu instid0(SALU_CYCLE_1)
	s_and_not1_b32 exec_lo, exec_lo, s16
	s_cbranch_execz .LBB565_20
.LBB565_16:                             ; =>This Inner Loop Header: Depth=1
	global_load_u16 v9, v[5:6], off
	global_load_u16 v10, v[3:4], off
	s_waitcnt vmcnt(1)
	v_lshlrev_b32_e32 v9, 16, v9
	s_waitcnt vmcnt(0)
	v_lshlrev_b32_e32 v10, 16, v10
	s_delay_alu instid0(VALU_DEP_1) | instskip(NEXT) | instid1(VALU_DEP_1)
	v_mul_f32_e32 v9, v10, v9
	v_and_b32_e32 v10, 0x7f800000, v9
	s_delay_alu instid0(VALU_DEP_1) | instskip(SKIP_1) | instid1(SALU_CYCLE_1)
	v_cmp_ne_u32_e32 vcc_lo, 0x7f800000, v10
                                        ; implicit-def: $vgpr10
	s_and_saveexec_b32 s0, vcc_lo
	s_xor_b32 s0, exec_lo, s0
; %bb.17:                               ;   in Loop: Header=BB565_16 Depth=1
	v_bfe_u32 v10, v9, 16, 1
	s_delay_alu instid0(VALU_DEP_1)
	v_add3_u32 v10, v9, v10, 0x7fff
                                        ; implicit-def: $vgpr9
; %bb.18:                               ;   in Loop: Header=BB565_16 Depth=1
	s_and_not1_saveexec_b32 s0, s0
	s_cbranch_execz .LBB565_15
; %bb.19:                               ;   in Loop: Header=BB565_16 Depth=1
	v_and_b32_e32 v10, 0xffff, v9
	v_or_b32_e32 v11, 0x10000, v9
	s_delay_alu instid0(VALU_DEP_2) | instskip(NEXT) | instid1(VALU_DEP_2)
	v_cmp_eq_u32_e32 vcc_lo, 0, v10
	v_cndmask_b32_e32 v10, v11, v9, vcc_lo
	s_branch .LBB565_15
.LBB565_20:
	s_set_inst_prefetch_distance 0x2
	s_or_b32 exec_lo, exec_lo, s16
.LBB565_21:
	s_delay_alu instid0(SALU_CYCLE_1) | instskip(SKIP_2) | instid1(VALU_DEP_1)
	s_or_b32 exec_lo, exec_lo, s15
	v_add_nc_u32_e32 v3, s4, v0
	s_mov_b32 s0, exec_lo
	v_cmpx_gt_i32_e64 s5, v3
	s_cbranch_execz .LBB565_27
; %bb.22:
	v_ashrrev_i32_e32 v6, 31, v3
	v_mul_lo_u32 v8, v3, s29
	v_mad_u64_u32 v[4:5], null, v3, s28, 0
	s_lshl_b64 s[2:3], s[2:3], 1
	s_delay_alu instid0(VALU_DEP_3) | instskip(SKIP_3) | instid1(SALU_CYCLE_1)
	v_mul_lo_u32 v3, v6, s28
	s_add_u32 s5, s24, s2
	s_addc_u32 s6, s25, s3
	s_lshl_b64 s[2:3], s[26:27], 1
	s_add_u32 s7, s5, s2
	s_addc_u32 s6, s6, s3
	s_ashr_i32 s5, s4, 31
	s_delay_alu instid0(VALU_DEP_1) | instskip(SKIP_1) | instid1(VALU_DEP_1)
	v_add3_u32 v5, v5, v8, v3
	s_lshl_b64 s[2:3], s[4:5], 1
	v_lshlrev_b64 v[3:4], 1, v[4:5]
	s_delay_alu instid0(VALU_DEP_1) | instskip(NEXT) | instid1(VALU_DEP_2)
	v_add_co_u32 v3, vcc_lo, s7, v3
	v_add_co_ci_u32_e32 v4, vcc_lo, s6, v4, vcc_lo
	v_add_co_u32 v1, vcc_lo, v1, s2
	v_add_co_ci_u32_e32 v2, vcc_lo, s3, v2, vcc_lo
	global_load_u16 v3, v[3:4], off
	global_load_u16 v1, v[1:2], off
	s_waitcnt vmcnt(1)
	v_lshlrev_b32_e32 v2, 16, v3
	s_waitcnt vmcnt(0)
	v_lshlrev_b32_e32 v1, 16, v1
	s_delay_alu instid0(VALU_DEP_1) | instskip(NEXT) | instid1(VALU_DEP_1)
	v_mul_f32_e32 v1, v1, v2
	v_and_b32_e32 v2, 0x7f800000, v1
	s_delay_alu instid0(VALU_DEP_1) | instskip(SKIP_1) | instid1(SALU_CYCLE_1)
	v_cmp_ne_u32_e32 vcc_lo, 0x7f800000, v2
                                        ; implicit-def: $vgpr2
	s_and_saveexec_b32 s2, vcc_lo
	s_xor_b32 s2, exec_lo, s2
; %bb.23:
	v_bfe_u32 v2, v1, 16, 1
	s_delay_alu instid0(VALU_DEP_1)
	v_add3_u32 v2, v1, v2, 0x7fff
                                        ; implicit-def: $vgpr1
; %bb.24:
	s_and_not1_saveexec_b32 s2, s2
; %bb.25:
	v_and_b32_e32 v2, 0xffff, v1
	v_or_b32_e32 v3, 0x10000, v1
	s_delay_alu instid0(VALU_DEP_2) | instskip(NEXT) | instid1(VALU_DEP_2)
	v_cmp_eq_u32_e32 vcc_lo, 0, v2
	v_cndmask_b32_e32 v2, v3, v1, vcc_lo
; %bb.26:
	s_or_b32 exec_lo, exec_lo, s2
	s_delay_alu instid0(VALU_DEP_1) | instskip(NEXT) | instid1(VALU_DEP_1)
	v_and_b32_e32 v1, 0xffff0000, v2
	v_add_f32_e32 v7, v7, v1
.LBB565_27:
	s_or_b32 exec_lo, exec_lo, s0
	v_and_b32_e32 v4, 31, v0
	v_cmp_gt_u32_e32 vcc_lo, 32, v0
	s_delay_alu instid0(VALU_DEP_2)
	v_lshlrev_b32_e32 v1, 2, v4
	s_and_saveexec_b32 s0, vcc_lo
	s_cbranch_execz .LBB565_29
; %bb.28:
	v_mov_b32_e32 v2, 0
	ds_store_b32 v1, v2
.LBB565_29:
	s_or_b32 exec_lo, exec_lo, s0
	v_mbcnt_lo_u32_b32 v5, -1, 0
	s_mov_b32 s2, exec_lo
	s_waitcnt lgkmcnt(0)
	s_barrier
	buffer_gl0_inv
	v_cmp_gt_u32_e64 s0, 16, v5
	s_delay_alu instid0(VALU_DEP_1) | instskip(SKIP_1) | instid1(VALU_DEP_2)
	v_cndmask_b32_e64 v2, 0, 1, s0
	v_cmp_gt_u32_e64 s0, 24, v5
	v_lshlrev_b32_e32 v2, 4, v2
	s_delay_alu instid0(VALU_DEP_2) | instskip(SKIP_1) | instid1(VALU_DEP_3)
	v_cndmask_b32_e64 v3, 0, 1, s0
	v_cmp_gt_u32_e64 s0, 28, v5
	v_add_lshl_u32 v2, v2, v5, 2
	ds_bpermute_b32 v2, v2, v7
	s_waitcnt lgkmcnt(0)
	v_dual_add_f32 v6, v7, v2 :: v_dual_lshlrev_b32 v3, 3, v3
	s_delay_alu instid0(VALU_DEP_1) | instskip(SKIP_4) | instid1(VALU_DEP_1)
	v_add_lshl_u32 v3, v3, v5, 2
	v_cndmask_b32_e64 v2, 0, 1, s0
	v_cmp_gt_u32_e64 s0, 30, v5
	ds_bpermute_b32 v3, v3, v6
	v_lshlrev_b32_e32 v2, 2, v2
	v_add_lshl_u32 v2, v2, v5, 2
	s_waitcnt lgkmcnt(0)
	v_add_f32_e32 v6, v6, v3
	v_cndmask_b32_e64 v3, 0, 1, s0
	v_cmp_ne_u32_e64 s0, 31, v5
	s_delay_alu instid0(VALU_DEP_2) | instskip(NEXT) | instid1(VALU_DEP_1)
	v_lshlrev_b32_e32 v3, 1, v3
	v_add_lshl_u32 v3, v3, v5, 2
	s_delay_alu instid0(VALU_DEP_3) | instskip(NEXT) | instid1(VALU_DEP_1)
	v_add_co_ci_u32_e64 v5, s0, 0, v5, s0
	v_lshlrev_b32_e32 v5, 2, v5
	ds_bpermute_b32 v7, v2, v6
	s_waitcnt lgkmcnt(0)
	v_add_f32_e32 v6, v6, v7
	ds_bpermute_b32 v7, v3, v6
	s_waitcnt lgkmcnt(0)
	v_add_f32_e32 v6, v6, v7
	ds_bpermute_b32 v7, v5, v6
	v_cmpx_eq_u32_e32 0, v4
	s_cbranch_execz .LBB565_31
; %bb.30:
	v_lshrrev_b32_e32 v4, 3, v0
	s_waitcnt lgkmcnt(0)
	v_add_f32_e32 v6, v6, v7
	s_delay_alu instid0(VALU_DEP_2)
	v_and_b32_e32 v4, 28, v4
	ds_store_b32 v4, v6
.LBB565_31:
	s_or_b32 exec_lo, exec_lo, s2
	v_mov_b32_e32 v4, 0
	s_mov_b32 s2, exec_lo
	s_waitcnt lgkmcnt(0)
	s_barrier
	buffer_gl0_inv
	v_cmpx_gt_u32_e32 8, v0
	s_cbranch_execz .LBB565_33
; %bb.32:
	ds_load_b32 v4, v1
.LBB565_33:
	s_or_b32 exec_lo, exec_lo, s2
	s_and_saveexec_b32 s0, vcc_lo
	s_cbranch_execz .LBB565_35
; %bb.34:
	s_waitcnt lgkmcnt(0)
	ds_bpermute_b32 v1, v2, v4
	s_waitcnt lgkmcnt(0)
	v_add_f32_e32 v1, v4, v1
	ds_bpermute_b32 v2, v3, v1
	s_waitcnt lgkmcnt(0)
	v_add_f32_e32 v1, v1, v2
	;; [unrolled: 3-line block ×3, first 2 shown]
.LBB565_35:
	s_or_b32 exec_lo, exec_lo, s0
	s_delay_alu instid0(SALU_CYCLE_1)
	s_mov_b32 s0, exec_lo
                                        ; implicit-def: $vgpr1
                                        ; implicit-def: $sgpr4_sgpr5
	v_cmpx_eq_u32_e32 0, v0
	s_cbranch_execz .LBB565_55
; %bb.36:
	v_cmp_eq_f32_e64 s2, s13, 0
	s_waitcnt lgkmcnt(0)
	v_mul_f32_e32 v0, s33, v4
	s_delay_alu instid0(VALU_DEP_2)
	s_and_b32 vcc_lo, exec_lo, s2
	s_cbranch_vccz .LBB565_42
; %bb.37:
	s_delay_alu instid0(VALU_DEP_1) | instskip(NEXT) | instid1(VALU_DEP_1)
	v_and_b32_e32 v1, 0x7f800000, v0
	v_cmp_ne_u32_e32 vcc_lo, 0x7f800000, v1
                                        ; implicit-def: $vgpr1
	s_and_saveexec_b32 s2, vcc_lo
	s_delay_alu instid0(SALU_CYCLE_1)
	s_xor_b32 s2, exec_lo, s2
; %bb.38:
	v_bfe_u32 v1, v0, 16, 1
	s_delay_alu instid0(VALU_DEP_1)
	v_add3_u32 v1, v0, v1, 0x7fff
; %bb.39:
	s_and_not1_saveexec_b32 s2, s2
; %bb.40:
	v_and_b32_e32 v1, 0xffff, v0
	v_or_b32_e32 v2, 0x10000, v0
	s_delay_alu instid0(VALU_DEP_2) | instskip(NEXT) | instid1(VALU_DEP_2)
	v_cmp_eq_u32_e32 vcc_lo, 0, v1
	v_cndmask_b32_e32 v1, v2, v0, vcc_lo
; %bb.41:
	s_or_b32 exec_lo, exec_lo, s2
	s_mov_b32 s4, 0
	s_branch .LBB565_43
.LBB565_42:
	s_mov_b32 s4, -1
                                        ; implicit-def: $vgpr1
.LBB565_43:
	s_mul_i32 s2, s14, s9
	s_mul_hi_u32 s3, s14, s8
	s_and_not1_b32 vcc_lo, exec_lo, s4
	s_mul_i32 s1, s1, s8
	s_mul_i32 s4, s14, s8
	s_cbranch_vccnz .LBB565_54
; %bb.44:
	s_add_i32 s5, s3, s2
	v_mov_b32_e32 v1, 0
	s_add_i32 s5, s5, s1
	s_delay_alu instid0(SALU_CYCLE_1) | instskip(NEXT) | instid1(SALU_CYCLE_1)
	s_lshl_b64 s[6:7], s[4:5], 1
	s_add_u32 s6, s10, s6
	s_addc_u32 s7, s11, s7
	global_load_u16 v1, v1, s[6:7]
	s_waitcnt vmcnt(0)
	v_lshlrev_b32_e32 v1, 16, v1
	s_delay_alu instid0(VALU_DEP_1) | instskip(NEXT) | instid1(VALU_DEP_1)
	v_mul_f32_e32 v1, s13, v1
	v_and_b32_e32 v2, 0x7f800000, v1
	v_readfirstlane_b32 s5, v1
	s_delay_alu instid0(VALU_DEP_2)
	v_cmp_eq_u32_e32 vcc_lo, 0x7f800000, v2
	s_cbranch_vccnz .LBB565_46
; %bb.45:
	s_delay_alu instid0(VALU_DEP_2) | instskip(SKIP_2) | instid1(SALU_CYCLE_1)
	s_bfe_u32 s6, s5, 0x10010
	s_mov_b32 s7, 0
	s_add_i32 s6, s5, s6
	s_addk_i32 s6, 0x7fff
	s_branch .LBB565_47
.LBB565_46:
	s_mov_b32 s7, -1
                                        ; implicit-def: $sgpr6
.LBB565_47:
	s_delay_alu instid0(SALU_CYCLE_1)
	s_and_not1_b32 vcc_lo, exec_lo, s7
	s_cbranch_vccnz .LBB565_49
; %bb.48:
	s_and_b32 s6, s5, 0xffff
	s_or_b32 s7, s5, 0x10000
	s_cmp_eq_u32 s6, 0
	s_cselect_b32 s6, s5, s7
.LBB565_49:
	s_delay_alu instid0(SALU_CYCLE_1) | instskip(NEXT) | instid1(SALU_CYCLE_1)
	s_and_b32 s5, s6, 0xffff0000
	v_add_f32_e32 v0, s5, v0
	s_delay_alu instid0(VALU_DEP_1) | instskip(NEXT) | instid1(VALU_DEP_1)
	v_and_b32_e32 v1, 0x7f800000, v0
	v_cmp_ne_u32_e32 vcc_lo, 0x7f800000, v1
                                        ; implicit-def: $vgpr1
	s_and_saveexec_b32 s5, vcc_lo
	s_delay_alu instid0(SALU_CYCLE_1)
	s_xor_b32 s5, exec_lo, s5
; %bb.50:
	v_bfe_u32 v1, v0, 16, 1
	s_delay_alu instid0(VALU_DEP_1)
	v_add3_u32 v1, v0, v1, 0x7fff
                                        ; implicit-def: $vgpr0
; %bb.51:
	s_and_not1_saveexec_b32 s5, s5
; %bb.52:
	v_and_b32_e32 v1, 0xffff, v0
	v_or_b32_e32 v2, 0x10000, v0
	s_delay_alu instid0(VALU_DEP_2) | instskip(NEXT) | instid1(VALU_DEP_2)
	v_cmp_eq_u32_e32 vcc_lo, 0, v1
	v_cndmask_b32_e32 v1, v2, v0, vcc_lo
; %bb.53:
	s_or_b32 exec_lo, exec_lo, s5
.LBB565_54:
	s_delay_alu instid0(VALU_DEP_1)
	v_lshrrev_b32_e32 v1, 16, v1
	s_add_i32 s2, s3, s2
	s_or_b32 s12, s12, exec_lo
	s_add_i32 s5, s2, s1
.LBB565_55:
	s_or_b32 exec_lo, exec_lo, s0
	s_and_saveexec_b32 s0, s12
	s_cbranch_execz .LBB565_57
.LBB565_56:
	s_lshl_b64 s[0:1], s[4:5], 1
	v_mov_b32_e32 v0, 0
	s_add_u32 s0, s10, s0
	s_addc_u32 s1, s11, s1
	global_store_b16 v0, v1, s[0:1]
.LBB565_57:
	s_nop 0
	s_sendmsg sendmsg(MSG_DEALLOC_VGPRS)
	s_endpgm
	.section	.rodata,"a",@progbits
	.p2align	6, 0x0
	.amdhsa_kernel _ZL32rocblas_gemvt_warp_reduce_kernelILb0ELi256El16rocblas_bfloat16fS0_EviiT3_lPKT2_lT1_lS4_lS5_lS1_lPT4_lS5_li
		.amdhsa_group_segment_fixed_size 128
		.amdhsa_private_segment_fixed_size 0
		.amdhsa_kernarg_size 140
		.amdhsa_user_sgpr_count 14
		.amdhsa_user_sgpr_dispatch_ptr 0
		.amdhsa_user_sgpr_queue_ptr 0
		.amdhsa_user_sgpr_kernarg_segment_ptr 1
		.amdhsa_user_sgpr_dispatch_id 0
		.amdhsa_user_sgpr_private_segment_size 0
		.amdhsa_wavefront_size32 1
		.amdhsa_uses_dynamic_stack 0
		.amdhsa_enable_private_segment 0
		.amdhsa_system_sgpr_workgroup_id_x 1
		.amdhsa_system_sgpr_workgroup_id_y 0
		.amdhsa_system_sgpr_workgroup_id_z 1
		.amdhsa_system_sgpr_workgroup_info 0
		.amdhsa_system_vgpr_workitem_id 0
		.amdhsa_next_free_vgpr 12
		.amdhsa_next_free_sgpr 34
		.amdhsa_reserve_vcc 1
		.amdhsa_float_round_mode_32 0
		.amdhsa_float_round_mode_16_64 0
		.amdhsa_float_denorm_mode_32 3
		.amdhsa_float_denorm_mode_16_64 3
		.amdhsa_dx10_clamp 1
		.amdhsa_ieee_mode 1
		.amdhsa_fp16_overflow 0
		.amdhsa_workgroup_processor_mode 1
		.amdhsa_memory_ordered 1
		.amdhsa_forward_progress 0
		.amdhsa_shared_vgpr_count 0
		.amdhsa_exception_fp_ieee_invalid_op 0
		.amdhsa_exception_fp_denorm_src 0
		.amdhsa_exception_fp_ieee_div_zero 0
		.amdhsa_exception_fp_ieee_overflow 0
		.amdhsa_exception_fp_ieee_underflow 0
		.amdhsa_exception_fp_ieee_inexact 0
		.amdhsa_exception_int_div_zero 0
	.end_amdhsa_kernel
	.section	.text._ZL32rocblas_gemvt_warp_reduce_kernelILb0ELi256El16rocblas_bfloat16fS0_EviiT3_lPKT2_lT1_lS4_lS5_lS1_lPT4_lS5_li,"axG",@progbits,_ZL32rocblas_gemvt_warp_reduce_kernelILb0ELi256El16rocblas_bfloat16fS0_EviiT3_lPKT2_lT1_lS4_lS5_lS1_lPT4_lS5_li,comdat
.Lfunc_end565:
	.size	_ZL32rocblas_gemvt_warp_reduce_kernelILb0ELi256El16rocblas_bfloat16fS0_EviiT3_lPKT2_lT1_lS4_lS5_lS1_lPT4_lS5_li, .Lfunc_end565-_ZL32rocblas_gemvt_warp_reduce_kernelILb0ELi256El16rocblas_bfloat16fS0_EviiT3_lPKT2_lT1_lS4_lS5_lS1_lPT4_lS5_li
                                        ; -- End function
	.section	.AMDGPU.csdata,"",@progbits
; Kernel info:
; codeLenInByte = 2148
; NumSgprs: 36
; NumVgprs: 12
; ScratchSize: 0
; MemoryBound: 0
; FloatMode: 240
; IeeeMode: 1
; LDSByteSize: 128 bytes/workgroup (compile time only)
; SGPRBlocks: 4
; VGPRBlocks: 1
; NumSGPRsForWavesPerEU: 36
; NumVGPRsForWavesPerEU: 12
; Occupancy: 16
; WaveLimiterHint : 1
; COMPUTE_PGM_RSRC2:SCRATCH_EN: 0
; COMPUTE_PGM_RSRC2:USER_SGPR: 14
; COMPUTE_PGM_RSRC2:TRAP_HANDLER: 0
; COMPUTE_PGM_RSRC2:TGID_X_EN: 1
; COMPUTE_PGM_RSRC2:TGID_Y_EN: 0
; COMPUTE_PGM_RSRC2:TGID_Z_EN: 1
; COMPUTE_PGM_RSRC2:TIDIG_COMP_CNT: 0
	.section	.text._ZL20rocblas_gemvt_kernelILb0ELi256E16rocblas_bfloat16PKfS0_EviiT2_lPKT1_lilS6_lilS3_lPT3_lili,"axG",@progbits,_ZL20rocblas_gemvt_kernelILb0ELi256E16rocblas_bfloat16PKfS0_EviiT2_lPKT1_lilS6_lilS3_lPT3_lili,comdat
	.globl	_ZL20rocblas_gemvt_kernelILb0ELi256E16rocblas_bfloat16PKfS0_EviiT2_lPKT1_lilS6_lilS3_lPT3_lili ; -- Begin function _ZL20rocblas_gemvt_kernelILb0ELi256E16rocblas_bfloat16PKfS0_EviiT2_lPKT1_lilS6_lilS3_lPT3_lili
	.p2align	8
	.type	_ZL20rocblas_gemvt_kernelILb0ELi256E16rocblas_bfloat16PKfS0_EviiT2_lPKT1_lilS6_lilS3_lPT3_lili,@function
_ZL20rocblas_gemvt_kernelILb0ELi256E16rocblas_bfloat16PKfS0_EviiT2_lPKT1_lilS6_lilS3_lPT3_lili: ; @_ZL20rocblas_gemvt_kernelILb0ELi256E16rocblas_bfloat16PKfS0_EviiT2_lPKT1_lilS6_lilS3_lPT3_lili
; %bb.0:
	s_clause 0x1
	s_load_b256 s[16:23], s[0:1], 0x8
	s_load_b256 s[4:11], s[0:1], 0x50
	s_waitcnt lgkmcnt(0)
	s_mul_i32 s3, s15, s19
	s_mul_hi_u32 s12, s15, s18
	s_mul_i32 s2, s15, s18
	s_add_i32 s3, s12, s3
	s_mul_i32 s9, s15, s9
	s_lshl_b64 s[2:3], s[2:3], 2
	s_mul_hi_u32 s12, s15, s8
	s_add_u32 s2, s16, s2
	s_addc_u32 s3, s17, s3
	s_add_i32 s9, s12, s9
	s_mul_i32 s8, s15, s8
	s_mov_b32 s16, 0
	s_lshl_b64 s[8:9], s[8:9], 2
	s_delay_alu instid0(SALU_CYCLE_1)
	s_add_u32 s6, s6, s8
	s_addc_u32 s7, s7, s9
	s_load_b32 s19, s[2:3], 0x0
	s_load_b32 s17, s[6:7], 0x0
	s_waitcnt lgkmcnt(0)
	v_cmp_eq_f32_e64 s2, s19, 0
	v_cmp_eq_f32_e64 s3, s17, 1.0
	s_delay_alu instid0(VALU_DEP_1) | instskip(NEXT) | instid1(SALU_CYCLE_1)
	s_and_b32 s2, s2, s3
	s_and_b32 vcc_lo, exec_lo, s2
	s_cbranch_vccnz .LBB566_64
; %bb.1:
	s_clause 0x2
	s_load_b64 s[2:3], s[0:1], 0x80
	s_load_b64 s[6:7], s[0:1], 0x70
	s_load_b32 s18, s[0:1], 0x78
	s_waitcnt lgkmcnt(0)
	s_mul_i32 s3, s15, s3
	s_mul_hi_u32 s8, s15, s2
	s_mul_i32 s2, s15, s2
	s_add_i32 s3, s8, s3
	v_cmp_neq_f32_e64 s8, s19, 0
	s_lshl_b64 s[2:3], s[2:3], 1
	s_delay_alu instid0(SALU_CYCLE_1) | instskip(SKIP_2) | instid1(SALU_CYCLE_1)
	s_add_u32 s9, s10, s2
	s_addc_u32 s10, s11, s3
	s_lshl_b64 s[2:3], s[6:7], 1
	s_add_u32 s12, s9, s2
	v_cmp_eq_u32_e64 s2, 0, v0
	s_addc_u32 s13, s10, s3
	s_and_b32 vcc_lo, exec_lo, s8
	s_cbranch_vccnz .LBB566_6
; %bb.2:
	s_mov_b32 s3, 0
                                        ; implicit-def: $sgpr8
                                        ; implicit-def: $sgpr6_sgpr7
	s_and_saveexec_b32 s9, s2
	s_cbranch_execz .LBB566_7
; %bb.3:
	v_cmp_eq_f32_e64 s2, s17, 0
	s_mov_b32 s8, 0
	s_mul_hi_i32 s7, s18, s14
	s_mul_i32 s6, s18, s14
	s_delay_alu instid0(VALU_DEP_1)
	s_and_b32 vcc_lo, exec_lo, s2
	s_cbranch_vccnz .LBB566_11
; %bb.4:
	s_lshl_b64 s[10:11], s[6:7], 1
	v_mov_b32_e32 v1, 0
	s_add_u32 s10, s12, s10
	s_addc_u32 s11, s13, s11
	global_load_u16 v1, v1, s[10:11]
	s_waitcnt vmcnt(0)
	v_lshlrev_b32_e32 v1, 16, v1
	s_delay_alu instid0(VALU_DEP_1) | instskip(NEXT) | instid1(VALU_DEP_1)
	v_mul_f32_e32 v1, s17, v1
	v_and_b32_e32 v2, 0x7f800000, v1
	v_readfirstlane_b32 s2, v1
	s_delay_alu instid0(VALU_DEP_2)
	v_cmp_eq_u32_e32 vcc_lo, 0x7f800000, v2
	s_cbranch_vccnz .LBB566_8
; %bb.5:
	s_delay_alu instid0(VALU_DEP_2) | instskip(NEXT) | instid1(SALU_CYCLE_1)
	s_bfe_u32 s8, s2, 0x10010
	s_add_i32 s8, s2, s8
	s_delay_alu instid0(SALU_CYCLE_1)
	s_addk_i32 s8, 0x7fff
	s_cbranch_execz .LBB566_9
	s_branch .LBB566_10
.LBB566_6:
                                        ; implicit-def: $sgpr8
                                        ; implicit-def: $sgpr6_sgpr7
	s_cbranch_execnz .LBB566_12
	s_branch .LBB566_62
.LBB566_7:
	s_or_b32 exec_lo, exec_lo, s9
	s_delay_alu instid0(SALU_CYCLE_1)
	s_and_b32 vcc_lo, exec_lo, s3
	s_cbranch_vccnz .LBB566_12
	s_branch .LBB566_62
.LBB566_8:
                                        ; implicit-def: $sgpr8
.LBB566_9:
	s_delay_alu instid0(VALU_DEP_2)
	s_and_b32 s8, s2, 0xffff
	s_or_b32 s10, s2, 0x10000
	s_cmp_eq_u32 s8, 0
	s_cselect_b32 s8, s2, s10
.LBB566_10:
	s_delay_alu instid0(SALU_CYCLE_1)
	s_lshr_b32 s8, s8, 16
.LBB566_11:
	s_mov_b32 s16, exec_lo
	s_or_b32 exec_lo, exec_lo, s9
	s_delay_alu instid0(SALU_CYCLE_1)
	s_and_b32 vcc_lo, exec_lo, s3
	s_cbranch_vccz .LBB566_62
.LBB566_12:
	s_clause 0x3
	s_load_b128 s[8:11], s[0:1], 0x30
	s_load_b32 s24, s[0:1], 0x0
	s_load_b32 s7, s[0:1], 0x28
	s_load_b64 s[2:3], s[0:1], 0x40
	s_mul_i32 s5, s15, s5
	s_mul_hi_u32 s25, s15, s4
	s_load_b32 s6, s[0:1], 0x48
	s_add_i32 s1, s25, s5
	v_mov_b32_e32 v7, 0
	s_waitcnt lgkmcnt(0)
	s_mul_i32 s0, s15, s9
	s_mul_hi_u32 s5, s15, s8
	v_cmp_gt_i32_e32 vcc_lo, s24, v0
	s_mul_i32 s8, s15, s8
	s_add_i32 s9, s5, s0
	s_mul_hi_i32 s27, s7, s14
	s_lshl_b64 s[8:9], s[8:9], 1
	v_cndmask_b32_e32 v1, 0, v0, vcc_lo
	s_add_u32 s0, s20, s8
	s_addc_u32 s5, s21, s9
	s_lshl_b64 s[8:9], s[22:23], 1
	s_mul_i32 s26, s7, s14
	s_add_u32 s7, s0, s8
	s_addc_u32 s5, s5, s9
	s_lshl_b64 s[8:9], s[26:27], 1
	v_lshlrev_b32_e32 v1, 1, v1
	s_mul_i32 s0, s15, s4
	s_add_u32 s4, s8, s7
	s_addc_u32 s5, s9, s5
	s_ashr_i32 s7, s24, 31
	v_add_co_u32 v1, s4, s4, v1
	s_lshr_b32 s7, s7, 24
	v_add_co_ci_u32_e64 v2, null, s5, 0, s4
	s_add_i32 s7, s24, s7
	s_mov_b32 s5, 0
	s_and_b32 s4, s7, 0xffffff00
	s_cmpk_lt_i32 s24, 0x100
	s_cbranch_scc1 .LBB566_19
; %bb.13:
	v_mad_i64_i32 v[3:4], null, s6, v0, 0
	s_lshl_b64 s[20:21], s[2:3], 1
	s_ashr_i32 s7, s6, 31
	s_lshl_b64 s[8:9], s[0:1], 1
	s_add_u32 s15, s10, s20
	s_addc_u32 s20, s11, s21
	s_add_u32 s8, s15, s8
	s_delay_alu instid0(VALU_DEP_1) | instskip(SKIP_3) | instid1(VALU_DEP_3)
	v_lshlrev_b64 v[3:4], 1, v[3:4]
	s_addc_u32 s9, s20, s9
	v_dual_mov_b32 v7, 0 :: v_dual_mov_b32 v6, v2
	v_mov_b32_e32 v5, v1
	v_add_co_u32 v3, vcc_lo, s8, v3
	s_delay_alu instid0(VALU_DEP_4)
	v_add_co_ci_u32_e32 v4, vcc_lo, s9, v4, vcc_lo
	s_lshl_b64 s[8:9], s[6:7], 9
	s_set_inst_prefetch_distance 0x1
	s_branch .LBB566_15
	.p2align	6
.LBB566_14:                             ;   in Loop: Header=BB566_15 Depth=1
	s_or_b32 exec_lo, exec_lo, s7
	s_delay_alu instid0(VALU_DEP_1) | instskip(SKIP_3) | instid1(VALU_DEP_4)
	v_and_b32_e32 v8, 0xffff0000, v9
	v_add_co_u32 v3, vcc_lo, v3, s8
	v_add_co_ci_u32_e32 v4, vcc_lo, s9, v4, vcc_lo
	v_add_co_u32 v5, vcc_lo, 0x200, v5
	v_add_f32_e32 v7, v7, v8
	v_add_co_ci_u32_e32 v6, vcc_lo, 0, v6, vcc_lo
	s_addk_i32 s5, 0x100
	s_delay_alu instid0(SALU_CYCLE_1)
	s_cmp_ge_i32 s5, s4
	s_cbranch_scc1 .LBB566_19
.LBB566_15:                             ; =>This Inner Loop Header: Depth=1
	global_load_u16 v8, v[3:4], off
	global_load_u16 v9, v[5:6], off
	s_waitcnt vmcnt(1)
	v_lshlrev_b32_e32 v8, 16, v8
	s_waitcnt vmcnt(0)
	v_lshlrev_b32_e32 v9, 16, v9
	s_delay_alu instid0(VALU_DEP_1) | instskip(NEXT) | instid1(VALU_DEP_1)
	v_mul_f32_e32 v8, v9, v8
	v_and_b32_e32 v9, 0x7f800000, v8
	s_delay_alu instid0(VALU_DEP_1) | instskip(SKIP_1) | instid1(SALU_CYCLE_1)
	v_cmp_ne_u32_e32 vcc_lo, 0x7f800000, v9
                                        ; implicit-def: $vgpr9
	s_and_saveexec_b32 s7, vcc_lo
	s_xor_b32 s7, exec_lo, s7
; %bb.16:                               ;   in Loop: Header=BB566_15 Depth=1
	v_bfe_u32 v9, v8, 16, 1
	s_delay_alu instid0(VALU_DEP_1)
	v_add3_u32 v9, v8, v9, 0x7fff
                                        ; implicit-def: $vgpr8
; %bb.17:                               ;   in Loop: Header=BB566_15 Depth=1
	s_and_not1_saveexec_b32 s7, s7
	s_cbranch_execz .LBB566_14
; %bb.18:                               ;   in Loop: Header=BB566_15 Depth=1
	v_and_b32_e32 v9, 0xffff, v8
	v_or_b32_e32 v10, 0x10000, v8
	s_delay_alu instid0(VALU_DEP_2) | instskip(NEXT) | instid1(VALU_DEP_2)
	v_cmp_eq_u32_e32 vcc_lo, 0, v9
	v_cndmask_b32_e32 v9, v10, v8, vcc_lo
	s_branch .LBB566_14
.LBB566_19:
	s_set_inst_prefetch_distance 0x2
	v_add_nc_u32_e32 v3, s4, v0
	s_mov_b32 s7, exec_lo
	s_delay_alu instid0(VALU_DEP_1)
	v_cmpx_gt_i32_e64 s24, v3
	s_cbranch_execz .LBB566_25
; %bb.20:
	v_mad_i64_i32 v[4:5], null, s6, v3, 0
	s_lshl_b64 s[0:1], s[0:1], 1
	s_delay_alu instid0(SALU_CYCLE_1) | instskip(SKIP_2) | instid1(SALU_CYCLE_1)
	s_add_u32 s5, s10, s0
	s_addc_u32 s6, s11, s1
	s_lshl_b64 s[0:1], s[2:3], 1
	s_add_u32 s2, s5, s0
	s_delay_alu instid0(VALU_DEP_1) | instskip(SKIP_2) | instid1(SALU_CYCLE_1)
	v_lshlrev_b64 v[3:4], 1, v[4:5]
	s_addc_u32 s3, s6, s1
	s_ashr_i32 s5, s4, 31
	s_lshl_b64 s[0:1], s[4:5], 1
	s_delay_alu instid0(VALU_DEP_1) | instskip(NEXT) | instid1(VALU_DEP_2)
	v_add_co_u32 v3, vcc_lo, s2, v3
	v_add_co_ci_u32_e32 v4, vcc_lo, s3, v4, vcc_lo
	v_add_co_u32 v1, vcc_lo, v1, s0
	v_add_co_ci_u32_e32 v2, vcc_lo, s1, v2, vcc_lo
	global_load_u16 v3, v[3:4], off
	global_load_u16 v1, v[1:2], off
	s_waitcnt vmcnt(1)
	v_lshlrev_b32_e32 v2, 16, v3
	s_waitcnt vmcnt(0)
	v_lshlrev_b32_e32 v1, 16, v1
	s_delay_alu instid0(VALU_DEP_1) | instskip(NEXT) | instid1(VALU_DEP_1)
	v_mul_f32_e32 v1, v1, v2
	v_and_b32_e32 v2, 0x7f800000, v1
	s_delay_alu instid0(VALU_DEP_1) | instskip(SKIP_1) | instid1(SALU_CYCLE_1)
	v_cmp_ne_u32_e32 vcc_lo, 0x7f800000, v2
                                        ; implicit-def: $vgpr2
	s_and_saveexec_b32 s0, vcc_lo
	s_xor_b32 s0, exec_lo, s0
; %bb.21:
	v_bfe_u32 v2, v1, 16, 1
	s_delay_alu instid0(VALU_DEP_1)
	v_add3_u32 v2, v1, v2, 0x7fff
                                        ; implicit-def: $vgpr1
; %bb.22:
	s_and_not1_saveexec_b32 s0, s0
; %bb.23:
	v_and_b32_e32 v2, 0xffff, v1
	v_or_b32_e32 v3, 0x10000, v1
	s_delay_alu instid0(VALU_DEP_2) | instskip(NEXT) | instid1(VALU_DEP_2)
	v_cmp_eq_u32_e32 vcc_lo, 0, v2
	v_cndmask_b32_e32 v2, v3, v1, vcc_lo
; %bb.24:
	s_or_b32 exec_lo, exec_lo, s0
	s_delay_alu instid0(VALU_DEP_1) | instskip(NEXT) | instid1(VALU_DEP_1)
	v_and_b32_e32 v1, 0xffff0000, v2
	v_add_f32_e32 v7, v7, v1
.LBB566_25:
	s_or_b32 exec_lo, exec_lo, s7
	v_lshlrev_b32_e32 v1, 2, v0
	s_mov_b32 s0, exec_lo
	ds_store_b32 v1, v7
	s_waitcnt lgkmcnt(0)
	s_barrier
	buffer_gl0_inv
	v_cmpx_gt_u32_e32 0x80, v0
	s_cbranch_execz .LBB566_27
; %bb.26:
	ds_load_2addr_stride64_b32 v[2:3], v1 offset1:2
	s_waitcnt lgkmcnt(0)
	v_add_f32_e32 v2, v3, v2
	ds_store_b32 v1, v2
.LBB566_27:
	s_or_b32 exec_lo, exec_lo, s0
	s_delay_alu instid0(SALU_CYCLE_1)
	s_mov_b32 s0, exec_lo
	s_waitcnt lgkmcnt(0)
	s_barrier
	buffer_gl0_inv
	v_cmpx_gt_u32_e32 64, v0
	s_cbranch_execz .LBB566_29
; %bb.28:
	ds_load_2addr_stride64_b32 v[2:3], v1 offset1:1
	s_waitcnt lgkmcnt(0)
	v_add_f32_e32 v2, v3, v2
	ds_store_b32 v1, v2
.LBB566_29:
	s_or_b32 exec_lo, exec_lo, s0
	s_delay_alu instid0(SALU_CYCLE_1)
	s_mov_b32 s0, exec_lo
	s_waitcnt lgkmcnt(0)
	s_barrier
	buffer_gl0_inv
	v_cmpx_gt_u32_e32 32, v0
	s_cbranch_execz .LBB566_31
; %bb.30:
	ds_load_2addr_b32 v[2:3], v1 offset1:32
	s_waitcnt lgkmcnt(0)
	v_add_f32_e32 v2, v3, v2
	ds_store_b32 v1, v2
.LBB566_31:
	s_or_b32 exec_lo, exec_lo, s0
	s_delay_alu instid0(SALU_CYCLE_1)
	s_mov_b32 s0, exec_lo
	s_waitcnt lgkmcnt(0)
	s_barrier
	buffer_gl0_inv
	v_cmpx_gt_u32_e32 16, v0
	s_cbranch_execz .LBB566_33
; %bb.32:
	ds_load_2addr_b32 v[2:3], v1 offset1:16
	s_waitcnt lgkmcnt(0)
	v_add_f32_e32 v2, v3, v2
	ds_store_b32 v1, v2
.LBB566_33:
	;; [unrolled: 14-line block ×5, first 2 shown]
	s_or_b32 exec_lo, exec_lo, s0
	v_cmp_eq_u32_e32 vcc_lo, 0, v0
	s_waitcnt lgkmcnt(0)
	s_barrier
	buffer_gl0_inv
	s_and_saveexec_b32 s0, vcc_lo
	s_cbranch_execz .LBB566_41
; %bb.40:
	v_mov_b32_e32 v2, 0
	ds_load_b64 v[0:1], v2
	s_waitcnt lgkmcnt(0)
	v_add_f32_e32 v0, v1, v0
	ds_store_b32 v2, v0
.LBB566_41:
	s_or_b32 exec_lo, exec_lo, s0
	s_waitcnt lgkmcnt(0)
	s_barrier
	buffer_gl0_inv
                                        ; implicit-def: $sgpr8
                                        ; implicit-def: $sgpr6_sgpr7
	s_and_saveexec_b32 s0, vcc_lo
	s_cbranch_execz .LBB566_61
; %bb.42:
	v_mov_b32_e32 v0, 0
	v_cmp_eq_f32_e64 s2, s17, 0
	ds_load_b32 v0, v0
	s_and_b32 vcc_lo, exec_lo, s2
	s_waitcnt lgkmcnt(0)
	v_mul_f32_e32 v0, s19, v0
	s_delay_alu instid0(VALU_DEP_1)
	v_readfirstlane_b32 s1, v0
	s_cbranch_vccz .LBB566_45
; %bb.43:
	s_delay_alu instid0(VALU_DEP_1) | instskip(NEXT) | instid1(SALU_CYCLE_1)
	s_and_b32 s2, s1, 0x7f800000
	s_cmp_eq_u32 s2, 0x7f800000
	s_cbranch_scc1 .LBB566_46
; %bb.44:
	s_bfe_u32 s2, s1, 0x10010
	s_mov_b32 s3, 0
	s_add_i32 s2, s1, s2
	s_delay_alu instid0(SALU_CYCLE_1)
	s_addk_i32 s2, 0x7fff
	s_branch .LBB566_47
.LBB566_45:
                                        ; implicit-def: $sgpr2
	s_mul_hi_i32 s7, s18, s14
	s_mul_i32 s6, s18, s14
	s_branch .LBB566_50
.LBB566_46:
	s_mov_b32 s3, -1
                                        ; implicit-def: $sgpr2
.LBB566_47:
	s_delay_alu instid0(SALU_CYCLE_1)
	s_and_not1_b32 vcc_lo, exec_lo, s3
	s_cbranch_vccnz .LBB566_49
; %bb.48:
	s_and_b32 s2, s1, 0xffff
	s_or_b32 s3, s1, 0x10000
	s_cmp_eq_u32 s2, 0
	s_cselect_b32 s2, s1, s3
.LBB566_49:
	s_mul_hi_i32 s7, s18, s14
	s_mul_i32 s6, s18, s14
	s_cbranch_execnz .LBB566_60
.LBB566_50:
	s_lshl_b64 s[2:3], s[6:7], 1
	v_mov_b32_e32 v0, 0
	s_add_u32 s2, s12, s2
	s_addc_u32 s3, s13, s3
	global_load_u16 v0, v0, s[2:3]
	s_waitcnt vmcnt(0)
	v_lshlrev_b32_e32 v0, 16, v0
	s_delay_alu instid0(VALU_DEP_1) | instskip(NEXT) | instid1(VALU_DEP_1)
	v_mul_f32_e32 v0, s17, v0
	v_and_b32_e32 v1, 0x7f800000, v0
	v_readfirstlane_b32 s2, v0
	s_delay_alu instid0(VALU_DEP_2)
	v_cmp_eq_u32_e32 vcc_lo, 0x7f800000, v1
	s_cbranch_vccnz .LBB566_52
; %bb.51:
	s_delay_alu instid0(VALU_DEP_2) | instskip(SKIP_2) | instid1(SALU_CYCLE_1)
	s_bfe_u32 s3, s2, 0x10010
	s_mov_b32 s4, 0
	s_add_i32 s3, s2, s3
	s_addk_i32 s3, 0x7fff
	s_branch .LBB566_53
.LBB566_52:
	s_mov_b32 s4, -1
                                        ; implicit-def: $sgpr3
.LBB566_53:
	s_delay_alu instid0(SALU_CYCLE_1)
	s_and_not1_b32 vcc_lo, exec_lo, s4
	s_cbranch_vccnz .LBB566_55
; %bb.54:
	s_and_b32 s3, s2, 0xffff
	s_or_b32 s4, s2, 0x10000
	s_cmp_eq_u32 s3, 0
	s_cselect_b32 s3, s2, s4
.LBB566_55:
	s_delay_alu instid0(SALU_CYCLE_1) | instskip(NEXT) | instid1(SALU_CYCLE_1)
	s_and_b32 s2, s3, 0xffff0000
	v_add_f32_e64 v0, s1, s2
	s_delay_alu instid0(VALU_DEP_1) | instskip(SKIP_1) | instid1(VALU_DEP_2)
	v_and_b32_e32 v1, 0x7f800000, v0
	v_readfirstlane_b32 s1, v0
	v_cmp_eq_u32_e32 vcc_lo, 0x7f800000, v1
	s_cbranch_vccnz .LBB566_57
; %bb.56:
	s_delay_alu instid0(VALU_DEP_2) | instskip(SKIP_2) | instid1(SALU_CYCLE_1)
	s_bfe_u32 s2, s1, 0x10010
	s_mov_b32 s3, 0
	s_add_i32 s2, s1, s2
	s_addk_i32 s2, 0x7fff
	s_branch .LBB566_58
.LBB566_57:
	s_mov_b32 s3, -1
                                        ; implicit-def: $sgpr2
.LBB566_58:
	s_delay_alu instid0(SALU_CYCLE_1)
	s_and_not1_b32 vcc_lo, exec_lo, s3
	s_cbranch_vccnz .LBB566_60
; %bb.59:
	s_and_b32 s2, s1, 0xffff
	s_or_b32 s3, s1, 0x10000
	s_cmp_eq_u32 s2, 0
	s_cselect_b32 s2, s1, s3
.LBB566_60:
	s_delay_alu instid0(SALU_CYCLE_1)
	s_lshr_b32 s8, s2, 16
	s_or_b32 s16, s16, exec_lo
.LBB566_61:
	s_or_b32 exec_lo, exec_lo, s0
.LBB566_62:
	s_and_saveexec_b32 s0, s16
	s_cbranch_execz .LBB566_64
; %bb.63:
	s_lshl_b64 s[0:1], s[6:7], 1
	v_dual_mov_b32 v0, 0 :: v_dual_mov_b32 v1, s8
	s_add_u32 s0, s12, s0
	s_addc_u32 s1, s13, s1
	global_store_b16 v0, v1, s[0:1]
.LBB566_64:
	s_nop 0
	s_sendmsg sendmsg(MSG_DEALLOC_VGPRS)
	s_endpgm
	.section	.rodata,"a",@progbits
	.p2align	6, 0x0
	.amdhsa_kernel _ZL20rocblas_gemvt_kernelILb0ELi256E16rocblas_bfloat16PKfS0_EviiT2_lPKT1_lilS6_lilS3_lPT3_lili
		.amdhsa_group_segment_fixed_size 1024
		.amdhsa_private_segment_fixed_size 0
		.amdhsa_kernarg_size 140
		.amdhsa_user_sgpr_count 14
		.amdhsa_user_sgpr_dispatch_ptr 0
		.amdhsa_user_sgpr_queue_ptr 0
		.amdhsa_user_sgpr_kernarg_segment_ptr 1
		.amdhsa_user_sgpr_dispatch_id 0
		.amdhsa_user_sgpr_private_segment_size 0
		.amdhsa_wavefront_size32 1
		.amdhsa_uses_dynamic_stack 0
		.amdhsa_enable_private_segment 0
		.amdhsa_system_sgpr_workgroup_id_x 1
		.amdhsa_system_sgpr_workgroup_id_y 0
		.amdhsa_system_sgpr_workgroup_id_z 1
		.amdhsa_system_sgpr_workgroup_info 0
		.amdhsa_system_vgpr_workitem_id 0
		.amdhsa_next_free_vgpr 11
		.amdhsa_next_free_sgpr 28
		.amdhsa_reserve_vcc 1
		.amdhsa_float_round_mode_32 0
		.amdhsa_float_round_mode_16_64 0
		.amdhsa_float_denorm_mode_32 3
		.amdhsa_float_denorm_mode_16_64 3
		.amdhsa_dx10_clamp 1
		.amdhsa_ieee_mode 1
		.amdhsa_fp16_overflow 0
		.amdhsa_workgroup_processor_mode 1
		.amdhsa_memory_ordered 1
		.amdhsa_forward_progress 0
		.amdhsa_shared_vgpr_count 0
		.amdhsa_exception_fp_ieee_invalid_op 0
		.amdhsa_exception_fp_denorm_src 0
		.amdhsa_exception_fp_ieee_div_zero 0
		.amdhsa_exception_fp_ieee_overflow 0
		.amdhsa_exception_fp_ieee_underflow 0
		.amdhsa_exception_fp_ieee_inexact 0
		.amdhsa_exception_int_div_zero 0
	.end_amdhsa_kernel
	.section	.text._ZL20rocblas_gemvt_kernelILb0ELi256E16rocblas_bfloat16PKfS0_EviiT2_lPKT1_lilS6_lilS3_lPT3_lili,"axG",@progbits,_ZL20rocblas_gemvt_kernelILb0ELi256E16rocblas_bfloat16PKfS0_EviiT2_lPKT1_lilS6_lilS3_lPT3_lili,comdat
.Lfunc_end566:
	.size	_ZL20rocblas_gemvt_kernelILb0ELi256E16rocblas_bfloat16PKfS0_EviiT2_lPKT1_lilS6_lilS3_lPT3_lili, .Lfunc_end566-_ZL20rocblas_gemvt_kernelILb0ELi256E16rocblas_bfloat16PKfS0_EviiT2_lPKT1_lilS6_lilS3_lPT3_lili
                                        ; -- End function
	.section	.AMDGPU.csdata,"",@progbits
; Kernel info:
; codeLenInByte = 2192
; NumSgprs: 30
; NumVgprs: 11
; ScratchSize: 0
; MemoryBound: 0
; FloatMode: 240
; IeeeMode: 1
; LDSByteSize: 1024 bytes/workgroup (compile time only)
; SGPRBlocks: 3
; VGPRBlocks: 1
; NumSGPRsForWavesPerEU: 30
; NumVGPRsForWavesPerEU: 11
; Occupancy: 16
; WaveLimiterHint : 1
; COMPUTE_PGM_RSRC2:SCRATCH_EN: 0
; COMPUTE_PGM_RSRC2:USER_SGPR: 14
; COMPUTE_PGM_RSRC2:TRAP_HANDLER: 0
; COMPUTE_PGM_RSRC2:TGID_X_EN: 1
; COMPUTE_PGM_RSRC2:TGID_Y_EN: 0
; COMPUTE_PGM_RSRC2:TGID_Z_EN: 1
; COMPUTE_PGM_RSRC2:TIDIG_COMP_CNT: 0
	.section	.text._ZL20rocblas_gemvt_kernelILb0ELi256E16rocblas_bfloat16fS0_EviiT2_lPKT1_lilS4_lilS1_lPT3_lili,"axG",@progbits,_ZL20rocblas_gemvt_kernelILb0ELi256E16rocblas_bfloat16fS0_EviiT2_lPKT1_lilS4_lilS1_lPT3_lili,comdat
	.globl	_ZL20rocblas_gemvt_kernelILb0ELi256E16rocblas_bfloat16fS0_EviiT2_lPKT1_lilS4_lilS1_lPT3_lili ; -- Begin function _ZL20rocblas_gemvt_kernelILb0ELi256E16rocblas_bfloat16fS0_EviiT2_lPKT1_lilS4_lilS1_lPT3_lili
	.p2align	8
	.type	_ZL20rocblas_gemvt_kernelILb0ELi256E16rocblas_bfloat16fS0_EviiT2_lPKT1_lilS4_lilS1_lPT3_lili,@function
_ZL20rocblas_gemvt_kernelILb0ELi256E16rocblas_bfloat16fS0_EviiT2_lPKT1_lilS4_lilS1_lPT3_lili: ; @_ZL20rocblas_gemvt_kernelILb0ELi256E16rocblas_bfloat16fS0_EviiT2_lPKT1_lilS4_lilS1_lPT3_lili
; %bb.0:
	s_clause 0x1
	s_load_b32 s19, s[0:1], 0x8
	s_load_b32 s17, s[0:1], 0x58
	s_mov_b32 s16, 0
	s_waitcnt lgkmcnt(0)
	v_cmp_eq_f32_e64 s2, s19, 0
	v_cmp_eq_f32_e64 s3, s17, 1.0
	s_delay_alu instid0(VALU_DEP_1) | instskip(NEXT) | instid1(SALU_CYCLE_1)
	s_and_b32 s2, s2, s3
	s_and_b32 vcc_lo, exec_lo, s2
	s_cbranch_vccnz .LBB567_64
; %bb.1:
	s_clause 0x2
	s_load_b64 s[2:3], s[0:1], 0x80
	s_load_b128 s[4:7], s[0:1], 0x68
	s_load_b32 s18, s[0:1], 0x78
	s_waitcnt lgkmcnt(0)
	s_mul_i32 s3, s15, s3
	s_mul_hi_u32 s8, s15, s2
	s_mul_i32 s2, s15, s2
	s_add_i32 s3, s8, s3
	v_cmp_neq_f32_e64 s8, s19, 0
	s_lshl_b64 s[2:3], s[2:3], 1
	s_delay_alu instid0(SALU_CYCLE_1) | instskip(SKIP_2) | instid1(SALU_CYCLE_1)
	s_add_u32 s4, s4, s2
	s_addc_u32 s5, s5, s3
	s_lshl_b64 s[2:3], s[6:7], 1
	s_add_u32 s12, s4, s2
	v_cmp_eq_u32_e64 s2, 0, v0
	s_addc_u32 s13, s5, s3
	s_and_b32 vcc_lo, exec_lo, s8
	s_cbranch_vccnz .LBB567_6
; %bb.2:
	s_mov_b32 s3, 0
                                        ; implicit-def: $sgpr6
                                        ; implicit-def: $sgpr4_sgpr5
	s_and_saveexec_b32 s7, s2
	s_cbranch_execz .LBB567_7
; %bb.3:
	v_cmp_eq_f32_e64 s2, s17, 0
	s_mov_b32 s6, 0
	s_mul_hi_i32 s5, s18, s14
	s_mul_i32 s4, s18, s14
	s_delay_alu instid0(VALU_DEP_1)
	s_and_b32 vcc_lo, exec_lo, s2
	s_cbranch_vccnz .LBB567_11
; %bb.4:
	s_lshl_b64 s[8:9], s[4:5], 1
	v_mov_b32_e32 v1, 0
	s_add_u32 s8, s12, s8
	s_addc_u32 s9, s13, s9
	global_load_u16 v1, v1, s[8:9]
	s_waitcnt vmcnt(0)
	v_lshlrev_b32_e32 v1, 16, v1
	s_delay_alu instid0(VALU_DEP_1) | instskip(NEXT) | instid1(VALU_DEP_1)
	v_mul_f32_e32 v1, s17, v1
	v_and_b32_e32 v2, 0x7f800000, v1
	v_readfirstlane_b32 s2, v1
	s_delay_alu instid0(VALU_DEP_2)
	v_cmp_eq_u32_e32 vcc_lo, 0x7f800000, v2
	s_cbranch_vccnz .LBB567_8
; %bb.5:
	s_delay_alu instid0(VALU_DEP_2) | instskip(NEXT) | instid1(SALU_CYCLE_1)
	s_bfe_u32 s6, s2, 0x10010
	s_add_i32 s6, s2, s6
	s_delay_alu instid0(SALU_CYCLE_1)
	s_addk_i32 s6, 0x7fff
	s_cbranch_execz .LBB567_9
	s_branch .LBB567_10
.LBB567_6:
                                        ; implicit-def: $sgpr6
                                        ; implicit-def: $sgpr4_sgpr5
	s_cbranch_execnz .LBB567_12
	s_branch .LBB567_62
.LBB567_7:
	s_or_b32 exec_lo, exec_lo, s7
	s_delay_alu instid0(SALU_CYCLE_1)
	s_and_b32 vcc_lo, exec_lo, s3
	s_cbranch_vccnz .LBB567_12
	s_branch .LBB567_62
.LBB567_8:
                                        ; implicit-def: $sgpr6
.LBB567_9:
	s_delay_alu instid0(VALU_DEP_2)
	s_and_b32 s6, s2, 0xffff
	s_or_b32 s8, s2, 0x10000
	s_cmp_eq_u32 s6, 0
	s_cselect_b32 s6, s2, s8
.LBB567_10:
	s_delay_alu instid0(SALU_CYCLE_1)
	s_lshr_b32 s6, s6, 16
.LBB567_11:
	s_mov_b32 s16, exec_lo
	s_or_b32 exec_lo, exec_lo, s7
	s_delay_alu instid0(SALU_CYCLE_1)
	s_and_b32 vcc_lo, exec_lo, s3
	s_cbranch_vccz .LBB567_62
.LBB567_12:
	s_clause 0x6
	s_load_b64 s[10:11], s[0:1], 0x50
	s_load_b128 s[4:7], s[0:1], 0x30
	s_load_b32 s9, s[0:1], 0x0
	s_load_b32 s8, s[0:1], 0x28
	s_load_b128 s[20:23], s[0:1], 0x18
	s_load_b64 s[2:3], s[0:1], 0x40
	s_load_b32 s0, s[0:1], 0x48
	v_mov_b32_e32 v7, 0
	s_waitcnt lgkmcnt(0)
	s_mul_i32 s1, s15, s11
	s_mul_i32 s5, s15, s5
	s_mul_hi_u32 s24, s15, s4
	v_cmp_gt_i32_e32 vcc_lo, s9, v0
	s_mul_i32 s4, s15, s4
	s_add_i32 s5, s24, s5
	s_mul_hi_u32 s11, s15, s10
	s_lshl_b64 s[26:27], s[4:5], 1
	v_cndmask_b32_e32 v1, 0, v0, vcc_lo
	s_add_i32 s5, s11, s1
	s_add_u32 s1, s20, s26
	s_addc_u32 s4, s21, s27
	s_lshl_b64 s[20:21], s[22:23], 1
	s_mul_hi_i32 s25, s8, s14
	s_mul_i32 s24, s8, s14
	s_add_u32 s1, s1, s20
	s_addc_u32 s4, s4, s21
	s_lshl_b64 s[20:21], s[24:25], 1
	v_lshlrev_b32_e32 v1, 1, v1
	s_add_u32 s1, s20, s1
	s_addc_u32 s8, s21, s4
	s_ashr_i32 s4, s9, 31
	s_delay_alu instid0(SALU_CYCLE_1)
	s_lshr_b32 s11, s4, 24
	v_add_co_u32 v1, s1, s1, v1
	s_mul_i32 s4, s15, s10
	s_add_i32 s10, s9, s11
	v_add_co_ci_u32_e64 v2, null, s8, 0, s1
	s_and_b32 s8, s10, 0xffffff00
	s_cmpk_lt_i32 s9, 0x100
	s_mov_b32 s15, 0
	s_cbranch_scc1 .LBB567_19
; %bb.13:
	v_mad_i64_i32 v[3:4], null, s0, v0, 0
	s_lshl_b64 s[20:21], s[2:3], 1
	s_ashr_i32 s1, s0, 31
	s_lshl_b64 s[10:11], s[4:5], 1
	s_add_u32 s20, s6, s20
	s_addc_u32 s21, s7, s21
	s_add_u32 s10, s20, s10
	s_delay_alu instid0(VALU_DEP_1) | instskip(SKIP_3) | instid1(VALU_DEP_3)
	v_lshlrev_b64 v[3:4], 1, v[3:4]
	s_addc_u32 s11, s21, s11
	v_dual_mov_b32 v7, 0 :: v_dual_mov_b32 v6, v2
	v_mov_b32_e32 v5, v1
	v_add_co_u32 v3, vcc_lo, s10, v3
	s_delay_alu instid0(VALU_DEP_4)
	v_add_co_ci_u32_e32 v4, vcc_lo, s11, v4, vcc_lo
	s_lshl_b64 s[10:11], s[0:1], 9
	s_set_inst_prefetch_distance 0x1
	s_branch .LBB567_15
	.p2align	6
.LBB567_14:                             ;   in Loop: Header=BB567_15 Depth=1
	s_or_b32 exec_lo, exec_lo, s1
	s_delay_alu instid0(VALU_DEP_1) | instskip(SKIP_3) | instid1(VALU_DEP_4)
	v_and_b32_e32 v8, 0xffff0000, v9
	v_add_co_u32 v3, vcc_lo, v3, s10
	v_add_co_ci_u32_e32 v4, vcc_lo, s11, v4, vcc_lo
	v_add_co_u32 v5, vcc_lo, 0x200, v5
	v_add_f32_e32 v7, v7, v8
	v_add_co_ci_u32_e32 v6, vcc_lo, 0, v6, vcc_lo
	s_addk_i32 s15, 0x100
	s_delay_alu instid0(SALU_CYCLE_1)
	s_cmp_ge_i32 s15, s8
	s_cbranch_scc1 .LBB567_19
.LBB567_15:                             ; =>This Inner Loop Header: Depth=1
	global_load_u16 v8, v[3:4], off
	global_load_u16 v9, v[5:6], off
	s_waitcnt vmcnt(1)
	v_lshlrev_b32_e32 v8, 16, v8
	s_waitcnt vmcnt(0)
	v_lshlrev_b32_e32 v9, 16, v9
	s_delay_alu instid0(VALU_DEP_1) | instskip(NEXT) | instid1(VALU_DEP_1)
	v_mul_f32_e32 v8, v9, v8
	v_and_b32_e32 v9, 0x7f800000, v8
	s_delay_alu instid0(VALU_DEP_1) | instskip(SKIP_1) | instid1(SALU_CYCLE_1)
	v_cmp_ne_u32_e32 vcc_lo, 0x7f800000, v9
                                        ; implicit-def: $vgpr9
	s_and_saveexec_b32 s1, vcc_lo
	s_xor_b32 s1, exec_lo, s1
; %bb.16:                               ;   in Loop: Header=BB567_15 Depth=1
	v_bfe_u32 v9, v8, 16, 1
	s_delay_alu instid0(VALU_DEP_1)
	v_add3_u32 v9, v8, v9, 0x7fff
                                        ; implicit-def: $vgpr8
; %bb.17:                               ;   in Loop: Header=BB567_15 Depth=1
	s_and_not1_saveexec_b32 s1, s1
	s_cbranch_execz .LBB567_14
; %bb.18:                               ;   in Loop: Header=BB567_15 Depth=1
	v_and_b32_e32 v9, 0xffff, v8
	v_or_b32_e32 v10, 0x10000, v8
	s_delay_alu instid0(VALU_DEP_2) | instskip(NEXT) | instid1(VALU_DEP_2)
	v_cmp_eq_u32_e32 vcc_lo, 0, v9
	v_cndmask_b32_e32 v9, v10, v8, vcc_lo
	s_branch .LBB567_14
.LBB567_19:
	s_set_inst_prefetch_distance 0x2
	v_add_nc_u32_e32 v3, s8, v0
	s_mov_b32 s1, exec_lo
	s_delay_alu instid0(VALU_DEP_1)
	v_cmpx_gt_i32_e64 s9, v3
	s_cbranch_execz .LBB567_25
; %bb.20:
	v_mad_i64_i32 v[4:5], null, s0, v3, 0
	s_lshl_b64 s[4:5], s[4:5], 1
	s_delay_alu instid0(SALU_CYCLE_1) | instskip(SKIP_2) | instid1(SALU_CYCLE_1)
	s_add_u32 s0, s6, s4
	s_addc_u32 s4, s7, s5
	s_lshl_b64 s[2:3], s[2:3], 1
	s_add_u32 s0, s0, s2
	s_delay_alu instid0(VALU_DEP_1) | instskip(SKIP_2) | instid1(SALU_CYCLE_1)
	v_lshlrev_b64 v[3:4], 1, v[4:5]
	s_addc_u32 s4, s4, s3
	s_ashr_i32 s9, s8, 31
	s_lshl_b64 s[2:3], s[8:9], 1
	s_delay_alu instid0(VALU_DEP_1) | instskip(NEXT) | instid1(VALU_DEP_2)
	v_add_co_u32 v3, vcc_lo, s0, v3
	v_add_co_ci_u32_e32 v4, vcc_lo, s4, v4, vcc_lo
	v_add_co_u32 v1, vcc_lo, v1, s2
	v_add_co_ci_u32_e32 v2, vcc_lo, s3, v2, vcc_lo
	global_load_u16 v3, v[3:4], off
	global_load_u16 v1, v[1:2], off
	s_waitcnt vmcnt(1)
	v_lshlrev_b32_e32 v2, 16, v3
	s_waitcnt vmcnt(0)
	v_lshlrev_b32_e32 v1, 16, v1
	s_delay_alu instid0(VALU_DEP_1) | instskip(NEXT) | instid1(VALU_DEP_1)
	v_mul_f32_e32 v1, v1, v2
	v_and_b32_e32 v2, 0x7f800000, v1
	s_delay_alu instid0(VALU_DEP_1) | instskip(SKIP_1) | instid1(SALU_CYCLE_1)
	v_cmp_ne_u32_e32 vcc_lo, 0x7f800000, v2
                                        ; implicit-def: $vgpr2
	s_and_saveexec_b32 s0, vcc_lo
	s_xor_b32 s0, exec_lo, s0
; %bb.21:
	v_bfe_u32 v2, v1, 16, 1
	s_delay_alu instid0(VALU_DEP_1)
	v_add3_u32 v2, v1, v2, 0x7fff
                                        ; implicit-def: $vgpr1
; %bb.22:
	s_and_not1_saveexec_b32 s0, s0
; %bb.23:
	v_and_b32_e32 v2, 0xffff, v1
	v_or_b32_e32 v3, 0x10000, v1
	s_delay_alu instid0(VALU_DEP_2) | instskip(NEXT) | instid1(VALU_DEP_2)
	v_cmp_eq_u32_e32 vcc_lo, 0, v2
	v_cndmask_b32_e32 v2, v3, v1, vcc_lo
; %bb.24:
	s_or_b32 exec_lo, exec_lo, s0
	s_delay_alu instid0(VALU_DEP_1) | instskip(NEXT) | instid1(VALU_DEP_1)
	v_and_b32_e32 v1, 0xffff0000, v2
	v_add_f32_e32 v7, v7, v1
.LBB567_25:
	s_or_b32 exec_lo, exec_lo, s1
	v_lshlrev_b32_e32 v1, 2, v0
	s_mov_b32 s0, exec_lo
	ds_store_b32 v1, v7
	s_waitcnt lgkmcnt(0)
	s_barrier
	buffer_gl0_inv
	v_cmpx_gt_u32_e32 0x80, v0
	s_cbranch_execz .LBB567_27
; %bb.26:
	ds_load_2addr_stride64_b32 v[2:3], v1 offset1:2
	s_waitcnt lgkmcnt(0)
	v_add_f32_e32 v2, v3, v2
	ds_store_b32 v1, v2
.LBB567_27:
	s_or_b32 exec_lo, exec_lo, s0
	s_delay_alu instid0(SALU_CYCLE_1)
	s_mov_b32 s0, exec_lo
	s_waitcnt lgkmcnt(0)
	s_barrier
	buffer_gl0_inv
	v_cmpx_gt_u32_e32 64, v0
	s_cbranch_execz .LBB567_29
; %bb.28:
	ds_load_2addr_stride64_b32 v[2:3], v1 offset1:1
	s_waitcnt lgkmcnt(0)
	v_add_f32_e32 v2, v3, v2
	ds_store_b32 v1, v2
.LBB567_29:
	s_or_b32 exec_lo, exec_lo, s0
	s_delay_alu instid0(SALU_CYCLE_1)
	s_mov_b32 s0, exec_lo
	s_waitcnt lgkmcnt(0)
	s_barrier
	buffer_gl0_inv
	v_cmpx_gt_u32_e32 32, v0
	s_cbranch_execz .LBB567_31
; %bb.30:
	ds_load_2addr_b32 v[2:3], v1 offset1:32
	s_waitcnt lgkmcnt(0)
	v_add_f32_e32 v2, v3, v2
	ds_store_b32 v1, v2
.LBB567_31:
	s_or_b32 exec_lo, exec_lo, s0
	s_delay_alu instid0(SALU_CYCLE_1)
	s_mov_b32 s0, exec_lo
	s_waitcnt lgkmcnt(0)
	s_barrier
	buffer_gl0_inv
	v_cmpx_gt_u32_e32 16, v0
	s_cbranch_execz .LBB567_33
; %bb.32:
	ds_load_2addr_b32 v[2:3], v1 offset1:16
	s_waitcnt lgkmcnt(0)
	v_add_f32_e32 v2, v3, v2
	ds_store_b32 v1, v2
.LBB567_33:
	;; [unrolled: 14-line block ×5, first 2 shown]
	s_or_b32 exec_lo, exec_lo, s0
	v_cmp_eq_u32_e32 vcc_lo, 0, v0
	s_waitcnt lgkmcnt(0)
	s_barrier
	buffer_gl0_inv
	s_and_saveexec_b32 s0, vcc_lo
	s_cbranch_execz .LBB567_41
; %bb.40:
	v_mov_b32_e32 v2, 0
	ds_load_b64 v[0:1], v2
	s_waitcnt lgkmcnt(0)
	v_add_f32_e32 v0, v1, v0
	ds_store_b32 v2, v0
.LBB567_41:
	s_or_b32 exec_lo, exec_lo, s0
	s_waitcnt lgkmcnt(0)
	s_barrier
	buffer_gl0_inv
                                        ; implicit-def: $sgpr6
                                        ; implicit-def: $sgpr4_sgpr5
	s_and_saveexec_b32 s0, vcc_lo
	s_cbranch_execz .LBB567_61
; %bb.42:
	v_mov_b32_e32 v0, 0
	v_cmp_eq_f32_e64 s2, s17, 0
	ds_load_b32 v0, v0
	s_and_b32 vcc_lo, exec_lo, s2
	s_waitcnt lgkmcnt(0)
	v_mul_f32_e32 v0, s19, v0
	s_delay_alu instid0(VALU_DEP_1)
	v_readfirstlane_b32 s1, v0
	s_cbranch_vccz .LBB567_45
; %bb.43:
	s_delay_alu instid0(VALU_DEP_1) | instskip(NEXT) | instid1(SALU_CYCLE_1)
	s_and_b32 s2, s1, 0x7f800000
	s_cmp_eq_u32 s2, 0x7f800000
	s_cbranch_scc1 .LBB567_46
; %bb.44:
	s_bfe_u32 s2, s1, 0x10010
	s_mov_b32 s3, 0
	s_add_i32 s2, s1, s2
	s_delay_alu instid0(SALU_CYCLE_1)
	s_addk_i32 s2, 0x7fff
	s_branch .LBB567_47
.LBB567_45:
                                        ; implicit-def: $sgpr2
	s_mul_hi_i32 s5, s18, s14
	s_mul_i32 s4, s18, s14
	s_branch .LBB567_50
.LBB567_46:
	s_mov_b32 s3, -1
                                        ; implicit-def: $sgpr2
.LBB567_47:
	s_delay_alu instid0(SALU_CYCLE_1)
	s_and_not1_b32 vcc_lo, exec_lo, s3
	s_cbranch_vccnz .LBB567_49
; %bb.48:
	s_and_b32 s2, s1, 0xffff
	s_or_b32 s3, s1, 0x10000
	s_cmp_eq_u32 s2, 0
	s_cselect_b32 s2, s1, s3
.LBB567_49:
	s_mul_hi_i32 s5, s18, s14
	s_mul_i32 s4, s18, s14
	s_cbranch_execnz .LBB567_60
.LBB567_50:
	s_lshl_b64 s[2:3], s[4:5], 1
	v_mov_b32_e32 v0, 0
	s_add_u32 s2, s12, s2
	s_addc_u32 s3, s13, s3
	global_load_u16 v0, v0, s[2:3]
	s_waitcnt vmcnt(0)
	v_lshlrev_b32_e32 v0, 16, v0
	s_delay_alu instid0(VALU_DEP_1) | instskip(NEXT) | instid1(VALU_DEP_1)
	v_mul_f32_e32 v0, s17, v0
	v_and_b32_e32 v1, 0x7f800000, v0
	v_readfirstlane_b32 s2, v0
	s_delay_alu instid0(VALU_DEP_2)
	v_cmp_eq_u32_e32 vcc_lo, 0x7f800000, v1
	s_cbranch_vccnz .LBB567_52
; %bb.51:
	s_delay_alu instid0(VALU_DEP_2) | instskip(SKIP_2) | instid1(SALU_CYCLE_1)
	s_bfe_u32 s3, s2, 0x10010
	s_mov_b32 s6, 0
	s_add_i32 s3, s2, s3
	s_addk_i32 s3, 0x7fff
	s_branch .LBB567_53
.LBB567_52:
	s_mov_b32 s6, -1
                                        ; implicit-def: $sgpr3
.LBB567_53:
	s_delay_alu instid0(SALU_CYCLE_1)
	s_and_not1_b32 vcc_lo, exec_lo, s6
	s_cbranch_vccnz .LBB567_55
; %bb.54:
	s_and_b32 s3, s2, 0xffff
	s_or_b32 s6, s2, 0x10000
	s_cmp_eq_u32 s3, 0
	s_cselect_b32 s3, s2, s6
.LBB567_55:
	s_delay_alu instid0(SALU_CYCLE_1) | instskip(NEXT) | instid1(SALU_CYCLE_1)
	s_and_b32 s2, s3, 0xffff0000
	v_add_f32_e64 v0, s1, s2
	s_delay_alu instid0(VALU_DEP_1) | instskip(SKIP_1) | instid1(VALU_DEP_2)
	v_and_b32_e32 v1, 0x7f800000, v0
	v_readfirstlane_b32 s1, v0
	v_cmp_eq_u32_e32 vcc_lo, 0x7f800000, v1
	s_cbranch_vccnz .LBB567_57
; %bb.56:
	s_delay_alu instid0(VALU_DEP_2) | instskip(SKIP_2) | instid1(SALU_CYCLE_1)
	s_bfe_u32 s2, s1, 0x10010
	s_mov_b32 s3, 0
	s_add_i32 s2, s1, s2
	s_addk_i32 s2, 0x7fff
	s_branch .LBB567_58
.LBB567_57:
	s_mov_b32 s3, -1
                                        ; implicit-def: $sgpr2
.LBB567_58:
	s_delay_alu instid0(SALU_CYCLE_1)
	s_and_not1_b32 vcc_lo, exec_lo, s3
	s_cbranch_vccnz .LBB567_60
; %bb.59:
	s_and_b32 s2, s1, 0xffff
	s_or_b32 s3, s1, 0x10000
	s_cmp_eq_u32 s2, 0
	s_cselect_b32 s2, s1, s3
.LBB567_60:
	s_delay_alu instid0(SALU_CYCLE_1)
	s_lshr_b32 s6, s2, 16
	s_or_b32 s16, s16, exec_lo
.LBB567_61:
	s_or_b32 exec_lo, exec_lo, s0
.LBB567_62:
	s_and_saveexec_b32 s0, s16
	s_cbranch_execz .LBB567_64
; %bb.63:
	s_lshl_b64 s[0:1], s[4:5], 1
	v_dual_mov_b32 v0, 0 :: v_dual_mov_b32 v1, s6
	s_add_u32 s0, s12, s0
	s_addc_u32 s1, s13, s1
	global_store_b16 v0, v1, s[0:1]
.LBB567_64:
	s_nop 0
	s_sendmsg sendmsg(MSG_DEALLOC_VGPRS)
	s_endpgm
	.section	.rodata,"a",@progbits
	.p2align	6, 0x0
	.amdhsa_kernel _ZL20rocblas_gemvt_kernelILb0ELi256E16rocblas_bfloat16fS0_EviiT2_lPKT1_lilS4_lilS1_lPT3_lili
		.amdhsa_group_segment_fixed_size 1024
		.amdhsa_private_segment_fixed_size 0
		.amdhsa_kernarg_size 140
		.amdhsa_user_sgpr_count 14
		.amdhsa_user_sgpr_dispatch_ptr 0
		.amdhsa_user_sgpr_queue_ptr 0
		.amdhsa_user_sgpr_kernarg_segment_ptr 1
		.amdhsa_user_sgpr_dispatch_id 0
		.amdhsa_user_sgpr_private_segment_size 0
		.amdhsa_wavefront_size32 1
		.amdhsa_uses_dynamic_stack 0
		.amdhsa_enable_private_segment 0
		.amdhsa_system_sgpr_workgroup_id_x 1
		.amdhsa_system_sgpr_workgroup_id_y 0
		.amdhsa_system_sgpr_workgroup_id_z 1
		.amdhsa_system_sgpr_workgroup_info 0
		.amdhsa_system_vgpr_workitem_id 0
		.amdhsa_next_free_vgpr 11
		.amdhsa_next_free_sgpr 28
		.amdhsa_reserve_vcc 1
		.amdhsa_float_round_mode_32 0
		.amdhsa_float_round_mode_16_64 0
		.amdhsa_float_denorm_mode_32 3
		.amdhsa_float_denorm_mode_16_64 3
		.amdhsa_dx10_clamp 1
		.amdhsa_ieee_mode 1
		.amdhsa_fp16_overflow 0
		.amdhsa_workgroup_processor_mode 1
		.amdhsa_memory_ordered 1
		.amdhsa_forward_progress 0
		.amdhsa_shared_vgpr_count 0
		.amdhsa_exception_fp_ieee_invalid_op 0
		.amdhsa_exception_fp_denorm_src 0
		.amdhsa_exception_fp_ieee_div_zero 0
		.amdhsa_exception_fp_ieee_overflow 0
		.amdhsa_exception_fp_ieee_underflow 0
		.amdhsa_exception_fp_ieee_inexact 0
		.amdhsa_exception_int_div_zero 0
	.end_amdhsa_kernel
	.section	.text._ZL20rocblas_gemvt_kernelILb0ELi256E16rocblas_bfloat16fS0_EviiT2_lPKT1_lilS4_lilS1_lPT3_lili,"axG",@progbits,_ZL20rocblas_gemvt_kernelILb0ELi256E16rocblas_bfloat16fS0_EviiT2_lPKT1_lilS4_lilS1_lPT3_lili,comdat
.Lfunc_end567:
	.size	_ZL20rocblas_gemvt_kernelILb0ELi256E16rocblas_bfloat16fS0_EviiT2_lPKT1_lilS4_lilS1_lPT3_lili, .Lfunc_end567-_ZL20rocblas_gemvt_kernelILb0ELi256E16rocblas_bfloat16fS0_EviiT2_lPKT1_lilS4_lilS1_lPT3_lili
                                        ; -- End function
	.section	.AMDGPU.csdata,"",@progbits
; Kernel info:
; codeLenInByte = 2132
; NumSgprs: 30
; NumVgprs: 11
; ScratchSize: 0
; MemoryBound: 0
; FloatMode: 240
; IeeeMode: 1
; LDSByteSize: 1024 bytes/workgroup (compile time only)
; SGPRBlocks: 3
; VGPRBlocks: 1
; NumSGPRsForWavesPerEU: 30
; NumVGPRsForWavesPerEU: 11
; Occupancy: 16
; WaveLimiterHint : 1
; COMPUTE_PGM_RSRC2:SCRATCH_EN: 0
; COMPUTE_PGM_RSRC2:USER_SGPR: 14
; COMPUTE_PGM_RSRC2:TRAP_HANDLER: 0
; COMPUTE_PGM_RSRC2:TGID_X_EN: 1
; COMPUTE_PGM_RSRC2:TGID_Y_EN: 0
; COMPUTE_PGM_RSRC2:TGID_Z_EN: 1
; COMPUTE_PGM_RSRC2:TIDIG_COMP_CNT: 0
	.section	.text._ZL32rocblas_gemvt_warp_reduce_kernelILb0ELi1024Ei16rocblas_bfloat16PKfS0_EviiT3_lPKT2_lT1_lS6_lS7_lS3_lPT4_lS7_li,"axG",@progbits,_ZL32rocblas_gemvt_warp_reduce_kernelILb0ELi1024Ei16rocblas_bfloat16PKfS0_EviiT3_lPKT2_lT1_lS6_lS7_lS3_lPT4_lS7_li,comdat
	.globl	_ZL32rocblas_gemvt_warp_reduce_kernelILb0ELi1024Ei16rocblas_bfloat16PKfS0_EviiT3_lPKT2_lT1_lS6_lS7_lS3_lPT4_lS7_li ; -- Begin function _ZL32rocblas_gemvt_warp_reduce_kernelILb0ELi1024Ei16rocblas_bfloat16PKfS0_EviiT3_lPKT2_lT1_lS6_lS7_lS3_lPT4_lS7_li
	.p2align	8
	.type	_ZL32rocblas_gemvt_warp_reduce_kernelILb0ELi1024Ei16rocblas_bfloat16PKfS0_EviiT3_lPKT2_lT1_lS6_lS7_lS3_lPT4_lS7_li,@function
_ZL32rocblas_gemvt_warp_reduce_kernelILb0ELi1024Ei16rocblas_bfloat16PKfS0_EviiT3_lPKT2_lT1_lS6_lS7_lS3_lPT4_lS7_li: ; @_ZL32rocblas_gemvt_warp_reduce_kernelILb0ELi1024Ei16rocblas_bfloat16PKfS0_EviiT3_lPKT2_lT1_lS6_lS7_lS3_lPT4_lS7_li
; %bb.0:
	s_clause 0x1
	s_load_b256 s[4:11], s[0:1], 0x8
	s_load_b256 s[16:23], s[0:1], 0x50
	s_mov_b32 s12, 0
	s_waitcnt lgkmcnt(0)
	s_mul_i32 s3, s15, s7
	s_mul_hi_u32 s7, s15, s6
	s_mul_i32 s2, s15, s6
	s_add_i32 s3, s7, s3
	s_mul_i32 s6, s15, s21
	s_lshl_b64 s[2:3], s[2:3], 2
	s_mul_hi_u32 s7, s15, s20
	s_add_u32 s2, s4, s2
	s_addc_u32 s3, s5, s3
	s_add_i32 s5, s7, s6
	s_mul_i32 s4, s15, s20
	s_delay_alu instid0(SALU_CYCLE_1) | instskip(NEXT) | instid1(SALU_CYCLE_1)
	s_lshl_b64 s[4:5], s[4:5], 2
	s_add_u32 s4, s18, s4
	s_addc_u32 s5, s19, s5
	s_load_b32 s19, s[2:3], 0x0
	s_load_b32 s13, s[4:5], 0x0
	s_waitcnt lgkmcnt(0)
	v_cmp_eq_f32_e64 s2, s19, 0
	v_cmp_eq_f32_e64 s3, s13, 1.0
	s_delay_alu instid0(VALU_DEP_1) | instskip(NEXT) | instid1(SALU_CYCLE_1)
	s_and_b32 s2, s2, s3
	s_and_b32 vcc_lo, exec_lo, s2
	s_cbranch_vccnz .LBB568_56
; %bb.1:
	s_clause 0x2
	s_load_b64 s[2:3], s[0:1], 0x80
	s_load_b64 s[4:5], s[0:1], 0x70
	s_load_b32 s18, s[0:1], 0x78
	v_cmp_neq_f32_e64 s20, s19, 0
	s_waitcnt lgkmcnt(0)
	s_mul_i32 s3, s15, s3
	s_mul_hi_u32 s6, s15, s2
	s_mul_i32 s2, s15, s2
	s_add_i32 s3, s6, s3
	s_delay_alu instid0(SALU_CYCLE_1) | instskip(NEXT) | instid1(SALU_CYCLE_1)
	s_lshl_b64 s[2:3], s[2:3], 1
	s_add_u32 s6, s22, s2
	s_addc_u32 s7, s23, s3
	s_lshl_b64 s[2:3], s[4:5], 1
	s_delay_alu instid0(SALU_CYCLE_1)
	s_add_u32 s6, s6, s2
	v_cmp_eq_u32_e64 s2, 0, v0
	s_addc_u32 s7, s7, s3
	s_and_b32 vcc_lo, exec_lo, s20
	s_cbranch_vccnz .LBB568_6
; %bb.2:
	s_mov_b32 s3, 0
                                        ; implicit-def: $sgpr21
                                        ; implicit-def: $sgpr4_sgpr5
	s_and_saveexec_b32 s20, s2
	s_cbranch_execz .LBB568_7
; %bb.3:
	v_cmp_eq_f32_e64 s2, s13, 0
	s_mul_i32 s4, s14, s18
	s_mov_b32 s21, 0
	s_ashr_i32 s5, s4, 31
	s_delay_alu instid0(VALU_DEP_1)
	s_and_b32 vcc_lo, exec_lo, s2
	s_cbranch_vccnz .LBB568_12
; %bb.4:
	s_lshl_b64 s[22:23], s[4:5], 1
	v_mov_b32_e32 v1, 0
	s_add_u32 s22, s6, s22
	s_addc_u32 s23, s7, s23
	global_load_u16 v1, v1, s[22:23]
	s_waitcnt vmcnt(0)
	v_lshlrev_b32_e32 v1, 16, v1
	s_delay_alu instid0(VALU_DEP_1) | instskip(NEXT) | instid1(VALU_DEP_1)
	v_mul_f32_e32 v1, s13, v1
	v_and_b32_e32 v2, 0x7f800000, v1
	v_readfirstlane_b32 s2, v1
	s_delay_alu instid0(VALU_DEP_2)
	v_cmp_eq_u32_e32 vcc_lo, 0x7f800000, v2
	s_cbranch_vccnz .LBB568_9
; %bb.5:
	s_delay_alu instid0(VALU_DEP_2) | instskip(NEXT) | instid1(SALU_CYCLE_1)
	s_bfe_u32 s12, s2, 0x10010
	s_add_i32 s12, s2, s12
	s_delay_alu instid0(SALU_CYCLE_1)
	s_addk_i32 s12, 0x7fff
	s_and_not1_b32 vcc_lo, exec_lo, s21
	s_cbranch_vccz .LBB568_10
	s_branch .LBB568_11
.LBB568_6:
                                        ; implicit-def: $sgpr21
                                        ; implicit-def: $sgpr4_sgpr5
	s_cbranch_execz .LBB568_8
	s_branch .LBB568_13
.LBB568_7:
	s_or_b32 exec_lo, exec_lo, s20
	s_delay_alu instid0(SALU_CYCLE_1)
	s_and_b32 vcc_lo, exec_lo, s3
	s_cbranch_vccnz .LBB568_13
.LBB568_8:
	v_mov_b32_e32 v1, s21
	s_and_saveexec_b32 s0, s12
	s_cbranch_execnz .LBB568_55
	s_branch .LBB568_56
.LBB568_9:
                                        ; implicit-def: $sgpr12
.LBB568_10:
	s_delay_alu instid0(VALU_DEP_2)
	s_and_b32 s12, s2, 0xffff
	s_or_b32 s21, s2, 0x10000
	s_cmp_eq_u32 s12, 0
	s_cselect_b32 s12, s2, s21
.LBB568_11:
	s_delay_alu instid0(SALU_CYCLE_1)
	s_lshr_b32 s21, s12, 16
.LBB568_12:
	s_mov_b32 s12, exec_lo
	s_or_b32 exec_lo, exec_lo, s20
	s_delay_alu instid0(SALU_CYCLE_1)
	s_and_b32 vcc_lo, exec_lo, s3
	s_cbranch_vccz .LBB568_8
.LBB568_13:
	s_mul_i32 s3, s15, s17
	s_mul_hi_u32 s17, s15, s16
	s_mul_i32 s2, s15, s16
	s_add_i32 s3, s17, s3
	s_clause 0x2
	s_load_b128 s[20:23], s[0:1], 0x30
	s_load_b64 s[4:5], s[0:1], 0x40
	s_load_b32 s24, s[0:1], 0x28
	s_lshl_b64 s[16:17], s[2:3], 1
	s_clause 0x1
	s_load_b32 s3, s[0:1], 0x0
	s_load_b32 s1, s[0:1], 0x48
	v_mov_b32_e32 v7, 0
	s_waitcnt lgkmcnt(0)
	s_add_u32 s2, s22, s16
	s_addc_u32 s17, s23, s17
	s_lshl_b64 s[4:5], s[4:5], 1
	s_mul_i32 s21, s15, s21
	s_mul_hi_u32 s22, s15, s20
	s_add_u32 s4, s2, s4
	v_cmp_gt_i32_e32 vcc_lo, s3, v0
	s_mul_i32 s16, s15, s20
	s_addc_u32 s5, s17, s5
	s_add_i32 s17, s22, s21
	s_delay_alu instid0(SALU_CYCLE_1)
	s_lshl_b64 s[16:17], s[16:17], 1
	v_cndmask_b32_e32 v1, 0, v0, vcc_lo
	s_add_u32 s2, s8, s16
	s_addc_u32 s15, s9, s17
	s_lshl_b64 s[8:9], s[10:11], 1
	s_mul_i32 s10, s14, s24
	s_add_u32 s2, s2, s8
	s_addc_u32 s15, s15, s9
	s_ashr_i32 s11, s10, 31
	v_lshlrev_b32_e32 v1, 1, v1
	s_lshl_b64 s[8:9], s[10:11], 1
	s_delay_alu instid0(SALU_CYCLE_1)
	s_add_u32 s0, s8, s2
	s_addc_u32 s8, s9, s15
	s_ashr_i32 s2, s3, 31
	v_add_co_u32 v1, s0, s0, v1
	s_lshr_b32 s2, s2, 22
	v_add_co_ci_u32_e64 v2, null, s8, 0, s0
	s_add_i32 s2, s3, s2
	s_mov_b32 s9, 0
	s_and_b32 s2, s2, 0xfffffc00
	s_mov_b32 s8, exec_lo
	v_cmpx_gt_i32_e64 s2, v0
	s_cbranch_execz .LBB568_21
; %bb.14:
	v_mul_lo_u32 v3, v0, s1
	v_dual_mov_b32 v7, 0 :: v_dual_mov_b32 v6, v2
	v_dual_mov_b32 v5, v1 :: v_dual_mov_b32 v8, v0
	s_lshl_b32 s10, s1, 10
	s_branch .LBB568_16
.LBB568_15:                             ;   in Loop: Header=BB568_16 Depth=1
	s_or_b32 exec_lo, exec_lo, s0
	v_add_nc_u32_e32 v8, 0x400, v8
	s_delay_alu instid0(VALU_DEP_2) | instskip(SKIP_2) | instid1(VALU_DEP_4)
	v_and_b32_e32 v4, 0xffff0000, v9
	v_add_co_u32 v5, s0, 0x800, v5
	v_add_nc_u32_e32 v3, s10, v3
	v_cmp_le_i32_e32 vcc_lo, s2, v8
	s_delay_alu instid0(VALU_DEP_4) | instskip(SKIP_2) | instid1(SALU_CYCLE_1)
	v_add_f32_e32 v7, v7, v4
	v_add_co_ci_u32_e64 v6, s0, 0, v6, s0
	s_or_b32 s9, vcc_lo, s9
	s_and_not1_b32 exec_lo, exec_lo, s9
	s_cbranch_execz .LBB568_20
.LBB568_16:                             ; =>This Inner Loop Header: Depth=1
	s_delay_alu instid0(VALU_DEP_3) | instskip(NEXT) | instid1(VALU_DEP_1)
	v_ashrrev_i32_e32 v4, 31, v3
	v_lshlrev_b64 v[9:10], 1, v[3:4]
	s_delay_alu instid0(VALU_DEP_1) | instskip(NEXT) | instid1(VALU_DEP_2)
	v_add_co_u32 v9, vcc_lo, s4, v9
	v_add_co_ci_u32_e32 v10, vcc_lo, s5, v10, vcc_lo
	global_load_u16 v4, v[5:6], off
	global_load_u16 v9, v[9:10], off
	s_waitcnt vmcnt(1)
	v_lshlrev_b32_e32 v4, 16, v4
	s_waitcnt vmcnt(0)
	v_lshlrev_b32_e32 v9, 16, v9
	s_delay_alu instid0(VALU_DEP_1) | instskip(NEXT) | instid1(VALU_DEP_1)
	v_mul_f32_e32 v4, v4, v9
	v_and_b32_e32 v9, 0x7f800000, v4
	s_delay_alu instid0(VALU_DEP_1) | instskip(SKIP_1) | instid1(SALU_CYCLE_1)
	v_cmp_ne_u32_e32 vcc_lo, 0x7f800000, v9
                                        ; implicit-def: $vgpr9
	s_and_saveexec_b32 s0, vcc_lo
	s_xor_b32 s0, exec_lo, s0
; %bb.17:                               ;   in Loop: Header=BB568_16 Depth=1
	v_bfe_u32 v9, v4, 16, 1
	s_delay_alu instid0(VALU_DEP_1)
	v_add3_u32 v9, v4, v9, 0x7fff
                                        ; implicit-def: $vgpr4
; %bb.18:                               ;   in Loop: Header=BB568_16 Depth=1
	s_and_not1_saveexec_b32 s0, s0
	s_cbranch_execz .LBB568_15
; %bb.19:                               ;   in Loop: Header=BB568_16 Depth=1
	v_and_b32_e32 v9, 0xffff, v4
	v_or_b32_e32 v10, 0x10000, v4
	s_delay_alu instid0(VALU_DEP_2) | instskip(NEXT) | instid1(VALU_DEP_2)
	v_cmp_eq_u32_e32 vcc_lo, 0, v9
	v_cndmask_b32_e32 v9, v10, v4, vcc_lo
	s_branch .LBB568_15
.LBB568_20:
	s_or_b32 exec_lo, exec_lo, s9
.LBB568_21:
	s_delay_alu instid0(SALU_CYCLE_1) | instskip(SKIP_2) | instid1(VALU_DEP_1)
	s_or_b32 exec_lo, exec_lo, s8
	v_or_b32_e32 v3, s2, v0
	s_mov_b32 s0, exec_lo
	v_cmpx_gt_i32_e64 s3, v3
	s_cbranch_execz .LBB568_27
; %bb.22:
	v_mul_lo_u32 v3, v3, s1
	s_ashr_i32 s3, s2, 31
	s_delay_alu instid0(SALU_CYCLE_1) | instskip(NEXT) | instid1(VALU_DEP_1)
	s_lshl_b64 s[2:3], s[2:3], 1
	v_ashrrev_i32_e32 v4, 31, v3
	s_delay_alu instid0(VALU_DEP_1) | instskip(NEXT) | instid1(VALU_DEP_1)
	v_lshlrev_b64 v[3:4], 1, v[3:4]
	v_add_co_u32 v3, vcc_lo, s4, v3
	s_delay_alu instid0(VALU_DEP_2)
	v_add_co_ci_u32_e32 v4, vcc_lo, s5, v4, vcc_lo
	v_add_co_u32 v1, vcc_lo, v1, s2
	v_add_co_ci_u32_e32 v2, vcc_lo, s3, v2, vcc_lo
	global_load_u16 v3, v[3:4], off
	global_load_u16 v1, v[1:2], off
	s_waitcnt vmcnt(1)
	v_lshlrev_b32_e32 v2, 16, v3
	s_waitcnt vmcnt(0)
	v_lshlrev_b32_e32 v1, 16, v1
	s_delay_alu instid0(VALU_DEP_1) | instskip(NEXT) | instid1(VALU_DEP_1)
	v_mul_f32_e32 v1, v1, v2
	v_and_b32_e32 v2, 0x7f800000, v1
	s_delay_alu instid0(VALU_DEP_1) | instskip(SKIP_1) | instid1(SALU_CYCLE_1)
	v_cmp_ne_u32_e32 vcc_lo, 0x7f800000, v2
                                        ; implicit-def: $vgpr2
	s_and_saveexec_b32 s1, vcc_lo
	s_xor_b32 s1, exec_lo, s1
; %bb.23:
	v_bfe_u32 v2, v1, 16, 1
	s_delay_alu instid0(VALU_DEP_1)
	v_add3_u32 v2, v1, v2, 0x7fff
                                        ; implicit-def: $vgpr1
; %bb.24:
	s_and_not1_saveexec_b32 s1, s1
; %bb.25:
	v_and_b32_e32 v2, 0xffff, v1
	v_or_b32_e32 v3, 0x10000, v1
	s_delay_alu instid0(VALU_DEP_2) | instskip(NEXT) | instid1(VALU_DEP_2)
	v_cmp_eq_u32_e32 vcc_lo, 0, v2
	v_cndmask_b32_e32 v2, v3, v1, vcc_lo
; %bb.26:
	s_or_b32 exec_lo, exec_lo, s1
	s_delay_alu instid0(VALU_DEP_1) | instskip(NEXT) | instid1(VALU_DEP_1)
	v_and_b32_e32 v1, 0xffff0000, v2
	v_add_f32_e32 v7, v7, v1
.LBB568_27:
	s_or_b32 exec_lo, exec_lo, s0
	v_and_b32_e32 v6, 31, v0
	v_cmp_gt_u32_e32 vcc_lo, 32, v0
	s_delay_alu instid0(VALU_DEP_2)
	v_lshlrev_b32_e32 v1, 2, v6
	s_and_saveexec_b32 s0, vcc_lo
	s_cbranch_execz .LBB568_29
; %bb.28:
	v_mov_b32_e32 v2, 0
	ds_store_b32 v1, v2
.LBB568_29:
	s_or_b32 exec_lo, exec_lo, s0
	v_mbcnt_lo_u32_b32 v8, -1, 0
	s_mov_b32 s1, exec_lo
	s_waitcnt lgkmcnt(0)
	s_barrier
	buffer_gl0_inv
	v_cmp_gt_u32_e64 s0, 16, v8
	s_delay_alu instid0(VALU_DEP_1) | instskip(SKIP_1) | instid1(VALU_DEP_2)
	v_cndmask_b32_e64 v2, 0, 1, s0
	v_cmp_gt_u32_e64 s0, 24, v8
	v_lshlrev_b32_e32 v2, 4, v2
	s_delay_alu instid0(VALU_DEP_2) | instskip(SKIP_1) | instid1(VALU_DEP_3)
	v_cndmask_b32_e64 v3, 0, 1, s0
	v_cmp_gt_u32_e64 s0, 28, v8
	v_add_lshl_u32 v2, v2, v8, 2
	s_delay_alu instid0(VALU_DEP_3)
	v_lshlrev_b32_e32 v3, 3, v3
	ds_bpermute_b32 v4, v2, v7
	v_add_lshl_u32 v3, v3, v8, 2
	s_waitcnt lgkmcnt(0)
	v_add_f32_e32 v5, v7, v4
	v_cndmask_b32_e64 v4, 0, 1, s0
	v_cmp_gt_u32_e64 s0, 30, v8
	ds_bpermute_b32 v7, v3, v5
	s_waitcnt lgkmcnt(0)
	v_dual_add_f32 v7, v5, v7 :: v_dual_lshlrev_b32 v4, 2, v4
	s_delay_alu instid0(VALU_DEP_1)
	v_add_lshl_u32 v4, v4, v8, 2
	v_cndmask_b32_e64 v5, 0, 1, s0
	v_cmp_ne_u32_e64 s0, 31, v8
	ds_bpermute_b32 v9, v4, v7
	v_lshlrev_b32_e32 v5, 1, v5
	v_add_co_ci_u32_e64 v10, s0, 0, v8, s0
	s_delay_alu instid0(VALU_DEP_2)
	v_add_lshl_u32 v5, v5, v8, 2
	s_waitcnt lgkmcnt(0)
	v_add_f32_e32 v7, v7, v9
	ds_bpermute_b32 v9, v5, v7
	s_waitcnt lgkmcnt(0)
	v_dual_add_f32 v8, v7, v9 :: v_dual_lshlrev_b32 v7, 2, v10
	ds_bpermute_b32 v9, v7, v8
	v_cmpx_eq_u32_e32 0, v6
	s_cbranch_execz .LBB568_31
; %bb.30:
	v_lshrrev_b32_e32 v6, 3, v0
	s_waitcnt lgkmcnt(0)
	v_add_f32_e32 v8, v8, v9
	s_delay_alu instid0(VALU_DEP_2)
	v_and_b32_e32 v6, 0x7c, v6
	ds_store_b32 v6, v8
.LBB568_31:
	s_or_b32 exec_lo, exec_lo, s1
	v_mov_b32_e32 v6, 0
	s_waitcnt lgkmcnt(0)
	s_barrier
	buffer_gl0_inv
	s_and_saveexec_b32 s0, vcc_lo
	s_cbranch_execz .LBB568_33
; %bb.32:
	ds_load_b32 v6, v1
.LBB568_33:
	s_or_b32 exec_lo, exec_lo, s0
	s_and_saveexec_b32 s0, vcc_lo
	s_cbranch_execz .LBB568_35
; %bb.34:
	s_waitcnt lgkmcnt(0)
	ds_bpermute_b32 v1, v2, v6
	s_waitcnt lgkmcnt(0)
	v_add_f32_e32 v1, v6, v1
	ds_bpermute_b32 v2, v3, v1
	s_waitcnt lgkmcnt(0)
	v_add_f32_e32 v1, v1, v2
	;; [unrolled: 3-line block ×5, first 2 shown]
.LBB568_35:
	s_or_b32 exec_lo, exec_lo, s0
	s_delay_alu instid0(SALU_CYCLE_1)
	s_mov_b32 s0, exec_lo
                                        ; implicit-def: $vgpr1
                                        ; implicit-def: $sgpr4_sgpr5
	v_cmpx_eq_u32_e32 0, v0
	s_cbranch_execz .LBB568_54
; %bb.36:
	v_cmp_eq_f32_e64 s1, s13, 0
	s_waitcnt lgkmcnt(0)
	v_mul_f32_e32 v0, s19, v6
	s_delay_alu instid0(VALU_DEP_2)
	s_and_b32 vcc_lo, exec_lo, s1
	s_cbranch_vccz .LBB568_42
; %bb.37:
	s_delay_alu instid0(VALU_DEP_1) | instskip(NEXT) | instid1(VALU_DEP_1)
	v_and_b32_e32 v1, 0x7f800000, v0
	v_cmp_ne_u32_e32 vcc_lo, 0x7f800000, v1
                                        ; implicit-def: $vgpr1
	s_and_saveexec_b32 s1, vcc_lo
	s_delay_alu instid0(SALU_CYCLE_1)
	s_xor_b32 s1, exec_lo, s1
; %bb.38:
	v_bfe_u32 v1, v0, 16, 1
	s_delay_alu instid0(VALU_DEP_1)
	v_add3_u32 v1, v0, v1, 0x7fff
; %bb.39:
	s_and_not1_saveexec_b32 s1, s1
; %bb.40:
	v_and_b32_e32 v1, 0xffff, v0
	v_or_b32_e32 v2, 0x10000, v0
	s_delay_alu instid0(VALU_DEP_2) | instskip(NEXT) | instid1(VALU_DEP_2)
	v_cmp_eq_u32_e32 vcc_lo, 0, v1
	v_cndmask_b32_e32 v1, v2, v0, vcc_lo
; %bb.41:
	s_or_b32 exec_lo, exec_lo, s1
	s_mul_i32 s4, s14, s18
	s_cbranch_execz .LBB568_43
	s_branch .LBB568_53
.LBB568_42:
                                        ; implicit-def: $vgpr1
	s_mul_i32 s4, s14, s18
.LBB568_43:
	s_delay_alu instid0(SALU_CYCLE_1) | instskip(SKIP_2) | instid1(SALU_CYCLE_1)
	s_ashr_i32 s5, s4, 31
	v_mov_b32_e32 v1, 0
	s_lshl_b64 s[2:3], s[4:5], 1
	s_add_u32 s2, s6, s2
	s_addc_u32 s3, s7, s3
	global_load_u16 v1, v1, s[2:3]
	s_waitcnt vmcnt(0)
	v_lshlrev_b32_e32 v1, 16, v1
	s_delay_alu instid0(VALU_DEP_1) | instskip(NEXT) | instid1(VALU_DEP_1)
	v_mul_f32_e32 v1, s13, v1
	v_and_b32_e32 v2, 0x7f800000, v1
	v_readfirstlane_b32 s1, v1
	s_delay_alu instid0(VALU_DEP_2)
	v_cmp_eq_u32_e32 vcc_lo, 0x7f800000, v2
	s_cbranch_vccnz .LBB568_45
; %bb.44:
	s_delay_alu instid0(VALU_DEP_2) | instskip(SKIP_2) | instid1(SALU_CYCLE_1)
	s_bfe_u32 s2, s1, 0x10010
	s_mov_b32 s3, 0
	s_add_i32 s2, s1, s2
	s_addk_i32 s2, 0x7fff
	s_branch .LBB568_46
.LBB568_45:
	s_mov_b32 s3, -1
                                        ; implicit-def: $sgpr2
.LBB568_46:
	s_delay_alu instid0(SALU_CYCLE_1)
	s_and_not1_b32 vcc_lo, exec_lo, s3
	s_cbranch_vccnz .LBB568_48
; %bb.47:
	s_and_b32 s2, s1, 0xffff
	s_or_b32 s3, s1, 0x10000
	s_cmp_eq_u32 s2, 0
	s_cselect_b32 s2, s1, s3
.LBB568_48:
	s_delay_alu instid0(SALU_CYCLE_1) | instskip(NEXT) | instid1(SALU_CYCLE_1)
	s_and_b32 s1, s2, 0xffff0000
	v_add_f32_e32 v0, s1, v0
	s_delay_alu instid0(VALU_DEP_1) | instskip(NEXT) | instid1(VALU_DEP_1)
	v_and_b32_e32 v1, 0x7f800000, v0
	v_cmp_ne_u32_e32 vcc_lo, 0x7f800000, v1
                                        ; implicit-def: $vgpr1
	s_and_saveexec_b32 s1, vcc_lo
	s_delay_alu instid0(SALU_CYCLE_1)
	s_xor_b32 s1, exec_lo, s1
; %bb.49:
	v_bfe_u32 v1, v0, 16, 1
	s_delay_alu instid0(VALU_DEP_1)
	v_add3_u32 v1, v0, v1, 0x7fff
                                        ; implicit-def: $vgpr0
; %bb.50:
	s_and_not1_saveexec_b32 s1, s1
; %bb.51:
	v_and_b32_e32 v1, 0xffff, v0
	v_or_b32_e32 v2, 0x10000, v0
	s_delay_alu instid0(VALU_DEP_2) | instskip(NEXT) | instid1(VALU_DEP_2)
	v_cmp_eq_u32_e32 vcc_lo, 0, v1
	v_cndmask_b32_e32 v1, v2, v0, vcc_lo
; %bb.52:
	s_or_b32 exec_lo, exec_lo, s1
.LBB568_53:
	s_delay_alu instid0(VALU_DEP_1)
	v_lshrrev_b32_e32 v1, 16, v1
	s_ashr_i32 s5, s4, 31
	s_or_b32 s12, s12, exec_lo
.LBB568_54:
	s_or_b32 exec_lo, exec_lo, s0
	s_and_saveexec_b32 s0, s12
	s_cbranch_execz .LBB568_56
.LBB568_55:
	s_lshl_b64 s[0:1], s[4:5], 1
	v_mov_b32_e32 v0, 0
	s_add_u32 s0, s6, s0
	s_addc_u32 s1, s7, s1
	global_store_b16 v0, v1, s[0:1]
.LBB568_56:
	s_nop 0
	s_sendmsg sendmsg(MSG_DEALLOC_VGPRS)
	s_endpgm
	.section	.rodata,"a",@progbits
	.p2align	6, 0x0
	.amdhsa_kernel _ZL32rocblas_gemvt_warp_reduce_kernelILb0ELi1024Ei16rocblas_bfloat16PKfS0_EviiT3_lPKT2_lT1_lS6_lS7_lS3_lPT4_lS7_li
		.amdhsa_group_segment_fixed_size 128
		.amdhsa_private_segment_fixed_size 0
		.amdhsa_kernarg_size 140
		.amdhsa_user_sgpr_count 14
		.amdhsa_user_sgpr_dispatch_ptr 0
		.amdhsa_user_sgpr_queue_ptr 0
		.amdhsa_user_sgpr_kernarg_segment_ptr 1
		.amdhsa_user_sgpr_dispatch_id 0
		.amdhsa_user_sgpr_private_segment_size 0
		.amdhsa_wavefront_size32 1
		.amdhsa_uses_dynamic_stack 0
		.amdhsa_enable_private_segment 0
		.amdhsa_system_sgpr_workgroup_id_x 1
		.amdhsa_system_sgpr_workgroup_id_y 0
		.amdhsa_system_sgpr_workgroup_id_z 1
		.amdhsa_system_sgpr_workgroup_info 0
		.amdhsa_system_vgpr_workitem_id 0
		.amdhsa_next_free_vgpr 11
		.amdhsa_next_free_sgpr 25
		.amdhsa_reserve_vcc 1
		.amdhsa_float_round_mode_32 0
		.amdhsa_float_round_mode_16_64 0
		.amdhsa_float_denorm_mode_32 3
		.amdhsa_float_denorm_mode_16_64 3
		.amdhsa_dx10_clamp 1
		.amdhsa_ieee_mode 1
		.amdhsa_fp16_overflow 0
		.amdhsa_workgroup_processor_mode 1
		.amdhsa_memory_ordered 1
		.amdhsa_forward_progress 0
		.amdhsa_shared_vgpr_count 0
		.amdhsa_exception_fp_ieee_invalid_op 0
		.amdhsa_exception_fp_denorm_src 0
		.amdhsa_exception_fp_ieee_div_zero 0
		.amdhsa_exception_fp_ieee_overflow 0
		.amdhsa_exception_fp_ieee_underflow 0
		.amdhsa_exception_fp_ieee_inexact 0
		.amdhsa_exception_int_div_zero 0
	.end_amdhsa_kernel
	.section	.text._ZL32rocblas_gemvt_warp_reduce_kernelILb0ELi1024Ei16rocblas_bfloat16PKfS0_EviiT3_lPKT2_lT1_lS6_lS7_lS3_lPT4_lS7_li,"axG",@progbits,_ZL32rocblas_gemvt_warp_reduce_kernelILb0ELi1024Ei16rocblas_bfloat16PKfS0_EviiT3_lPKT2_lT1_lS6_lS7_lS3_lPT4_lS7_li,comdat
.Lfunc_end568:
	.size	_ZL32rocblas_gemvt_warp_reduce_kernelILb0ELi1024Ei16rocblas_bfloat16PKfS0_EviiT3_lPKT2_lT1_lS6_lS7_lS3_lPT4_lS7_li, .Lfunc_end568-_ZL32rocblas_gemvt_warp_reduce_kernelILb0ELi1024Ei16rocblas_bfloat16PKfS0_EviiT3_lPKT2_lT1_lS6_lS7_lS3_lPT4_lS7_li
                                        ; -- End function
	.section	.AMDGPU.csdata,"",@progbits
; Kernel info:
; codeLenInByte = 2172
; NumSgprs: 27
; NumVgprs: 11
; ScratchSize: 0
; MemoryBound: 0
; FloatMode: 240
; IeeeMode: 1
; LDSByteSize: 128 bytes/workgroup (compile time only)
; SGPRBlocks: 3
; VGPRBlocks: 1
; NumSGPRsForWavesPerEU: 27
; NumVGPRsForWavesPerEU: 11
; Occupancy: 16
; WaveLimiterHint : 1
; COMPUTE_PGM_RSRC2:SCRATCH_EN: 0
; COMPUTE_PGM_RSRC2:USER_SGPR: 14
; COMPUTE_PGM_RSRC2:TRAP_HANDLER: 0
; COMPUTE_PGM_RSRC2:TGID_X_EN: 1
; COMPUTE_PGM_RSRC2:TGID_Y_EN: 0
; COMPUTE_PGM_RSRC2:TGID_Z_EN: 1
; COMPUTE_PGM_RSRC2:TIDIG_COMP_CNT: 0
	.section	.text._ZL32rocblas_gemvt_warp_reduce_kernelILb0ELi1024El16rocblas_bfloat16PKfS0_EviiT3_lPKT2_lT1_lS6_lS7_lS3_lPT4_lS7_li,"axG",@progbits,_ZL32rocblas_gemvt_warp_reduce_kernelILb0ELi1024El16rocblas_bfloat16PKfS0_EviiT3_lPKT2_lT1_lS6_lS7_lS3_lPT4_lS7_li,comdat
	.globl	_ZL32rocblas_gemvt_warp_reduce_kernelILb0ELi1024El16rocblas_bfloat16PKfS0_EviiT3_lPKT2_lT1_lS6_lS7_lS3_lPT4_lS7_li ; -- Begin function _ZL32rocblas_gemvt_warp_reduce_kernelILb0ELi1024El16rocblas_bfloat16PKfS0_EviiT3_lPKT2_lT1_lS6_lS7_lS3_lPT4_lS7_li
	.p2align	8
	.type	_ZL32rocblas_gemvt_warp_reduce_kernelILb0ELi1024El16rocblas_bfloat16PKfS0_EviiT3_lPKT2_lT1_lS6_lS7_lS3_lPT4_lS7_li,@function
_ZL32rocblas_gemvt_warp_reduce_kernelILb0ELi1024El16rocblas_bfloat16PKfS0_EviiT3_lPKT2_lT1_lS6_lS7_lS3_lPT4_lS7_li: ; @_ZL32rocblas_gemvt_warp_reduce_kernelILb0ELi1024El16rocblas_bfloat16PKfS0_EviiT3_lPKT2_lT1_lS6_lS7_lS3_lPT4_lS7_li
; %bb.0:
	s_clause 0x1
	s_load_b512 s[36:51], s[0:1], 0x8
	s_load_b512 s[16:31], s[0:1], 0x48
	s_mov_b32 s10, 0
	s_waitcnt lgkmcnt(0)
	s_mul_i32 s3, s15, s39
	s_mul_hi_u32 s4, s15, s38
	s_mul_i32 s2, s15, s38
	s_add_i32 s3, s4, s3
	s_mul_i32 s4, s15, s23
	s_lshl_b64 s[2:3], s[2:3], 2
	s_mul_hi_u32 s5, s15, s22
	s_add_u32 s2, s36, s2
	s_addc_u32 s3, s37, s3
	s_add_i32 s5, s5, s4
	s_mul_i32 s4, s15, s22
	s_delay_alu instid0(SALU_CYCLE_1) | instskip(NEXT) | instid1(SALU_CYCLE_1)
	s_lshl_b64 s[4:5], s[4:5], 2
	s_add_u32 s4, s20, s4
	s_addc_u32 s5, s21, s5
	s_load_b32 s12, s[2:3], 0x0
	s_load_b32 s11, s[4:5], 0x0
	s_waitcnt lgkmcnt(0)
	v_cmp_eq_f32_e64 s2, s12, 0
	v_cmp_eq_f32_e64 s3, s11, 1.0
	s_delay_alu instid0(VALU_DEP_1) | instskip(NEXT) | instid1(SALU_CYCLE_1)
	s_and_b32 s2, s2, s3
	s_and_b32 vcc_lo, exec_lo, s2
	s_cbranch_vccnz .LBB569_57
; %bb.1:
	s_mul_i32 s3, s15, s31
	s_mul_hi_u32 s4, s15, s30
	s_mul_i32 s2, s15, s30
	s_add_i32 s3, s4, s3
	v_cmp_neq_f32_e64 s4, s12, 0
	s_lshl_b64 s[2:3], s[2:3], 1
	s_delay_alu instid0(SALU_CYCLE_1) | instskip(SKIP_2) | instid1(SALU_CYCLE_1)
	s_add_u32 s5, s24, s2
	s_addc_u32 s6, s25, s3
	s_lshl_b64 s[2:3], s[26:27], 1
	s_add_u32 s8, s5, s2
	v_cmp_eq_u32_e64 s2, 0, v0
	s_addc_u32 s9, s6, s3
	s_and_b32 vcc_lo, exec_lo, s4
	s_cbranch_vccnz .LBB569_6
; %bb.2:
	s_mov_b32 s3, 0
                                        ; implicit-def: $sgpr7
                                        ; implicit-def: $sgpr4_sgpr5
	s_and_saveexec_b32 s6, s2
	s_cbranch_execz .LBB569_7
; %bb.3:
	v_cmp_eq_f32_e64 s2, s11, 0
	s_mul_i32 s4, s14, s29
	s_mul_hi_u32 s5, s14, s28
	s_ashr_i32 s7, s14, 31
	s_add_i32 s4, s5, s4
	s_mul_i32 s5, s7, s28
	s_mov_b32 s7, 0
	s_add_i32 s5, s4, s5
	s_and_b32 vcc_lo, exec_lo, s2
	s_mul_i32 s4, s14, s28
	s_cbranch_vccnz .LBB569_12
; %bb.4:
	s_lshl_b64 s[20:21], s[4:5], 1
	v_mov_b32_e32 v1, 0
	s_add_u32 s20, s8, s20
	s_addc_u32 s21, s9, s21
	global_load_u16 v1, v1, s[20:21]
	s_waitcnt vmcnt(0)
	v_lshlrev_b32_e32 v1, 16, v1
	s_delay_alu instid0(VALU_DEP_1) | instskip(NEXT) | instid1(VALU_DEP_1)
	v_mul_f32_e32 v1, s11, v1
	v_and_b32_e32 v2, 0x7f800000, v1
	v_readfirstlane_b32 s2, v1
	s_delay_alu instid0(VALU_DEP_2)
	v_cmp_eq_u32_e32 vcc_lo, 0x7f800000, v2
	s_cbranch_vccnz .LBB569_9
; %bb.5:
	s_delay_alu instid0(VALU_DEP_2) | instskip(NEXT) | instid1(SALU_CYCLE_1)
	s_bfe_u32 s7, s2, 0x10010
	s_add_i32 s7, s2, s7
	s_delay_alu instid0(SALU_CYCLE_1)
	s_addk_i32 s7, 0x7fff
	s_and_not1_b32 vcc_lo, exec_lo, s10
	s_cbranch_vccz .LBB569_10
	s_branch .LBB569_11
.LBB569_6:
                                        ; implicit-def: $sgpr7
                                        ; implicit-def: $sgpr4_sgpr5
	s_cbranch_execz .LBB569_8
	s_branch .LBB569_13
.LBB569_7:
	s_or_b32 exec_lo, exec_lo, s6
	s_delay_alu instid0(SALU_CYCLE_1)
	s_and_b32 vcc_lo, exec_lo, s3
	s_cbranch_vccnz .LBB569_13
.LBB569_8:
	v_mov_b32_e32 v1, s7
	s_and_saveexec_b32 s0, s10
	s_cbranch_execnz .LBB569_56
	s_branch .LBB569_57
.LBB569_9:
                                        ; implicit-def: $sgpr7
.LBB569_10:
	s_delay_alu instid0(VALU_DEP_2)
	s_and_b32 s7, s2, 0xffff
	s_or_b32 s10, s2, 0x10000
	s_cmp_eq_u32 s7, 0
	s_cselect_b32 s7, s2, s10
.LBB569_11:
	s_delay_alu instid0(SALU_CYCLE_1)
	s_lshr_b32 s7, s7, 16
.LBB569_12:
	s_mov_b32 s10, exec_lo
	s_or_b32 exec_lo, exec_lo, s6
	s_delay_alu instid0(SALU_CYCLE_1)
	s_and_b32 vcc_lo, exec_lo, s3
	s_cbranch_vccz .LBB569_8
.LBB569_13:
	s_load_b32 s5, s[0:1], 0x0
	s_mul_i32 s3, s15, s47
	s_mul_hi_u32 s4, s15, s46
	s_mul_i32 s0, s15, s46
	s_add_i32 s1, s4, s3
	s_mul_i32 s2, s15, s19
	s_mul_hi_u32 s3, s15, s18
	s_lshl_b64 s[0:1], s[0:1], 1
	s_add_i32 s3, s3, s2
	s_add_u32 s2, s40, s0
	s_addc_u32 s4, s41, s1
	s_lshl_b64 s[0:1], s[42:43], 1
	s_mul_hi_u32 s6, s14, s44
	s_add_u32 s0, s2, s0
	s_addc_u32 s2, s4, s1
	s_mul_i32 s4, s14, s45
	s_ashr_i32 s1, s14, 31
	s_add_i32 s4, s6, s4
	s_mul_i32 s6, s1, s44
	v_mov_b32_e32 v7, 0
	s_waitcnt lgkmcnt(0)
	v_cmp_gt_i32_e32 vcc_lo, s5, v0
	s_add_i32 s7, s4, s6
	s_mul_i32 s6, s14, s44
	s_mov_b32 s13, exec_lo
	s_lshl_b64 s[6:7], s[6:7], 1
	v_cndmask_b32_e32 v1, 0, v0, vcc_lo
	s_add_u32 s0, s6, s0
	s_addc_u32 s2, s7, s2
	s_ashr_i32 s4, s5, 31
	s_delay_alu instid0(SALU_CYCLE_1) | instskip(SKIP_2) | instid1(SALU_CYCLE_1)
	s_lshr_b32 s4, s4, 22
	v_lshlrev_b32_e32 v1, 1, v1
	s_add_i32 s4, s5, s4
	s_and_b32 s4, s4, 0xfffffc00
	s_delay_alu instid0(VALU_DEP_1) | instskip(NEXT) | instid1(VALU_DEP_1)
	v_add_co_u32 v1, s0, s0, v1
	v_add_co_ci_u32_e64 v2, null, s2, 0, s0
	s_mul_i32 s2, s15, s18
	s_mov_b32 s15, 0
	v_cmpx_gt_i32_e64 s4, v0
	s_cbranch_execz .LBB569_21
; %bb.14:
	v_mad_u64_u32 v[5:6], null, s16, v0, 0
	s_lshl_b64 s[18:19], s[50:51], 1
	s_lshl_b64 s[6:7], s[2:3], 1
	s_add_u32 s0, s48, s18
	s_addc_u32 s18, s49, s19
	s_add_u32 s0, s0, s6
	s_addc_u32 s6, s18, s7
	s_delay_alu instid0(VALU_DEP_1) | instskip(NEXT) | instid1(VALU_DEP_1)
	v_dual_mov_b32 v3, v6 :: v_dual_mov_b32 v8, v0
	v_mad_u64_u32 v[6:7], null, s17, v0, v[3:4]
	v_dual_mov_b32 v7, 0 :: v_dual_mov_b32 v4, v2
	v_mov_b32_e32 v3, v1
	s_delay_alu instid0(VALU_DEP_3) | instskip(NEXT) | instid1(VALU_DEP_1)
	v_lshlrev_b64 v[5:6], 1, v[5:6]
	v_add_co_u32 v5, vcc_lo, s0, v5
	s_delay_alu instid0(VALU_DEP_2)
	v_add_co_ci_u32_e32 v6, vcc_lo, s6, v6, vcc_lo
	s_lshl_b64 s[6:7], s[16:17], 11
	s_set_inst_prefetch_distance 0x1
	s_branch .LBB569_16
	.p2align	6
.LBB569_15:                             ;   in Loop: Header=BB569_16 Depth=1
	s_or_b32 exec_lo, exec_lo, s0
	s_delay_alu instid0(VALU_DEP_1) | instskip(SKIP_3) | instid1(VALU_DEP_4)
	v_and_b32_e32 v9, 0xffff0000, v10
	v_add_nc_u32_e32 v8, 0x400, v8
	v_add_co_u32 v3, vcc_lo, 0x800, v3
	v_add_co_ci_u32_e32 v4, vcc_lo, 0, v4, vcc_lo
	v_add_f32_e32 v7, v7, v9
	s_delay_alu instid0(VALU_DEP_4) | instskip(SKIP_1) | instid1(VALU_DEP_1)
	v_cmp_le_i32_e32 vcc_lo, s4, v8
	v_add_co_u32 v5, s0, v5, s6
	v_add_co_ci_u32_e64 v6, s0, s7, v6, s0
	s_or_b32 s15, vcc_lo, s15
	s_delay_alu instid0(SALU_CYCLE_1)
	s_and_not1_b32 exec_lo, exec_lo, s15
	s_cbranch_execz .LBB569_20
.LBB569_16:                             ; =>This Inner Loop Header: Depth=1
	global_load_u16 v9, v[5:6], off
	global_load_u16 v10, v[3:4], off
	s_waitcnt vmcnt(1)
	v_lshlrev_b32_e32 v9, 16, v9
	s_waitcnt vmcnt(0)
	v_lshlrev_b32_e32 v10, 16, v10
	s_delay_alu instid0(VALU_DEP_1) | instskip(NEXT) | instid1(VALU_DEP_1)
	v_mul_f32_e32 v9, v10, v9
	v_and_b32_e32 v10, 0x7f800000, v9
	s_delay_alu instid0(VALU_DEP_1) | instskip(SKIP_1) | instid1(SALU_CYCLE_1)
	v_cmp_ne_u32_e32 vcc_lo, 0x7f800000, v10
                                        ; implicit-def: $vgpr10
	s_and_saveexec_b32 s0, vcc_lo
	s_xor_b32 s0, exec_lo, s0
; %bb.17:                               ;   in Loop: Header=BB569_16 Depth=1
	v_bfe_u32 v10, v9, 16, 1
	s_delay_alu instid0(VALU_DEP_1)
	v_add3_u32 v10, v9, v10, 0x7fff
                                        ; implicit-def: $vgpr9
; %bb.18:                               ;   in Loop: Header=BB569_16 Depth=1
	s_and_not1_saveexec_b32 s0, s0
	s_cbranch_execz .LBB569_15
; %bb.19:                               ;   in Loop: Header=BB569_16 Depth=1
	v_and_b32_e32 v10, 0xffff, v9
	v_or_b32_e32 v11, 0x10000, v9
	s_delay_alu instid0(VALU_DEP_2) | instskip(NEXT) | instid1(VALU_DEP_2)
	v_cmp_eq_u32_e32 vcc_lo, 0, v10
	v_cndmask_b32_e32 v10, v11, v9, vcc_lo
	s_branch .LBB569_15
.LBB569_20:
	s_set_inst_prefetch_distance 0x2
	s_or_b32 exec_lo, exec_lo, s15
.LBB569_21:
	s_delay_alu instid0(SALU_CYCLE_1) | instskip(SKIP_2) | instid1(VALU_DEP_1)
	s_or_b32 exec_lo, exec_lo, s13
	v_or_b32_e32 v3, s4, v0
	s_mov_b32 s0, exec_lo
	v_cmpx_gt_i32_e64 s5, v3
	s_cbranch_execz .LBB569_27
; %bb.22:
	v_ashrrev_i32_e32 v6, 31, v3
	v_mul_lo_u32 v8, v3, s17
	v_mad_u64_u32 v[4:5], null, v3, s16, 0
	s_lshl_b64 s[2:3], s[2:3], 1
	s_delay_alu instid0(VALU_DEP_3) | instskip(SKIP_3) | instid1(SALU_CYCLE_1)
	v_mul_lo_u32 v3, v6, s16
	s_add_u32 s5, s48, s2
	s_addc_u32 s6, s49, s3
	s_lshl_b64 s[2:3], s[50:51], 1
	s_add_u32 s7, s5, s2
	s_addc_u32 s6, s6, s3
	s_ashr_i32 s5, s4, 31
	s_delay_alu instid0(VALU_DEP_1) | instskip(SKIP_1) | instid1(VALU_DEP_1)
	v_add3_u32 v5, v5, v8, v3
	s_lshl_b64 s[2:3], s[4:5], 1
	v_lshlrev_b64 v[3:4], 1, v[4:5]
	s_delay_alu instid0(VALU_DEP_1) | instskip(NEXT) | instid1(VALU_DEP_2)
	v_add_co_u32 v3, vcc_lo, s7, v3
	v_add_co_ci_u32_e32 v4, vcc_lo, s6, v4, vcc_lo
	v_add_co_u32 v1, vcc_lo, v1, s2
	v_add_co_ci_u32_e32 v2, vcc_lo, s3, v2, vcc_lo
	global_load_u16 v3, v[3:4], off
	global_load_u16 v1, v[1:2], off
	s_waitcnt vmcnt(1)
	v_lshlrev_b32_e32 v2, 16, v3
	s_waitcnt vmcnt(0)
	v_lshlrev_b32_e32 v1, 16, v1
	s_delay_alu instid0(VALU_DEP_1) | instskip(NEXT) | instid1(VALU_DEP_1)
	v_mul_f32_e32 v1, v1, v2
	v_and_b32_e32 v2, 0x7f800000, v1
	s_delay_alu instid0(VALU_DEP_1) | instskip(SKIP_1) | instid1(SALU_CYCLE_1)
	v_cmp_ne_u32_e32 vcc_lo, 0x7f800000, v2
                                        ; implicit-def: $vgpr2
	s_and_saveexec_b32 s2, vcc_lo
	s_xor_b32 s2, exec_lo, s2
; %bb.23:
	v_bfe_u32 v2, v1, 16, 1
	s_delay_alu instid0(VALU_DEP_1)
	v_add3_u32 v2, v1, v2, 0x7fff
                                        ; implicit-def: $vgpr1
; %bb.24:
	s_and_not1_saveexec_b32 s2, s2
; %bb.25:
	v_and_b32_e32 v2, 0xffff, v1
	v_or_b32_e32 v3, 0x10000, v1
	s_delay_alu instid0(VALU_DEP_2) | instskip(NEXT) | instid1(VALU_DEP_2)
	v_cmp_eq_u32_e32 vcc_lo, 0, v2
	v_cndmask_b32_e32 v2, v3, v1, vcc_lo
; %bb.26:
	s_or_b32 exec_lo, exec_lo, s2
	s_delay_alu instid0(VALU_DEP_1) | instskip(NEXT) | instid1(VALU_DEP_1)
	v_and_b32_e32 v1, 0xffff0000, v2
	v_add_f32_e32 v7, v7, v1
.LBB569_27:
	s_or_b32 exec_lo, exec_lo, s0
	v_and_b32_e32 v6, 31, v0
	v_cmp_gt_u32_e32 vcc_lo, 32, v0
	s_delay_alu instid0(VALU_DEP_2)
	v_lshlrev_b32_e32 v1, 2, v6
	s_and_saveexec_b32 s0, vcc_lo
	s_cbranch_execz .LBB569_29
; %bb.28:
	v_mov_b32_e32 v2, 0
	ds_store_b32 v1, v2
.LBB569_29:
	s_or_b32 exec_lo, exec_lo, s0
	v_mbcnt_lo_u32_b32 v8, -1, 0
	s_mov_b32 s2, exec_lo
	s_waitcnt lgkmcnt(0)
	s_barrier
	buffer_gl0_inv
	v_cmp_gt_u32_e64 s0, 16, v8
	s_delay_alu instid0(VALU_DEP_1) | instskip(SKIP_1) | instid1(VALU_DEP_2)
	v_cndmask_b32_e64 v2, 0, 1, s0
	v_cmp_gt_u32_e64 s0, 24, v8
	v_lshlrev_b32_e32 v2, 4, v2
	s_delay_alu instid0(VALU_DEP_2) | instskip(SKIP_1) | instid1(VALU_DEP_3)
	v_cndmask_b32_e64 v3, 0, 1, s0
	v_cmp_gt_u32_e64 s0, 28, v8
	v_add_lshl_u32 v2, v2, v8, 2
	s_delay_alu instid0(VALU_DEP_3)
	v_lshlrev_b32_e32 v3, 3, v3
	ds_bpermute_b32 v4, v2, v7
	v_add_lshl_u32 v3, v3, v8, 2
	s_waitcnt lgkmcnt(0)
	v_add_f32_e32 v5, v7, v4
	v_cndmask_b32_e64 v4, 0, 1, s0
	v_cmp_gt_u32_e64 s0, 30, v8
	ds_bpermute_b32 v7, v3, v5
	s_waitcnt lgkmcnt(0)
	v_dual_add_f32 v7, v5, v7 :: v_dual_lshlrev_b32 v4, 2, v4
	s_delay_alu instid0(VALU_DEP_1)
	v_add_lshl_u32 v4, v4, v8, 2
	v_cndmask_b32_e64 v5, 0, 1, s0
	v_cmp_ne_u32_e64 s0, 31, v8
	ds_bpermute_b32 v9, v4, v7
	v_lshlrev_b32_e32 v5, 1, v5
	v_add_co_ci_u32_e64 v10, s0, 0, v8, s0
	s_delay_alu instid0(VALU_DEP_2)
	v_add_lshl_u32 v5, v5, v8, 2
	s_waitcnt lgkmcnt(0)
	v_add_f32_e32 v7, v7, v9
	ds_bpermute_b32 v9, v5, v7
	s_waitcnt lgkmcnt(0)
	v_dual_add_f32 v8, v7, v9 :: v_dual_lshlrev_b32 v7, 2, v10
	ds_bpermute_b32 v9, v7, v8
	v_cmpx_eq_u32_e32 0, v6
	s_cbranch_execz .LBB569_31
; %bb.30:
	v_lshrrev_b32_e32 v6, 3, v0
	s_waitcnt lgkmcnt(0)
	v_add_f32_e32 v8, v8, v9
	s_delay_alu instid0(VALU_DEP_2)
	v_and_b32_e32 v6, 0x7c, v6
	ds_store_b32 v6, v8
.LBB569_31:
	s_or_b32 exec_lo, exec_lo, s2
	v_mov_b32_e32 v6, 0
	s_waitcnt lgkmcnt(0)
	s_barrier
	buffer_gl0_inv
	s_and_saveexec_b32 s0, vcc_lo
	s_cbranch_execz .LBB569_33
; %bb.32:
	ds_load_b32 v6, v1
.LBB569_33:
	s_or_b32 exec_lo, exec_lo, s0
	s_and_saveexec_b32 s0, vcc_lo
	s_cbranch_execz .LBB569_35
; %bb.34:
	s_waitcnt lgkmcnt(0)
	ds_bpermute_b32 v1, v2, v6
	s_waitcnt lgkmcnt(0)
	v_add_f32_e32 v1, v6, v1
	ds_bpermute_b32 v2, v3, v1
	s_waitcnt lgkmcnt(0)
	v_add_f32_e32 v1, v1, v2
	;; [unrolled: 3-line block ×5, first 2 shown]
.LBB569_35:
	s_or_b32 exec_lo, exec_lo, s0
	s_delay_alu instid0(SALU_CYCLE_1)
	s_mov_b32 s0, exec_lo
                                        ; implicit-def: $vgpr1
                                        ; implicit-def: $sgpr4_sgpr5
	v_cmpx_eq_u32_e32 0, v0
	s_cbranch_execz .LBB569_55
; %bb.36:
	v_cmp_eq_f32_e64 s2, s11, 0
	s_waitcnt lgkmcnt(0)
	v_mul_f32_e32 v0, s12, v6
	s_delay_alu instid0(VALU_DEP_2)
	s_and_b32 vcc_lo, exec_lo, s2
	s_cbranch_vccz .LBB569_42
; %bb.37:
	s_delay_alu instid0(VALU_DEP_1) | instskip(NEXT) | instid1(VALU_DEP_1)
	v_and_b32_e32 v1, 0x7f800000, v0
	v_cmp_ne_u32_e32 vcc_lo, 0x7f800000, v1
                                        ; implicit-def: $vgpr1
	s_and_saveexec_b32 s2, vcc_lo
	s_delay_alu instid0(SALU_CYCLE_1)
	s_xor_b32 s2, exec_lo, s2
; %bb.38:
	v_bfe_u32 v1, v0, 16, 1
	s_delay_alu instid0(VALU_DEP_1)
	v_add3_u32 v1, v0, v1, 0x7fff
; %bb.39:
	s_and_not1_saveexec_b32 s2, s2
; %bb.40:
	v_and_b32_e32 v1, 0xffff, v0
	v_or_b32_e32 v2, 0x10000, v0
	s_delay_alu instid0(VALU_DEP_2) | instskip(NEXT) | instid1(VALU_DEP_2)
	v_cmp_eq_u32_e32 vcc_lo, 0, v1
	v_cndmask_b32_e32 v1, v2, v0, vcc_lo
; %bb.41:
	s_or_b32 exec_lo, exec_lo, s2
	s_mov_b32 s4, 0
	s_branch .LBB569_43
.LBB569_42:
	s_mov_b32 s4, -1
                                        ; implicit-def: $vgpr1
.LBB569_43:
	s_mul_i32 s2, s14, s29
	s_mul_hi_u32 s3, s14, s28
	s_and_not1_b32 vcc_lo, exec_lo, s4
	s_mul_i32 s1, s1, s28
	s_mul_i32 s4, s14, s28
	s_cbranch_vccnz .LBB569_54
; %bb.44:
	s_add_i32 s5, s3, s2
	v_mov_b32_e32 v1, 0
	s_add_i32 s5, s5, s1
	s_delay_alu instid0(SALU_CYCLE_1) | instskip(NEXT) | instid1(SALU_CYCLE_1)
	s_lshl_b64 s[6:7], s[4:5], 1
	s_add_u32 s6, s8, s6
	s_addc_u32 s7, s9, s7
	global_load_u16 v1, v1, s[6:7]
	s_waitcnt vmcnt(0)
	v_lshlrev_b32_e32 v1, 16, v1
	s_delay_alu instid0(VALU_DEP_1) | instskip(NEXT) | instid1(VALU_DEP_1)
	v_mul_f32_e32 v1, s11, v1
	v_and_b32_e32 v2, 0x7f800000, v1
	v_readfirstlane_b32 s5, v1
	s_delay_alu instid0(VALU_DEP_2)
	v_cmp_eq_u32_e32 vcc_lo, 0x7f800000, v2
	s_cbranch_vccnz .LBB569_46
; %bb.45:
	s_delay_alu instid0(VALU_DEP_2) | instskip(SKIP_2) | instid1(SALU_CYCLE_1)
	s_bfe_u32 s6, s5, 0x10010
	s_mov_b32 s7, 0
	s_add_i32 s6, s5, s6
	s_addk_i32 s6, 0x7fff
	s_branch .LBB569_47
.LBB569_46:
	s_mov_b32 s7, -1
                                        ; implicit-def: $sgpr6
.LBB569_47:
	s_delay_alu instid0(SALU_CYCLE_1)
	s_and_not1_b32 vcc_lo, exec_lo, s7
	s_cbranch_vccnz .LBB569_49
; %bb.48:
	s_and_b32 s6, s5, 0xffff
	s_or_b32 s7, s5, 0x10000
	s_cmp_eq_u32 s6, 0
	s_cselect_b32 s6, s5, s7
.LBB569_49:
	s_delay_alu instid0(SALU_CYCLE_1) | instskip(NEXT) | instid1(SALU_CYCLE_1)
	s_and_b32 s5, s6, 0xffff0000
	v_add_f32_e32 v0, s5, v0
	s_delay_alu instid0(VALU_DEP_1) | instskip(NEXT) | instid1(VALU_DEP_1)
	v_and_b32_e32 v1, 0x7f800000, v0
	v_cmp_ne_u32_e32 vcc_lo, 0x7f800000, v1
                                        ; implicit-def: $vgpr1
	s_and_saveexec_b32 s5, vcc_lo
	s_delay_alu instid0(SALU_CYCLE_1)
	s_xor_b32 s5, exec_lo, s5
; %bb.50:
	v_bfe_u32 v1, v0, 16, 1
	s_delay_alu instid0(VALU_DEP_1)
	v_add3_u32 v1, v0, v1, 0x7fff
                                        ; implicit-def: $vgpr0
; %bb.51:
	s_and_not1_saveexec_b32 s5, s5
; %bb.52:
	v_and_b32_e32 v1, 0xffff, v0
	v_or_b32_e32 v2, 0x10000, v0
	s_delay_alu instid0(VALU_DEP_2) | instskip(NEXT) | instid1(VALU_DEP_2)
	v_cmp_eq_u32_e32 vcc_lo, 0, v1
	v_cndmask_b32_e32 v1, v2, v0, vcc_lo
; %bb.53:
	s_or_b32 exec_lo, exec_lo, s5
.LBB569_54:
	s_delay_alu instid0(VALU_DEP_1)
	v_lshrrev_b32_e32 v1, 16, v1
	s_add_i32 s2, s3, s2
	s_or_b32 s10, s10, exec_lo
	s_add_i32 s5, s2, s1
.LBB569_55:
	s_or_b32 exec_lo, exec_lo, s0
	s_and_saveexec_b32 s0, s10
	s_cbranch_execz .LBB569_57
.LBB569_56:
	s_lshl_b64 s[0:1], s[4:5], 1
	v_mov_b32_e32 v0, 0
	s_add_u32 s0, s8, s0
	s_addc_u32 s1, s9, s1
	global_store_b16 v0, v1, s[0:1]
.LBB569_57:
	s_nop 0
	s_sendmsg sendmsg(MSG_DEALLOC_VGPRS)
	s_endpgm
	.section	.rodata,"a",@progbits
	.p2align	6, 0x0
	.amdhsa_kernel _ZL32rocblas_gemvt_warp_reduce_kernelILb0ELi1024El16rocblas_bfloat16PKfS0_EviiT3_lPKT2_lT1_lS6_lS7_lS3_lPT4_lS7_li
		.amdhsa_group_segment_fixed_size 128
		.amdhsa_private_segment_fixed_size 0
		.amdhsa_kernarg_size 140
		.amdhsa_user_sgpr_count 14
		.amdhsa_user_sgpr_dispatch_ptr 0
		.amdhsa_user_sgpr_queue_ptr 0
		.amdhsa_user_sgpr_kernarg_segment_ptr 1
		.amdhsa_user_sgpr_dispatch_id 0
		.amdhsa_user_sgpr_private_segment_size 0
		.amdhsa_wavefront_size32 1
		.amdhsa_uses_dynamic_stack 0
		.amdhsa_enable_private_segment 0
		.amdhsa_system_sgpr_workgroup_id_x 1
		.amdhsa_system_sgpr_workgroup_id_y 0
		.amdhsa_system_sgpr_workgroup_id_z 1
		.amdhsa_system_sgpr_workgroup_info 0
		.amdhsa_system_vgpr_workitem_id 0
		.amdhsa_next_free_vgpr 12
		.amdhsa_next_free_sgpr 52
		.amdhsa_reserve_vcc 1
		.amdhsa_float_round_mode_32 0
		.amdhsa_float_round_mode_16_64 0
		.amdhsa_float_denorm_mode_32 3
		.amdhsa_float_denorm_mode_16_64 3
		.amdhsa_dx10_clamp 1
		.amdhsa_ieee_mode 1
		.amdhsa_fp16_overflow 0
		.amdhsa_workgroup_processor_mode 1
		.amdhsa_memory_ordered 1
		.amdhsa_forward_progress 0
		.amdhsa_shared_vgpr_count 0
		.amdhsa_exception_fp_ieee_invalid_op 0
		.amdhsa_exception_fp_denorm_src 0
		.amdhsa_exception_fp_ieee_div_zero 0
		.amdhsa_exception_fp_ieee_overflow 0
		.amdhsa_exception_fp_ieee_underflow 0
		.amdhsa_exception_fp_ieee_inexact 0
		.amdhsa_exception_int_div_zero 0
	.end_amdhsa_kernel
	.section	.text._ZL32rocblas_gemvt_warp_reduce_kernelILb0ELi1024El16rocblas_bfloat16PKfS0_EviiT3_lPKT2_lT1_lS6_lS7_lS3_lPT4_lS7_li,"axG",@progbits,_ZL32rocblas_gemvt_warp_reduce_kernelILb0ELi1024El16rocblas_bfloat16PKfS0_EviiT3_lPKT2_lT1_lS6_lS7_lS3_lPT4_lS7_li,comdat
.Lfunc_end569:
	.size	_ZL32rocblas_gemvt_warp_reduce_kernelILb0ELi1024El16rocblas_bfloat16PKfS0_EviiT3_lPKT2_lT1_lS6_lS7_lS3_lPT4_lS7_li, .Lfunc_end569-_ZL32rocblas_gemvt_warp_reduce_kernelILb0ELi1024El16rocblas_bfloat16PKfS0_EviiT3_lPKT2_lT1_lS6_lS7_lS3_lPT4_lS7_li
                                        ; -- End function
	.section	.AMDGPU.csdata,"",@progbits
; Kernel info:
; codeLenInByte = 2240
; NumSgprs: 54
; NumVgprs: 12
; ScratchSize: 0
; MemoryBound: 0
; FloatMode: 240
; IeeeMode: 1
; LDSByteSize: 128 bytes/workgroup (compile time only)
; SGPRBlocks: 6
; VGPRBlocks: 1
; NumSGPRsForWavesPerEU: 54
; NumVGPRsForWavesPerEU: 12
; Occupancy: 16
; WaveLimiterHint : 0
; COMPUTE_PGM_RSRC2:SCRATCH_EN: 0
; COMPUTE_PGM_RSRC2:USER_SGPR: 14
; COMPUTE_PGM_RSRC2:TRAP_HANDLER: 0
; COMPUTE_PGM_RSRC2:TGID_X_EN: 1
; COMPUTE_PGM_RSRC2:TGID_Y_EN: 0
; COMPUTE_PGM_RSRC2:TGID_Z_EN: 1
; COMPUTE_PGM_RSRC2:TIDIG_COMP_CNT: 0
	.section	.text._ZL32rocblas_gemvt_warp_reduce_kernelILb0ELi1024Ei16rocblas_bfloat16fS0_EviiT3_lPKT2_lT1_lS4_lS5_lS1_lPT4_lS5_li,"axG",@progbits,_ZL32rocblas_gemvt_warp_reduce_kernelILb0ELi1024Ei16rocblas_bfloat16fS0_EviiT3_lPKT2_lT1_lS4_lS5_lS1_lPT4_lS5_li,comdat
	.globl	_ZL32rocblas_gemvt_warp_reduce_kernelILb0ELi1024Ei16rocblas_bfloat16fS0_EviiT3_lPKT2_lT1_lS4_lS5_lS1_lPT4_lS5_li ; -- Begin function _ZL32rocblas_gemvt_warp_reduce_kernelILb0ELi1024Ei16rocblas_bfloat16fS0_EviiT3_lPKT2_lT1_lS4_lS5_lS1_lPT4_lS5_li
	.p2align	8
	.type	_ZL32rocblas_gemvt_warp_reduce_kernelILb0ELi1024Ei16rocblas_bfloat16fS0_EviiT3_lPKT2_lT1_lS4_lS5_lS1_lPT4_lS5_li,@function
_ZL32rocblas_gemvt_warp_reduce_kernelILb0ELi1024Ei16rocblas_bfloat16fS0_EviiT3_lPKT2_lT1_lS4_lS5_lS1_lPT4_lS5_li: ; @_ZL32rocblas_gemvt_warp_reduce_kernelILb0ELi1024Ei16rocblas_bfloat16fS0_EviiT3_lPKT2_lT1_lS4_lS5_lS1_lPT4_lS5_li
; %bb.0:
	s_clause 0x1
	s_load_b32 s11, s[0:1], 0x8
	s_load_b32 s9, s[0:1], 0x58
	s_mov_b32 s8, 0
	s_waitcnt lgkmcnt(0)
	v_cmp_eq_f32_e64 s2, s11, 0
	v_cmp_eq_f32_e64 s3, s9, 1.0
	s_delay_alu instid0(VALU_DEP_1) | instskip(NEXT) | instid1(SALU_CYCLE_1)
	s_and_b32 s2, s2, s3
	s_and_b32 vcc_lo, exec_lo, s2
	s_cbranch_vccnz .LBB570_56
; %bb.1:
	s_clause 0x2
	s_load_b64 s[2:3], s[0:1], 0x80
	s_load_b128 s[4:7], s[0:1], 0x68
	s_load_b32 s10, s[0:1], 0x78
	s_waitcnt lgkmcnt(0)
	s_mul_i32 s3, s15, s3
	s_mul_hi_u32 s12, s15, s2
	s_mul_i32 s2, s15, s2
	s_add_i32 s3, s12, s3
	v_cmp_neq_f32_e64 s12, s11, 0
	s_lshl_b64 s[2:3], s[2:3], 1
	s_delay_alu instid0(SALU_CYCLE_1) | instskip(SKIP_2) | instid1(SALU_CYCLE_1)
	s_add_u32 s4, s4, s2
	s_addc_u32 s5, s5, s3
	s_lshl_b64 s[2:3], s[6:7], 1
	s_add_u32 s6, s4, s2
	v_cmp_eq_u32_e64 s2, 0, v0
	s_addc_u32 s7, s5, s3
	s_and_b32 vcc_lo, exec_lo, s12
	s_cbranch_vccnz .LBB570_6
; %bb.2:
	s_mov_b32 s3, 0
                                        ; implicit-def: $sgpr13
                                        ; implicit-def: $sgpr4_sgpr5
	s_and_saveexec_b32 s12, s2
	s_cbranch_execz .LBB570_7
; %bb.3:
	v_cmp_eq_f32_e64 s2, s9, 0
	s_mul_i32 s4, s14, s10
	s_mov_b32 s13, 0
	s_ashr_i32 s5, s4, 31
	s_delay_alu instid0(VALU_DEP_1)
	s_and_b32 vcc_lo, exec_lo, s2
	s_cbranch_vccnz .LBB570_12
; %bb.4:
	s_lshl_b64 s[16:17], s[4:5], 1
	v_mov_b32_e32 v1, 0
	s_add_u32 s16, s6, s16
	s_addc_u32 s17, s7, s17
	global_load_u16 v1, v1, s[16:17]
	s_waitcnt vmcnt(0)
	v_lshlrev_b32_e32 v1, 16, v1
	s_delay_alu instid0(VALU_DEP_1) | instskip(NEXT) | instid1(VALU_DEP_1)
	v_mul_f32_e32 v1, s9, v1
	v_and_b32_e32 v2, 0x7f800000, v1
	v_readfirstlane_b32 s2, v1
	s_delay_alu instid0(VALU_DEP_2)
	v_cmp_eq_u32_e32 vcc_lo, 0x7f800000, v2
	s_cbranch_vccnz .LBB570_9
; %bb.5:
	s_delay_alu instid0(VALU_DEP_2) | instskip(NEXT) | instid1(SALU_CYCLE_1)
	s_bfe_u32 s8, s2, 0x10010
	s_add_i32 s8, s2, s8
	s_delay_alu instid0(SALU_CYCLE_1)
	s_addk_i32 s8, 0x7fff
	s_and_not1_b32 vcc_lo, exec_lo, s13
	s_cbranch_vccz .LBB570_10
	s_branch .LBB570_11
.LBB570_6:
                                        ; implicit-def: $sgpr13
                                        ; implicit-def: $sgpr4_sgpr5
	s_cbranch_execz .LBB570_8
	s_branch .LBB570_13
.LBB570_7:
	s_or_b32 exec_lo, exec_lo, s12
	s_delay_alu instid0(SALU_CYCLE_1)
	s_and_b32 vcc_lo, exec_lo, s3
	s_cbranch_vccnz .LBB570_13
.LBB570_8:
	v_mov_b32_e32 v1, s13
	s_and_saveexec_b32 s0, s8
	s_cbranch_execnz .LBB570_55
	s_branch .LBB570_56
.LBB570_9:
                                        ; implicit-def: $sgpr8
.LBB570_10:
	s_delay_alu instid0(VALU_DEP_2)
	s_and_b32 s8, s2, 0xffff
	s_or_b32 s13, s2, 0x10000
	s_cmp_eq_u32 s8, 0
	s_cselect_b32 s8, s2, s13
.LBB570_11:
	s_delay_alu instid0(SALU_CYCLE_1)
	s_lshr_b32 s13, s8, 16
.LBB570_12:
	s_mov_b32 s8, exec_lo
	s_or_b32 exec_lo, exec_lo, s12
	s_delay_alu instid0(SALU_CYCLE_1)
	s_and_b32 vcc_lo, exec_lo, s3
	s_cbranch_vccz .LBB570_8
.LBB570_13:
	s_clause 0x6
	s_load_b64 s[4:5], s[0:1], 0x50
	s_load_b128 s[16:19], s[0:1], 0x30
	s_load_b64 s[12:13], s[0:1], 0x40
	s_load_b32 s3, s[0:1], 0x0
	s_load_b128 s[20:23], s[0:1], 0x18
	s_load_b32 s2, s[0:1], 0x28
	s_load_b32 s1, s[0:1], 0x48
	v_mov_b32_e32 v7, 0
	s_waitcnt lgkmcnt(0)
	s_mul_i32 s0, s15, s5
	s_mul_hi_u32 s5, s15, s4
	s_mul_i32 s4, s15, s4
	s_add_i32 s5, s5, s0
	s_mul_i32 s0, s15, s17
	s_lshl_b64 s[4:5], s[4:5], 1
	s_mul_hi_u32 s17, s15, s16
	s_add_u32 s18, s18, s4
	s_addc_u32 s19, s19, s5
	s_lshl_b64 s[4:5], s[12:13], 1
	v_cmp_gt_i32_e32 vcc_lo, s3, v0
	s_add_u32 s4, s18, s4
	s_mul_i32 s12, s15, s16
	s_addc_u32 s5, s19, s5
	s_add_i32 s13, s17, s0
	v_cndmask_b32_e32 v1, 0, v0, vcc_lo
	s_lshl_b64 s[12:13], s[12:13], 1
	s_mul_i32 s16, s14, s2
	s_add_u32 s0, s20, s12
	s_addc_u32 s15, s21, s13
	s_lshl_b64 s[12:13], s[22:23], 1
	v_lshlrev_b32_e32 v1, 1, v1
	s_add_u32 s0, s0, s12
	s_addc_u32 s2, s15, s13
	s_ashr_i32 s17, s16, 31
	s_delay_alu instid0(SALU_CYCLE_1) | instskip(NEXT) | instid1(SALU_CYCLE_1)
	s_lshl_b64 s[12:13], s[16:17], 1
	s_add_u32 s0, s12, s0
	s_addc_u32 s12, s13, s2
	s_ashr_i32 s2, s3, 31
	v_add_co_u32 v1, s0, s0, v1
	s_lshr_b32 s2, s2, 22
	v_add_co_ci_u32_e64 v2, null, s12, 0, s0
	s_add_i32 s2, s3, s2
	s_mov_b32 s13, 0
	s_and_b32 s2, s2, 0xfffffc00
	s_mov_b32 s12, exec_lo
	v_cmpx_gt_i32_e64 s2, v0
	s_cbranch_execz .LBB570_21
; %bb.14:
	v_mul_lo_u32 v3, v0, s1
	v_dual_mov_b32 v7, 0 :: v_dual_mov_b32 v6, v2
	v_dual_mov_b32 v5, v1 :: v_dual_mov_b32 v8, v0
	s_lshl_b32 s15, s1, 10
	s_branch .LBB570_16
.LBB570_15:                             ;   in Loop: Header=BB570_16 Depth=1
	s_or_b32 exec_lo, exec_lo, s0
	v_add_nc_u32_e32 v8, 0x400, v8
	s_delay_alu instid0(VALU_DEP_2) | instskip(SKIP_2) | instid1(VALU_DEP_4)
	v_and_b32_e32 v4, 0xffff0000, v9
	v_add_co_u32 v5, s0, 0x800, v5
	v_add_nc_u32_e32 v3, s15, v3
	v_cmp_le_i32_e32 vcc_lo, s2, v8
	s_delay_alu instid0(VALU_DEP_4) | instskip(SKIP_2) | instid1(SALU_CYCLE_1)
	v_add_f32_e32 v7, v7, v4
	v_add_co_ci_u32_e64 v6, s0, 0, v6, s0
	s_or_b32 s13, vcc_lo, s13
	s_and_not1_b32 exec_lo, exec_lo, s13
	s_cbranch_execz .LBB570_20
.LBB570_16:                             ; =>This Inner Loop Header: Depth=1
	s_delay_alu instid0(VALU_DEP_3) | instskip(NEXT) | instid1(VALU_DEP_1)
	v_ashrrev_i32_e32 v4, 31, v3
	v_lshlrev_b64 v[9:10], 1, v[3:4]
	s_delay_alu instid0(VALU_DEP_1) | instskip(NEXT) | instid1(VALU_DEP_2)
	v_add_co_u32 v9, vcc_lo, s4, v9
	v_add_co_ci_u32_e32 v10, vcc_lo, s5, v10, vcc_lo
	global_load_u16 v4, v[5:6], off
	global_load_u16 v9, v[9:10], off
	s_waitcnt vmcnt(1)
	v_lshlrev_b32_e32 v4, 16, v4
	s_waitcnt vmcnt(0)
	v_lshlrev_b32_e32 v9, 16, v9
	s_delay_alu instid0(VALU_DEP_1) | instskip(NEXT) | instid1(VALU_DEP_1)
	v_mul_f32_e32 v4, v4, v9
	v_and_b32_e32 v9, 0x7f800000, v4
	s_delay_alu instid0(VALU_DEP_1) | instskip(SKIP_1) | instid1(SALU_CYCLE_1)
	v_cmp_ne_u32_e32 vcc_lo, 0x7f800000, v9
                                        ; implicit-def: $vgpr9
	s_and_saveexec_b32 s0, vcc_lo
	s_xor_b32 s0, exec_lo, s0
; %bb.17:                               ;   in Loop: Header=BB570_16 Depth=1
	v_bfe_u32 v9, v4, 16, 1
	s_delay_alu instid0(VALU_DEP_1)
	v_add3_u32 v9, v4, v9, 0x7fff
                                        ; implicit-def: $vgpr4
; %bb.18:                               ;   in Loop: Header=BB570_16 Depth=1
	s_and_not1_saveexec_b32 s0, s0
	s_cbranch_execz .LBB570_15
; %bb.19:                               ;   in Loop: Header=BB570_16 Depth=1
	v_and_b32_e32 v9, 0xffff, v4
	v_or_b32_e32 v10, 0x10000, v4
	s_delay_alu instid0(VALU_DEP_2) | instskip(NEXT) | instid1(VALU_DEP_2)
	v_cmp_eq_u32_e32 vcc_lo, 0, v9
	v_cndmask_b32_e32 v9, v10, v4, vcc_lo
	s_branch .LBB570_15
.LBB570_20:
	s_or_b32 exec_lo, exec_lo, s13
.LBB570_21:
	s_delay_alu instid0(SALU_CYCLE_1) | instskip(SKIP_2) | instid1(VALU_DEP_1)
	s_or_b32 exec_lo, exec_lo, s12
	v_or_b32_e32 v3, s2, v0
	s_mov_b32 s0, exec_lo
	v_cmpx_gt_i32_e64 s3, v3
	s_cbranch_execz .LBB570_27
; %bb.22:
	v_mul_lo_u32 v3, v3, s1
	s_ashr_i32 s3, s2, 31
	s_delay_alu instid0(SALU_CYCLE_1) | instskip(NEXT) | instid1(VALU_DEP_1)
	s_lshl_b64 s[2:3], s[2:3], 1
	v_ashrrev_i32_e32 v4, 31, v3
	s_delay_alu instid0(VALU_DEP_1) | instskip(NEXT) | instid1(VALU_DEP_1)
	v_lshlrev_b64 v[3:4], 1, v[3:4]
	v_add_co_u32 v3, vcc_lo, s4, v3
	s_delay_alu instid0(VALU_DEP_2)
	v_add_co_ci_u32_e32 v4, vcc_lo, s5, v4, vcc_lo
	v_add_co_u32 v1, vcc_lo, v1, s2
	v_add_co_ci_u32_e32 v2, vcc_lo, s3, v2, vcc_lo
	global_load_u16 v3, v[3:4], off
	global_load_u16 v1, v[1:2], off
	s_waitcnt vmcnt(1)
	v_lshlrev_b32_e32 v2, 16, v3
	s_waitcnt vmcnt(0)
	v_lshlrev_b32_e32 v1, 16, v1
	s_delay_alu instid0(VALU_DEP_1) | instskip(NEXT) | instid1(VALU_DEP_1)
	v_mul_f32_e32 v1, v1, v2
	v_and_b32_e32 v2, 0x7f800000, v1
	s_delay_alu instid0(VALU_DEP_1) | instskip(SKIP_1) | instid1(SALU_CYCLE_1)
	v_cmp_ne_u32_e32 vcc_lo, 0x7f800000, v2
                                        ; implicit-def: $vgpr2
	s_and_saveexec_b32 s1, vcc_lo
	s_xor_b32 s1, exec_lo, s1
; %bb.23:
	v_bfe_u32 v2, v1, 16, 1
	s_delay_alu instid0(VALU_DEP_1)
	v_add3_u32 v2, v1, v2, 0x7fff
                                        ; implicit-def: $vgpr1
; %bb.24:
	s_and_not1_saveexec_b32 s1, s1
; %bb.25:
	v_and_b32_e32 v2, 0xffff, v1
	v_or_b32_e32 v3, 0x10000, v1
	s_delay_alu instid0(VALU_DEP_2) | instskip(NEXT) | instid1(VALU_DEP_2)
	v_cmp_eq_u32_e32 vcc_lo, 0, v2
	v_cndmask_b32_e32 v2, v3, v1, vcc_lo
; %bb.26:
	s_or_b32 exec_lo, exec_lo, s1
	s_delay_alu instid0(VALU_DEP_1) | instskip(NEXT) | instid1(VALU_DEP_1)
	v_and_b32_e32 v1, 0xffff0000, v2
	v_add_f32_e32 v7, v7, v1
.LBB570_27:
	s_or_b32 exec_lo, exec_lo, s0
	v_and_b32_e32 v6, 31, v0
	v_cmp_gt_u32_e32 vcc_lo, 32, v0
	s_delay_alu instid0(VALU_DEP_2)
	v_lshlrev_b32_e32 v1, 2, v6
	s_and_saveexec_b32 s0, vcc_lo
	s_cbranch_execz .LBB570_29
; %bb.28:
	v_mov_b32_e32 v2, 0
	ds_store_b32 v1, v2
.LBB570_29:
	s_or_b32 exec_lo, exec_lo, s0
	v_mbcnt_lo_u32_b32 v8, -1, 0
	s_mov_b32 s1, exec_lo
	s_waitcnt lgkmcnt(0)
	s_barrier
	buffer_gl0_inv
	v_cmp_gt_u32_e64 s0, 16, v8
	s_delay_alu instid0(VALU_DEP_1) | instskip(SKIP_1) | instid1(VALU_DEP_2)
	v_cndmask_b32_e64 v2, 0, 1, s0
	v_cmp_gt_u32_e64 s0, 24, v8
	v_lshlrev_b32_e32 v2, 4, v2
	s_delay_alu instid0(VALU_DEP_2) | instskip(SKIP_1) | instid1(VALU_DEP_3)
	v_cndmask_b32_e64 v3, 0, 1, s0
	v_cmp_gt_u32_e64 s0, 28, v8
	v_add_lshl_u32 v2, v2, v8, 2
	s_delay_alu instid0(VALU_DEP_3)
	v_lshlrev_b32_e32 v3, 3, v3
	ds_bpermute_b32 v4, v2, v7
	v_add_lshl_u32 v3, v3, v8, 2
	s_waitcnt lgkmcnt(0)
	v_add_f32_e32 v5, v7, v4
	v_cndmask_b32_e64 v4, 0, 1, s0
	v_cmp_gt_u32_e64 s0, 30, v8
	ds_bpermute_b32 v7, v3, v5
	s_waitcnt lgkmcnt(0)
	v_dual_add_f32 v7, v5, v7 :: v_dual_lshlrev_b32 v4, 2, v4
	s_delay_alu instid0(VALU_DEP_1)
	v_add_lshl_u32 v4, v4, v8, 2
	v_cndmask_b32_e64 v5, 0, 1, s0
	v_cmp_ne_u32_e64 s0, 31, v8
	ds_bpermute_b32 v9, v4, v7
	v_lshlrev_b32_e32 v5, 1, v5
	v_add_co_ci_u32_e64 v10, s0, 0, v8, s0
	s_delay_alu instid0(VALU_DEP_2)
	v_add_lshl_u32 v5, v5, v8, 2
	s_waitcnt lgkmcnt(0)
	v_add_f32_e32 v7, v7, v9
	ds_bpermute_b32 v9, v5, v7
	s_waitcnt lgkmcnt(0)
	v_dual_add_f32 v8, v7, v9 :: v_dual_lshlrev_b32 v7, 2, v10
	ds_bpermute_b32 v9, v7, v8
	v_cmpx_eq_u32_e32 0, v6
	s_cbranch_execz .LBB570_31
; %bb.30:
	v_lshrrev_b32_e32 v6, 3, v0
	s_waitcnt lgkmcnt(0)
	v_add_f32_e32 v8, v8, v9
	s_delay_alu instid0(VALU_DEP_2)
	v_and_b32_e32 v6, 0x7c, v6
	ds_store_b32 v6, v8
.LBB570_31:
	s_or_b32 exec_lo, exec_lo, s1
	v_mov_b32_e32 v6, 0
	s_waitcnt lgkmcnt(0)
	s_barrier
	buffer_gl0_inv
	s_and_saveexec_b32 s0, vcc_lo
	s_cbranch_execz .LBB570_33
; %bb.32:
	ds_load_b32 v6, v1
.LBB570_33:
	s_or_b32 exec_lo, exec_lo, s0
	s_and_saveexec_b32 s0, vcc_lo
	s_cbranch_execz .LBB570_35
; %bb.34:
	s_waitcnt lgkmcnt(0)
	ds_bpermute_b32 v1, v2, v6
	s_waitcnt lgkmcnt(0)
	v_add_f32_e32 v1, v6, v1
	ds_bpermute_b32 v2, v3, v1
	s_waitcnt lgkmcnt(0)
	v_add_f32_e32 v1, v1, v2
	;; [unrolled: 3-line block ×5, first 2 shown]
.LBB570_35:
	s_or_b32 exec_lo, exec_lo, s0
	s_delay_alu instid0(SALU_CYCLE_1)
	s_mov_b32 s0, exec_lo
                                        ; implicit-def: $vgpr1
                                        ; implicit-def: $sgpr4_sgpr5
	v_cmpx_eq_u32_e32 0, v0
	s_cbranch_execz .LBB570_54
; %bb.36:
	v_cmp_eq_f32_e64 s1, s9, 0
	s_waitcnt lgkmcnt(0)
	v_mul_f32_e32 v0, s11, v6
	s_delay_alu instid0(VALU_DEP_2)
	s_and_b32 vcc_lo, exec_lo, s1
	s_cbranch_vccz .LBB570_42
; %bb.37:
	s_delay_alu instid0(VALU_DEP_1) | instskip(NEXT) | instid1(VALU_DEP_1)
	v_and_b32_e32 v1, 0x7f800000, v0
	v_cmp_ne_u32_e32 vcc_lo, 0x7f800000, v1
                                        ; implicit-def: $vgpr1
	s_and_saveexec_b32 s1, vcc_lo
	s_delay_alu instid0(SALU_CYCLE_1)
	s_xor_b32 s1, exec_lo, s1
; %bb.38:
	v_bfe_u32 v1, v0, 16, 1
	s_delay_alu instid0(VALU_DEP_1)
	v_add3_u32 v1, v0, v1, 0x7fff
; %bb.39:
	s_and_not1_saveexec_b32 s1, s1
; %bb.40:
	v_and_b32_e32 v1, 0xffff, v0
	v_or_b32_e32 v2, 0x10000, v0
	s_delay_alu instid0(VALU_DEP_2) | instskip(NEXT) | instid1(VALU_DEP_2)
	v_cmp_eq_u32_e32 vcc_lo, 0, v1
	v_cndmask_b32_e32 v1, v2, v0, vcc_lo
; %bb.41:
	s_or_b32 exec_lo, exec_lo, s1
	s_mul_i32 s4, s14, s10
	s_cbranch_execz .LBB570_43
	s_branch .LBB570_53
.LBB570_42:
                                        ; implicit-def: $vgpr1
	s_mul_i32 s4, s14, s10
.LBB570_43:
	s_delay_alu instid0(SALU_CYCLE_1) | instskip(SKIP_2) | instid1(SALU_CYCLE_1)
	s_ashr_i32 s5, s4, 31
	v_mov_b32_e32 v1, 0
	s_lshl_b64 s[2:3], s[4:5], 1
	s_add_u32 s2, s6, s2
	s_addc_u32 s3, s7, s3
	global_load_u16 v1, v1, s[2:3]
	s_waitcnt vmcnt(0)
	v_lshlrev_b32_e32 v1, 16, v1
	s_delay_alu instid0(VALU_DEP_1) | instskip(NEXT) | instid1(VALU_DEP_1)
	v_mul_f32_e32 v1, s9, v1
	v_and_b32_e32 v2, 0x7f800000, v1
	v_readfirstlane_b32 s1, v1
	s_delay_alu instid0(VALU_DEP_2)
	v_cmp_eq_u32_e32 vcc_lo, 0x7f800000, v2
	s_cbranch_vccnz .LBB570_45
; %bb.44:
	s_delay_alu instid0(VALU_DEP_2) | instskip(SKIP_2) | instid1(SALU_CYCLE_1)
	s_bfe_u32 s2, s1, 0x10010
	s_mov_b32 s3, 0
	s_add_i32 s2, s1, s2
	s_addk_i32 s2, 0x7fff
	s_branch .LBB570_46
.LBB570_45:
	s_mov_b32 s3, -1
                                        ; implicit-def: $sgpr2
.LBB570_46:
	s_delay_alu instid0(SALU_CYCLE_1)
	s_and_not1_b32 vcc_lo, exec_lo, s3
	s_cbranch_vccnz .LBB570_48
; %bb.47:
	s_and_b32 s2, s1, 0xffff
	s_or_b32 s3, s1, 0x10000
	s_cmp_eq_u32 s2, 0
	s_cselect_b32 s2, s1, s3
.LBB570_48:
	s_delay_alu instid0(SALU_CYCLE_1) | instskip(NEXT) | instid1(SALU_CYCLE_1)
	s_and_b32 s1, s2, 0xffff0000
	v_add_f32_e32 v0, s1, v0
	s_delay_alu instid0(VALU_DEP_1) | instskip(NEXT) | instid1(VALU_DEP_1)
	v_and_b32_e32 v1, 0x7f800000, v0
	v_cmp_ne_u32_e32 vcc_lo, 0x7f800000, v1
                                        ; implicit-def: $vgpr1
	s_and_saveexec_b32 s1, vcc_lo
	s_delay_alu instid0(SALU_CYCLE_1)
	s_xor_b32 s1, exec_lo, s1
; %bb.49:
	v_bfe_u32 v1, v0, 16, 1
	s_delay_alu instid0(VALU_DEP_1)
	v_add3_u32 v1, v0, v1, 0x7fff
                                        ; implicit-def: $vgpr0
; %bb.50:
	s_and_not1_saveexec_b32 s1, s1
; %bb.51:
	v_and_b32_e32 v1, 0xffff, v0
	v_or_b32_e32 v2, 0x10000, v0
	s_delay_alu instid0(VALU_DEP_2) | instskip(NEXT) | instid1(VALU_DEP_2)
	v_cmp_eq_u32_e32 vcc_lo, 0, v1
	v_cndmask_b32_e32 v1, v2, v0, vcc_lo
; %bb.52:
	s_or_b32 exec_lo, exec_lo, s1
.LBB570_53:
	s_delay_alu instid0(VALU_DEP_1)
	v_lshrrev_b32_e32 v1, 16, v1
	s_ashr_i32 s5, s4, 31
	s_or_b32 s8, s8, exec_lo
.LBB570_54:
	s_or_b32 exec_lo, exec_lo, s0
	s_and_saveexec_b32 s0, s8
	s_cbranch_execz .LBB570_56
.LBB570_55:
	s_lshl_b64 s[0:1], s[4:5], 1
	v_mov_b32_e32 v0, 0
	s_add_u32 s0, s6, s0
	s_addc_u32 s1, s7, s1
	global_store_b16 v0, v1, s[0:1]
.LBB570_56:
	s_nop 0
	s_sendmsg sendmsg(MSG_DEALLOC_VGPRS)
	s_endpgm
	.section	.rodata,"a",@progbits
	.p2align	6, 0x0
	.amdhsa_kernel _ZL32rocblas_gemvt_warp_reduce_kernelILb0ELi1024Ei16rocblas_bfloat16fS0_EviiT3_lPKT2_lT1_lS4_lS5_lS1_lPT4_lS5_li
		.amdhsa_group_segment_fixed_size 128
		.amdhsa_private_segment_fixed_size 0
		.amdhsa_kernarg_size 140
		.amdhsa_user_sgpr_count 14
		.amdhsa_user_sgpr_dispatch_ptr 0
		.amdhsa_user_sgpr_queue_ptr 0
		.amdhsa_user_sgpr_kernarg_segment_ptr 1
		.amdhsa_user_sgpr_dispatch_id 0
		.amdhsa_user_sgpr_private_segment_size 0
		.amdhsa_wavefront_size32 1
		.amdhsa_uses_dynamic_stack 0
		.amdhsa_enable_private_segment 0
		.amdhsa_system_sgpr_workgroup_id_x 1
		.amdhsa_system_sgpr_workgroup_id_y 0
		.amdhsa_system_sgpr_workgroup_id_z 1
		.amdhsa_system_sgpr_workgroup_info 0
		.amdhsa_system_vgpr_workitem_id 0
		.amdhsa_next_free_vgpr 11
		.amdhsa_next_free_sgpr 24
		.amdhsa_reserve_vcc 1
		.amdhsa_float_round_mode_32 0
		.amdhsa_float_round_mode_16_64 0
		.amdhsa_float_denorm_mode_32 3
		.amdhsa_float_denorm_mode_16_64 3
		.amdhsa_dx10_clamp 1
		.amdhsa_ieee_mode 1
		.amdhsa_fp16_overflow 0
		.amdhsa_workgroup_processor_mode 1
		.amdhsa_memory_ordered 1
		.amdhsa_forward_progress 0
		.amdhsa_shared_vgpr_count 0
		.amdhsa_exception_fp_ieee_invalid_op 0
		.amdhsa_exception_fp_denorm_src 0
		.amdhsa_exception_fp_ieee_div_zero 0
		.amdhsa_exception_fp_ieee_overflow 0
		.amdhsa_exception_fp_ieee_underflow 0
		.amdhsa_exception_fp_ieee_inexact 0
		.amdhsa_exception_int_div_zero 0
	.end_amdhsa_kernel
	.section	.text._ZL32rocblas_gemvt_warp_reduce_kernelILb0ELi1024Ei16rocblas_bfloat16fS0_EviiT3_lPKT2_lT1_lS4_lS5_lS1_lPT4_lS5_li,"axG",@progbits,_ZL32rocblas_gemvt_warp_reduce_kernelILb0ELi1024Ei16rocblas_bfloat16fS0_EviiT3_lPKT2_lT1_lS4_lS5_lS1_lPT4_lS5_li,comdat
.Lfunc_end570:
	.size	_ZL32rocblas_gemvt_warp_reduce_kernelILb0ELi1024Ei16rocblas_bfloat16fS0_EviiT3_lPKT2_lT1_lS4_lS5_lS1_lPT4_lS5_li, .Lfunc_end570-_ZL32rocblas_gemvt_warp_reduce_kernelILb0ELi1024Ei16rocblas_bfloat16fS0_EviiT3_lPKT2_lT1_lS4_lS5_lS1_lPT4_lS5_li
                                        ; -- End function
	.section	.AMDGPU.csdata,"",@progbits
; Kernel info:
; codeLenInByte = 2096
; NumSgprs: 26
; NumVgprs: 11
; ScratchSize: 0
; MemoryBound: 0
; FloatMode: 240
; IeeeMode: 1
; LDSByteSize: 128 bytes/workgroup (compile time only)
; SGPRBlocks: 3
; VGPRBlocks: 1
; NumSGPRsForWavesPerEU: 26
; NumVGPRsForWavesPerEU: 11
; Occupancy: 16
; WaveLimiterHint : 1
; COMPUTE_PGM_RSRC2:SCRATCH_EN: 0
; COMPUTE_PGM_RSRC2:USER_SGPR: 14
; COMPUTE_PGM_RSRC2:TRAP_HANDLER: 0
; COMPUTE_PGM_RSRC2:TGID_X_EN: 1
; COMPUTE_PGM_RSRC2:TGID_Y_EN: 0
; COMPUTE_PGM_RSRC2:TGID_Z_EN: 1
; COMPUTE_PGM_RSRC2:TIDIG_COMP_CNT: 0
	.section	.text._ZL32rocblas_gemvt_warp_reduce_kernelILb0ELi1024El16rocblas_bfloat16fS0_EviiT3_lPKT2_lT1_lS4_lS5_lS1_lPT4_lS5_li,"axG",@progbits,_ZL32rocblas_gemvt_warp_reduce_kernelILb0ELi1024El16rocblas_bfloat16fS0_EviiT3_lPKT2_lT1_lS4_lS5_lS1_lPT4_lS5_li,comdat
	.globl	_ZL32rocblas_gemvt_warp_reduce_kernelILb0ELi1024El16rocblas_bfloat16fS0_EviiT3_lPKT2_lT1_lS4_lS5_lS1_lPT4_lS5_li ; -- Begin function _ZL32rocblas_gemvt_warp_reduce_kernelILb0ELi1024El16rocblas_bfloat16fS0_EviiT3_lPKT2_lT1_lS4_lS5_lS1_lPT4_lS5_li
	.p2align	8
	.type	_ZL32rocblas_gemvt_warp_reduce_kernelILb0ELi1024El16rocblas_bfloat16fS0_EviiT3_lPKT2_lT1_lS4_lS5_lS1_lPT4_lS5_li,@function
_ZL32rocblas_gemvt_warp_reduce_kernelILb0ELi1024El16rocblas_bfloat16fS0_EviiT3_lPKT2_lT1_lS4_lS5_lS1_lPT4_lS5_li: ; @_ZL32rocblas_gemvt_warp_reduce_kernelILb0ELi1024El16rocblas_bfloat16fS0_EviiT3_lPKT2_lT1_lS4_lS5_lS1_lPT4_lS5_li
; %bb.0:
	s_clause 0x1
	s_load_b32 s33, s[0:1], 0x8
	s_load_b32 s13, s[0:1], 0x58
	s_mov_b32 s12, 0
	s_waitcnt lgkmcnt(0)
	v_cmp_eq_f32_e64 s2, s33, 0
	v_cmp_eq_f32_e64 s3, s13, 1.0
	s_delay_alu instid0(VALU_DEP_1) | instskip(NEXT) | instid1(SALU_CYCLE_1)
	s_and_b32 s2, s2, s3
	s_and_b32 vcc_lo, exec_lo, s2
	s_cbranch_vccnz .LBB571_57
; %bb.1:
	s_load_b256 s[4:11], s[0:1], 0x68
	v_cmp_neq_f32_e64 s16, s33, 0
	s_waitcnt lgkmcnt(0)
	s_mul_i32 s3, s15, s11
	s_mul_hi_u32 s11, s15, s10
	s_mul_i32 s2, s15, s10
	s_add_i32 s3, s11, s3
	s_delay_alu instid0(SALU_CYCLE_1) | instskip(NEXT) | instid1(SALU_CYCLE_1)
	s_lshl_b64 s[2:3], s[2:3], 1
	s_add_u32 s4, s4, s2
	s_addc_u32 s5, s5, s3
	s_lshl_b64 s[2:3], s[6:7], 1
	s_delay_alu instid0(SALU_CYCLE_1)
	s_add_u32 s10, s4, s2
	v_cmp_eq_u32_e64 s2, 0, v0
	s_addc_u32 s11, s5, s3
	s_and_b32 vcc_lo, exec_lo, s16
	s_cbranch_vccnz .LBB571_6
; %bb.2:
	s_mov_b32 s3, 0
                                        ; implicit-def: $sgpr7
                                        ; implicit-def: $sgpr4_sgpr5
	s_and_saveexec_b32 s6, s2
	s_cbranch_execz .LBB571_7
; %bb.3:
	v_cmp_eq_f32_e64 s2, s13, 0
	s_mul_i32 s4, s14, s9
	s_mul_hi_u32 s5, s14, s8
	s_ashr_i32 s7, s14, 31
	s_add_i32 s4, s5, s4
	s_mul_i32 s5, s7, s8
	s_mov_b32 s7, 0
	s_add_i32 s5, s4, s5
	s_and_b32 vcc_lo, exec_lo, s2
	s_mul_i32 s4, s14, s8
	s_cbranch_vccnz .LBB571_12
; %bb.4:
	s_lshl_b64 s[16:17], s[4:5], 1
	v_mov_b32_e32 v1, 0
	s_add_u32 s16, s10, s16
	s_addc_u32 s17, s11, s17
	global_load_u16 v1, v1, s[16:17]
	s_waitcnt vmcnt(0)
	v_lshlrev_b32_e32 v1, 16, v1
	s_delay_alu instid0(VALU_DEP_1) | instskip(NEXT) | instid1(VALU_DEP_1)
	v_mul_f32_e32 v1, s13, v1
	v_and_b32_e32 v2, 0x7f800000, v1
	v_readfirstlane_b32 s2, v1
	s_delay_alu instid0(VALU_DEP_2)
	v_cmp_eq_u32_e32 vcc_lo, 0x7f800000, v2
	s_cbranch_vccnz .LBB571_9
; %bb.5:
	s_delay_alu instid0(VALU_DEP_2) | instskip(NEXT) | instid1(SALU_CYCLE_1)
	s_bfe_u32 s7, s2, 0x10010
	s_add_i32 s7, s2, s7
	s_delay_alu instid0(SALU_CYCLE_1)
	s_addk_i32 s7, 0x7fff
	s_and_not1_b32 vcc_lo, exec_lo, s12
	s_cbranch_vccz .LBB571_10
	s_branch .LBB571_11
.LBB571_6:
                                        ; implicit-def: $sgpr7
                                        ; implicit-def: $sgpr4_sgpr5
	s_cbranch_execz .LBB571_8
	s_branch .LBB571_13
.LBB571_7:
	s_or_b32 exec_lo, exec_lo, s6
	s_delay_alu instid0(SALU_CYCLE_1)
	s_and_b32 vcc_lo, exec_lo, s3
	s_cbranch_vccnz .LBB571_13
.LBB571_8:
	v_mov_b32_e32 v1, s7
	s_and_saveexec_b32 s0, s12
	s_cbranch_execnz .LBB571_56
	s_branch .LBB571_57
.LBB571_9:
                                        ; implicit-def: $sgpr7
.LBB571_10:
	s_delay_alu instid0(VALU_DEP_2)
	s_and_b32 s7, s2, 0xffff
	s_or_b32 s12, s2, 0x10000
	s_cmp_eq_u32 s7, 0
	s_cselect_b32 s7, s2, s12
.LBB571_11:
	s_delay_alu instid0(SALU_CYCLE_1)
	s_lshr_b32 s7, s7, 16
.LBB571_12:
	s_mov_b32 s12, exec_lo
	s_or_b32 exec_lo, exec_lo, s6
	s_delay_alu instid0(SALU_CYCLE_1)
	s_and_b32 vcc_lo, exec_lo, s3
	s_cbranch_vccz .LBB571_8
.LBB571_13:
	s_clause 0x1
	s_load_b512 s[16:31], s[0:1], 0x18
	s_load_b32 s5, s[0:1], 0x0
	v_mov_b32_e32 v7, 0
	s_waitcnt lgkmcnt(0)
	s_mul_i32 s1, s15, s23
	s_mul_hi_u32 s4, s15, s22
	s_mul_i32 s0, s15, s22
	s_add_i32 s1, s4, s1
	s_mul_i32 s2, s15, s31
	s_mul_hi_u32 s3, s15, s30
	s_lshl_b64 s[0:1], s[0:1], 1
	s_add_i32 s3, s3, s2
	v_cmp_gt_i32_e32 vcc_lo, s5, v0
	s_add_u32 s2, s16, s0
	s_addc_u32 s6, s17, s1
	s_lshl_b64 s[0:1], s[18:19], 1
	s_mul_i32 s4, s14, s21
	s_add_u32 s0, s2, s0
	s_mul_hi_u32 s7, s14, s20
	s_addc_u32 s2, s6, s1
	s_ashr_i32 s1, s14, 31
	v_cndmask_b32_e32 v1, 0, v0, vcc_lo
	s_add_i32 s4, s7, s4
	s_mul_i32 s7, s1, s20
	s_mul_i32 s6, s14, s20
	s_add_i32 s7, s4, s7
	v_lshlrev_b32_e32 v1, 1, v1
	s_lshl_b64 s[6:7], s[6:7], 1
	s_mov_b32 s16, 0
	s_add_u32 s0, s6, s0
	s_addc_u32 s2, s7, s2
	s_ashr_i32 s4, s5, 31
	v_add_co_u32 v1, s0, s0, v1
	s_lshr_b32 s4, s4, 22
	v_add_co_ci_u32_e64 v2, null, s2, 0, s0
	s_add_i32 s4, s5, s4
	s_mul_i32 s2, s15, s30
	s_and_b32 s4, s4, 0xfffffc00
	s_mov_b32 s15, exec_lo
	v_cmpx_gt_i32_e64 s4, v0
	s_cbranch_execz .LBB571_21
; %bb.14:
	v_mad_u64_u32 v[5:6], null, s28, v0, 0
	s_lshl_b64 s[18:19], s[26:27], 1
	s_lshl_b64 s[6:7], s[2:3], 1
	s_add_u32 s0, s24, s18
	s_addc_u32 s17, s25, s19
	s_add_u32 s0, s0, s6
	s_addc_u32 s6, s17, s7
	s_delay_alu instid0(VALU_DEP_1) | instskip(NEXT) | instid1(VALU_DEP_1)
	v_dual_mov_b32 v3, v6 :: v_dual_mov_b32 v8, v0
	v_mad_u64_u32 v[6:7], null, s29, v0, v[3:4]
	v_dual_mov_b32 v7, 0 :: v_dual_mov_b32 v4, v2
	v_mov_b32_e32 v3, v1
	s_delay_alu instid0(VALU_DEP_3) | instskip(NEXT) | instid1(VALU_DEP_1)
	v_lshlrev_b64 v[5:6], 1, v[5:6]
	v_add_co_u32 v5, vcc_lo, s0, v5
	s_delay_alu instid0(VALU_DEP_2)
	v_add_co_ci_u32_e32 v6, vcc_lo, s6, v6, vcc_lo
	s_lshl_b64 s[6:7], s[28:29], 11
	s_set_inst_prefetch_distance 0x1
	s_branch .LBB571_16
	.p2align	6
.LBB571_15:                             ;   in Loop: Header=BB571_16 Depth=1
	s_or_b32 exec_lo, exec_lo, s0
	s_delay_alu instid0(VALU_DEP_1) | instskip(SKIP_3) | instid1(VALU_DEP_4)
	v_and_b32_e32 v9, 0xffff0000, v10
	v_add_nc_u32_e32 v8, 0x400, v8
	v_add_co_u32 v3, vcc_lo, 0x800, v3
	v_add_co_ci_u32_e32 v4, vcc_lo, 0, v4, vcc_lo
	v_add_f32_e32 v7, v7, v9
	s_delay_alu instid0(VALU_DEP_4) | instskip(SKIP_1) | instid1(VALU_DEP_1)
	v_cmp_le_i32_e32 vcc_lo, s4, v8
	v_add_co_u32 v5, s0, v5, s6
	v_add_co_ci_u32_e64 v6, s0, s7, v6, s0
	s_or_b32 s16, vcc_lo, s16
	s_delay_alu instid0(SALU_CYCLE_1)
	s_and_not1_b32 exec_lo, exec_lo, s16
	s_cbranch_execz .LBB571_20
.LBB571_16:                             ; =>This Inner Loop Header: Depth=1
	global_load_u16 v9, v[5:6], off
	global_load_u16 v10, v[3:4], off
	s_waitcnt vmcnt(1)
	v_lshlrev_b32_e32 v9, 16, v9
	s_waitcnt vmcnt(0)
	v_lshlrev_b32_e32 v10, 16, v10
	s_delay_alu instid0(VALU_DEP_1) | instskip(NEXT) | instid1(VALU_DEP_1)
	v_mul_f32_e32 v9, v10, v9
	v_and_b32_e32 v10, 0x7f800000, v9
	s_delay_alu instid0(VALU_DEP_1) | instskip(SKIP_1) | instid1(SALU_CYCLE_1)
	v_cmp_ne_u32_e32 vcc_lo, 0x7f800000, v10
                                        ; implicit-def: $vgpr10
	s_and_saveexec_b32 s0, vcc_lo
	s_xor_b32 s0, exec_lo, s0
; %bb.17:                               ;   in Loop: Header=BB571_16 Depth=1
	v_bfe_u32 v10, v9, 16, 1
	s_delay_alu instid0(VALU_DEP_1)
	v_add3_u32 v10, v9, v10, 0x7fff
                                        ; implicit-def: $vgpr9
; %bb.18:                               ;   in Loop: Header=BB571_16 Depth=1
	s_and_not1_saveexec_b32 s0, s0
	s_cbranch_execz .LBB571_15
; %bb.19:                               ;   in Loop: Header=BB571_16 Depth=1
	v_and_b32_e32 v10, 0xffff, v9
	v_or_b32_e32 v11, 0x10000, v9
	s_delay_alu instid0(VALU_DEP_2) | instskip(NEXT) | instid1(VALU_DEP_2)
	v_cmp_eq_u32_e32 vcc_lo, 0, v10
	v_cndmask_b32_e32 v10, v11, v9, vcc_lo
	s_branch .LBB571_15
.LBB571_20:
	s_set_inst_prefetch_distance 0x2
	s_or_b32 exec_lo, exec_lo, s16
.LBB571_21:
	s_delay_alu instid0(SALU_CYCLE_1) | instskip(SKIP_2) | instid1(VALU_DEP_1)
	s_or_b32 exec_lo, exec_lo, s15
	v_or_b32_e32 v3, s4, v0
	s_mov_b32 s0, exec_lo
	v_cmpx_gt_i32_e64 s5, v3
	s_cbranch_execz .LBB571_27
; %bb.22:
	v_ashrrev_i32_e32 v6, 31, v3
	v_mul_lo_u32 v8, v3, s29
	v_mad_u64_u32 v[4:5], null, v3, s28, 0
	s_lshl_b64 s[2:3], s[2:3], 1
	s_delay_alu instid0(VALU_DEP_3) | instskip(SKIP_3) | instid1(SALU_CYCLE_1)
	v_mul_lo_u32 v3, v6, s28
	s_add_u32 s5, s24, s2
	s_addc_u32 s6, s25, s3
	s_lshl_b64 s[2:3], s[26:27], 1
	s_add_u32 s7, s5, s2
	s_addc_u32 s6, s6, s3
	s_ashr_i32 s5, s4, 31
	s_delay_alu instid0(VALU_DEP_1) | instskip(SKIP_1) | instid1(VALU_DEP_1)
	v_add3_u32 v5, v5, v8, v3
	s_lshl_b64 s[2:3], s[4:5], 1
	v_lshlrev_b64 v[3:4], 1, v[4:5]
	s_delay_alu instid0(VALU_DEP_1) | instskip(NEXT) | instid1(VALU_DEP_2)
	v_add_co_u32 v3, vcc_lo, s7, v3
	v_add_co_ci_u32_e32 v4, vcc_lo, s6, v4, vcc_lo
	v_add_co_u32 v1, vcc_lo, v1, s2
	v_add_co_ci_u32_e32 v2, vcc_lo, s3, v2, vcc_lo
	global_load_u16 v3, v[3:4], off
	global_load_u16 v1, v[1:2], off
	s_waitcnt vmcnt(1)
	v_lshlrev_b32_e32 v2, 16, v3
	s_waitcnt vmcnt(0)
	v_lshlrev_b32_e32 v1, 16, v1
	s_delay_alu instid0(VALU_DEP_1) | instskip(NEXT) | instid1(VALU_DEP_1)
	v_mul_f32_e32 v1, v1, v2
	v_and_b32_e32 v2, 0x7f800000, v1
	s_delay_alu instid0(VALU_DEP_1) | instskip(SKIP_1) | instid1(SALU_CYCLE_1)
	v_cmp_ne_u32_e32 vcc_lo, 0x7f800000, v2
                                        ; implicit-def: $vgpr2
	s_and_saveexec_b32 s2, vcc_lo
	s_xor_b32 s2, exec_lo, s2
; %bb.23:
	v_bfe_u32 v2, v1, 16, 1
	s_delay_alu instid0(VALU_DEP_1)
	v_add3_u32 v2, v1, v2, 0x7fff
                                        ; implicit-def: $vgpr1
; %bb.24:
	s_and_not1_saveexec_b32 s2, s2
; %bb.25:
	v_and_b32_e32 v2, 0xffff, v1
	v_or_b32_e32 v3, 0x10000, v1
	s_delay_alu instid0(VALU_DEP_2) | instskip(NEXT) | instid1(VALU_DEP_2)
	v_cmp_eq_u32_e32 vcc_lo, 0, v2
	v_cndmask_b32_e32 v2, v3, v1, vcc_lo
; %bb.26:
	s_or_b32 exec_lo, exec_lo, s2
	s_delay_alu instid0(VALU_DEP_1) | instskip(NEXT) | instid1(VALU_DEP_1)
	v_and_b32_e32 v1, 0xffff0000, v2
	v_add_f32_e32 v7, v7, v1
.LBB571_27:
	s_or_b32 exec_lo, exec_lo, s0
	v_and_b32_e32 v6, 31, v0
	v_cmp_gt_u32_e32 vcc_lo, 32, v0
	s_delay_alu instid0(VALU_DEP_2)
	v_lshlrev_b32_e32 v1, 2, v6
	s_and_saveexec_b32 s0, vcc_lo
	s_cbranch_execz .LBB571_29
; %bb.28:
	v_mov_b32_e32 v2, 0
	ds_store_b32 v1, v2
.LBB571_29:
	s_or_b32 exec_lo, exec_lo, s0
	v_mbcnt_lo_u32_b32 v8, -1, 0
	s_mov_b32 s2, exec_lo
	s_waitcnt lgkmcnt(0)
	s_barrier
	buffer_gl0_inv
	v_cmp_gt_u32_e64 s0, 16, v8
	s_delay_alu instid0(VALU_DEP_1) | instskip(SKIP_1) | instid1(VALU_DEP_2)
	v_cndmask_b32_e64 v2, 0, 1, s0
	v_cmp_gt_u32_e64 s0, 24, v8
	v_lshlrev_b32_e32 v2, 4, v2
	s_delay_alu instid0(VALU_DEP_2) | instskip(SKIP_1) | instid1(VALU_DEP_3)
	v_cndmask_b32_e64 v3, 0, 1, s0
	v_cmp_gt_u32_e64 s0, 28, v8
	v_add_lshl_u32 v2, v2, v8, 2
	s_delay_alu instid0(VALU_DEP_3)
	v_lshlrev_b32_e32 v3, 3, v3
	ds_bpermute_b32 v4, v2, v7
	v_add_lshl_u32 v3, v3, v8, 2
	s_waitcnt lgkmcnt(0)
	v_add_f32_e32 v5, v7, v4
	v_cndmask_b32_e64 v4, 0, 1, s0
	v_cmp_gt_u32_e64 s0, 30, v8
	ds_bpermute_b32 v7, v3, v5
	s_waitcnt lgkmcnt(0)
	v_dual_add_f32 v7, v5, v7 :: v_dual_lshlrev_b32 v4, 2, v4
	s_delay_alu instid0(VALU_DEP_1)
	v_add_lshl_u32 v4, v4, v8, 2
	v_cndmask_b32_e64 v5, 0, 1, s0
	v_cmp_ne_u32_e64 s0, 31, v8
	ds_bpermute_b32 v9, v4, v7
	v_lshlrev_b32_e32 v5, 1, v5
	v_add_co_ci_u32_e64 v10, s0, 0, v8, s0
	s_delay_alu instid0(VALU_DEP_2)
	v_add_lshl_u32 v5, v5, v8, 2
	s_waitcnt lgkmcnt(0)
	v_add_f32_e32 v7, v7, v9
	ds_bpermute_b32 v9, v5, v7
	s_waitcnt lgkmcnt(0)
	v_dual_add_f32 v8, v7, v9 :: v_dual_lshlrev_b32 v7, 2, v10
	ds_bpermute_b32 v9, v7, v8
	v_cmpx_eq_u32_e32 0, v6
	s_cbranch_execz .LBB571_31
; %bb.30:
	v_lshrrev_b32_e32 v6, 3, v0
	s_waitcnt lgkmcnt(0)
	v_add_f32_e32 v8, v8, v9
	s_delay_alu instid0(VALU_DEP_2)
	v_and_b32_e32 v6, 0x7c, v6
	ds_store_b32 v6, v8
.LBB571_31:
	s_or_b32 exec_lo, exec_lo, s2
	v_mov_b32_e32 v6, 0
	s_waitcnt lgkmcnt(0)
	s_barrier
	buffer_gl0_inv
	s_and_saveexec_b32 s0, vcc_lo
	s_cbranch_execz .LBB571_33
; %bb.32:
	ds_load_b32 v6, v1
.LBB571_33:
	s_or_b32 exec_lo, exec_lo, s0
	s_and_saveexec_b32 s0, vcc_lo
	s_cbranch_execz .LBB571_35
; %bb.34:
	s_waitcnt lgkmcnt(0)
	ds_bpermute_b32 v1, v2, v6
	s_waitcnt lgkmcnt(0)
	v_add_f32_e32 v1, v6, v1
	ds_bpermute_b32 v2, v3, v1
	s_waitcnt lgkmcnt(0)
	v_add_f32_e32 v1, v1, v2
	;; [unrolled: 3-line block ×5, first 2 shown]
.LBB571_35:
	s_or_b32 exec_lo, exec_lo, s0
	s_delay_alu instid0(SALU_CYCLE_1)
	s_mov_b32 s0, exec_lo
                                        ; implicit-def: $vgpr1
                                        ; implicit-def: $sgpr4_sgpr5
	v_cmpx_eq_u32_e32 0, v0
	s_cbranch_execz .LBB571_55
; %bb.36:
	v_cmp_eq_f32_e64 s2, s13, 0
	s_waitcnt lgkmcnt(0)
	v_mul_f32_e32 v0, s33, v6
	s_delay_alu instid0(VALU_DEP_2)
	s_and_b32 vcc_lo, exec_lo, s2
	s_cbranch_vccz .LBB571_42
; %bb.37:
	s_delay_alu instid0(VALU_DEP_1) | instskip(NEXT) | instid1(VALU_DEP_1)
	v_and_b32_e32 v1, 0x7f800000, v0
	v_cmp_ne_u32_e32 vcc_lo, 0x7f800000, v1
                                        ; implicit-def: $vgpr1
	s_and_saveexec_b32 s2, vcc_lo
	s_delay_alu instid0(SALU_CYCLE_1)
	s_xor_b32 s2, exec_lo, s2
; %bb.38:
	v_bfe_u32 v1, v0, 16, 1
	s_delay_alu instid0(VALU_DEP_1)
	v_add3_u32 v1, v0, v1, 0x7fff
; %bb.39:
	s_and_not1_saveexec_b32 s2, s2
; %bb.40:
	v_and_b32_e32 v1, 0xffff, v0
	v_or_b32_e32 v2, 0x10000, v0
	s_delay_alu instid0(VALU_DEP_2) | instskip(NEXT) | instid1(VALU_DEP_2)
	v_cmp_eq_u32_e32 vcc_lo, 0, v1
	v_cndmask_b32_e32 v1, v2, v0, vcc_lo
; %bb.41:
	s_or_b32 exec_lo, exec_lo, s2
	s_mov_b32 s4, 0
	s_branch .LBB571_43
.LBB571_42:
	s_mov_b32 s4, -1
                                        ; implicit-def: $vgpr1
.LBB571_43:
	s_mul_i32 s2, s14, s9
	s_mul_hi_u32 s3, s14, s8
	s_and_not1_b32 vcc_lo, exec_lo, s4
	s_mul_i32 s1, s1, s8
	s_mul_i32 s4, s14, s8
	s_cbranch_vccnz .LBB571_54
; %bb.44:
	s_add_i32 s5, s3, s2
	v_mov_b32_e32 v1, 0
	s_add_i32 s5, s5, s1
	s_delay_alu instid0(SALU_CYCLE_1) | instskip(NEXT) | instid1(SALU_CYCLE_1)
	s_lshl_b64 s[6:7], s[4:5], 1
	s_add_u32 s6, s10, s6
	s_addc_u32 s7, s11, s7
	global_load_u16 v1, v1, s[6:7]
	s_waitcnt vmcnt(0)
	v_lshlrev_b32_e32 v1, 16, v1
	s_delay_alu instid0(VALU_DEP_1) | instskip(NEXT) | instid1(VALU_DEP_1)
	v_mul_f32_e32 v1, s13, v1
	v_and_b32_e32 v2, 0x7f800000, v1
	v_readfirstlane_b32 s5, v1
	s_delay_alu instid0(VALU_DEP_2)
	v_cmp_eq_u32_e32 vcc_lo, 0x7f800000, v2
	s_cbranch_vccnz .LBB571_46
; %bb.45:
	s_delay_alu instid0(VALU_DEP_2) | instskip(SKIP_2) | instid1(SALU_CYCLE_1)
	s_bfe_u32 s6, s5, 0x10010
	s_mov_b32 s7, 0
	s_add_i32 s6, s5, s6
	s_addk_i32 s6, 0x7fff
	s_branch .LBB571_47
.LBB571_46:
	s_mov_b32 s7, -1
                                        ; implicit-def: $sgpr6
.LBB571_47:
	s_delay_alu instid0(SALU_CYCLE_1)
	s_and_not1_b32 vcc_lo, exec_lo, s7
	s_cbranch_vccnz .LBB571_49
; %bb.48:
	s_and_b32 s6, s5, 0xffff
	s_or_b32 s7, s5, 0x10000
	s_cmp_eq_u32 s6, 0
	s_cselect_b32 s6, s5, s7
.LBB571_49:
	s_delay_alu instid0(SALU_CYCLE_1) | instskip(NEXT) | instid1(SALU_CYCLE_1)
	s_and_b32 s5, s6, 0xffff0000
	v_add_f32_e32 v0, s5, v0
	s_delay_alu instid0(VALU_DEP_1) | instskip(NEXT) | instid1(VALU_DEP_1)
	v_and_b32_e32 v1, 0x7f800000, v0
	v_cmp_ne_u32_e32 vcc_lo, 0x7f800000, v1
                                        ; implicit-def: $vgpr1
	s_and_saveexec_b32 s5, vcc_lo
	s_delay_alu instid0(SALU_CYCLE_1)
	s_xor_b32 s5, exec_lo, s5
; %bb.50:
	v_bfe_u32 v1, v0, 16, 1
	s_delay_alu instid0(VALU_DEP_1)
	v_add3_u32 v1, v0, v1, 0x7fff
                                        ; implicit-def: $vgpr0
; %bb.51:
	s_and_not1_saveexec_b32 s5, s5
; %bb.52:
	v_and_b32_e32 v1, 0xffff, v0
	v_or_b32_e32 v2, 0x10000, v0
	s_delay_alu instid0(VALU_DEP_2) | instskip(NEXT) | instid1(VALU_DEP_2)
	v_cmp_eq_u32_e32 vcc_lo, 0, v1
	v_cndmask_b32_e32 v1, v2, v0, vcc_lo
; %bb.53:
	s_or_b32 exec_lo, exec_lo, s5
.LBB571_54:
	s_delay_alu instid0(VALU_DEP_1)
	v_lshrrev_b32_e32 v1, 16, v1
	s_add_i32 s2, s3, s2
	s_or_b32 s12, s12, exec_lo
	s_add_i32 s5, s2, s1
.LBB571_55:
	s_or_b32 exec_lo, exec_lo, s0
	s_and_saveexec_b32 s0, s12
	s_cbranch_execz .LBB571_57
.LBB571_56:
	s_lshl_b64 s[0:1], s[4:5], 1
	v_mov_b32_e32 v0, 0
	s_add_u32 s0, s10, s0
	s_addc_u32 s1, s11, s1
	global_store_b16 v0, v1, s[0:1]
.LBB571_57:
	s_nop 0
	s_sendmsg sendmsg(MSG_DEALLOC_VGPRS)
	s_endpgm
	.section	.rodata,"a",@progbits
	.p2align	6, 0x0
	.amdhsa_kernel _ZL32rocblas_gemvt_warp_reduce_kernelILb0ELi1024El16rocblas_bfloat16fS0_EviiT3_lPKT2_lT1_lS4_lS5_lS1_lPT4_lS5_li
		.amdhsa_group_segment_fixed_size 128
		.amdhsa_private_segment_fixed_size 0
		.amdhsa_kernarg_size 140
		.amdhsa_user_sgpr_count 14
		.amdhsa_user_sgpr_dispatch_ptr 0
		.amdhsa_user_sgpr_queue_ptr 0
		.amdhsa_user_sgpr_kernarg_segment_ptr 1
		.amdhsa_user_sgpr_dispatch_id 0
		.amdhsa_user_sgpr_private_segment_size 0
		.amdhsa_wavefront_size32 1
		.amdhsa_uses_dynamic_stack 0
		.amdhsa_enable_private_segment 0
		.amdhsa_system_sgpr_workgroup_id_x 1
		.amdhsa_system_sgpr_workgroup_id_y 0
		.amdhsa_system_sgpr_workgroup_id_z 1
		.amdhsa_system_sgpr_workgroup_info 0
		.amdhsa_system_vgpr_workitem_id 0
		.amdhsa_next_free_vgpr 12
		.amdhsa_next_free_sgpr 34
		.amdhsa_reserve_vcc 1
		.amdhsa_float_round_mode_32 0
		.amdhsa_float_round_mode_16_64 0
		.amdhsa_float_denorm_mode_32 3
		.amdhsa_float_denorm_mode_16_64 3
		.amdhsa_dx10_clamp 1
		.amdhsa_ieee_mode 1
		.amdhsa_fp16_overflow 0
		.amdhsa_workgroup_processor_mode 1
		.amdhsa_memory_ordered 1
		.amdhsa_forward_progress 0
		.amdhsa_shared_vgpr_count 0
		.amdhsa_exception_fp_ieee_invalid_op 0
		.amdhsa_exception_fp_denorm_src 0
		.amdhsa_exception_fp_ieee_div_zero 0
		.amdhsa_exception_fp_ieee_overflow 0
		.amdhsa_exception_fp_ieee_underflow 0
		.amdhsa_exception_fp_ieee_inexact 0
		.amdhsa_exception_int_div_zero 0
	.end_amdhsa_kernel
	.section	.text._ZL32rocblas_gemvt_warp_reduce_kernelILb0ELi1024El16rocblas_bfloat16fS0_EviiT3_lPKT2_lT1_lS4_lS5_lS1_lPT4_lS5_li,"axG",@progbits,_ZL32rocblas_gemvt_warp_reduce_kernelILb0ELi1024El16rocblas_bfloat16fS0_EviiT3_lPKT2_lT1_lS4_lS5_lS1_lPT4_lS5_li,comdat
.Lfunc_end571:
	.size	_ZL32rocblas_gemvt_warp_reduce_kernelILb0ELi1024El16rocblas_bfloat16fS0_EviiT3_lPKT2_lT1_lS4_lS5_lS1_lPT4_lS5_li, .Lfunc_end571-_ZL32rocblas_gemvt_warp_reduce_kernelILb0ELi1024El16rocblas_bfloat16fS0_EviiT3_lPKT2_lT1_lS4_lS5_lS1_lPT4_lS5_li
                                        ; -- End function
	.section	.AMDGPU.csdata,"",@progbits
; Kernel info:
; codeLenInByte = 2180
; NumSgprs: 36
; NumVgprs: 12
; ScratchSize: 0
; MemoryBound: 0
; FloatMode: 240
; IeeeMode: 1
; LDSByteSize: 128 bytes/workgroup (compile time only)
; SGPRBlocks: 4
; VGPRBlocks: 1
; NumSGPRsForWavesPerEU: 36
; NumVGPRsForWavesPerEU: 12
; Occupancy: 16
; WaveLimiterHint : 1
; COMPUTE_PGM_RSRC2:SCRATCH_EN: 0
; COMPUTE_PGM_RSRC2:USER_SGPR: 14
; COMPUTE_PGM_RSRC2:TRAP_HANDLER: 0
; COMPUTE_PGM_RSRC2:TGID_X_EN: 1
; COMPUTE_PGM_RSRC2:TGID_Y_EN: 0
; COMPUTE_PGM_RSRC2:TGID_Z_EN: 1
; COMPUTE_PGM_RSRC2:TIDIG_COMP_CNT: 0
	.section	.text._ZL22rocblas_gemvtsm_kernelILb1ELi256E16rocblas_bfloat16PKfS0_EviiT2_lPKT1_lilS6_lilS3_lPT3_lil,"axG",@progbits,_ZL22rocblas_gemvtsm_kernelILb1ELi256E16rocblas_bfloat16PKfS0_EviiT2_lPKT1_lilS6_lilS3_lPT3_lil,comdat
	.globl	_ZL22rocblas_gemvtsm_kernelILb1ELi256E16rocblas_bfloat16PKfS0_EviiT2_lPKT1_lilS6_lilS3_lPT3_lil ; -- Begin function _ZL22rocblas_gemvtsm_kernelILb1ELi256E16rocblas_bfloat16PKfS0_EviiT2_lPKT1_lilS6_lilS3_lPT3_lil
	.p2align	8
	.type	_ZL22rocblas_gemvtsm_kernelILb1ELi256E16rocblas_bfloat16PKfS0_EviiT2_lPKT1_lilS6_lilS3_lPT3_lil,@function
_ZL22rocblas_gemvtsm_kernelILb1ELi256E16rocblas_bfloat16PKfS0_EviiT2_lPKT1_lilS6_lilS3_lPT3_lil: ; @_ZL22rocblas_gemvtsm_kernelILb1ELi256E16rocblas_bfloat16PKfS0_EviiT2_lPKT1_lilS6_lilS3_lPT3_lil
; %bb.0:
	s_clause 0x1
	s_load_b256 s[4:11], s[0:1], 0x8
	s_load_b256 s[16:23], s[0:1], 0x50
	s_waitcnt lgkmcnt(0)
	s_mul_i32 s3, s15, s7
	s_mul_hi_u32 s7, s15, s6
	s_mul_i32 s2, s15, s6
	s_add_i32 s3, s7, s3
	s_mul_i32 s6, s15, s21
	s_lshl_b64 s[2:3], s[2:3], 2
	s_mul_hi_u32 s7, s15, s20
	s_add_u32 s2, s4, s2
	s_addc_u32 s3, s5, s3
	s_add_i32 s5, s7, s6
	s_mul_i32 s4, s15, s20
	s_delay_alu instid0(SALU_CYCLE_1) | instskip(NEXT) | instid1(SALU_CYCLE_1)
	s_lshl_b64 s[4:5], s[4:5], 2
	s_add_u32 s4, s18, s4
	s_addc_u32 s5, s19, s5
	s_load_b32 s26, s[2:3], 0x0
	s_load_b32 s14, s[4:5], 0x0
	s_waitcnt lgkmcnt(0)
	v_cmp_eq_f32_e64 s2, s26, 0
	v_cmp_eq_f32_e64 s3, s14, 1.0
	s_delay_alu instid0(VALU_DEP_1) | instskip(NEXT) | instid1(SALU_CYCLE_1)
	s_and_b32 s2, s2, s3
	s_and_b32 vcc_lo, exec_lo, s2
	s_cbranch_vccnz .LBB572_70
; %bb.1:
	s_clause 0x3
	s_load_b64 s[2:3], s[0:1], 0x80
	s_load_b32 s12, s[0:1], 0x78
	s_load_b64 s[20:21], s[0:1], 0x70
	s_load_b64 s[18:19], s[0:1], 0x0
	v_cmp_neq_f32_e64 s4, s26, 0
	s_delay_alu instid0(VALU_DEP_1)
	s_and_b32 vcc_lo, exec_lo, s4
	s_waitcnt lgkmcnt(0)
	s_mul_i32 s3, s15, s3
	s_mul_hi_u32 s4, s15, s2
	s_mul_i32 s24, s15, s2
	s_add_i32 s25, s4, s3
	s_cbranch_vccnz .LBB572_9
; %bb.2:
	s_cmp_gt_i32 s19, 0
	v_cmp_neq_f32_e64 s2, s14, 0
	s_cselect_b32 s4, -1, 0
	s_delay_alu instid0(SALU_CYCLE_1) | instskip(NEXT) | instid1(VALU_DEP_2)
	v_cndmask_b32_e64 v1, 0, 1, s4
	s_and_b32 vcc_lo, exec_lo, s2
	s_delay_alu instid0(VALU_DEP_1)
	v_cmp_ne_u32_e64 s2, 1, v1
	s_cbranch_vccnz .LBB572_10
; %bb.3:
	s_delay_alu instid0(VALU_DEP_1)
	s_and_b32 vcc_lo, exec_lo, s2
	s_cbranch_vccnz .LBB572_8
; %bb.4:
	v_mad_i64_i32 v[1:2], null, s12, v0, 0
	s_lshl_b64 s[6:7], s[20:21], 1
	s_ashr_i32 s13, s12, 31
	s_lshl_b64 s[2:3], s[24:25], 1
	s_add_u32 s5, s22, s6
	s_addc_u32 s6, s23, s7
	s_add_u32 s2, s5, s2
	s_delay_alu instid0(VALU_DEP_1) | instskip(SKIP_3) | instid1(VALU_DEP_2)
	v_lshlrev_b64 v[1:2], 1, v[1:2]
	s_addc_u32 s3, s6, s3
	v_mov_b32_e32 v3, 0
	s_mov_b32 s5, 0
	v_add_co_u32 v1, vcc_lo, s2, v1
	s_delay_alu instid0(VALU_DEP_3)
	v_add_co_ci_u32_e32 v2, vcc_lo, s3, v2, vcc_lo
	s_lshl_b64 s[2:3], s[12:13], 9
	s_branch .LBB572_6
.LBB572_5:                              ;   in Loop: Header=BB572_6 Depth=1
	s_or_b32 exec_lo, exec_lo, s6
	v_add_co_u32 v1, vcc_lo, v1, s2
	v_add_co_ci_u32_e32 v2, vcc_lo, s3, v2, vcc_lo
	s_addk_i32 s5, 0x100
	s_delay_alu instid0(SALU_CYCLE_1)
	s_cmp_ge_i32 s5, s19
	s_cbranch_scc1 .LBB572_8
.LBB572_6:                              ; =>This Inner Loop Header: Depth=1
	v_add_nc_u32_e32 v4, s5, v0
	s_mov_b32 s6, exec_lo
	s_delay_alu instid0(VALU_DEP_1)
	v_cmpx_gt_i32_e64 s19, v4
	s_cbranch_execz .LBB572_5
; %bb.7:                                ;   in Loop: Header=BB572_6 Depth=1
	global_store_b16 v[1:2], v3, off
	s_branch .LBB572_5
.LBB572_8:
	s_cbranch_execz .LBB572_11
	s_branch .LBB572_20
.LBB572_9:
	s_branch .LBB572_21
.LBB572_10:
.LBB572_11:
	s_and_not1_b32 vcc_lo, exec_lo, s4
	s_cbranch_vccnz .LBB572_20
; %bb.12:
	v_mad_i64_i32 v[1:2], null, s12, v0, 0
	s_lshl_b64 s[4:5], s[20:21], 1
	s_ashr_i32 s13, s12, 31
	s_lshl_b64 s[2:3], s[24:25], 1
	s_add_u32 s4, s22, s4
	s_addc_u32 s5, s23, s5
	s_add_u32 s2, s4, s2
	s_delay_alu instid0(VALU_DEP_1) | instskip(SKIP_2) | instid1(VALU_DEP_1)
	v_lshlrev_b64 v[1:2], 1, v[1:2]
	s_addc_u32 s3, s5, s3
	s_mov_b32 s4, 0
	v_add_co_u32 v1, vcc_lo, s2, v1
	s_delay_alu instid0(VALU_DEP_2)
	v_add_co_ci_u32_e32 v2, vcc_lo, s3, v2, vcc_lo
	s_lshl_b64 s[2:3], s[12:13], 9
	s_set_inst_prefetch_distance 0x1
	s_branch .LBB572_15
	.p2align	6
.LBB572_13:                             ;   in Loop: Header=BB572_15 Depth=1
	s_or_b32 exec_lo, exec_lo, s6
	global_store_d16_hi_b16 v[1:2], v4, off
.LBB572_14:                             ;   in Loop: Header=BB572_15 Depth=1
	s_or_b32 exec_lo, exec_lo, s5
	v_add_co_u32 v1, vcc_lo, v1, s2
	v_add_co_ci_u32_e32 v2, vcc_lo, s3, v2, vcc_lo
	s_addk_i32 s4, 0x100
	s_delay_alu instid0(SALU_CYCLE_1)
	s_cmp_ge_i32 s4, s19
	s_cbranch_scc1 .LBB572_20
.LBB572_15:                             ; =>This Inner Loop Header: Depth=1
	v_add_nc_u32_e32 v3, s4, v0
	s_mov_b32 s5, exec_lo
	s_delay_alu instid0(VALU_DEP_1)
	v_cmpx_gt_i32_e64 s19, v3
	s_cbranch_execz .LBB572_14
; %bb.16:                               ;   in Loop: Header=BB572_15 Depth=1
	global_load_u16 v3, v[1:2], off
	s_waitcnt vmcnt(0)
	v_lshlrev_b32_e32 v3, 16, v3
	s_delay_alu instid0(VALU_DEP_1) | instskip(NEXT) | instid1(VALU_DEP_1)
	v_mul_f32_e32 v3, s14, v3
	v_and_b32_e32 v4, 0x7f800000, v3
	s_delay_alu instid0(VALU_DEP_1) | instskip(SKIP_1) | instid1(SALU_CYCLE_1)
	v_cmp_ne_u32_e32 vcc_lo, 0x7f800000, v4
                                        ; implicit-def: $vgpr4
	s_and_saveexec_b32 s6, vcc_lo
	s_xor_b32 s6, exec_lo, s6
; %bb.17:                               ;   in Loop: Header=BB572_15 Depth=1
	v_bfe_u32 v4, v3, 16, 1
	s_delay_alu instid0(VALU_DEP_1)
	v_add3_u32 v4, v3, v4, 0x7fff
                                        ; implicit-def: $vgpr3
; %bb.18:                               ;   in Loop: Header=BB572_15 Depth=1
	s_and_not1_saveexec_b32 s6, s6
	s_cbranch_execz .LBB572_13
; %bb.19:                               ;   in Loop: Header=BB572_15 Depth=1
	v_and_b32_e32 v4, 0xffff, v3
	v_or_b32_e32 v5, 0x10000, v3
	s_delay_alu instid0(VALU_DEP_2) | instskip(NEXT) | instid1(VALU_DEP_2)
	v_cmp_eq_u32_e32 vcc_lo, 0, v4
	v_cndmask_b32_e32 v4, v5, v3, vcc_lo
	s_branch .LBB572_13
.LBB572_20:
	s_set_inst_prefetch_distance 0x2
	s_cbranch_execnz .LBB572_70
.LBB572_21:
	s_clause 0x1
	s_load_b128 s[4:7], s[0:1], 0x30
	s_load_b64 s[2:3], s[0:1], 0x40
	s_mov_b32 s13, exec_lo
	v_cmpx_gt_i32_e64 s18, v0
	s_cbranch_execz .LBB572_27
; %bb.22:
	s_load_b32 s27, s[0:1], 0x48
	s_mul_i32 s17, s15, s17
	s_mul_hi_u32 s28, s15, s16
	s_mul_i32 s16, s15, s16
	s_add_i32 s17, s28, s17
	s_delay_alu instid0(SALU_CYCLE_1) | instskip(SKIP_4) | instid1(SALU_CYCLE_1)
	s_lshl_b64 s[16:17], s[16:17], 1
	s_waitcnt lgkmcnt(0)
	s_add_u32 s6, s6, s16
	s_addc_u32 s7, s7, s17
	s_lshl_b64 s[2:3], s[2:3], 1
	s_add_u32 s2, s6, s2
	s_addc_u32 s3, s7, s3
	v_mad_i64_i32 v[1:2], null, s27, v0, 0
	s_delay_alu instid0(VALU_DEP_1) | instskip(NEXT) | instid1(VALU_DEP_1)
	v_lshlrev_b64 v[1:2], 1, v[1:2]
	v_add_co_u32 v1, vcc_lo, s2, v1
	s_delay_alu instid0(VALU_DEP_2) | instskip(SKIP_3) | instid1(VALU_DEP_1)
	v_add_co_ci_u32_e32 v2, vcc_lo, s3, v2, vcc_lo
	global_load_u16 v1, v[1:2], off
	s_waitcnt vmcnt(0)
	v_lshlrev_b32_e32 v1, 16, v1
	v_mul_f32_e32 v1, s26, v1
	s_delay_alu instid0(VALU_DEP_1) | instskip(NEXT) | instid1(VALU_DEP_1)
	v_and_b32_e32 v2, 0x7f800000, v1
	v_cmp_ne_u32_e32 vcc_lo, 0x7f800000, v2
                                        ; implicit-def: $vgpr2
	s_and_saveexec_b32 s2, vcc_lo
	s_delay_alu instid0(SALU_CYCLE_1)
	s_xor_b32 s2, exec_lo, s2
; %bb.23:
	v_bfe_u32 v2, v1, 16, 1
	s_delay_alu instid0(VALU_DEP_1)
	v_add3_u32 v2, v1, v2, 0x7fff
                                        ; implicit-def: $vgpr1
; %bb.24:
	s_and_not1_saveexec_b32 s2, s2
; %bb.25:
	v_and_b32_e32 v2, 0xffff, v1
	v_or_b32_e32 v3, 0x10000, v1
	s_delay_alu instid0(VALU_DEP_2) | instskip(NEXT) | instid1(VALU_DEP_2)
	v_cmp_eq_u32_e32 vcc_lo, 0, v2
	v_cndmask_b32_e32 v2, v3, v1, vcc_lo
; %bb.26:
	s_or_b32 exec_lo, exec_lo, s2
	s_delay_alu instid0(VALU_DEP_1)
	v_and_b32_e32 v1, 0xffff0000, v2
	v_lshlrev_b32_e32 v2, 2, v0
	ds_store_b32 v2, v1
.LBB572_27:
	s_or_b32 exec_lo, exec_lo, s13
	s_cmp_lt_i32 s19, 1
	s_waitcnt lgkmcnt(0)
	s_waitcnt_vscnt null, 0x0
	s_barrier
	buffer_gl0_inv
	s_cbranch_scc1 .LBB572_70
; %bb.28:
	s_load_b32 s0, s[0:1], 0x28
	s_lshl_b64 s[2:3], s[24:25], 1
	s_mul_i32 s17, s5, s15
	s_add_u32 s1, s22, s2
	s_mul_hi_u32 s25, s4, s15
	s_mul_i32 s24, s4, s15
	s_addc_u32 s6, s23, s3
	s_lshl_b64 s[4:5], s[20:21], 1
	v_cmp_neq_f32_e64 s2, s14, 0
	s_add_u32 s3, s1, s4
	s_addc_u32 s4, s6, s5
	s_ashr_i32 s5, s12, 31
	s_waitcnt lgkmcnt(0)
	s_ashr_i32 s1, s0, 31
	s_cmp_gt_i32 s18, 0
	v_mad_i64_i32 v[1:2], null, s0, v0, 0
	s_cselect_b32 s6, -1, 0
	s_and_b32 s7, s18, 3
	s_cmp_gt_u32 s18, 3
	s_cselect_b32 s13, -1, 0
	s_and_b32 s15, s18, 0x7ffffffc
	s_cmp_lg_u32 s7, 0
	s_delay_alu instid0(VALU_DEP_1)
	v_lshlrev_b64 v[1:2], 1, v[1:2]
	s_cselect_b32 s16, -1, 0
	s_add_i32 s25, s25, s17
	s_lshl_b64 s[10:11], s[10:11], 1
	s_lshl_b64 s[20:21], s[24:25], 1
	s_add_u32 s8, s8, s10
	s_addc_u32 s9, s9, s11
	s_add_u32 s8, s8, s20
	s_addc_u32 s9, s9, s21
	v_add_co_u32 v7, vcc_lo, s8, v1
	v_add_co_ci_u32_e32 v8, vcc_lo, s9, v2, vcc_lo
	s_mov_b32 s8, 0
	s_delay_alu instid0(VALU_DEP_2) | instskip(NEXT) | instid1(VALU_DEP_2)
	v_add_co_u32 v1, vcc_lo, v7, 4
	v_add_co_ci_u32_e32 v2, vcc_lo, 0, v8, vcc_lo
	s_lshl_b64 s[0:1], s[0:1], 9
	s_branch .LBB572_31
.LBB572_29:                             ;   in Loop: Header=BB572_31 Depth=1
	s_or_b32 exec_lo, exec_lo, s10
	v_add_co_u32 v3, vcc_lo, s3, v3
	v_add_co_ci_u32_e32 v4, vcc_lo, s4, v4, vcc_lo
	global_store_d16_hi_b16 v[3:4], v5, off
.LBB572_30:                             ;   in Loop: Header=BB572_31 Depth=1
	s_or_b32 exec_lo, exec_lo, s9
	v_add_co_u32 v1, vcc_lo, v1, s0
	v_add_co_ci_u32_e32 v2, vcc_lo, s1, v2, vcc_lo
	v_add_co_u32 v7, vcc_lo, v7, s0
	v_add_co_ci_u32_e32 v8, vcc_lo, s1, v8, vcc_lo
	s_addk_i32 s8, 0x100
	s_delay_alu instid0(SALU_CYCLE_1)
	s_cmp_ge_i32 s8, s19
	s_cbranch_scc1 .LBB572_70
.LBB572_31:                             ; =>This Loop Header: Depth=1
                                        ;     Child Loop BB572_42 Depth 2
                                        ;     Child Loop BB572_62 Depth 2
	v_add_nc_u32_e32 v3, s8, v0
	s_mov_b32 s9, exec_lo
	s_delay_alu instid0(VALU_DEP_1)
	v_cmpx_gt_i32_e64 s19, v3
	s_cbranch_execz .LBB572_30
; %bb.32:                               ;   in Loop: Header=BB572_31 Depth=1
	v_mad_u64_u32 v[4:5], null, v3, s12, 0
	s_and_not1_b32 vcc_lo, exec_lo, s2
	s_delay_alu instid0(VALU_DEP_1) | instskip(NEXT) | instid1(VALU_DEP_1)
	v_mad_u64_u32 v[9:10], null, v3, s5, v[5:6]
	v_mov_b32_e32 v5, v9
	s_delay_alu instid0(VALU_DEP_1)
	v_lshlrev_b64 v[3:4], 1, v[4:5]
	s_cbranch_vccnz .LBB572_38
; %bb.33:                               ;   in Loop: Header=BB572_31 Depth=1
	s_delay_alu instid0(VALU_DEP_1) | instskip(NEXT) | instid1(VALU_DEP_2)
	v_add_co_u32 v5, vcc_lo, s3, v3
	v_add_co_ci_u32_e32 v6, vcc_lo, s4, v4, vcc_lo
	global_load_u16 v5, v[5:6], off
	s_waitcnt vmcnt(0)
	v_lshlrev_b32_e32 v5, 16, v5
	s_delay_alu instid0(VALU_DEP_1) | instskip(NEXT) | instid1(VALU_DEP_1)
	v_mul_f32_e32 v5, s14, v5
	v_and_b32_e32 v6, 0x7f800000, v5
	s_delay_alu instid0(VALU_DEP_1) | instskip(SKIP_1) | instid1(SALU_CYCLE_1)
	v_cmp_ne_u32_e32 vcc_lo, 0x7f800000, v6
                                        ; implicit-def: $vgpr6
	s_and_saveexec_b32 s10, vcc_lo
	s_xor_b32 s10, exec_lo, s10
; %bb.34:                               ;   in Loop: Header=BB572_31 Depth=1
	v_bfe_u32 v6, v5, 16, 1
	s_delay_alu instid0(VALU_DEP_1)
	v_add3_u32 v6, v5, v6, 0x7fff
                                        ; implicit-def: $vgpr5
; %bb.35:                               ;   in Loop: Header=BB572_31 Depth=1
	s_and_not1_saveexec_b32 s10, s10
; %bb.36:                               ;   in Loop: Header=BB572_31 Depth=1
	v_and_b32_e32 v6, 0xffff, v5
	v_or_b32_e32 v9, 0x10000, v5
	s_delay_alu instid0(VALU_DEP_2) | instskip(NEXT) | instid1(VALU_DEP_2)
	v_cmp_eq_u32_e32 vcc_lo, 0, v6
	v_cndmask_b32_e32 v6, v9, v5, vcc_lo
; %bb.37:                               ;   in Loop: Header=BB572_31 Depth=1
	s_or_b32 exec_lo, exec_lo, s10
	s_delay_alu instid0(VALU_DEP_1) | instskip(NEXT) | instid1(VALU_DEP_1)
	v_and_b32_e32 v5, 0xffff0000, v6
	v_cvt_i32_f32_e32 v5, v5
	s_delay_alu instid0(VALU_DEP_1)
	v_cvt_f32_i32_e32 v9, v5
	s_and_not1_b32 vcc_lo, exec_lo, s6
	s_cbranch_vccz .LBB572_39
	s_branch .LBB572_66
.LBB572_38:                             ;   in Loop: Header=BB572_31 Depth=1
	v_mov_b32_e32 v5, 0
	s_delay_alu instid0(VALU_DEP_1)
	v_cvt_f32_i32_e32 v9, v5
	s_and_not1_b32 vcc_lo, exec_lo, s6
	s_cbranch_vccnz .LBB572_66
.LBB572_39:                             ;   in Loop: Header=BB572_31 Depth=1
	s_and_not1_b32 vcc_lo, exec_lo, s13
	s_cbranch_vccnz .LBB572_58
; %bb.40:                               ;   in Loop: Header=BB572_31 Depth=1
	v_dual_mov_b32 v6, v2 :: v_dual_mov_b32 v5, v1
	s_mov_b32 s10, 0
	s_mov_b32 s11, 0
	s_branch .LBB572_42
.LBB572_41:                             ;   in Loop: Header=BB572_42 Depth=2
	s_or_b32 exec_lo, exec_lo, s17
	v_and_b32_e32 v11, 0xffff0000, v11
	v_and_b32_e32 v10, 0xffff0000, v10
	v_add_co_u32 v5, vcc_lo, v5, 8
	v_add_co_ci_u32_e32 v6, vcc_lo, 0, v6, vcc_lo
	s_delay_alu instid0(VALU_DEP_3) | instskip(SKIP_3) | instid1(VALU_DEP_1)
	v_dual_add_f32 v9, v9, v10 :: v_dual_and_b32 v10, 0xffff0000, v12
	s_add_i32 s11, s11, 4
	s_add_i32 s10, s10, 16
	s_cmp_eq_u32 s15, s11
	v_add_f32_e32 v9, v9, v11
	v_and_b32_e32 v11, 0xffff0000, v13
	s_delay_alu instid0(VALU_DEP_2) | instskip(NEXT) | instid1(VALU_DEP_1)
	v_add_f32_e32 v9, v9, v10
	v_add_f32_e32 v9, v9, v11
	s_cbranch_scc1 .LBB572_59
.LBB572_42:                             ;   Parent Loop BB572_31 Depth=1
                                        ; =>  This Inner Loop Header: Depth=2
	global_load_u16 v10, v[5:6], off offset:-4
	s_waitcnt vmcnt(0)
	v_dual_mov_b32 v11, s10 :: v_dual_lshlrev_b32 v10, 16, v10
	ds_load_b32 v11, v11
	s_waitcnt lgkmcnt(0)
	v_mul_f32_e32 v11, v11, v10
	s_delay_alu instid0(VALU_DEP_1) | instskip(NEXT) | instid1(VALU_DEP_1)
	v_and_b32_e32 v10, 0x7f800000, v11
	v_cmp_ne_u32_e32 vcc_lo, 0x7f800000, v10
                                        ; implicit-def: $vgpr10
	s_and_saveexec_b32 s17, vcc_lo
	s_delay_alu instid0(SALU_CYCLE_1)
	s_xor_b32 s17, exec_lo, s17
; %bb.43:                               ;   in Loop: Header=BB572_42 Depth=2
	v_bfe_u32 v10, v11, 16, 1
	s_delay_alu instid0(VALU_DEP_1)
	v_add3_u32 v10, v11, v10, 0x7fff
                                        ; implicit-def: $vgpr11
; %bb.44:                               ;   in Loop: Header=BB572_42 Depth=2
	s_and_not1_saveexec_b32 s17, s17
; %bb.45:                               ;   in Loop: Header=BB572_42 Depth=2
	v_and_b32_e32 v10, 0xffff, v11
	v_or_b32_e32 v12, 0x10000, v11
	s_delay_alu instid0(VALU_DEP_2) | instskip(NEXT) | instid1(VALU_DEP_2)
	v_cmp_eq_u32_e32 vcc_lo, 0, v10
	v_cndmask_b32_e32 v10, v12, v11, vcc_lo
; %bb.46:                               ;   in Loop: Header=BB572_42 Depth=2
	s_or_b32 exec_lo, exec_lo, s17
	global_load_u16 v11, v[5:6], off offset:-2
	s_waitcnt vmcnt(0)
	v_dual_mov_b32 v12, s10 :: v_dual_lshlrev_b32 v11, 16, v11
	ds_load_b32 v12, v12 offset:4
	s_waitcnt lgkmcnt(0)
	v_mul_f32_e32 v12, v12, v11
	s_delay_alu instid0(VALU_DEP_1) | instskip(NEXT) | instid1(VALU_DEP_1)
	v_and_b32_e32 v11, 0x7f800000, v12
	v_cmp_ne_u32_e32 vcc_lo, 0x7f800000, v11
                                        ; implicit-def: $vgpr11
	s_and_saveexec_b32 s17, vcc_lo
	s_delay_alu instid0(SALU_CYCLE_1)
	s_xor_b32 s17, exec_lo, s17
; %bb.47:                               ;   in Loop: Header=BB572_42 Depth=2
	v_bfe_u32 v11, v12, 16, 1
	s_delay_alu instid0(VALU_DEP_1)
	v_add3_u32 v11, v12, v11, 0x7fff
                                        ; implicit-def: $vgpr12
; %bb.48:                               ;   in Loop: Header=BB572_42 Depth=2
	s_and_not1_saveexec_b32 s17, s17
; %bb.49:                               ;   in Loop: Header=BB572_42 Depth=2
	v_and_b32_e32 v11, 0xffff, v12
	v_or_b32_e32 v13, 0x10000, v12
	s_delay_alu instid0(VALU_DEP_2) | instskip(NEXT) | instid1(VALU_DEP_2)
	v_cmp_eq_u32_e32 vcc_lo, 0, v11
	v_cndmask_b32_e32 v11, v13, v12, vcc_lo
; %bb.50:                               ;   in Loop: Header=BB572_42 Depth=2
	s_or_b32 exec_lo, exec_lo, s17
	global_load_u16 v12, v[5:6], off
	s_waitcnt vmcnt(0)
	v_dual_mov_b32 v13, s10 :: v_dual_lshlrev_b32 v12, 16, v12
	ds_load_b32 v13, v13 offset:8
	s_waitcnt lgkmcnt(0)
	v_mul_f32_e32 v13, v13, v12
	s_delay_alu instid0(VALU_DEP_1) | instskip(NEXT) | instid1(VALU_DEP_1)
	v_and_b32_e32 v12, 0x7f800000, v13
	v_cmp_ne_u32_e32 vcc_lo, 0x7f800000, v12
                                        ; implicit-def: $vgpr12
	s_and_saveexec_b32 s17, vcc_lo
	s_delay_alu instid0(SALU_CYCLE_1)
	s_xor_b32 s17, exec_lo, s17
; %bb.51:                               ;   in Loop: Header=BB572_42 Depth=2
	v_bfe_u32 v12, v13, 16, 1
	s_delay_alu instid0(VALU_DEP_1)
	v_add3_u32 v12, v13, v12, 0x7fff
                                        ; implicit-def: $vgpr13
; %bb.52:                               ;   in Loop: Header=BB572_42 Depth=2
	s_and_not1_saveexec_b32 s17, s17
; %bb.53:                               ;   in Loop: Header=BB572_42 Depth=2
	v_and_b32_e32 v12, 0xffff, v13
	v_or_b32_e32 v14, 0x10000, v13
	s_delay_alu instid0(VALU_DEP_2) | instskip(NEXT) | instid1(VALU_DEP_2)
	v_cmp_eq_u32_e32 vcc_lo, 0, v12
	v_cndmask_b32_e32 v12, v14, v13, vcc_lo
; %bb.54:                               ;   in Loop: Header=BB572_42 Depth=2
	s_or_b32 exec_lo, exec_lo, s17
	global_load_u16 v13, v[5:6], off offset:2
	s_waitcnt vmcnt(0)
	v_dual_mov_b32 v14, s10 :: v_dual_lshlrev_b32 v13, 16, v13
	ds_load_b32 v14, v14 offset:12
	s_waitcnt lgkmcnt(0)
	v_mul_f32_e32 v14, v14, v13
	s_delay_alu instid0(VALU_DEP_1) | instskip(NEXT) | instid1(VALU_DEP_1)
	v_and_b32_e32 v13, 0x7f800000, v14
	v_cmp_ne_u32_e32 vcc_lo, 0x7f800000, v13
                                        ; implicit-def: $vgpr13
	s_and_saveexec_b32 s17, vcc_lo
	s_delay_alu instid0(SALU_CYCLE_1)
	s_xor_b32 s17, exec_lo, s17
; %bb.55:                               ;   in Loop: Header=BB572_42 Depth=2
	v_bfe_u32 v13, v14, 16, 1
	s_delay_alu instid0(VALU_DEP_1)
	v_add3_u32 v13, v14, v13, 0x7fff
                                        ; implicit-def: $vgpr14
; %bb.56:                               ;   in Loop: Header=BB572_42 Depth=2
	s_and_not1_saveexec_b32 s17, s17
	s_cbranch_execz .LBB572_41
; %bb.57:                               ;   in Loop: Header=BB572_42 Depth=2
	v_and_b32_e32 v13, 0xffff, v14
	v_or_b32_e32 v15, 0x10000, v14
	s_delay_alu instid0(VALU_DEP_2) | instskip(NEXT) | instid1(VALU_DEP_2)
	v_cmp_eq_u32_e32 vcc_lo, 0, v13
	v_cndmask_b32_e32 v13, v15, v14, vcc_lo
	s_branch .LBB572_41
.LBB572_58:                             ;   in Loop: Header=BB572_31 Depth=1
	s_mov_b32 s10, 0
	s_and_not1_b32 vcc_lo, exec_lo, s16
	s_cbranch_vccz .LBB572_60
	s_branch .LBB572_66
.LBB572_59:                             ;   in Loop: Header=BB572_31 Depth=1
	s_mov_b32 s10, s15
	s_and_not1_b32 vcc_lo, exec_lo, s16
	s_cbranch_vccnz .LBB572_66
.LBB572_60:                             ;   in Loop: Header=BB572_31 Depth=1
	s_lshl_b32 s11, s10, 1
	s_lshl_b32 s10, s10, 2
	v_add_co_u32 v5, vcc_lo, v7, s11
	v_add_co_ci_u32_e32 v6, vcc_lo, 0, v8, vcc_lo
	s_mov_b32 s11, s7
	s_set_inst_prefetch_distance 0x1
	s_branch .LBB572_62
	.p2align	6
.LBB572_61:                             ;   in Loop: Header=BB572_62 Depth=2
	s_or_b32 exec_lo, exec_lo, s17
	s_delay_alu instid0(VALU_DEP_1) | instskip(SKIP_2) | instid1(VALU_DEP_3)
	v_and_b32_e32 v10, 0xffff0000, v11
	v_add_co_u32 v5, vcc_lo, v5, 2
	v_add_co_ci_u32_e32 v6, vcc_lo, 0, v6, vcc_lo
	v_add_f32_e32 v9, v9, v10
	s_add_i32 s11, s11, -1
	s_add_i32 s10, s10, 4
	s_cmp_lg_u32 s11, 0
	s_cbranch_scc0 .LBB572_66
.LBB572_62:                             ;   Parent Loop BB572_31 Depth=1
                                        ; =>  This Inner Loop Header: Depth=2
	global_load_u16 v10, v[5:6], off
	s_waitcnt vmcnt(0)
	v_dual_mov_b32 v11, s10 :: v_dual_lshlrev_b32 v10, 16, v10
	ds_load_b32 v11, v11
	s_waitcnt lgkmcnt(0)
	v_mul_f32_e32 v10, v11, v10
	s_delay_alu instid0(VALU_DEP_1) | instskip(NEXT) | instid1(VALU_DEP_1)
	v_and_b32_e32 v11, 0x7f800000, v10
	v_cmp_ne_u32_e32 vcc_lo, 0x7f800000, v11
                                        ; implicit-def: $vgpr11
	s_and_saveexec_b32 s17, vcc_lo
	s_delay_alu instid0(SALU_CYCLE_1)
	s_xor_b32 s17, exec_lo, s17
; %bb.63:                               ;   in Loop: Header=BB572_62 Depth=2
	v_bfe_u32 v11, v10, 16, 1
	s_delay_alu instid0(VALU_DEP_1)
	v_add3_u32 v11, v10, v11, 0x7fff
                                        ; implicit-def: $vgpr10
; %bb.64:                               ;   in Loop: Header=BB572_62 Depth=2
	s_and_not1_saveexec_b32 s17, s17
	s_cbranch_execz .LBB572_61
; %bb.65:                               ;   in Loop: Header=BB572_62 Depth=2
	v_and_b32_e32 v11, 0xffff, v10
	v_or_b32_e32 v12, 0x10000, v10
	s_delay_alu instid0(VALU_DEP_2) | instskip(NEXT) | instid1(VALU_DEP_2)
	v_cmp_eq_u32_e32 vcc_lo, 0, v11
	v_cndmask_b32_e32 v11, v12, v10, vcc_lo
	s_branch .LBB572_61
.LBB572_66:                             ;   in Loop: Header=BB572_31 Depth=1
	s_set_inst_prefetch_distance 0x2
	s_delay_alu instid0(VALU_DEP_1) | instskip(NEXT) | instid1(VALU_DEP_1)
	v_and_b32_e32 v5, 0x7f800000, v9
	v_cmp_ne_u32_e32 vcc_lo, 0x7f800000, v5
                                        ; implicit-def: $vgpr5
	s_and_saveexec_b32 s10, vcc_lo
	s_delay_alu instid0(SALU_CYCLE_1)
	s_xor_b32 s10, exec_lo, s10
; %bb.67:                               ;   in Loop: Header=BB572_31 Depth=1
	v_bfe_u32 v5, v9, 16, 1
	s_delay_alu instid0(VALU_DEP_1)
	v_add3_u32 v5, v9, v5, 0x7fff
                                        ; implicit-def: $vgpr9
; %bb.68:                               ;   in Loop: Header=BB572_31 Depth=1
	s_and_not1_saveexec_b32 s10, s10
	s_cbranch_execz .LBB572_29
; %bb.69:                               ;   in Loop: Header=BB572_31 Depth=1
	v_and_b32_e32 v5, 0xffff, v9
	v_or_b32_e32 v6, 0x10000, v9
	s_delay_alu instid0(VALU_DEP_2) | instskip(NEXT) | instid1(VALU_DEP_2)
	v_cmp_eq_u32_e32 vcc_lo, 0, v5
	v_cndmask_b32_e32 v5, v6, v9, vcc_lo
	s_branch .LBB572_29
.LBB572_70:
	s_nop 0
	s_sendmsg sendmsg(MSG_DEALLOC_VGPRS)
	s_endpgm
	.section	.rodata,"a",@progbits
	.p2align	6, 0x0
	.amdhsa_kernel _ZL22rocblas_gemvtsm_kernelILb1ELi256E16rocblas_bfloat16PKfS0_EviiT2_lPKT1_lilS6_lilS3_lPT3_lil
		.amdhsa_group_segment_fixed_size 256
		.amdhsa_private_segment_fixed_size 0
		.amdhsa_kernarg_size 136
		.amdhsa_user_sgpr_count 15
		.amdhsa_user_sgpr_dispatch_ptr 0
		.amdhsa_user_sgpr_queue_ptr 0
		.amdhsa_user_sgpr_kernarg_segment_ptr 1
		.amdhsa_user_sgpr_dispatch_id 0
		.amdhsa_user_sgpr_private_segment_size 0
		.amdhsa_wavefront_size32 1
		.amdhsa_uses_dynamic_stack 0
		.amdhsa_enable_private_segment 0
		.amdhsa_system_sgpr_workgroup_id_x 1
		.amdhsa_system_sgpr_workgroup_id_y 0
		.amdhsa_system_sgpr_workgroup_id_z 0
		.amdhsa_system_sgpr_workgroup_info 0
		.amdhsa_system_vgpr_workitem_id 0
		.amdhsa_next_free_vgpr 16
		.amdhsa_next_free_sgpr 29
		.amdhsa_reserve_vcc 1
		.amdhsa_float_round_mode_32 0
		.amdhsa_float_round_mode_16_64 0
		.amdhsa_float_denorm_mode_32 3
		.amdhsa_float_denorm_mode_16_64 3
		.amdhsa_dx10_clamp 1
		.amdhsa_ieee_mode 1
		.amdhsa_fp16_overflow 0
		.amdhsa_workgroup_processor_mode 1
		.amdhsa_memory_ordered 1
		.amdhsa_forward_progress 0
		.amdhsa_shared_vgpr_count 0
		.amdhsa_exception_fp_ieee_invalid_op 0
		.amdhsa_exception_fp_denorm_src 0
		.amdhsa_exception_fp_ieee_div_zero 0
		.amdhsa_exception_fp_ieee_overflow 0
		.amdhsa_exception_fp_ieee_underflow 0
		.amdhsa_exception_fp_ieee_inexact 0
		.amdhsa_exception_int_div_zero 0
	.end_amdhsa_kernel
	.section	.text._ZL22rocblas_gemvtsm_kernelILb1ELi256E16rocblas_bfloat16PKfS0_EviiT2_lPKT1_lilS6_lilS3_lPT3_lil,"axG",@progbits,_ZL22rocblas_gemvtsm_kernelILb1ELi256E16rocblas_bfloat16PKfS0_EviiT2_lPKT1_lilS6_lilS3_lPT3_lil,comdat
.Lfunc_end572:
	.size	_ZL22rocblas_gemvtsm_kernelILb1ELi256E16rocblas_bfloat16PKfS0_EviiT2_lPKT1_lilS6_lilS3_lPT3_lil, .Lfunc_end572-_ZL22rocblas_gemvtsm_kernelILb1ELi256E16rocblas_bfloat16PKfS0_EviiT2_lPKT1_lilS6_lilS3_lPT3_lil
                                        ; -- End function
	.section	.AMDGPU.csdata,"",@progbits
; Kernel info:
; codeLenInByte = 2500
; NumSgprs: 31
; NumVgprs: 16
; ScratchSize: 0
; MemoryBound: 0
; FloatMode: 240
; IeeeMode: 1
; LDSByteSize: 256 bytes/workgroup (compile time only)
; SGPRBlocks: 3
; VGPRBlocks: 1
; NumSGPRsForWavesPerEU: 31
; NumVGPRsForWavesPerEU: 16
; Occupancy: 16
; WaveLimiterHint : 1
; COMPUTE_PGM_RSRC2:SCRATCH_EN: 0
; COMPUTE_PGM_RSRC2:USER_SGPR: 15
; COMPUTE_PGM_RSRC2:TRAP_HANDLER: 0
; COMPUTE_PGM_RSRC2:TGID_X_EN: 1
; COMPUTE_PGM_RSRC2:TGID_Y_EN: 0
; COMPUTE_PGM_RSRC2:TGID_Z_EN: 0
; COMPUTE_PGM_RSRC2:TIDIG_COMP_CNT: 0
	.section	.text._ZL22rocblas_gemvtsm_kernelILb1ELi256E16rocblas_bfloat16fS0_EviiT2_lPKT1_lilS4_lilS1_lPT3_lil,"axG",@progbits,_ZL22rocblas_gemvtsm_kernelILb1ELi256E16rocblas_bfloat16fS0_EviiT2_lPKT1_lilS4_lilS1_lPT3_lil,comdat
	.globl	_ZL22rocblas_gemvtsm_kernelILb1ELi256E16rocblas_bfloat16fS0_EviiT2_lPKT1_lilS4_lilS1_lPT3_lil ; -- Begin function _ZL22rocblas_gemvtsm_kernelILb1ELi256E16rocblas_bfloat16fS0_EviiT2_lPKT1_lilS4_lilS1_lPT3_lil
	.p2align	8
	.type	_ZL22rocblas_gemvtsm_kernelILb1ELi256E16rocblas_bfloat16fS0_EviiT2_lPKT1_lilS4_lilS1_lPT3_lil,@function
_ZL22rocblas_gemvtsm_kernelILb1ELi256E16rocblas_bfloat16fS0_EviiT2_lPKT1_lilS4_lilS1_lPT3_lil: ; @_ZL22rocblas_gemvtsm_kernelILb1ELi256E16rocblas_bfloat16fS0_EviiT2_lPKT1_lilS4_lilS1_lPT3_lil
; %bb.0:
	s_load_b128 s[4:7], s[0:1], 0x0
	s_waitcnt lgkmcnt(0)
	s_load_b32 s7, s[0:1], 0x58
	v_cmp_eq_f32_e64 s2, s6, 0
	s_waitcnt lgkmcnt(0)
	v_cmp_eq_f32_e64 s3, s7, 1.0
	s_delay_alu instid0(VALU_DEP_1) | instskip(NEXT) | instid1(SALU_CYCLE_1)
	s_and_b32 s2, s2, s3
	s_and_b32 vcc_lo, exec_lo, s2
	s_cbranch_vccnz .LBB573_70
; %bb.1:
	s_clause 0x2
	s_load_b64 s[2:3], s[0:1], 0x80
	s_load_b128 s[8:11], s[0:1], 0x68
	s_load_b32 s12, s[0:1], 0x78
	v_cmp_neq_f32_e64 s13, s6, 0
	s_delay_alu instid0(VALU_DEP_1)
	s_and_b32 vcc_lo, exec_lo, s13
	s_waitcnt lgkmcnt(0)
	s_mul_i32 s3, s15, s3
	s_mul_hi_u32 s13, s15, s2
	s_mul_i32 s20, s15, s2
	s_add_i32 s21, s13, s3
	s_cbranch_vccnz .LBB573_9
; %bb.2:
	s_cmp_gt_i32 s5, 0
	v_cmp_neq_f32_e64 s2, s7, 0
	s_cselect_b32 s14, -1, 0
	s_delay_alu instid0(SALU_CYCLE_1) | instskip(NEXT) | instid1(VALU_DEP_2)
	v_cndmask_b32_e64 v1, 0, 1, s14
	s_and_b32 vcc_lo, exec_lo, s2
	s_delay_alu instid0(VALU_DEP_1)
	v_cmp_ne_u32_e64 s2, 1, v1
	s_cbranch_vccnz .LBB573_10
; %bb.3:
	s_delay_alu instid0(VALU_DEP_1)
	s_and_b32 vcc_lo, exec_lo, s2
	s_cbranch_vccnz .LBB573_8
; %bb.4:
	v_mad_i64_i32 v[1:2], null, s12, v0, 0
	s_lshl_b64 s[16:17], s[10:11], 1
	s_ashr_i32 s13, s12, 31
	s_lshl_b64 s[2:3], s[20:21], 1
	s_add_u32 s16, s8, s16
	s_addc_u32 s17, s9, s17
	s_add_u32 s2, s16, s2
	s_delay_alu instid0(VALU_DEP_1) | instskip(SKIP_2) | instid1(VALU_DEP_2)
	v_lshlrev_b64 v[1:2], 1, v[1:2]
	s_addc_u32 s3, s17, s3
	v_mov_b32_e32 v3, 0
	v_add_co_u32 v1, vcc_lo, s2, v1
	s_delay_alu instid0(VALU_DEP_3)
	v_add_co_ci_u32_e32 v2, vcc_lo, s3, v2, vcc_lo
	s_lshl_b64 s[2:3], s[12:13], 9
	s_mov_b32 s13, 0
	s_branch .LBB573_6
.LBB573_5:                              ;   in Loop: Header=BB573_6 Depth=1
	s_or_b32 exec_lo, exec_lo, s16
	v_add_co_u32 v1, vcc_lo, v1, s2
	v_add_co_ci_u32_e32 v2, vcc_lo, s3, v2, vcc_lo
	s_addk_i32 s13, 0x100
	s_delay_alu instid0(SALU_CYCLE_1)
	s_cmp_ge_i32 s13, s5
	s_cbranch_scc1 .LBB573_8
.LBB573_6:                              ; =>This Inner Loop Header: Depth=1
	v_add_nc_u32_e32 v4, s13, v0
	s_mov_b32 s16, exec_lo
	s_delay_alu instid0(VALU_DEP_1)
	v_cmpx_gt_i32_e64 s5, v4
	s_cbranch_execz .LBB573_5
; %bb.7:                                ;   in Loop: Header=BB573_6 Depth=1
	global_store_b16 v[1:2], v3, off
	s_branch .LBB573_5
.LBB573_8:
	s_cbranch_execz .LBB573_11
	s_branch .LBB573_20
.LBB573_9:
	s_branch .LBB573_21
.LBB573_10:
.LBB573_11:
	s_and_not1_b32 vcc_lo, exec_lo, s14
	s_cbranch_vccnz .LBB573_20
; %bb.12:
	v_mad_i64_i32 v[1:2], null, s12, v0, 0
	s_lshl_b64 s[16:17], s[10:11], 1
	s_ashr_i32 s13, s12, 31
	s_lshl_b64 s[2:3], s[20:21], 1
	s_add_u32 s14, s8, s16
	s_addc_u32 s16, s9, s17
	s_add_u32 s2, s14, s2
	s_delay_alu instid0(VALU_DEP_1) | instskip(SKIP_1) | instid1(VALU_DEP_1)
	v_lshlrev_b64 v[1:2], 1, v[1:2]
	s_addc_u32 s3, s16, s3
	v_add_co_u32 v1, vcc_lo, s2, v1
	s_delay_alu instid0(VALU_DEP_2)
	v_add_co_ci_u32_e32 v2, vcc_lo, s3, v2, vcc_lo
	s_lshl_b64 s[2:3], s[12:13], 9
	s_mov_b32 s13, 0
	s_set_inst_prefetch_distance 0x1
	s_branch .LBB573_15
	.p2align	6
.LBB573_13:                             ;   in Loop: Header=BB573_15 Depth=1
	s_or_b32 exec_lo, exec_lo, s16
	global_store_d16_hi_b16 v[1:2], v4, off
.LBB573_14:                             ;   in Loop: Header=BB573_15 Depth=1
	s_or_b32 exec_lo, exec_lo, s14
	v_add_co_u32 v1, vcc_lo, v1, s2
	v_add_co_ci_u32_e32 v2, vcc_lo, s3, v2, vcc_lo
	s_addk_i32 s13, 0x100
	s_delay_alu instid0(SALU_CYCLE_1)
	s_cmp_ge_i32 s13, s5
	s_cbranch_scc1 .LBB573_20
.LBB573_15:                             ; =>This Inner Loop Header: Depth=1
	v_add_nc_u32_e32 v3, s13, v0
	s_mov_b32 s14, exec_lo
	s_delay_alu instid0(VALU_DEP_1)
	v_cmpx_gt_i32_e64 s5, v3
	s_cbranch_execz .LBB573_14
; %bb.16:                               ;   in Loop: Header=BB573_15 Depth=1
	global_load_u16 v3, v[1:2], off
	s_waitcnt vmcnt(0)
	v_lshlrev_b32_e32 v3, 16, v3
	s_delay_alu instid0(VALU_DEP_1) | instskip(NEXT) | instid1(VALU_DEP_1)
	v_mul_f32_e32 v3, s7, v3
	v_and_b32_e32 v4, 0x7f800000, v3
	s_delay_alu instid0(VALU_DEP_1) | instskip(SKIP_1) | instid1(SALU_CYCLE_1)
	v_cmp_ne_u32_e32 vcc_lo, 0x7f800000, v4
                                        ; implicit-def: $vgpr4
	s_and_saveexec_b32 s16, vcc_lo
	s_xor_b32 s16, exec_lo, s16
; %bb.17:                               ;   in Loop: Header=BB573_15 Depth=1
	v_bfe_u32 v4, v3, 16, 1
	s_delay_alu instid0(VALU_DEP_1)
	v_add3_u32 v4, v3, v4, 0x7fff
                                        ; implicit-def: $vgpr3
; %bb.18:                               ;   in Loop: Header=BB573_15 Depth=1
	s_and_not1_saveexec_b32 s16, s16
	s_cbranch_execz .LBB573_13
; %bb.19:                               ;   in Loop: Header=BB573_15 Depth=1
	v_and_b32_e32 v4, 0xffff, v3
	v_or_b32_e32 v5, 0x10000, v3
	s_delay_alu instid0(VALU_DEP_2) | instskip(NEXT) | instid1(VALU_DEP_2)
	v_cmp_eq_u32_e32 vcc_lo, 0, v4
	v_cndmask_b32_e32 v4, v5, v3, vcc_lo
	s_branch .LBB573_13
.LBB573_20:
	s_set_inst_prefetch_distance 0x2
	s_cbranch_execnz .LBB573_70
.LBB573_21:
	s_clause 0x1
	s_load_b128 s[16:19], s[0:1], 0x30
	s_load_b64 s[2:3], s[0:1], 0x40
	s_mov_b32 s13, exec_lo
	v_cmpx_gt_i32_e64 s4, v0
	s_cbranch_execz .LBB573_27
; %bb.22:
	s_clause 0x1
	s_load_b64 s[22:23], s[0:1], 0x50
	s_load_b32 s14, s[0:1], 0x48
	s_waitcnt lgkmcnt(0)
	s_mul_i32 s23, s15, s23
	v_mad_i64_i32 v[1:2], null, s14, v0, 0
	s_mul_hi_u32 s24, s15, s22
	s_mul_i32 s22, s15, s22
	s_add_i32 s23, s24, s23
	s_delay_alu instid0(SALU_CYCLE_1) | instskip(NEXT) | instid1(SALU_CYCLE_1)
	s_lshl_b64 s[22:23], s[22:23], 1
	s_add_u32 s14, s18, s22
	s_delay_alu instid0(VALU_DEP_1) | instskip(SKIP_2) | instid1(SALU_CYCLE_1)
	v_lshlrev_b64 v[1:2], 1, v[1:2]
	s_addc_u32 s18, s19, s23
	s_lshl_b64 s[2:3], s[2:3], 1
	s_add_u32 s2, s14, s2
	s_addc_u32 s3, s18, s3
	s_delay_alu instid0(VALU_DEP_1) | instskip(SKIP_4) | instid1(VALU_DEP_1)
	v_add_co_u32 v1, vcc_lo, s2, v1
	v_add_co_ci_u32_e32 v2, vcc_lo, s3, v2, vcc_lo
	global_load_u16 v1, v[1:2], off
	s_waitcnt vmcnt(0)
	v_lshlrev_b32_e32 v1, 16, v1
	v_mul_f32_e32 v1, s6, v1
	s_delay_alu instid0(VALU_DEP_1) | instskip(NEXT) | instid1(VALU_DEP_1)
	v_and_b32_e32 v2, 0x7f800000, v1
	v_cmp_ne_u32_e32 vcc_lo, 0x7f800000, v2
                                        ; implicit-def: $vgpr2
	s_and_saveexec_b32 s2, vcc_lo
	s_delay_alu instid0(SALU_CYCLE_1)
	s_xor_b32 s2, exec_lo, s2
; %bb.23:
	v_bfe_u32 v2, v1, 16, 1
	s_delay_alu instid0(VALU_DEP_1)
	v_add3_u32 v2, v1, v2, 0x7fff
                                        ; implicit-def: $vgpr1
; %bb.24:
	s_and_not1_saveexec_b32 s2, s2
; %bb.25:
	v_and_b32_e32 v2, 0xffff, v1
	v_or_b32_e32 v3, 0x10000, v1
	s_delay_alu instid0(VALU_DEP_2) | instskip(NEXT) | instid1(VALU_DEP_2)
	v_cmp_eq_u32_e32 vcc_lo, 0, v2
	v_cndmask_b32_e32 v2, v3, v1, vcc_lo
; %bb.26:
	s_or_b32 exec_lo, exec_lo, s2
	s_delay_alu instid0(VALU_DEP_1)
	v_and_b32_e32 v1, 0xffff0000, v2
	v_lshlrev_b32_e32 v2, 2, v0
	ds_store_b32 v2, v1
.LBB573_27:
	s_or_b32 exec_lo, exec_lo, s13
	s_cmp_lt_i32 s5, 1
	s_waitcnt lgkmcnt(0)
	s_waitcnt_vscnt null, 0x0
	s_barrier
	buffer_gl0_inv
	s_cbranch_scc1 .LBB573_70
; %bb.28:
	s_clause 0x1
	s_load_b32 s18, s[0:1], 0x28
	s_load_b128 s[0:3], s[0:1], 0x18
	s_lshl_b64 s[20:21], s[20:21], 1
	s_mul_i32 s17, s17, s15
	s_add_u32 s13, s8, s20
	s_addc_u32 s14, s9, s21
	s_lshl_b64 s[8:9], s[10:11], 1
	s_mul_hi_u32 s22, s16, s15
	s_add_u32 s8, s13, s8
	s_addc_u32 s9, s14, s9
	s_ashr_i32 s10, s12, 31
	s_mul_i32 s16, s16, s15
	v_cmp_neq_f32_e64 s6, s7, 0
	s_waitcnt lgkmcnt(0)
	s_ashr_i32 s19, s18, 31
	s_cmp_gt_i32 s4, 0
	v_mad_i64_i32 v[1:2], null, s18, v0, 0
	s_cselect_b32 s11, -1, 0
	s_and_b32 s13, s4, 3
	s_cmp_gt_u32 s4, 3
	s_cselect_b32 s14, -1, 0
	s_and_b32 s4, s4, 0x7ffffffc
	s_cmp_lg_u32 s13, 0
	s_delay_alu instid0(VALU_DEP_1)
	v_lshlrev_b64 v[1:2], 1, v[1:2]
	s_cselect_b32 s15, -1, 0
	s_add_i32 s17, s22, s17
	s_lshl_b64 s[2:3], s[2:3], 1
	s_lshl_b64 s[16:17], s[16:17], 1
	s_add_u32 s0, s0, s2
	s_addc_u32 s1, s1, s3
	s_add_u32 s0, s0, s16
	s_addc_u32 s1, s1, s17
	v_add_co_u32 v7, vcc_lo, s0, v1
	v_add_co_ci_u32_e32 v8, vcc_lo, s1, v2, vcc_lo
	s_mov_b32 s2, 0
	s_delay_alu instid0(VALU_DEP_2) | instskip(NEXT) | instid1(VALU_DEP_2)
	v_add_co_u32 v1, vcc_lo, v7, 4
	v_add_co_ci_u32_e32 v2, vcc_lo, 0, v8, vcc_lo
	s_lshl_b64 s[0:1], s[18:19], 9
	s_branch .LBB573_31
.LBB573_29:                             ;   in Loop: Header=BB573_31 Depth=1
	s_or_b32 exec_lo, exec_lo, s16
	v_add_co_u32 v3, vcc_lo, s8, v3
	v_add_co_ci_u32_e32 v4, vcc_lo, s9, v4, vcc_lo
	global_store_d16_hi_b16 v[3:4], v5, off
.LBB573_30:                             ;   in Loop: Header=BB573_31 Depth=1
	s_or_b32 exec_lo, exec_lo, s3
	v_add_co_u32 v1, vcc_lo, v1, s0
	v_add_co_ci_u32_e32 v2, vcc_lo, s1, v2, vcc_lo
	v_add_co_u32 v7, vcc_lo, v7, s0
	v_add_co_ci_u32_e32 v8, vcc_lo, s1, v8, vcc_lo
	s_addk_i32 s2, 0x100
	s_delay_alu instid0(SALU_CYCLE_1)
	s_cmp_ge_i32 s2, s5
	s_cbranch_scc1 .LBB573_70
.LBB573_31:                             ; =>This Loop Header: Depth=1
                                        ;     Child Loop BB573_42 Depth 2
                                        ;     Child Loop BB573_62 Depth 2
	v_add_nc_u32_e32 v3, s2, v0
	s_mov_b32 s3, exec_lo
	s_delay_alu instid0(VALU_DEP_1)
	v_cmpx_gt_i32_e64 s5, v3
	s_cbranch_execz .LBB573_30
; %bb.32:                               ;   in Loop: Header=BB573_31 Depth=1
	v_mad_u64_u32 v[4:5], null, v3, s12, 0
	s_and_not1_b32 vcc_lo, exec_lo, s6
	s_delay_alu instid0(VALU_DEP_1) | instskip(NEXT) | instid1(VALU_DEP_1)
	v_mad_u64_u32 v[9:10], null, v3, s10, v[5:6]
	v_mov_b32_e32 v5, v9
	s_delay_alu instid0(VALU_DEP_1)
	v_lshlrev_b64 v[3:4], 1, v[4:5]
	s_cbranch_vccnz .LBB573_38
; %bb.33:                               ;   in Loop: Header=BB573_31 Depth=1
	s_delay_alu instid0(VALU_DEP_1) | instskip(NEXT) | instid1(VALU_DEP_2)
	v_add_co_u32 v5, vcc_lo, s8, v3
	v_add_co_ci_u32_e32 v6, vcc_lo, s9, v4, vcc_lo
	global_load_u16 v5, v[5:6], off
	s_waitcnt vmcnt(0)
	v_lshlrev_b32_e32 v5, 16, v5
	s_delay_alu instid0(VALU_DEP_1) | instskip(NEXT) | instid1(VALU_DEP_1)
	v_mul_f32_e32 v5, s7, v5
	v_and_b32_e32 v6, 0x7f800000, v5
	s_delay_alu instid0(VALU_DEP_1) | instskip(SKIP_1) | instid1(SALU_CYCLE_1)
	v_cmp_ne_u32_e32 vcc_lo, 0x7f800000, v6
                                        ; implicit-def: $vgpr6
	s_and_saveexec_b32 s16, vcc_lo
	s_xor_b32 s16, exec_lo, s16
; %bb.34:                               ;   in Loop: Header=BB573_31 Depth=1
	v_bfe_u32 v6, v5, 16, 1
	s_delay_alu instid0(VALU_DEP_1)
	v_add3_u32 v6, v5, v6, 0x7fff
                                        ; implicit-def: $vgpr5
; %bb.35:                               ;   in Loop: Header=BB573_31 Depth=1
	s_and_not1_saveexec_b32 s16, s16
; %bb.36:                               ;   in Loop: Header=BB573_31 Depth=1
	v_and_b32_e32 v6, 0xffff, v5
	v_or_b32_e32 v9, 0x10000, v5
	s_delay_alu instid0(VALU_DEP_2) | instskip(NEXT) | instid1(VALU_DEP_2)
	v_cmp_eq_u32_e32 vcc_lo, 0, v6
	v_cndmask_b32_e32 v6, v9, v5, vcc_lo
; %bb.37:                               ;   in Loop: Header=BB573_31 Depth=1
	s_or_b32 exec_lo, exec_lo, s16
	s_delay_alu instid0(VALU_DEP_1) | instskip(NEXT) | instid1(VALU_DEP_1)
	v_and_b32_e32 v5, 0xffff0000, v6
	v_cvt_i32_f32_e32 v5, v5
	s_delay_alu instid0(VALU_DEP_1)
	v_cvt_f32_i32_e32 v9, v5
	s_and_not1_b32 vcc_lo, exec_lo, s11
	s_cbranch_vccz .LBB573_39
	s_branch .LBB573_66
.LBB573_38:                             ;   in Loop: Header=BB573_31 Depth=1
	v_mov_b32_e32 v5, 0
	s_delay_alu instid0(VALU_DEP_1)
	v_cvt_f32_i32_e32 v9, v5
	s_and_not1_b32 vcc_lo, exec_lo, s11
	s_cbranch_vccnz .LBB573_66
.LBB573_39:                             ;   in Loop: Header=BB573_31 Depth=1
	s_and_not1_b32 vcc_lo, exec_lo, s14
	s_cbranch_vccnz .LBB573_58
; %bb.40:                               ;   in Loop: Header=BB573_31 Depth=1
	v_dual_mov_b32 v6, v2 :: v_dual_mov_b32 v5, v1
	s_mov_b32 s16, 0
	s_mov_b32 s17, 0
	s_branch .LBB573_42
.LBB573_41:                             ;   in Loop: Header=BB573_42 Depth=2
	s_or_b32 exec_lo, exec_lo, s18
	v_and_b32_e32 v11, 0xffff0000, v11
	v_and_b32_e32 v10, 0xffff0000, v10
	v_add_co_u32 v5, vcc_lo, v5, 8
	v_add_co_ci_u32_e32 v6, vcc_lo, 0, v6, vcc_lo
	s_delay_alu instid0(VALU_DEP_3) | instskip(SKIP_3) | instid1(VALU_DEP_1)
	v_dual_add_f32 v9, v9, v10 :: v_dual_and_b32 v10, 0xffff0000, v12
	s_add_i32 s17, s17, 4
	s_add_i32 s16, s16, 16
	s_cmp_eq_u32 s4, s17
	v_add_f32_e32 v9, v9, v11
	v_and_b32_e32 v11, 0xffff0000, v13
	s_delay_alu instid0(VALU_DEP_2) | instskip(NEXT) | instid1(VALU_DEP_1)
	v_add_f32_e32 v9, v9, v10
	v_add_f32_e32 v9, v9, v11
	s_cbranch_scc1 .LBB573_59
.LBB573_42:                             ;   Parent Loop BB573_31 Depth=1
                                        ; =>  This Inner Loop Header: Depth=2
	global_load_u16 v10, v[5:6], off offset:-4
	s_waitcnt vmcnt(0)
	v_dual_mov_b32 v11, s16 :: v_dual_lshlrev_b32 v10, 16, v10
	ds_load_b32 v11, v11
	s_waitcnt lgkmcnt(0)
	v_mul_f32_e32 v11, v11, v10
	s_delay_alu instid0(VALU_DEP_1) | instskip(NEXT) | instid1(VALU_DEP_1)
	v_and_b32_e32 v10, 0x7f800000, v11
	v_cmp_ne_u32_e32 vcc_lo, 0x7f800000, v10
                                        ; implicit-def: $vgpr10
	s_and_saveexec_b32 s18, vcc_lo
	s_delay_alu instid0(SALU_CYCLE_1)
	s_xor_b32 s18, exec_lo, s18
; %bb.43:                               ;   in Loop: Header=BB573_42 Depth=2
	v_bfe_u32 v10, v11, 16, 1
	s_delay_alu instid0(VALU_DEP_1)
	v_add3_u32 v10, v11, v10, 0x7fff
                                        ; implicit-def: $vgpr11
; %bb.44:                               ;   in Loop: Header=BB573_42 Depth=2
	s_and_not1_saveexec_b32 s18, s18
; %bb.45:                               ;   in Loop: Header=BB573_42 Depth=2
	v_and_b32_e32 v10, 0xffff, v11
	v_or_b32_e32 v12, 0x10000, v11
	s_delay_alu instid0(VALU_DEP_2) | instskip(NEXT) | instid1(VALU_DEP_2)
	v_cmp_eq_u32_e32 vcc_lo, 0, v10
	v_cndmask_b32_e32 v10, v12, v11, vcc_lo
; %bb.46:                               ;   in Loop: Header=BB573_42 Depth=2
	s_or_b32 exec_lo, exec_lo, s18
	global_load_u16 v11, v[5:6], off offset:-2
	s_waitcnt vmcnt(0)
	v_dual_mov_b32 v12, s16 :: v_dual_lshlrev_b32 v11, 16, v11
	ds_load_b32 v12, v12 offset:4
	s_waitcnt lgkmcnt(0)
	v_mul_f32_e32 v12, v12, v11
	s_delay_alu instid0(VALU_DEP_1) | instskip(NEXT) | instid1(VALU_DEP_1)
	v_and_b32_e32 v11, 0x7f800000, v12
	v_cmp_ne_u32_e32 vcc_lo, 0x7f800000, v11
                                        ; implicit-def: $vgpr11
	s_and_saveexec_b32 s18, vcc_lo
	s_delay_alu instid0(SALU_CYCLE_1)
	s_xor_b32 s18, exec_lo, s18
; %bb.47:                               ;   in Loop: Header=BB573_42 Depth=2
	v_bfe_u32 v11, v12, 16, 1
	s_delay_alu instid0(VALU_DEP_1)
	v_add3_u32 v11, v12, v11, 0x7fff
                                        ; implicit-def: $vgpr12
; %bb.48:                               ;   in Loop: Header=BB573_42 Depth=2
	s_and_not1_saveexec_b32 s18, s18
; %bb.49:                               ;   in Loop: Header=BB573_42 Depth=2
	v_and_b32_e32 v11, 0xffff, v12
	v_or_b32_e32 v13, 0x10000, v12
	s_delay_alu instid0(VALU_DEP_2) | instskip(NEXT) | instid1(VALU_DEP_2)
	v_cmp_eq_u32_e32 vcc_lo, 0, v11
	v_cndmask_b32_e32 v11, v13, v12, vcc_lo
; %bb.50:                               ;   in Loop: Header=BB573_42 Depth=2
	s_or_b32 exec_lo, exec_lo, s18
	global_load_u16 v12, v[5:6], off
	s_waitcnt vmcnt(0)
	v_dual_mov_b32 v13, s16 :: v_dual_lshlrev_b32 v12, 16, v12
	ds_load_b32 v13, v13 offset:8
	s_waitcnt lgkmcnt(0)
	v_mul_f32_e32 v13, v13, v12
	s_delay_alu instid0(VALU_DEP_1) | instskip(NEXT) | instid1(VALU_DEP_1)
	v_and_b32_e32 v12, 0x7f800000, v13
	v_cmp_ne_u32_e32 vcc_lo, 0x7f800000, v12
                                        ; implicit-def: $vgpr12
	s_and_saveexec_b32 s18, vcc_lo
	s_delay_alu instid0(SALU_CYCLE_1)
	s_xor_b32 s18, exec_lo, s18
; %bb.51:                               ;   in Loop: Header=BB573_42 Depth=2
	v_bfe_u32 v12, v13, 16, 1
	s_delay_alu instid0(VALU_DEP_1)
	v_add3_u32 v12, v13, v12, 0x7fff
                                        ; implicit-def: $vgpr13
; %bb.52:                               ;   in Loop: Header=BB573_42 Depth=2
	s_and_not1_saveexec_b32 s18, s18
; %bb.53:                               ;   in Loop: Header=BB573_42 Depth=2
	v_and_b32_e32 v12, 0xffff, v13
	v_or_b32_e32 v14, 0x10000, v13
	s_delay_alu instid0(VALU_DEP_2) | instskip(NEXT) | instid1(VALU_DEP_2)
	v_cmp_eq_u32_e32 vcc_lo, 0, v12
	v_cndmask_b32_e32 v12, v14, v13, vcc_lo
; %bb.54:                               ;   in Loop: Header=BB573_42 Depth=2
	s_or_b32 exec_lo, exec_lo, s18
	global_load_u16 v13, v[5:6], off offset:2
	s_waitcnt vmcnt(0)
	v_dual_mov_b32 v14, s16 :: v_dual_lshlrev_b32 v13, 16, v13
	ds_load_b32 v14, v14 offset:12
	s_waitcnt lgkmcnt(0)
	v_mul_f32_e32 v14, v14, v13
	s_delay_alu instid0(VALU_DEP_1) | instskip(NEXT) | instid1(VALU_DEP_1)
	v_and_b32_e32 v13, 0x7f800000, v14
	v_cmp_ne_u32_e32 vcc_lo, 0x7f800000, v13
                                        ; implicit-def: $vgpr13
	s_and_saveexec_b32 s18, vcc_lo
	s_delay_alu instid0(SALU_CYCLE_1)
	s_xor_b32 s18, exec_lo, s18
; %bb.55:                               ;   in Loop: Header=BB573_42 Depth=2
	v_bfe_u32 v13, v14, 16, 1
	s_delay_alu instid0(VALU_DEP_1)
	v_add3_u32 v13, v14, v13, 0x7fff
                                        ; implicit-def: $vgpr14
; %bb.56:                               ;   in Loop: Header=BB573_42 Depth=2
	s_and_not1_saveexec_b32 s18, s18
	s_cbranch_execz .LBB573_41
; %bb.57:                               ;   in Loop: Header=BB573_42 Depth=2
	v_and_b32_e32 v13, 0xffff, v14
	v_or_b32_e32 v15, 0x10000, v14
	s_delay_alu instid0(VALU_DEP_2) | instskip(NEXT) | instid1(VALU_DEP_2)
	v_cmp_eq_u32_e32 vcc_lo, 0, v13
	v_cndmask_b32_e32 v13, v15, v14, vcc_lo
	s_branch .LBB573_41
.LBB573_58:                             ;   in Loop: Header=BB573_31 Depth=1
	s_mov_b32 s16, 0
	s_and_not1_b32 vcc_lo, exec_lo, s15
	s_cbranch_vccz .LBB573_60
	s_branch .LBB573_66
.LBB573_59:                             ;   in Loop: Header=BB573_31 Depth=1
	s_mov_b32 s16, s4
	s_and_not1_b32 vcc_lo, exec_lo, s15
	s_cbranch_vccnz .LBB573_66
.LBB573_60:                             ;   in Loop: Header=BB573_31 Depth=1
	s_lshl_b32 s17, s16, 1
	s_lshl_b32 s16, s16, 2
	v_add_co_u32 v5, vcc_lo, v7, s17
	v_add_co_ci_u32_e32 v6, vcc_lo, 0, v8, vcc_lo
	s_mov_b32 s17, s13
	s_set_inst_prefetch_distance 0x1
	s_branch .LBB573_62
	.p2align	6
.LBB573_61:                             ;   in Loop: Header=BB573_62 Depth=2
	s_or_b32 exec_lo, exec_lo, s18
	s_delay_alu instid0(VALU_DEP_1) | instskip(SKIP_2) | instid1(VALU_DEP_3)
	v_and_b32_e32 v10, 0xffff0000, v11
	v_add_co_u32 v5, vcc_lo, v5, 2
	v_add_co_ci_u32_e32 v6, vcc_lo, 0, v6, vcc_lo
	v_add_f32_e32 v9, v9, v10
	s_add_i32 s17, s17, -1
	s_add_i32 s16, s16, 4
	s_cmp_lg_u32 s17, 0
	s_cbranch_scc0 .LBB573_66
.LBB573_62:                             ;   Parent Loop BB573_31 Depth=1
                                        ; =>  This Inner Loop Header: Depth=2
	global_load_u16 v10, v[5:6], off
	s_waitcnt vmcnt(0)
	v_dual_mov_b32 v11, s16 :: v_dual_lshlrev_b32 v10, 16, v10
	ds_load_b32 v11, v11
	s_waitcnt lgkmcnt(0)
	v_mul_f32_e32 v10, v11, v10
	s_delay_alu instid0(VALU_DEP_1) | instskip(NEXT) | instid1(VALU_DEP_1)
	v_and_b32_e32 v11, 0x7f800000, v10
	v_cmp_ne_u32_e32 vcc_lo, 0x7f800000, v11
                                        ; implicit-def: $vgpr11
	s_and_saveexec_b32 s18, vcc_lo
	s_delay_alu instid0(SALU_CYCLE_1)
	s_xor_b32 s18, exec_lo, s18
; %bb.63:                               ;   in Loop: Header=BB573_62 Depth=2
	v_bfe_u32 v11, v10, 16, 1
	s_delay_alu instid0(VALU_DEP_1)
	v_add3_u32 v11, v10, v11, 0x7fff
                                        ; implicit-def: $vgpr10
; %bb.64:                               ;   in Loop: Header=BB573_62 Depth=2
	s_and_not1_saveexec_b32 s18, s18
	s_cbranch_execz .LBB573_61
; %bb.65:                               ;   in Loop: Header=BB573_62 Depth=2
	v_and_b32_e32 v11, 0xffff, v10
	v_or_b32_e32 v12, 0x10000, v10
	s_delay_alu instid0(VALU_DEP_2) | instskip(NEXT) | instid1(VALU_DEP_2)
	v_cmp_eq_u32_e32 vcc_lo, 0, v11
	v_cndmask_b32_e32 v11, v12, v10, vcc_lo
	s_branch .LBB573_61
.LBB573_66:                             ;   in Loop: Header=BB573_31 Depth=1
	s_set_inst_prefetch_distance 0x2
	s_delay_alu instid0(VALU_DEP_1) | instskip(NEXT) | instid1(VALU_DEP_1)
	v_and_b32_e32 v5, 0x7f800000, v9
	v_cmp_ne_u32_e32 vcc_lo, 0x7f800000, v5
                                        ; implicit-def: $vgpr5
	s_and_saveexec_b32 s16, vcc_lo
	s_delay_alu instid0(SALU_CYCLE_1)
	s_xor_b32 s16, exec_lo, s16
; %bb.67:                               ;   in Loop: Header=BB573_31 Depth=1
	v_bfe_u32 v5, v9, 16, 1
	s_delay_alu instid0(VALU_DEP_1)
	v_add3_u32 v5, v9, v5, 0x7fff
                                        ; implicit-def: $vgpr9
; %bb.68:                               ;   in Loop: Header=BB573_31 Depth=1
	s_and_not1_saveexec_b32 s16, s16
	s_cbranch_execz .LBB573_29
; %bb.69:                               ;   in Loop: Header=BB573_31 Depth=1
	v_and_b32_e32 v5, 0xffff, v9
	v_or_b32_e32 v6, 0x10000, v9
	s_delay_alu instid0(VALU_DEP_2) | instskip(NEXT) | instid1(VALU_DEP_2)
	v_cmp_eq_u32_e32 vcc_lo, 0, v5
	v_cndmask_b32_e32 v5, v6, v9, vcc_lo
	s_branch .LBB573_29
.LBB573_70:
	s_nop 0
	s_sendmsg sendmsg(MSG_DEALLOC_VGPRS)
	s_endpgm
	.section	.rodata,"a",@progbits
	.p2align	6, 0x0
	.amdhsa_kernel _ZL22rocblas_gemvtsm_kernelILb1ELi256E16rocblas_bfloat16fS0_EviiT2_lPKT1_lilS4_lilS1_lPT3_lil
		.amdhsa_group_segment_fixed_size 256
		.amdhsa_private_segment_fixed_size 0
		.amdhsa_kernarg_size 136
		.amdhsa_user_sgpr_count 15
		.amdhsa_user_sgpr_dispatch_ptr 0
		.amdhsa_user_sgpr_queue_ptr 0
		.amdhsa_user_sgpr_kernarg_segment_ptr 1
		.amdhsa_user_sgpr_dispatch_id 0
		.amdhsa_user_sgpr_private_segment_size 0
		.amdhsa_wavefront_size32 1
		.amdhsa_uses_dynamic_stack 0
		.amdhsa_enable_private_segment 0
		.amdhsa_system_sgpr_workgroup_id_x 1
		.amdhsa_system_sgpr_workgroup_id_y 0
		.amdhsa_system_sgpr_workgroup_id_z 0
		.amdhsa_system_sgpr_workgroup_info 0
		.amdhsa_system_vgpr_workitem_id 0
		.amdhsa_next_free_vgpr 16
		.amdhsa_next_free_sgpr 25
		.amdhsa_reserve_vcc 1
		.amdhsa_float_round_mode_32 0
		.amdhsa_float_round_mode_16_64 0
		.amdhsa_float_denorm_mode_32 3
		.amdhsa_float_denorm_mode_16_64 3
		.amdhsa_dx10_clamp 1
		.amdhsa_ieee_mode 1
		.amdhsa_fp16_overflow 0
		.amdhsa_workgroup_processor_mode 1
		.amdhsa_memory_ordered 1
		.amdhsa_forward_progress 0
		.amdhsa_shared_vgpr_count 0
		.amdhsa_exception_fp_ieee_invalid_op 0
		.amdhsa_exception_fp_denorm_src 0
		.amdhsa_exception_fp_ieee_div_zero 0
		.amdhsa_exception_fp_ieee_overflow 0
		.amdhsa_exception_fp_ieee_underflow 0
		.amdhsa_exception_fp_ieee_inexact 0
		.amdhsa_exception_int_div_zero 0
	.end_amdhsa_kernel
	.section	.text._ZL22rocblas_gemvtsm_kernelILb1ELi256E16rocblas_bfloat16fS0_EviiT2_lPKT1_lilS4_lilS1_lPT3_lil,"axG",@progbits,_ZL22rocblas_gemvtsm_kernelILb1ELi256E16rocblas_bfloat16fS0_EviiT2_lPKT1_lilS4_lilS1_lPT3_lil,comdat
.Lfunc_end573:
	.size	_ZL22rocblas_gemvtsm_kernelILb1ELi256E16rocblas_bfloat16fS0_EviiT2_lPKT1_lilS4_lilS1_lPT3_lil, .Lfunc_end573-_ZL22rocblas_gemvtsm_kernelILb1ELi256E16rocblas_bfloat16fS0_EviiT2_lPKT1_lilS4_lilS1_lPT3_lil
                                        ; -- End function
	.section	.AMDGPU.csdata,"",@progbits
; Kernel info:
; codeLenInByte = 2436
; NumSgprs: 27
; NumVgprs: 16
; ScratchSize: 0
; MemoryBound: 0
; FloatMode: 240
; IeeeMode: 1
; LDSByteSize: 256 bytes/workgroup (compile time only)
; SGPRBlocks: 3
; VGPRBlocks: 1
; NumSGPRsForWavesPerEU: 27
; NumVGPRsForWavesPerEU: 16
; Occupancy: 16
; WaveLimiterHint : 1
; COMPUTE_PGM_RSRC2:SCRATCH_EN: 0
; COMPUTE_PGM_RSRC2:USER_SGPR: 15
; COMPUTE_PGM_RSRC2:TRAP_HANDLER: 0
; COMPUTE_PGM_RSRC2:TGID_X_EN: 1
; COMPUTE_PGM_RSRC2:TGID_Y_EN: 0
; COMPUTE_PGM_RSRC2:TGID_Z_EN: 0
; COMPUTE_PGM_RSRC2:TIDIG_COMP_CNT: 0
	.section	.text._ZL23rocblas_gemvt_sn_kernelILb1ELi256ELi4Ei16rocblas_bfloat16PKffEviiT4_lPKT3_lilS6_lilPT5_i,"axG",@progbits,_ZL23rocblas_gemvt_sn_kernelILb1ELi256ELi4Ei16rocblas_bfloat16PKffEviiT4_lPKT3_lilS6_lilPT5_i,comdat
	.globl	_ZL23rocblas_gemvt_sn_kernelILb1ELi256ELi4Ei16rocblas_bfloat16PKffEviiT4_lPKT3_lilS6_lilPT5_i ; -- Begin function _ZL23rocblas_gemvt_sn_kernelILb1ELi256ELi4Ei16rocblas_bfloat16PKffEviiT4_lPKT3_lilS6_lilPT5_i
	.p2align	8
	.type	_ZL23rocblas_gemvt_sn_kernelILb1ELi256ELi4Ei16rocblas_bfloat16PKffEviiT4_lPKT3_lilS6_lilPT5_i,@function
_ZL23rocblas_gemvt_sn_kernelILb1ELi256ELi4Ei16rocblas_bfloat16PKffEviiT4_lPKT3_lilS6_lilPT5_i: ; @_ZL23rocblas_gemvt_sn_kernelILb1ELi256ELi4Ei16rocblas_bfloat16PKffEviiT4_lPKT3_lilS6_lilPT5_i
; %bb.0:
	s_clause 0x2
	s_load_b256 s[4:11], s[0:1], 0x8
	s_load_b64 s[12:13], s[0:1], 0x0
	s_load_b32 s16, s[0:1], 0x68
	s_waitcnt lgkmcnt(0)
	s_mul_i32 s3, s15, s7
	s_mul_hi_u32 s7, s15, s6
	s_mul_i32 s2, s15, s6
	s_add_i32 s3, s7, s3
	s_mul_i32 s17, s13, s15
	s_lshl_b64 s[2:3], s[2:3], 2
	s_delay_alu instid0(SALU_CYCLE_1)
	s_add_u32 s2, s4, s2
	s_addc_u32 s3, s5, s3
	s_load_b32 s33, s[2:3], 0x0
	s_load_b128 s[4:7], s[0:1], 0x50
	s_ashr_i32 s19, s13, 31
	s_mul_hi_u32 s2, s13, s15
	s_mul_i32 s3, s19, s15
	s_delay_alu instid0(SALU_CYCLE_1) | instskip(SKIP_4) | instid1(SALU_CYCLE_1)
	s_add_i32 s2, s2, s3
	s_mul_hi_u32 s3, s17, s16
	s_mul_i32 s18, s2, s16
	s_mul_i32 s2, s17, s16
	s_add_i32 s3, s3, s18
	s_lshl_b64 s[2:3], s[2:3], 2
	s_waitcnt lgkmcnt(0)
	v_cmp_neq_f32_e64 s17, s33, 0
	s_add_u32 s38, s6, s2
	v_cmp_eq_u32_e64 s2, 0, v0
	s_addc_u32 s37, s7, s3
	s_delay_alu instid0(VALU_DEP_2)
	s_and_b32 vcc_lo, exec_lo, s17
	s_mov_b32 s17, 0
	s_cbranch_vccnz .LBB574_5
; %bb.1:
	s_cmp_gt_i32 s13, 0
	s_cselect_b32 s3, -1, 0
	s_delay_alu instid0(SALU_CYCLE_1) | instskip(NEXT) | instid1(SALU_CYCLE_1)
	s_and_b32 s2, s2, s3
	s_and_saveexec_b32 s18, s2
	s_cbranch_execz .LBB574_4
; %bb.2:
	s_mov_b32 s2, s15
	s_mov_b32 s15, 0
	v_mov_b32_e32 v1, 0
	s_lshl_b64 s[6:7], s[14:15], 2
	s_mov_b32 s15, s2
	s_add_u32 s2, s38, s6
	s_addc_u32 s3, s37, s7
	s_lshl_b64 s[6:7], s[16:17], 2
	s_mov_b32 s17, s13
.LBB574_3:                              ; =>This Inner Loop Header: Depth=1
	s_delay_alu instid0(SALU_CYCLE_1)
	s_add_i32 s17, s17, -1
	global_store_b32 v1, v1, s[2:3]
	s_add_u32 s2, s2, s6
	s_addc_u32 s3, s3, s7
	s_cmp_eq_u32 s17, 0
	s_cbranch_scc0 .LBB574_3
.LBB574_4:
	s_or_b32 exec_lo, exec_lo, s18
	s_cbranch_execz .LBB574_6
	s_branch .LBB574_79
.LBB574_5:
.LBB574_6:
	s_clause 0x1
	s_load_b128 s[20:23], s[0:1], 0x30
	s_load_b64 s[2:3], s[0:1], 0x40
	s_mul_i32 s5, s15, s5
	s_mul_hi_u32 s6, s15, s4
	s_mul_i32 s4, s15, s4
	s_add_i32 s5, s6, s5
	s_load_b32 s17, s[0:1], 0x48
	s_lshl_b64 s[4:5], s[4:5], 1
	v_and_b32_e32 v6, 31, v0
	v_mbcnt_lo_u32_b32 v22, -1, 0
	v_lshrrev_b32_e32 v23, 3, v0
	s_waitcnt lgkmcnt(0)
	s_add_u32 s6, s22, s4
	s_addc_u32 s5, s23, s5
	s_lshl_b64 s[2:3], s[2:3], 1
	s_mul_i32 s7, s15, s21
	s_mul_hi_u32 s18, s15, s20
	s_add_u32 s34, s6, s2
	s_mul_i32 s4, s15, s20
	s_addc_u32 s35, s5, s3
	s_add_i32 s5, s18, s7
	s_load_b32 s18, s[0:1], 0x28
	s_lshl_b64 s[20:21], s[4:5], 1
	v_cmp_gt_u32_e64 s0, 32, v0
	s_add_u32 s1, s8, s20
	s_addc_u32 s2, s9, s21
	s_lshl_b64 s[10:11], s[10:11], 1
	s_delay_alu instid0(SALU_CYCLE_1)
	s_add_u32 s3, s1, s10
	s_addc_u32 s2, s2, s11
	s_lshl_b32 s1, s14, 10
	s_ashr_i32 s4, s12, 31
	v_lshl_or_b32 v1, v0, 2, s1
	s_lshr_b32 s4, s4, 30
	s_lshr_b32 s5, s19, 30
	s_add_i32 s4, s12, s4
	s_add_i32 s5, s13, s5
	v_ashrrev_i32_e32 v2, 31, v1
	s_and_b32 s4, s4, -4
	v_mul_lo_u32 v5, v1, s17
	s_sub_i32 s36, s12, s4
	v_cmp_gt_u32_e64 s1, 8, v0
	v_lshlrev_b64 v[7:8], 1, v[1:2]
	v_add_nc_u32_e32 v24, 4, v1
	v_add_nc_u32_e32 v25, s36, v1
	s_and_b32 s15, s5, -4
	s_delay_alu instid0(SALU_CYCLE_1) | instskip(NEXT) | instid1(VALU_DEP_3)
	s_cmp_lt_i32 s15, 1
	v_add_co_u32 v20, vcc_lo, s3, v7
	v_add_co_ci_u32_e32 v21, vcc_lo, s2, v8, vcc_lo
	s_cbranch_scc1 .LBB574_54
; %bb.7:
	v_cmp_gt_u32_e32 vcc_lo, 16, v22
	v_mul_lo_u32 v9, v1, s17
	s_cmp_gt_i32 s36, 0
	s_mov_b32 s23, 0
	s_cselect_b32 s39, -1, 0
	v_cndmask_b32_e64 v2, 0, 1, vcc_lo
	v_cmp_gt_u32_e32 vcc_lo, 24, v22
	s_waitcnt lgkmcnt(0)
	s_lshl_b32 s40, s18, 2
	s_lshl_b32 s22, s18, 1
	s_add_u32 s6, s20, s10
	v_dual_mov_b32 v35, 0 :: v_dual_lshlrev_b32 v2, 4, v2
	v_cndmask_b32_e64 v3, 0, 1, vcc_lo
	v_cmp_gt_u32_e32 vcc_lo, 28, v22
	s_addc_u32 s7, s21, s11
	s_delay_alu instid0(VALU_DEP_3)
	v_add_lshl_u32 v26, v2, v22, 2
	s_add_u32 s6, s8, s6
	v_lshlrev_b32_e32 v2, 3, v3
	v_cndmask_b32_e64 v4, 0, 1, vcc_lo
	v_cmp_gt_u32_e32 vcc_lo, 30, v22
	s_addc_u32 s7, s9, s7
	v_cmp_ge_i32_e64 s2, s12, v24
	v_add_lshl_u32 v27, v2, v22, 2
	v_lshlrev_b32_e32 v3, 2, v4
	v_cndmask_b32_e64 v10, 0, 1, vcc_lo
	v_cmp_ne_u32_e32 vcc_lo, 31, v22
	v_cmp_ge_i32_e64 s3, s12, v25
	v_cmp_eq_u32_e64 s4, 0, v6
	v_add_lshl_u32 v28, v3, v22, 2
	v_lshlrev_b32_e32 v1, 1, v10
	v_ashrrev_i32_e32 v10, 31, v9
	v_add_co_ci_u32_e32 v4, vcc_lo, 0, v22, vcc_lo
	v_lshlrev_b32_e32 v31, 2, v6
	s_delay_alu instid0(VALU_DEP_4)
	v_add_lshl_u32 v29, v1, v22, 2
	v_add_nc_u32_e32 v1, s17, v9
	v_lshlrev_b64 v[10:11], 1, v[9:10]
	v_lshlrev_b32_e32 v30, 2, v4
	v_and_b32_e32 v32, 28, v23
	v_cmp_eq_u32_e64 s5, 0, v0
	v_add_nc_u32_e32 v3, s17, v1
	v_ashrrev_i32_e32 v2, 31, v1
	v_add_co_u32 v10, vcc_lo, s34, v10
	v_add_co_ci_u32_e32 v11, vcc_lo, s35, v11, vcc_lo
	s_delay_alu instid0(VALU_DEP_4) | instskip(NEXT) | instid1(VALU_DEP_4)
	v_add_nc_u32_e32 v14, s17, v3
	v_lshlrev_b64 v[1:2], 1, v[1:2]
	v_ashrrev_i32_e32 v4, 31, v3
	s_mov_b32 s19, s23
	s_mul_i32 s41, s18, 3
	v_ashrrev_i32_e32 v15, 31, v14
	s_mov_b32 s42, s23
	v_lshlrev_b64 v[3:4], 1, v[3:4]
	v_add_co_u32 v12, vcc_lo, s34, v1
	v_add_co_ci_u32_e32 v13, vcc_lo, s35, v2, vcc_lo
	v_lshlrev_b64 v[1:2], 1, v[14:15]
	s_delay_alu instid0(VALU_DEP_4) | instskip(SKIP_2) | instid1(VALU_DEP_3)
	v_add_co_u32 v14, vcc_lo, s34, v3
	v_add_co_ci_u32_e32 v15, vcc_lo, s35, v4, vcc_lo
	s_mov_b32 s24, s23
	v_add_co_u32 v16, vcc_lo, s34, v1
	s_delay_alu instid0(VALU_DEP_4)
	v_add_co_ci_u32_e32 v17, vcc_lo, s35, v2, vcc_lo
	v_add_co_u32 v33, vcc_lo, s6, v7
	v_add_co_ci_u32_e32 v34, vcc_lo, s7, v8, vcc_lo
	s_mov_b64 s[26:27], s[22:23]
	s_mov_b64 s[28:29], s[18:19]
	s_mov_b32 s19, 0
                                        ; implicit-def: $vgpr1_vgpr2_vgpr3_vgpr4
	s_branch .LBB574_9
.LBB574_8:                              ;   in Loop: Header=BB574_9 Depth=1
	s_or_b32 exec_lo, exec_lo, s6
	s_add_i32 s19, s19, 4
	s_add_u32 s28, s28, s40
	s_addc_u32 s29, s29, 0
	s_add_u32 s26, s26, s40
	s_addc_u32 s27, s27, 0
	;; [unrolled: 2-line block ×3, first 2 shown]
	s_add_i32 s24, s24, s40
	s_cmp_ge_i32 s19, s15
	s_cbranch_scc1 .LBB574_55
.LBB574_9:                              ; =>This Loop Header: Depth=1
                                        ;     Child Loop BB574_40 Depth 2
                                        ;     Child Loop BB574_43 Depth 2
                                        ; implicit-def: $vgpr36
                                        ; implicit-def: $vgpr37
                                        ; implicit-def: $vgpr38
                                        ; implicit-def: $vgpr39
	s_and_saveexec_b32 s6, s2
	s_delay_alu instid0(SALU_CYCLE_1)
	s_xor_b32 s6, exec_lo, s6
	s_cbranch_execnz .LBB574_36
; %bb.10:                               ;   in Loop: Header=BB574_9 Depth=1
	s_and_not1_saveexec_b32 s22, s6
	s_cbranch_execnz .LBB574_37
.LBB574_11:                             ;   in Loop: Header=BB574_9 Depth=1
	s_or_b32 exec_lo, exec_lo, s22
	s_and_saveexec_b32 s6, s0
	s_cbranch_execz .LBB574_13
.LBB574_12:                             ;   in Loop: Header=BB574_9 Depth=1
	ds_store_b32 v31, v35
.LBB574_13:                             ;   in Loop: Header=BB574_9 Depth=1
	s_or_b32 exec_lo, exec_lo, s6
	ds_bpermute_b32 v18, v26, v39
	s_waitcnt lgkmcnt(0)
	s_waitcnt_vscnt null, 0x0
	s_barrier
	buffer_gl0_inv
	v_add_f32_e32 v18, v39, v18
	ds_bpermute_b32 v19, v27, v18
	s_waitcnt lgkmcnt(0)
	v_add_f32_e32 v18, v18, v19
	ds_bpermute_b32 v19, v28, v18
	s_waitcnt lgkmcnt(0)
	;; [unrolled: 3-line block ×3, first 2 shown]
	v_add_f32_e32 v18, v18, v19
	ds_bpermute_b32 v19, v30, v18
	s_and_saveexec_b32 s6, s4
	s_cbranch_execz .LBB574_15
; %bb.14:                               ;   in Loop: Header=BB574_9 Depth=1
	s_waitcnt lgkmcnt(0)
	v_add_f32_e32 v18, v18, v19
	ds_store_b32 v32, v18
.LBB574_15:                             ;   in Loop: Header=BB574_9 Depth=1
	s_or_b32 exec_lo, exec_lo, s6
	v_mov_b32_e32 v18, 0
	s_waitcnt lgkmcnt(0)
	s_barrier
	buffer_gl0_inv
	s_and_saveexec_b32 s6, s1
	s_cbranch_execnz .LBB574_45
; %bb.16:                               ;   in Loop: Header=BB574_9 Depth=1
	s_or_b32 exec_lo, exec_lo, s6
	s_and_saveexec_b32 s6, s0
	s_cbranch_execnz .LBB574_46
.LBB574_17:                             ;   in Loop: Header=BB574_9 Depth=1
	s_or_b32 exec_lo, exec_lo, s6
	s_and_saveexec_b32 s6, s0
	s_cbranch_execz .LBB574_19
.LBB574_18:                             ;   in Loop: Header=BB574_9 Depth=1
	ds_store_b32 v31, v35
.LBB574_19:                             ;   in Loop: Header=BB574_9 Depth=1
	s_or_b32 exec_lo, exec_lo, s6
	ds_bpermute_b32 v19, v26, v38
	s_waitcnt lgkmcnt(0)
	s_barrier
	buffer_gl0_inv
	v_add_f32_e32 v19, v38, v19
	ds_bpermute_b32 v38, v27, v19
	s_waitcnt lgkmcnt(0)
	v_add_f32_e32 v19, v19, v38
	ds_bpermute_b32 v38, v28, v19
	s_waitcnt lgkmcnt(0)
	;; [unrolled: 3-line block ×3, first 2 shown]
	v_add_f32_e32 v19, v19, v38
	ds_bpermute_b32 v38, v30, v19
	s_and_saveexec_b32 s6, s4
	s_cbranch_execz .LBB574_21
; %bb.20:                               ;   in Loop: Header=BB574_9 Depth=1
	s_waitcnt lgkmcnt(0)
	v_add_f32_e32 v19, v19, v38
	ds_store_b32 v32, v19
.LBB574_21:                             ;   in Loop: Header=BB574_9 Depth=1
	s_or_b32 exec_lo, exec_lo, s6
	v_mov_b32_e32 v19, 0
	s_waitcnt lgkmcnt(0)
	s_barrier
	buffer_gl0_inv
	s_and_saveexec_b32 s6, s1
	s_cbranch_execnz .LBB574_47
; %bb.22:                               ;   in Loop: Header=BB574_9 Depth=1
	s_or_b32 exec_lo, exec_lo, s6
	s_and_saveexec_b32 s6, s0
	s_cbranch_execnz .LBB574_48
.LBB574_23:                             ;   in Loop: Header=BB574_9 Depth=1
	s_or_b32 exec_lo, exec_lo, s6
	s_and_saveexec_b32 s6, s0
	s_cbranch_execz .LBB574_25
.LBB574_24:                             ;   in Loop: Header=BB574_9 Depth=1
	ds_store_b32 v31, v35
.LBB574_25:                             ;   in Loop: Header=BB574_9 Depth=1
	s_or_b32 exec_lo, exec_lo, s6
	ds_bpermute_b32 v38, v26, v37
	s_waitcnt lgkmcnt(0)
	s_barrier
	buffer_gl0_inv
	v_add_f32_e32 v37, v37, v38
	ds_bpermute_b32 v38, v27, v37
	s_waitcnt lgkmcnt(0)
	v_add_f32_e32 v37, v37, v38
	ds_bpermute_b32 v38, v28, v37
	s_waitcnt lgkmcnt(0)
	v_add_f32_e32 v37, v37, v38
	ds_bpermute_b32 v38, v29, v37
	s_waitcnt lgkmcnt(0)
	v_add_f32_e32 v37, v37, v38
	ds_bpermute_b32 v38, v30, v37
	s_and_saveexec_b32 s6, s4
	s_cbranch_execz .LBB574_27
; %bb.26:                               ;   in Loop: Header=BB574_9 Depth=1
	s_waitcnt lgkmcnt(0)
	v_add_f32_e32 v37, v37, v38
	ds_store_b32 v32, v37
.LBB574_27:                             ;   in Loop: Header=BB574_9 Depth=1
	s_or_b32 exec_lo, exec_lo, s6
	v_mov_b32_e32 v37, 0
	s_waitcnt lgkmcnt(0)
	s_barrier
	buffer_gl0_inv
	s_and_saveexec_b32 s6, s1
	s_cbranch_execnz .LBB574_49
; %bb.28:                               ;   in Loop: Header=BB574_9 Depth=1
	s_or_b32 exec_lo, exec_lo, s6
	s_and_saveexec_b32 s6, s0
	s_cbranch_execnz .LBB574_50
.LBB574_29:                             ;   in Loop: Header=BB574_9 Depth=1
	s_or_b32 exec_lo, exec_lo, s6
	s_and_saveexec_b32 s6, s0
	s_cbranch_execz .LBB574_31
.LBB574_30:                             ;   in Loop: Header=BB574_9 Depth=1
	ds_store_b32 v31, v35
.LBB574_31:                             ;   in Loop: Header=BB574_9 Depth=1
	s_or_b32 exec_lo, exec_lo, s6
	ds_bpermute_b32 v38, v26, v36
	s_waitcnt lgkmcnt(0)
	s_barrier
	buffer_gl0_inv
	v_add_f32_e32 v36, v36, v38
	ds_bpermute_b32 v38, v27, v36
	s_waitcnt lgkmcnt(0)
	v_add_f32_e32 v36, v36, v38
	ds_bpermute_b32 v38, v28, v36
	s_waitcnt lgkmcnt(0)
	;; [unrolled: 3-line block ×3, first 2 shown]
	v_add_f32_e32 v36, v36, v38
	ds_bpermute_b32 v38, v30, v36
	s_and_saveexec_b32 s6, s4
	s_cbranch_execz .LBB574_33
; %bb.32:                               ;   in Loop: Header=BB574_9 Depth=1
	s_waitcnt lgkmcnt(0)
	v_add_f32_e32 v36, v36, v38
	ds_store_b32 v32, v36
.LBB574_33:                             ;   in Loop: Header=BB574_9 Depth=1
	s_or_b32 exec_lo, exec_lo, s6
	v_mov_b32_e32 v36, 0
	s_waitcnt lgkmcnt(0)
	s_barrier
	buffer_gl0_inv
	s_and_saveexec_b32 s6, s1
	s_cbranch_execnz .LBB574_51
; %bb.34:                               ;   in Loop: Header=BB574_9 Depth=1
	s_or_b32 exec_lo, exec_lo, s6
	s_and_saveexec_b32 s6, s0
	s_cbranch_execnz .LBB574_52
.LBB574_35:                             ;   in Loop: Header=BB574_9 Depth=1
	s_or_b32 exec_lo, exec_lo, s6
	s_and_saveexec_b32 s6, s5
	s_cbranch_execz .LBB574_8
	s_branch .LBB574_53
.LBB574_36:                             ;   in Loop: Header=BB574_9 Depth=1
	s_mul_i32 s30, s19, s18
	s_delay_alu instid0(SALU_CYCLE_1)
	s_ashr_i32 s31, s30, 31
	s_add_i32 s44, s30, s18
	s_lshl_b64 s[30:31], s[30:31], 1
	s_ashr_i32 s45, s44, 31
	v_add_co_u32 v1, vcc_lo, v20, s30
	v_add_co_ci_u32_e32 v2, vcc_lo, s31, v21, vcc_lo
	s_lshl_b64 s[30:31], s[44:45], 1
	s_delay_alu instid0(SALU_CYCLE_1)
	v_add_co_u32 v3, vcc_lo, v20, s30
	s_add_i32 s30, s44, s18
	v_add_co_ci_u32_e32 v4, vcc_lo, s31, v21, vcc_lo
	s_ashr_i32 s31, s30, 31
	s_add_i32 s44, s30, s18
	s_lshl_b64 s[30:31], s[30:31], 1
	global_load_b64 v[18:19], v[1:2], off
	s_waitcnt lgkmcnt(0)
	global_load_b64 v[36:37], v[3:4], off
	s_ashr_i32 s45, s44, 31
	v_add_co_u32 v1, vcc_lo, v20, s30
	v_add_co_ci_u32_e32 v2, vcc_lo, s31, v21, vcc_lo
	s_lshl_b64 s[30:31], s[44:45], 1
	s_clause 0x3
	global_load_u16 v38, v[10:11], off
	global_load_u16 v43, v[12:13], off
	;; [unrolled: 1-line block ×4, first 2 shown]
	v_add_co_u32 v3, vcc_lo, v20, s30
	v_add_co_ci_u32_e32 v4, vcc_lo, s31, v21, vcc_lo
	s_clause 0x1
	global_load_b64 v[39:40], v[1:2], off
	global_load_b64 v[41:42], v[3:4], off
	s_waitcnt vmcnt(1)
	v_and_b32_e32 v48, 0xffff0000, v39
	v_lshlrev_b32_e32 v49, 16, v40
	s_waitcnt vmcnt(0)
	v_lshlrev_b32_e32 v50, 16, v41
	v_and_b32_e32 v41, 0xffff0000, v41
	v_lshlrev_b32_e32 v3, 16, v44
	v_lshlrev_b32_e32 v2, 16, v43
	;; [unrolled: 1-line block ×4, first 2 shown]
	v_and_b32_e32 v47, 0xffff0000, v37
	v_and_b32_e32 v45, 0xffff0000, v36
	v_lshlrev_b32_e32 v1, 16, v38
	v_lshlrev_b32_e32 v38, 16, v18
	;; [unrolled: 1-line block ×4, first 2 shown]
	s_delay_alu instid0(VALU_DEP_3) | instskip(SKIP_2) | instid1(VALU_DEP_2)
	v_fma_f32 v39, v1, v38, 0
	v_fma_f32 v38, v1, v44, 0
	v_lshlrev_b32_e32 v44, 16, v42
	v_fmac_f32_e32 v38, v2, v45
	v_fma_f32 v37, v1, v36, 0
	v_fma_f32 v36, v1, v50, 0
	s_delay_alu instid0(VALU_DEP_2) | instskip(NEXT) | instid1(VALU_DEP_1)
	v_fmac_f32_e32 v37, v2, v48
	v_fmac_f32_e32 v37, v3, v49
	s_delay_alu instid0(VALU_DEP_3) | instskip(SKIP_2) | instid1(VALU_DEP_3)
	v_dual_fmac_f32 v36, v2, v41 :: v_dual_lshlrev_b32 v43, 16, v19
	v_fmac_f32_e32 v38, v3, v46
	v_and_b32_e32 v18, 0xffff0000, v18
	v_dual_fmac_f32 v36, v3, v44 :: v_dual_and_b32 v19, 0xffff0000, v19
	s_delay_alu instid0(VALU_DEP_2) | instskip(NEXT) | instid1(VALU_DEP_1)
	v_dual_fmac_f32 v39, v2, v18 :: v_dual_and_b32 v18, 0xffff0000, v40
	v_dual_fmac_f32 v39, v3, v43 :: v_dual_and_b32 v40, 0xffff0000, v42
	s_delay_alu instid0(VALU_DEP_2) | instskip(NEXT) | instid1(VALU_DEP_2)
	v_fmac_f32_e32 v37, v4, v18
	v_fmac_f32_e32 v36, v4, v40
	;; [unrolled: 1-line block ×3, first 2 shown]
	s_delay_alu instid0(VALU_DEP_4)
	v_fmac_f32_e32 v39, v4, v19
	s_and_not1_saveexec_b32 s22, s6
	s_cbranch_execz .LBB574_11
.LBB574_37:                             ;   in Loop: Header=BB574_9 Depth=1
	s_waitcnt lgkmcnt(0)
	v_dual_mov_b32 v36, 0 :: v_dual_mov_b32 v37, 0
	v_dual_mov_b32 v38, 0 :: v_dual_mov_b32 v39, 0
	s_and_saveexec_b32 s43, s3
	s_cbranch_execz .LBB574_44
; %bb.38:                               ;   in Loop: Header=BB574_9 Depth=1
	s_and_not1_b32 vcc_lo, exec_lo, s39
	s_cbranch_vccnz .LBB574_41
; %bb.39:                               ;   in Loop: Header=BB574_9 Depth=1
	v_mov_b32_e32 v18, v9
	s_mov_b64 s[30:31], 0
	.p2align	6
.LBB574_40:                             ;   Parent Loop BB574_9 Depth=1
                                        ; =>  This Inner Loop Header: Depth=2
	s_delay_alu instid0(VALU_DEP_1) | instskip(SKIP_1) | instid1(VALU_DEP_1)
	v_ashrrev_i32_e32 v19, 31, v18
	s_cmp_eq_u32 s30, 3
	v_lshlrev_b64 v[36:37], 1, v[18:19]
	s_delay_alu instid0(VALU_DEP_1) | instskip(NEXT) | instid1(VALU_DEP_2)
	v_add_co_u32 v36, vcc_lo, s34, v36
	v_add_co_ci_u32_e32 v37, vcc_lo, s35, v37, vcc_lo
	s_cselect_b32 vcc_lo, -1, 0
	s_cmp_eq_u32 s30, 2
	s_cselect_b32 s6, -1, 0
	global_load_u16 v19, v[36:37], off
	s_cmp_eq_u32 s30, 1
	s_cselect_b32 s7, -1, 0
	s_cmp_eq_u32 s30, 0
	s_waitcnt vmcnt(0)
	v_lshlrev_b32_e32 v19, 16, v19
	s_delay_alu instid0(VALU_DEP_1)
	v_cndmask_b32_e32 v4, v4, v19, vcc_lo
	s_cselect_b32 vcc_lo, -1, 0
	v_dual_cndmask_b32 v1, v1, v19 :: v_dual_add_nc_u32 v18, s17, v18
	v_cndmask_b32_e64 v3, v3, v19, s6
	v_cndmask_b32_e64 v2, v2, v19, s7
	s_add_u32 s30, s30, 1
	s_addc_u32 s31, s31, 0
	s_cmp_eq_u32 s36, s30
	s_cbranch_scc0 .LBB574_40
.LBB574_41:                             ;   in Loop: Header=BB574_9 Depth=1
	v_dual_mov_b32 v36, 0 :: v_dual_mov_b32 v37, 0
	v_dual_mov_b32 v38, 0 :: v_dual_mov_b32 v39, 0
	s_and_not1_b32 vcc_lo, exec_lo, s39
	s_cbranch_vccnz .LBB574_44
; %bb.42:                               ;   in Loop: Header=BB574_9 Depth=1
	s_ashr_i32 s25, s24, 31
	v_dual_mov_b32 v39, 0 :: v_dual_mov_b32 v38, 0
	s_lshl_b64 s[6:7], s[24:25], 1
	v_dual_mov_b32 v37, 0 :: v_dual_mov_b32 v36, 0
	v_add_co_u32 v18, vcc_lo, v33, s6
	v_add_co_ci_u32_e32 v19, vcc_lo, s7, v34, vcc_lo
	s_mov_b64 s[30:31], 0
.LBB574_43:                             ;   Parent Loop BB574_9 Depth=1
                                        ; =>  This Inner Loop Header: Depth=2
	s_delay_alu instid0(SALU_CYCLE_1)
	s_cmp_eq_u32 s30, 1
	s_cselect_b32 vcc_lo, -1, 0
	s_cmp_eq_u32 s30, 2
	v_cndmask_b32_e32 v40, v1, v2, vcc_lo
	s_cselect_b32 vcc_lo, -1, 0
	s_cmp_eq_u32 s30, 3
	s_delay_alu instid0(VALU_DEP_1)
	v_cndmask_b32_e32 v46, v40, v3, vcc_lo
	s_cselect_b32 vcc_lo, -1, 0
	s_add_i32 s6, s28, s30
	s_add_i32 s44, s26, s30
	s_ashr_i32 s7, s6, 31
	s_ashr_i32 s45, s44, 31
	s_lshl_b64 s[6:7], s[6:7], 1
	s_add_i32 s46, s41, s30
	v_add_co_u32 v40, s6, v20, s6
	s_lshl_b64 s[44:45], s[44:45], 1
	s_ashr_i32 s47, s46, 31
	v_add_co_ci_u32_e64 v41, s6, s7, v21, s6
	v_add_co_u32 v42, s6, v20, s44
	s_lshl_b64 s[46:47], s[46:47], 1
	v_add_co_ci_u32_e64 v43, s6, s45, v21, s6
	v_add_co_u32 v44, s6, v20, s46
	s_delay_alu instid0(VALU_DEP_1)
	v_add_co_ci_u32_e64 v45, s6, s47, v21, s6
	global_load_u16 v47, v[18:19], off
	s_clause 0x2
	global_load_u16 v40, v[40:41], off
	global_load_u16 v41, v[42:43], off
	;; [unrolled: 1-line block ×3, first 2 shown]
	v_add_co_u32 v18, s6, v18, 2
	s_delay_alu instid0(VALU_DEP_1)
	v_add_co_ci_u32_e64 v19, s6, 0, v19, s6
	s_add_u32 s30, s30, 1
	s_addc_u32 s31, s31, 0
	s_cmp_lg_u32 s36, s30
	s_waitcnt vmcnt(2)
	v_lshlrev_b32_e32 v40, 16, v40
	s_waitcnt vmcnt(1)
	v_lshlrev_b32_e32 v41, 16, v41
	v_dual_cndmask_b32 v43, v46, v4 :: v_dual_lshlrev_b32 v44, 16, v47
	s_waitcnt vmcnt(0)
	s_delay_alu instid0(VALU_DEP_1) | instskip(NEXT) | instid1(VALU_DEP_2)
	v_dual_fmac_f32 v37, v43, v41 :: v_dual_lshlrev_b32 v42, 16, v42
	v_fmac_f32_e32 v39, v43, v44
	v_fmac_f32_e32 v38, v43, v40
	s_delay_alu instid0(VALU_DEP_3)
	v_fmac_f32_e32 v36, v43, v42
	s_cbranch_scc1 .LBB574_43
.LBB574_44:                             ;   in Loop: Header=BB574_9 Depth=1
	s_or_b32 exec_lo, exec_lo, s43
	s_delay_alu instid0(SALU_CYCLE_1)
	s_or_b32 exec_lo, exec_lo, s22
	s_and_saveexec_b32 s6, s0
	s_cbranch_execnz .LBB574_12
	s_branch .LBB574_13
.LBB574_45:                             ;   in Loop: Header=BB574_9 Depth=1
	ds_load_b32 v18, v31
	s_or_b32 exec_lo, exec_lo, s6
	s_and_saveexec_b32 s6, s0
	s_cbranch_execz .LBB574_17
.LBB574_46:                             ;   in Loop: Header=BB574_9 Depth=1
	s_waitcnt lgkmcnt(0)
	ds_bpermute_b32 v19, v28, v18
	s_waitcnt lgkmcnt(0)
	v_add_f32_e32 v18, v18, v19
	ds_bpermute_b32 v19, v29, v18
	s_waitcnt lgkmcnt(0)
	v_add_f32_e32 v18, v18, v19
	;; [unrolled: 3-line block ×3, first 2 shown]
	s_or_b32 exec_lo, exec_lo, s6
	s_and_saveexec_b32 s6, s0
	s_cbranch_execnz .LBB574_18
	s_branch .LBB574_19
.LBB574_47:                             ;   in Loop: Header=BB574_9 Depth=1
	ds_load_b32 v19, v31
	s_or_b32 exec_lo, exec_lo, s6
	s_and_saveexec_b32 s6, s0
	s_cbranch_execz .LBB574_23
.LBB574_48:                             ;   in Loop: Header=BB574_9 Depth=1
	s_waitcnt lgkmcnt(0)
	ds_bpermute_b32 v38, v28, v19
	s_waitcnt lgkmcnt(0)
	v_add_f32_e32 v19, v19, v38
	ds_bpermute_b32 v38, v29, v19
	s_waitcnt lgkmcnt(0)
	v_add_f32_e32 v19, v19, v38
	;; [unrolled: 3-line block ×3, first 2 shown]
	s_or_b32 exec_lo, exec_lo, s6
	s_and_saveexec_b32 s6, s0
	s_cbranch_execnz .LBB574_24
	s_branch .LBB574_25
.LBB574_49:                             ;   in Loop: Header=BB574_9 Depth=1
	ds_load_b32 v37, v31
	s_or_b32 exec_lo, exec_lo, s6
	s_and_saveexec_b32 s6, s0
	s_cbranch_execz .LBB574_29
.LBB574_50:                             ;   in Loop: Header=BB574_9 Depth=1
	s_waitcnt lgkmcnt(0)
	ds_bpermute_b32 v38, v28, v37
	s_waitcnt lgkmcnt(0)
	v_add_f32_e32 v37, v37, v38
	ds_bpermute_b32 v38, v29, v37
	s_waitcnt lgkmcnt(0)
	v_add_f32_e32 v37, v37, v38
	;; [unrolled: 3-line block ×3, first 2 shown]
	s_or_b32 exec_lo, exec_lo, s6
	s_and_saveexec_b32 s6, s0
	s_cbranch_execnz .LBB574_30
	s_branch .LBB574_31
.LBB574_51:                             ;   in Loop: Header=BB574_9 Depth=1
	ds_load_b32 v36, v31
	s_or_b32 exec_lo, exec_lo, s6
	s_and_saveexec_b32 s6, s0
	s_cbranch_execz .LBB574_35
.LBB574_52:                             ;   in Loop: Header=BB574_9 Depth=1
	s_waitcnt lgkmcnt(0)
	ds_bpermute_b32 v38, v28, v36
	s_waitcnt lgkmcnt(0)
	v_add_f32_e32 v36, v36, v38
	ds_bpermute_b32 v38, v29, v36
	s_waitcnt lgkmcnt(0)
	v_add_f32_e32 v36, v36, v38
	ds_bpermute_b32 v38, v30, v36
	s_waitcnt lgkmcnt(0)
	v_add_f32_e32 v36, v36, v38
	s_or_b32 exec_lo, exec_lo, s6
	s_and_saveexec_b32 s6, s5
	s_cbranch_execz .LBB574_8
.LBB574_53:                             ;   in Loop: Header=BB574_9 Depth=1
	s_mul_i32 s7, s19, s16
	v_dual_mul_f32 v18, s33, v18 :: v_dual_mul_f32 v19, s33, v19
	s_add_i32 s22, s7, s14
	v_mul_f32_e32 v37, s33, v37
	s_lshl_b64 s[30:31], s[22:23], 2
	s_delay_alu instid0(SALU_CYCLE_1)
	s_add_u32 s30, s38, s30
	s_addc_u32 s31, s37, s31
	s_add_i32 s22, s22, s16
	global_store_b32 v35, v18, s[30:31]
	s_waitcnt lgkmcnt(0)
	v_mul_f32_e32 v18, s33, v36
	s_lshl_b64 s[44:45], s[22:23], 2
	s_delay_alu instid0(SALU_CYCLE_1) | instskip(SKIP_4) | instid1(SALU_CYCLE_1)
	s_add_u32 s44, s38, s44
	s_addc_u32 s45, s37, s45
	s_add_i32 s22, s22, s16
	global_store_b32 v35, v19, s[44:45]
	s_lshl_b64 s[46:47], s[22:23], 2
	s_add_u32 s30, s38, s46
	s_addc_u32 s31, s37, s47
	s_add_i32 s22, s22, s16
	s_delay_alu instid0(SALU_CYCLE_1) | instskip(NEXT) | instid1(SALU_CYCLE_1)
	s_lshl_b64 s[46:47], s[22:23], 2
	s_add_u32 s44, s38, s46
	s_addc_u32 s45, s37, s47
	s_clause 0x1
	global_store_b32 v35, v37, s[30:31]
	global_store_b32 v35, v18, s[44:45]
	s_branch .LBB574_8
.LBB574_54:
	s_mov_b32 s19, 0
                                        ; implicit-def: $vgpr1_vgpr2_vgpr3_vgpr4
.LBB574_55:
	s_delay_alu instid0(SALU_CYCLE_1)
	s_cmp_ge_i32 s19, s13
	s_cbranch_scc1 .LBB574_79
; %bb.56:
	v_cmp_gt_u32_e32 vcc_lo, 16, v22
	v_lshlrev_b32_e32 v17, 2, v6
	v_cmp_eq_u32_e64 s3, 0, v6
	v_ashrrev_i32_e32 v6, 31, v5
	v_cmp_ge_i32_e64 s0, s12, v24
	v_cndmask_b32_e64 v9, 0, 1, vcc_lo
	v_cmp_gt_u32_e32 vcc_lo, 24, v22
	v_cmp_ge_i32_e64 s1, s12, v25
	s_cmp_gt_i32 s36, 0
	s_mov_b32 s15, 0
	v_lshlrev_b32_e32 v9, 4, v9
	v_cndmask_b32_e64 v10, 0, 1, vcc_lo
	v_cmp_gt_u32_e32 vcc_lo, 28, v22
	s_cselect_b32 s12, -1, 0
	s_lshl_b64 s[6:7], s[14:15], 2
	v_add_lshl_u32 v18, v9, v22, 2
	v_add_nc_u32_e32 v9, s17, v5
	v_cndmask_b32_e64 v11, 0, 1, vcc_lo
	v_cmp_gt_u32_e32 vcc_lo, 30, v22
	v_lshlrev_b32_e32 v10, 3, v10
	s_add_u32 s14, s38, s6
	s_addc_u32 s22, s37, s7
	v_lshlrev_b32_e32 v11, 2, v11
	v_cndmask_b32_e64 v12, 0, 1, vcc_lo
	v_cmp_ne_u32_e32 vcc_lo, 31, v22
	v_add_lshl_u32 v19, v10, v22, 2
	v_ashrrev_i32_e32 v10, 31, v9
	v_add_lshl_u32 v24, v11, v22, 2
	v_add_nc_u32_e32 v11, s17, v9
	v_add_co_ci_u32_e32 v13, vcc_lo, 0, v22, vcc_lo
	v_lshlrev_b32_e32 v12, 1, v12
	v_lshlrev_b64 v[15:16], 1, v[9:10]
	s_delay_alu instid0(VALU_DEP_4) | instskip(NEXT) | instid1(VALU_DEP_4)
	v_add_nc_u32_e32 v26, s17, v11
	v_lshlrev_b32_e32 v25, 2, v13
	v_lshlrev_b64 v[13:14], 1, v[5:6]
	v_add_lshl_u32 v22, v12, v22, 2
	v_ashrrev_i32_e32 v12, 31, v11
	v_ashrrev_i32_e32 v27, 31, v26
	s_add_u32 s6, s20, s10
	s_addc_u32 s7, s21, s11
	v_add_co_u32 v9, vcc_lo, s34, v13
	v_add_co_ci_u32_e32 v10, vcc_lo, s35, v14, vcc_lo
	v_lshlrev_b64 v[13:14], 1, v[11:12]
	v_add_co_u32 v11, vcc_lo, s34, v15
	v_add_co_ci_u32_e32 v12, vcc_lo, s35, v16, vcc_lo
	v_lshlrev_b64 v[15:16], 1, v[26:27]
	v_mov_b32_e32 v26, 0
	v_add_co_u32 v13, vcc_lo, s34, v13
	v_add_co_ci_u32_e32 v14, vcc_lo, s35, v14, vcc_lo
	s_delay_alu instid0(VALU_DEP_4)
	v_add_co_u32 v15, vcc_lo, s34, v15
	s_add_u32 s6, s8, s6
	v_add_co_ci_u32_e32 v16, vcc_lo, s35, v16, vcc_lo
	v_cmp_gt_u32_e64 s2, 32, v0
	v_cmp_gt_u32_e64 s4, 8, v0
	v_cmp_eq_u32_e64 s5, 0, v0
	s_addc_u32 s7, s9, s7
	v_add_co_u32 v0, vcc_lo, s6, v7
	v_and_b32_e32 v23, 28, v23
	v_add_co_ci_u32_e32 v8, vcc_lo, s7, v8, vcc_lo
	s_waitcnt lgkmcnt(0)
	s_mul_i32 s8, s19, s18
	s_branch .LBB574_58
.LBB574_57:                             ;   in Loop: Header=BB574_58 Depth=1
	s_or_b32 exec_lo, exec_lo, s6
	s_add_i32 s19, s19, 1
	s_add_i32 s8, s8, s18
	s_cmp_ge_i32 s19, s13
	s_cbranch_scc1 .LBB574_79
.LBB574_58:                             ; =>This Loop Header: Depth=1
                                        ;     Child Loop BB574_71 Depth 2
                                        ;     Child Loop BB574_74 Depth 2
	v_mov_b32_e32 v27, s15
	s_and_saveexec_b32 s6, s0
	s_delay_alu instid0(SALU_CYCLE_1)
	s_xor_b32 s6, exec_lo, s6
	s_cbranch_execnz .LBB574_67
; %bb.59:                               ;   in Loop: Header=BB574_58 Depth=1
	s_and_not1_saveexec_b32 s20, s6
	s_cbranch_execnz .LBB574_68
.LBB574_60:                             ;   in Loop: Header=BB574_58 Depth=1
	s_or_b32 exec_lo, exec_lo, s20
	s_and_saveexec_b32 s6, s2
	s_cbranch_execz .LBB574_62
.LBB574_61:                             ;   in Loop: Header=BB574_58 Depth=1
	ds_store_b32 v17, v26
.LBB574_62:                             ;   in Loop: Header=BB574_58 Depth=1
	s_or_b32 exec_lo, exec_lo, s6
	s_waitcnt lgkmcnt(0)
	ds_bpermute_b32 v6, v18, v27
	s_waitcnt lgkmcnt(0)
	s_waitcnt_vscnt null, 0x0
	s_barrier
	buffer_gl0_inv
	v_add_f32_e32 v6, v27, v6
	ds_bpermute_b32 v7, v19, v6
	s_waitcnt lgkmcnt(0)
	v_add_f32_e32 v6, v6, v7
	ds_bpermute_b32 v7, v24, v6
	s_waitcnt lgkmcnt(0)
	;; [unrolled: 3-line block ×3, first 2 shown]
	v_add_f32_e32 v6, v6, v7
	ds_bpermute_b32 v7, v25, v6
	s_and_saveexec_b32 s6, s3
	s_cbranch_execz .LBB574_64
; %bb.63:                               ;   in Loop: Header=BB574_58 Depth=1
	s_waitcnt lgkmcnt(0)
	v_add_f32_e32 v6, v6, v7
	ds_store_b32 v23, v6
.LBB574_64:                             ;   in Loop: Header=BB574_58 Depth=1
	s_or_b32 exec_lo, exec_lo, s6
	v_mov_b32_e32 v6, 0
	s_waitcnt lgkmcnt(0)
	s_barrier
	buffer_gl0_inv
	s_and_saveexec_b32 s6, s4
	s_cbranch_execnz .LBB574_76
; %bb.65:                               ;   in Loop: Header=BB574_58 Depth=1
	s_or_b32 exec_lo, exec_lo, s6
	s_and_saveexec_b32 s6, s2
	s_cbranch_execnz .LBB574_77
.LBB574_66:                             ;   in Loop: Header=BB574_58 Depth=1
	s_or_b32 exec_lo, exec_lo, s6
	s_and_saveexec_b32 s6, s5
	s_cbranch_execz .LBB574_57
	s_branch .LBB574_78
.LBB574_67:                             ;   in Loop: Header=BB574_58 Depth=1
	s_mul_i32 s10, s19, s18
	s_delay_alu instid0(SALU_CYCLE_1) | instskip(NEXT) | instid1(SALU_CYCLE_1)
	s_ashr_i32 s11, s10, 31
	s_lshl_b64 s[10:11], s[10:11], 1
	s_delay_alu instid0(SALU_CYCLE_1)
	v_add_co_u32 v1, vcc_lo, v20, s10
	v_add_co_ci_u32_e32 v2, vcc_lo, s11, v21, vcc_lo
	global_load_u16 v3, v[9:10], off
	s_waitcnt lgkmcnt(0)
	global_load_b64 v[6:7], v[1:2], off
	s_clause 0x2
	global_load_u16 v2, v[11:12], off
	global_load_u16 v4, v[13:14], off
	global_load_u16 v28, v[15:16], off
	s_waitcnt vmcnt(4)
	v_lshlrev_b32_e32 v1, 16, v3
	s_waitcnt vmcnt(3)
	v_lshlrev_b32_e32 v3, 16, v6
	v_and_b32_e32 v6, 0xffff0000, v6
	s_delay_alu instid0(VALU_DEP_2)
	v_fma_f32 v27, v1, v3, 0
	s_waitcnt vmcnt(1)
	v_lshlrev_b32_e32 v3, 16, v4
	s_waitcnt vmcnt(0)
	v_lshlrev_b32_e32 v4, 16, v28
	v_lshlrev_b32_e32 v2, 16, v2
	s_delay_alu instid0(VALU_DEP_1) | instskip(SKIP_1) | instid1(VALU_DEP_2)
	v_dual_fmac_f32 v27, v2, v6 :: v_dual_lshlrev_b32 v6, 16, v7
	v_and_b32_e32 v7, 0xffff0000, v7
	v_fmac_f32_e32 v27, v3, v6
	s_delay_alu instid0(VALU_DEP_1)
	v_fmac_f32_e32 v27, v4, v7
	s_and_not1_saveexec_b32 s20, s6
	s_cbranch_execz .LBB574_60
.LBB574_68:                             ;   in Loop: Header=BB574_58 Depth=1
	s_and_saveexec_b32 s21, s1
	s_cbranch_execz .LBB574_75
; %bb.69:                               ;   in Loop: Header=BB574_58 Depth=1
	s_and_not1_b32 vcc_lo, exec_lo, s12
	s_cbranch_vccnz .LBB574_72
; %bb.70:                               ;   in Loop: Header=BB574_58 Depth=1
	s_waitcnt lgkmcnt(0)
	v_mov_b32_e32 v6, v5
	s_mov_b64 s[10:11], 0
	.p2align	6
.LBB574_71:                             ;   Parent Loop BB574_58 Depth=1
                                        ; =>  This Inner Loop Header: Depth=2
	s_delay_alu instid0(VALU_DEP_1) | instskip(SKIP_1) | instid1(VALU_DEP_1)
	v_ashrrev_i32_e32 v7, 31, v6
	s_cmp_eq_u32 s10, 3
	v_lshlrev_b64 v[28:29], 1, v[6:7]
	s_delay_alu instid0(VALU_DEP_1) | instskip(NEXT) | instid1(VALU_DEP_2)
	v_add_co_u32 v28, vcc_lo, s34, v28
	v_add_co_ci_u32_e32 v29, vcc_lo, s35, v29, vcc_lo
	s_cselect_b32 vcc_lo, -1, 0
	s_cmp_eq_u32 s10, 2
	s_cselect_b32 s6, -1, 0
	global_load_u16 v7, v[28:29], off
	s_cmp_eq_u32 s10, 1
	s_cselect_b32 s7, -1, 0
	s_cmp_eq_u32 s10, 0
	s_waitcnt vmcnt(0)
	v_lshlrev_b32_e32 v7, 16, v7
	s_delay_alu instid0(VALU_DEP_1)
	v_cndmask_b32_e32 v4, v4, v7, vcc_lo
	s_cselect_b32 vcc_lo, -1, 0
	v_dual_cndmask_b32 v1, v1, v7 :: v_dual_add_nc_u32 v6, s17, v6
	v_cndmask_b32_e64 v3, v3, v7, s6
	v_cndmask_b32_e64 v2, v2, v7, s7
	s_add_u32 s10, s10, 1
	s_addc_u32 s11, s11, 0
	s_cmp_eq_u32 s36, s10
	s_cbranch_scc0 .LBB574_71
.LBB574_72:                             ;   in Loop: Header=BB574_58 Depth=1
	s_and_not1_b32 vcc_lo, exec_lo, s12
	s_cbranch_vccnz .LBB574_75
; %bb.73:                               ;   in Loop: Header=BB574_58 Depth=1
	s_ashr_i32 s9, s8, 31
	s_delay_alu instid0(SALU_CYCLE_1)
	s_lshl_b64 s[6:7], s[8:9], 1
	s_waitcnt lgkmcnt(0)
	v_add_co_u32 v6, vcc_lo, v0, s6
	v_add_co_ci_u32_e32 v7, vcc_lo, s7, v8, vcc_lo
	s_mov_b64 s[6:7], 0
	.p2align	6
.LBB574_74:                             ;   Parent Loop BB574_58 Depth=1
                                        ; =>  This Inner Loop Header: Depth=2
	global_load_u16 v28, v[6:7], off
	s_cmp_eq_u32 s6, 1
	s_cselect_b32 vcc_lo, -1, 0
	s_cmp_eq_u32 s6, 2
	v_cndmask_b32_e32 v29, v1, v2, vcc_lo
	s_cselect_b32 vcc_lo, -1, 0
	s_cmp_eq_u32 s6, 3
	s_waitcnt vmcnt(0)
	s_delay_alu instid0(VALU_DEP_1)
	v_dual_cndmask_b32 v29, v29, v3 :: v_dual_lshlrev_b32 v28, 16, v28
	s_cselect_b32 vcc_lo, -1, 0
	s_add_u32 s6, s6, 1
	s_addc_u32 s7, s7, 0
	s_cmp_lg_u32 s36, s6
	v_cndmask_b32_e32 v29, v29, v4, vcc_lo
	v_add_co_u32 v6, vcc_lo, v6, 2
	v_add_co_ci_u32_e32 v7, vcc_lo, 0, v7, vcc_lo
	s_delay_alu instid0(VALU_DEP_3)
	v_fmac_f32_e32 v27, v29, v28
	s_cbranch_scc1 .LBB574_74
.LBB574_75:                             ;   in Loop: Header=BB574_58 Depth=1
	s_or_b32 exec_lo, exec_lo, s21
	s_delay_alu instid0(SALU_CYCLE_1)
	s_or_b32 exec_lo, exec_lo, s20
	s_and_saveexec_b32 s6, s2
	s_cbranch_execnz .LBB574_61
	s_branch .LBB574_62
.LBB574_76:                             ;   in Loop: Header=BB574_58 Depth=1
	ds_load_b32 v6, v17
	s_or_b32 exec_lo, exec_lo, s6
	s_and_saveexec_b32 s6, s2
	s_cbranch_execz .LBB574_66
.LBB574_77:                             ;   in Loop: Header=BB574_58 Depth=1
	s_waitcnt lgkmcnt(0)
	ds_bpermute_b32 v7, v24, v6
	s_waitcnt lgkmcnt(0)
	v_add_f32_e32 v6, v6, v7
	ds_bpermute_b32 v7, v22, v6
	s_waitcnt lgkmcnt(0)
	v_add_f32_e32 v6, v6, v7
	;; [unrolled: 3-line block ×3, first 2 shown]
	s_or_b32 exec_lo, exec_lo, s6
	s_and_saveexec_b32 s6, s5
	s_cbranch_execz .LBB574_57
.LBB574_78:                             ;   in Loop: Header=BB574_58 Depth=1
	s_mul_hi_u32 s11, s19, s16
	s_mul_i32 s10, s19, s16
	s_waitcnt lgkmcnt(0)
	v_mul_f32_e32 v6, s33, v6
	s_lshl_b64 s[10:11], s[10:11], 2
	s_delay_alu instid0(SALU_CYCLE_1)
	s_add_u32 s10, s14, s10
	s_addc_u32 s11, s22, s11
	global_store_b32 v26, v6, s[10:11]
	s_branch .LBB574_57
.LBB574_79:
	s_nop 0
	s_sendmsg sendmsg(MSG_DEALLOC_VGPRS)
	s_endpgm
	.section	.rodata,"a",@progbits
	.p2align	6, 0x0
	.amdhsa_kernel _ZL23rocblas_gemvt_sn_kernelILb1ELi256ELi4Ei16rocblas_bfloat16PKffEviiT4_lPKT3_lilS6_lilPT5_i
		.amdhsa_group_segment_fixed_size 128
		.amdhsa_private_segment_fixed_size 0
		.amdhsa_kernarg_size 360
		.amdhsa_user_sgpr_count 14
		.amdhsa_user_sgpr_dispatch_ptr 0
		.amdhsa_user_sgpr_queue_ptr 0
		.amdhsa_user_sgpr_kernarg_segment_ptr 1
		.amdhsa_user_sgpr_dispatch_id 0
		.amdhsa_user_sgpr_private_segment_size 0
		.amdhsa_wavefront_size32 1
		.amdhsa_uses_dynamic_stack 0
		.amdhsa_enable_private_segment 0
		.amdhsa_system_sgpr_workgroup_id_x 1
		.amdhsa_system_sgpr_workgroup_id_y 0
		.amdhsa_system_sgpr_workgroup_id_z 1
		.amdhsa_system_sgpr_workgroup_info 0
		.amdhsa_system_vgpr_workitem_id 0
		.amdhsa_next_free_vgpr 51
		.amdhsa_next_free_sgpr 48
		.amdhsa_reserve_vcc 1
		.amdhsa_float_round_mode_32 0
		.amdhsa_float_round_mode_16_64 0
		.amdhsa_float_denorm_mode_32 3
		.amdhsa_float_denorm_mode_16_64 3
		.amdhsa_dx10_clamp 1
		.amdhsa_ieee_mode 1
		.amdhsa_fp16_overflow 0
		.amdhsa_workgroup_processor_mode 1
		.amdhsa_memory_ordered 1
		.amdhsa_forward_progress 0
		.amdhsa_shared_vgpr_count 0
		.amdhsa_exception_fp_ieee_invalid_op 0
		.amdhsa_exception_fp_denorm_src 0
		.amdhsa_exception_fp_ieee_div_zero 0
		.amdhsa_exception_fp_ieee_overflow 0
		.amdhsa_exception_fp_ieee_underflow 0
		.amdhsa_exception_fp_ieee_inexact 0
		.amdhsa_exception_int_div_zero 0
	.end_amdhsa_kernel
	.section	.text._ZL23rocblas_gemvt_sn_kernelILb1ELi256ELi4Ei16rocblas_bfloat16PKffEviiT4_lPKT3_lilS6_lilPT5_i,"axG",@progbits,_ZL23rocblas_gemvt_sn_kernelILb1ELi256ELi4Ei16rocblas_bfloat16PKffEviiT4_lPKT3_lilS6_lilPT5_i,comdat
.Lfunc_end574:
	.size	_ZL23rocblas_gemvt_sn_kernelILb1ELi256ELi4Ei16rocblas_bfloat16PKffEviiT4_lPKT3_lilS6_lilPT5_i, .Lfunc_end574-_ZL23rocblas_gemvt_sn_kernelILb1ELi256ELi4Ei16rocblas_bfloat16PKffEviiT4_lPKT3_lilS6_lilPT5_i
                                        ; -- End function
	.section	.AMDGPU.csdata,"",@progbits
; Kernel info:
; codeLenInByte = 4344
; NumSgprs: 50
; NumVgprs: 51
; ScratchSize: 0
; MemoryBound: 0
; FloatMode: 240
; IeeeMode: 1
; LDSByteSize: 128 bytes/workgroup (compile time only)
; SGPRBlocks: 6
; VGPRBlocks: 6
; NumSGPRsForWavesPerEU: 50
; NumVGPRsForWavesPerEU: 51
; Occupancy: 16
; WaveLimiterHint : 1
; COMPUTE_PGM_RSRC2:SCRATCH_EN: 0
; COMPUTE_PGM_RSRC2:USER_SGPR: 14
; COMPUTE_PGM_RSRC2:TRAP_HANDLER: 0
; COMPUTE_PGM_RSRC2:TGID_X_EN: 1
; COMPUTE_PGM_RSRC2:TGID_Y_EN: 0
; COMPUTE_PGM_RSRC2:TGID_Z_EN: 1
; COMPUTE_PGM_RSRC2:TIDIG_COMP_CNT: 0
	.section	.text._ZL23rocblas_gemvt_sn_kernelILb1ELi256ELi4El16rocblas_bfloat16PKffEviiT4_lPKT3_lilS6_lilPT5_i,"axG",@progbits,_ZL23rocblas_gemvt_sn_kernelILb1ELi256ELi4El16rocblas_bfloat16PKffEviiT4_lPKT3_lilS6_lilPT5_i,comdat
	.globl	_ZL23rocblas_gemvt_sn_kernelILb1ELi256ELi4El16rocblas_bfloat16PKffEviiT4_lPKT3_lilS6_lilPT5_i ; -- Begin function _ZL23rocblas_gemvt_sn_kernelILb1ELi256ELi4El16rocblas_bfloat16PKffEviiT4_lPKT3_lilS6_lilPT5_i
	.p2align	8
	.type	_ZL23rocblas_gemvt_sn_kernelILb1ELi256ELi4El16rocblas_bfloat16PKffEviiT4_lPKT3_lilS6_lilPT5_i,@function
_ZL23rocblas_gemvt_sn_kernelILb1ELi256ELi4El16rocblas_bfloat16PKffEviiT4_lPKT3_lilS6_lilPT5_i: ; @_ZL23rocblas_gemvt_sn_kernelILb1ELi256ELi4El16rocblas_bfloat16PKffEviiT4_lPKT3_lilS6_lilPT5_i
; %bb.0:
	s_clause 0x2
	s_load_b256 s[4:11], s[0:1], 0x8
	s_load_b64 s[12:13], s[0:1], 0x0
	s_load_b32 s20, s[0:1], 0x68
	s_mov_b32 s21, 0
	s_waitcnt lgkmcnt(0)
	s_mul_i32 s3, s15, s7
	s_mul_hi_u32 s7, s15, s6
	s_mul_i32 s2, s15, s6
	s_add_i32 s3, s7, s3
	s_mul_i32 s16, s13, s15
	s_lshl_b64 s[2:3], s[2:3], 2
	s_delay_alu instid0(SALU_CYCLE_1)
	s_add_u32 s2, s4, s2
	s_addc_u32 s3, s5, s3
	s_load_b32 s33, s[2:3], 0x0
	s_load_b128 s[4:7], s[0:1], 0x50
	s_ashr_i32 s30, s13, 31
	s_mul_hi_u32 s2, s13, s15
	s_mul_i32 s3, s30, s15
	s_delay_alu instid0(SALU_CYCLE_1) | instskip(SKIP_4) | instid1(SALU_CYCLE_1)
	s_add_i32 s2, s2, s3
	s_mul_hi_u32 s3, s16, s20
	s_mul_i32 s17, s2, s20
	s_mul_i32 s2, s16, s20
	s_add_i32 s3, s3, s17
	s_lshl_b64 s[2:3], s[2:3], 2
	s_waitcnt lgkmcnt(0)
	v_cmp_neq_f32_e64 s16, s33, 0
	s_add_u32 s42, s6, s2
	v_cmp_eq_u32_e64 s2, 0, v0
	s_addc_u32 s43, s7, s3
	s_delay_alu instid0(VALU_DEP_2)
	s_and_b32 vcc_lo, exec_lo, s16
	s_cbranch_vccnz .LBB575_5
; %bb.1:
	s_cmp_gt_i32 s13, 0
	s_cselect_b32 s3, -1, 0
	s_delay_alu instid0(SALU_CYCLE_1) | instskip(NEXT) | instid1(SALU_CYCLE_1)
	s_and_b32 s2, s2, s3
	s_and_saveexec_b32 s16, s2
	s_cbranch_execz .LBB575_4
; %bb.2:
	s_mov_b32 s2, s15
	s_mov_b32 s15, 0
	v_mov_b32_e32 v1, 0
	s_lshl_b64 s[6:7], s[14:15], 2
	s_mov_b32 s15, s2
	s_add_u32 s2, s42, s6
	s_addc_u32 s3, s43, s7
	s_lshl_b64 s[6:7], s[20:21], 2
	s_mov_b32 s17, s13
.LBB575_3:                              ; =>This Inner Loop Header: Depth=1
	s_delay_alu instid0(SALU_CYCLE_1)
	s_add_i32 s17, s17, -1
	global_store_b32 v1, v1, s[2:3]
	s_add_u32 s2, s2, s6
	s_addc_u32 s3, s3, s7
	s_cmp_eq_u32 s17, 0
	s_cbranch_scc0 .LBB575_3
.LBB575_4:
	s_or_b32 exec_lo, exec_lo, s16
	s_cbranch_execz .LBB575_6
	s_branch .LBB575_79
.LBB575_5:
.LBB575_6:
	s_clause 0x3
	s_load_b32 s22, s[0:1], 0x28
	s_load_b32 s24, s[0:1], 0x48
	s_load_b128 s[16:19], s[0:1], 0x30
	s_load_b64 s[0:1], s[0:1], 0x40
	s_mul_i32 s3, s15, s5
	s_mul_hi_u32 s5, s15, s4
	s_mul_i32 s2, s15, s4
	s_add_i32 s3, s5, s3
	v_and_b32_e32 v24, 31, v0
	s_lshl_b64 s[26:27], s[2:3], 1
	v_mbcnt_lo_u32_b32 v27, -1, 0
	v_lshrrev_b32_e32 v29, 3, v0
	s_waitcnt lgkmcnt(0)
	s_ashr_i32 s23, s22, 31
	s_ashr_i32 s25, s24, 31
	s_add_u32 s5, s18, s26
	s_addc_u32 s6, s19, s27
	s_lshl_b64 s[28:29], s[0:1], 1
	s_mul_i32 s3, s15, s17
	s_mul_hi_u32 s4, s15, s16
	s_add_u32 s44, s5, s28
	s_mul_i32 s2, s15, s16
	s_addc_u32 s45, s6, s29
	s_add_i32 s3, s4, s3
	v_cmp_gt_u32_e64 s0, 32, v0
	s_lshl_b64 s[16:17], s[2:3], 1
	v_cmp_gt_u32_e64 s1, 8, v0
	s_add_u32 s2, s8, s16
	s_addc_u32 s3, s9, s17
	s_lshl_b64 s[10:11], s[10:11], 1
	s_delay_alu instid0(SALU_CYCLE_1)
	s_add_u32 s2, s2, s10
	s_addc_u32 s3, s3, s11
	s_lshl_b32 s4, s14, 10
	s_ashr_i32 s5, s12, 31
	v_lshl_or_b32 v9, v0, 2, s4
	s_lshr_b32 s4, s30, 30
	s_lshr_b32 s5, s5, 30
	s_add_i32 s4, s13, s4
	s_add_i32 s5, s12, s5
	v_ashrrev_i32_e32 v10, 31, v9
	s_and_b32 s46, s4, -4
	s_and_b32 s4, s5, -4
	v_add_nc_u32_e32 v30, 4, v9
	s_sub_i32 s21, s12, s4
	v_lshlrev_b64 v[7:8], 1, v[9:10]
	v_or_b32_e32 v28, 1, v9
	v_or_b32_e32 v26, 2, v9
	v_add_nc_u32_e32 v31, s21, v9
	v_or_b32_e32 v25, 3, v9
	s_cmp_lt_i32 s46, 1
	v_add_co_u32 v5, vcc_lo, s2, v7
	v_add_co_ci_u32_e32 v6, vcc_lo, s3, v8, vcc_lo
	s_cbranch_scc1 .LBB575_54
; %bb.7:
	v_cmp_gt_u32_e32 vcc_lo, 16, v27
	v_mad_i64_i32 v[12:13], null, s24, v26, 0
	v_mad_i64_i32 v[14:15], null, s24, v25, 0
	v_cndmask_b32_e64 v1, 0, 1, vcc_lo
	v_cmp_gt_u32_e32 vcc_lo, 24, v27
	s_mov_b32 s15, 0
	s_cmp_gt_i32 s21, 0
	s_delay_alu instid0(VALU_DEP_4)
	v_lshlrev_b64 v[16:17], 1, v[12:13]
	v_lshlrev_b32_e32 v1, 4, v1
	v_cndmask_b32_e64 v2, 0, 1, vcc_lo
	v_cmp_gt_u32_e32 vcc_lo, 28, v27
	s_cselect_b32 s47, -1, 0
	s_lshl_b64 s[6:7], s[14:15], 2
	s_delay_alu instid0(VALU_DEP_2)
	v_dual_mov_b32 v39, 0 :: v_dual_lshlrev_b32 v2, 3, v2
	v_cndmask_b32_e64 v3, 0, 1, vcc_lo
	v_cmp_gt_u32_e32 vcc_lo, 30, v27
	s_add_u32 s48, s42, s6
	s_addc_u32 s49, s43, s7
	v_add_lshl_u32 v33, v2, v27, 2
	v_lshlrev_b32_e32 v3, 2, v3
	v_cndmask_b32_e64 v4, 0, 1, vcc_lo
	v_cmp_ne_u32_e32 vcc_lo, 31, v27
	v_dual_mov_b32 v21, v6 :: v_dual_mov_b32 v20, v5
	v_add_lshl_u32 v32, v1, v27, 2
	s_delay_alu instid0(VALU_DEP_4) | instskip(SKIP_3) | instid1(VALU_DEP_4)
	v_lshlrev_b32_e32 v4, 1, v4
	v_mad_i64_i32 v[1:2], null, s24, v9, 0
	v_add_lshl_u32 v34, v3, v27, 2
	v_add_co_ci_u32_e32 v10, vcc_lo, 0, v27, vcc_lo
	v_add_lshl_u32 v35, v4, v27, 2
	v_mad_i64_i32 v[3:4], null, s24, v28, 0
	v_lshlrev_b64 v[1:2], 1, v[1:2]
	s_delay_alu instid0(VALU_DEP_4) | instskip(SKIP_4) | instid1(VALU_DEP_3)
	v_lshlrev_b32_e32 v36, 2, v10
	s_add_u32 s6, s18, s28
	s_addc_u32 s7, s19, s29
	s_add_u32 s6, s6, s26
	s_addc_u32 s7, s7, s27
	v_lshlrev_b64 v[3:4], 1, v[3:4]
	v_add_co_u32 v10, vcc_lo, s44, v1
	v_add_co_ci_u32_e32 v11, vcc_lo, s45, v2, vcc_lo
	v_cmp_ge_i32_e64 s2, s12, v30
	s_delay_alu instid0(VALU_DEP_4)
	v_add_co_u32 v12, vcc_lo, s44, v3
	v_add_co_ci_u32_e32 v13, vcc_lo, s45, v4, vcc_lo
	v_lshlrev_b64 v[3:4], 1, v[14:15]
	v_add_co_u32 v14, vcc_lo, s44, v16
	v_add_co_ci_u32_e32 v15, vcc_lo, s45, v17, vcc_lo
	v_cmp_ge_i32_e64 s3, s12, v31
	s_delay_alu instid0(VALU_DEP_4)
	v_add_co_u32 v16, vcc_lo, s44, v3
	v_add_co_ci_u32_e32 v17, vcc_lo, s45, v4, vcc_lo
	v_add_co_u32 v18, vcc_lo, s6, v1
	v_cmp_eq_u32_e64 s4, 0, v24
	v_lshlrev_b32_e32 v37, 2, v24
	v_and_b32_e32 v38, 28, v29
	v_cmp_eq_u32_e64 s5, 0, v0
	v_add_co_ci_u32_e32 v19, vcc_lo, s7, v2, vcc_lo
	s_lshl_b64 s[30:31], s[24:25], 1
	s_lshl_b64 s[34:35], s[22:23], 3
	;; [unrolled: 1-line block ×4, first 2 shown]
	s_mul_hi_i32 s50, s22, 6
	s_mul_i32 s51, s22, 6
                                        ; implicit-def: $vgpr1_vgpr2_vgpr3_vgpr4
	s_branch .LBB575_9
.LBB575_8:                              ;   in Loop: Header=BB575_9 Depth=1
	s_or_b32 exec_lo, exec_lo, s6
	v_add_co_u32 v20, vcc_lo, v20, s34
	v_add_co_ci_u32_e32 v21, vcc_lo, s35, v21, vcc_lo
	s_add_i32 s15, s15, 4
	s_delay_alu instid0(SALU_CYCLE_1)
	s_cmp_ge_i32 s15, s46
	s_cbranch_scc1 .LBB575_55
.LBB575_9:                              ; =>This Loop Header: Depth=1
                                        ;     Child Loop BB575_40 Depth 2
                                        ;     Child Loop BB575_43 Depth 2
                                        ; implicit-def: $vgpr40
                                        ; implicit-def: $vgpr41
                                        ; implicit-def: $vgpr42
                                        ; implicit-def: $vgpr43
	s_and_saveexec_b32 s6, s2
	s_delay_alu instid0(SALU_CYCLE_1)
	s_xor_b32 s6, exec_lo, s6
	s_cbranch_execnz .LBB575_36
; %bb.10:                               ;   in Loop: Header=BB575_9 Depth=1
	s_and_not1_saveexec_b32 s52, s6
	s_cbranch_execnz .LBB575_37
.LBB575_11:                             ;   in Loop: Header=BB575_9 Depth=1
	s_or_b32 exec_lo, exec_lo, s52
	s_and_saveexec_b32 s6, s0
	s_cbranch_execz .LBB575_13
.LBB575_12:                             ;   in Loop: Header=BB575_9 Depth=1
	ds_store_b32 v37, v39
.LBB575_13:                             ;   in Loop: Header=BB575_9 Depth=1
	s_or_b32 exec_lo, exec_lo, s6
	ds_bpermute_b32 v22, v32, v43
	s_waitcnt lgkmcnt(0)
	s_waitcnt_vscnt null, 0x0
	s_barrier
	buffer_gl0_inv
	v_add_f32_e32 v22, v43, v22
	ds_bpermute_b32 v23, v33, v22
	s_waitcnt lgkmcnt(0)
	v_add_f32_e32 v22, v22, v23
	ds_bpermute_b32 v23, v34, v22
	s_waitcnt lgkmcnt(0)
	;; [unrolled: 3-line block ×3, first 2 shown]
	v_add_f32_e32 v22, v22, v23
	ds_bpermute_b32 v23, v36, v22
	s_and_saveexec_b32 s6, s4
	s_cbranch_execz .LBB575_15
; %bb.14:                               ;   in Loop: Header=BB575_9 Depth=1
	s_waitcnt lgkmcnt(0)
	v_add_f32_e32 v22, v22, v23
	ds_store_b32 v38, v22
.LBB575_15:                             ;   in Loop: Header=BB575_9 Depth=1
	s_or_b32 exec_lo, exec_lo, s6
	v_mov_b32_e32 v22, 0
	s_waitcnt lgkmcnt(0)
	s_barrier
	buffer_gl0_inv
	s_and_saveexec_b32 s6, s1
	s_cbranch_execnz .LBB575_45
; %bb.16:                               ;   in Loop: Header=BB575_9 Depth=1
	s_or_b32 exec_lo, exec_lo, s6
	s_and_saveexec_b32 s6, s0
	s_cbranch_execnz .LBB575_46
.LBB575_17:                             ;   in Loop: Header=BB575_9 Depth=1
	s_or_b32 exec_lo, exec_lo, s6
	s_and_saveexec_b32 s6, s0
	s_cbranch_execz .LBB575_19
.LBB575_18:                             ;   in Loop: Header=BB575_9 Depth=1
	ds_store_b32 v37, v39
.LBB575_19:                             ;   in Loop: Header=BB575_9 Depth=1
	s_or_b32 exec_lo, exec_lo, s6
	ds_bpermute_b32 v23, v32, v42
	s_waitcnt lgkmcnt(0)
	s_barrier
	buffer_gl0_inv
	v_add_f32_e32 v23, v42, v23
	ds_bpermute_b32 v42, v33, v23
	s_waitcnt lgkmcnt(0)
	v_add_f32_e32 v23, v23, v42
	ds_bpermute_b32 v42, v34, v23
	s_waitcnt lgkmcnt(0)
	v_add_f32_e32 v23, v23, v42
	ds_bpermute_b32 v42, v35, v23
	s_waitcnt lgkmcnt(0)
	v_add_f32_e32 v23, v23, v42
	ds_bpermute_b32 v42, v36, v23
	s_and_saveexec_b32 s6, s4
	s_cbranch_execz .LBB575_21
; %bb.20:                               ;   in Loop: Header=BB575_9 Depth=1
	s_waitcnt lgkmcnt(0)
	v_add_f32_e32 v23, v23, v42
	ds_store_b32 v38, v23
.LBB575_21:                             ;   in Loop: Header=BB575_9 Depth=1
	s_or_b32 exec_lo, exec_lo, s6
	v_mov_b32_e32 v23, 0
	s_waitcnt lgkmcnt(0)
	s_barrier
	buffer_gl0_inv
	s_and_saveexec_b32 s6, s1
	s_cbranch_execnz .LBB575_47
; %bb.22:                               ;   in Loop: Header=BB575_9 Depth=1
	s_or_b32 exec_lo, exec_lo, s6
	s_and_saveexec_b32 s6, s0
	s_cbranch_execnz .LBB575_48
.LBB575_23:                             ;   in Loop: Header=BB575_9 Depth=1
	s_or_b32 exec_lo, exec_lo, s6
	s_and_saveexec_b32 s6, s0
	s_cbranch_execz .LBB575_25
.LBB575_24:                             ;   in Loop: Header=BB575_9 Depth=1
	ds_store_b32 v37, v39
.LBB575_25:                             ;   in Loop: Header=BB575_9 Depth=1
	s_or_b32 exec_lo, exec_lo, s6
	ds_bpermute_b32 v42, v32, v41
	s_waitcnt lgkmcnt(0)
	s_barrier
	buffer_gl0_inv
	v_add_f32_e32 v41, v41, v42
	ds_bpermute_b32 v42, v33, v41
	s_waitcnt lgkmcnt(0)
	v_add_f32_e32 v41, v41, v42
	ds_bpermute_b32 v42, v34, v41
	s_waitcnt lgkmcnt(0)
	;; [unrolled: 3-line block ×3, first 2 shown]
	v_add_f32_e32 v41, v41, v42
	ds_bpermute_b32 v42, v36, v41
	s_and_saveexec_b32 s6, s4
	s_cbranch_execz .LBB575_27
; %bb.26:                               ;   in Loop: Header=BB575_9 Depth=1
	s_waitcnt lgkmcnt(0)
	v_add_f32_e32 v41, v41, v42
	ds_store_b32 v38, v41
.LBB575_27:                             ;   in Loop: Header=BB575_9 Depth=1
	s_or_b32 exec_lo, exec_lo, s6
	v_mov_b32_e32 v41, 0
	s_waitcnt lgkmcnt(0)
	s_barrier
	buffer_gl0_inv
	s_and_saveexec_b32 s6, s1
	s_cbranch_execnz .LBB575_49
; %bb.28:                               ;   in Loop: Header=BB575_9 Depth=1
	s_or_b32 exec_lo, exec_lo, s6
	s_and_saveexec_b32 s6, s0
	s_cbranch_execnz .LBB575_50
.LBB575_29:                             ;   in Loop: Header=BB575_9 Depth=1
	s_or_b32 exec_lo, exec_lo, s6
	s_and_saveexec_b32 s6, s0
	s_cbranch_execz .LBB575_31
.LBB575_30:                             ;   in Loop: Header=BB575_9 Depth=1
	ds_store_b32 v37, v39
.LBB575_31:                             ;   in Loop: Header=BB575_9 Depth=1
	s_or_b32 exec_lo, exec_lo, s6
	ds_bpermute_b32 v42, v32, v40
	s_waitcnt lgkmcnt(0)
	s_barrier
	buffer_gl0_inv
	v_add_f32_e32 v40, v40, v42
	ds_bpermute_b32 v42, v33, v40
	s_waitcnt lgkmcnt(0)
	v_add_f32_e32 v40, v40, v42
	ds_bpermute_b32 v42, v34, v40
	s_waitcnt lgkmcnt(0)
	;; [unrolled: 3-line block ×3, first 2 shown]
	v_add_f32_e32 v40, v40, v42
	ds_bpermute_b32 v42, v36, v40
	s_and_saveexec_b32 s6, s4
	s_cbranch_execz .LBB575_33
; %bb.32:                               ;   in Loop: Header=BB575_9 Depth=1
	s_waitcnt lgkmcnt(0)
	v_add_f32_e32 v40, v40, v42
	ds_store_b32 v38, v40
.LBB575_33:                             ;   in Loop: Header=BB575_9 Depth=1
	s_or_b32 exec_lo, exec_lo, s6
	v_mov_b32_e32 v40, 0
	s_waitcnt lgkmcnt(0)
	s_barrier
	buffer_gl0_inv
	s_and_saveexec_b32 s6, s1
	s_cbranch_execnz .LBB575_51
; %bb.34:                               ;   in Loop: Header=BB575_9 Depth=1
	s_or_b32 exec_lo, exec_lo, s6
	s_and_saveexec_b32 s6, s0
	s_cbranch_execnz .LBB575_52
.LBB575_35:                             ;   in Loop: Header=BB575_9 Depth=1
	s_or_b32 exec_lo, exec_lo, s6
	s_and_saveexec_b32 s6, s5
	s_cbranch_execz .LBB575_8
	s_branch .LBB575_53
.LBB575_36:                             ;   in Loop: Header=BB575_9 Depth=1
	s_mul_i32 s7, s15, s23
	s_mul_hi_u32 s41, s15, s22
	s_mul_i32 s40, s15, s22
	s_add_i32 s41, s41, s7
	s_or_b32 s7, s15, 1
	s_lshl_b64 s[40:41], s[40:41], 1
	s_delay_alu instid0(SALU_CYCLE_1) | instskip(SKIP_3) | instid1(SALU_CYCLE_1)
	v_add_co_u32 v1, vcc_lo, v5, s40
	v_add_co_ci_u32_e32 v2, vcc_lo, s41, v6, vcc_lo
	s_mul_i32 s40, s7, s23
	s_mul_hi_u32 s41, s7, s22
	s_add_i32 s41, s41, s40
	s_mul_i32 s40, s7, s22
	s_or_b32 s7, s15, 2
	s_lshl_b64 s[40:41], s[40:41], 1
	global_load_b64 v[22:23], v[1:2], off
	s_mul_i32 s52, s7, s23
	s_mul_hi_u32 s53, s7, s22
	v_add_co_u32 v1, vcc_lo, v5, s40
	v_add_co_ci_u32_e32 v2, vcc_lo, s41, v6, vcc_lo
	s_add_i32 s41, s53, s52
	s_or_b32 s52, s15, 3
	s_mul_i32 s40, s7, s22
	s_mul_i32 s7, s52, s23
	s_mul_hi_u32 s53, s52, s22
	s_lshl_b64 s[40:41], s[40:41], 1
	s_add_i32 s53, s53, s7
	s_mul_i32 s52, s52, s22
	v_add_co_u32 v3, vcc_lo, v5, s40
	v_add_co_ci_u32_e32 v4, vcc_lo, s41, v6, vcc_lo
	s_lshl_b64 s[40:41], s[52:53], 1
	s_clause 0x3
	global_load_u16 v48, v[10:11], off
	global_load_u16 v49, v[12:13], off
	;; [unrolled: 1-line block ×4, first 2 shown]
	s_waitcnt lgkmcnt(0)
	v_add_co_u32 v40, vcc_lo, v5, s40
	v_add_co_ci_u32_e32 v41, vcc_lo, s41, v6, vcc_lo
	s_clause 0x2
	global_load_b64 v[42:43], v[1:2], off
	global_load_b64 v[44:45], v[3:4], off
	;; [unrolled: 1-line block ×3, first 2 shown]
	s_waitcnt vmcnt(7)
	v_lshlrev_b32_e32 v40, 16, v22
	s_waitcnt vmcnt(2)
	v_lshlrev_b32_e32 v52, 16, v43
	;; [unrolled: 2-line block ×3, first 2 shown]
	v_and_b32_e32 v22, 0xffff0000, v22
	v_lshlrev_b32_e32 v4, 16, v51
	v_and_b32_e32 v51, 0xffff0000, v42
	v_and_b32_e32 v55, 0xffff0000, v43
	v_lshlrev_b32_e32 v3, 16, v50
	v_lshlrev_b32_e32 v2, 16, v49
	;; [unrolled: 1-line block ×4, first 2 shown]
	v_and_b32_e32 v45, 0xffff0000, v45
	s_waitcnt vmcnt(0)
	v_lshlrev_b32_e32 v54, 16, v47
	s_delay_alu instid0(VALU_DEP_3) | instskip(NEXT) | instid1(VALU_DEP_1)
	v_fma_f32 v42, v1, v41, 0
	v_fmac_f32_e32 v42, v2, v51
	v_fma_f32 v43, v1, v40, 0
	s_delay_alu instid0(VALU_DEP_1) | instskip(SKIP_2) | instid1(VALU_DEP_2)
	v_dual_fmac_f32 v42, v3, v52 :: v_dual_fmac_f32 v43, v2, v22
	v_lshlrev_b32_e32 v48, 16, v23
	v_and_b32_e32 v22, 0xffff0000, v47
	v_dual_fmac_f32 v42, v4, v55 :: v_dual_fmac_f32 v43, v3, v48
	v_lshlrev_b32_e32 v50, 16, v46
	v_and_b32_e32 v46, 0xffff0000, v46
	s_delay_alu instid0(VALU_DEP_2) | instskip(NEXT) | instid1(VALU_DEP_1)
	v_fma_f32 v40, v1, v50, 0
	v_dual_fmac_f32 v40, v2, v46 :: v_dual_and_b32 v23, 0xffff0000, v23
	v_lshlrev_b32_e32 v49, 16, v44
	s_delay_alu instid0(VALU_DEP_2) | instskip(NEXT) | instid1(VALU_DEP_3)
	v_dual_fmac_f32 v43, v4, v23 :: v_dual_and_b32 v44, 0xffff0000, v44
	v_fmac_f32_e32 v40, v3, v54
	s_delay_alu instid0(VALU_DEP_3) | instskip(NEXT) | instid1(VALU_DEP_1)
	v_fma_f32 v41, v1, v49, 0
	v_dual_fmac_f32 v40, v4, v22 :: v_dual_fmac_f32 v41, v2, v44
	s_delay_alu instid0(VALU_DEP_1) | instskip(NEXT) | instid1(VALU_DEP_1)
	v_fmac_f32_e32 v41, v3, v53
	v_fmac_f32_e32 v41, v4, v45
	s_and_not1_saveexec_b32 s52, s6
	s_cbranch_execz .LBB575_11
.LBB575_37:                             ;   in Loop: Header=BB575_9 Depth=1
	s_waitcnt lgkmcnt(0)
	v_dual_mov_b32 v40, 0 :: v_dual_mov_b32 v41, 0
	v_dual_mov_b32 v42, 0 :: v_dual_mov_b32 v43, 0
	s_and_saveexec_b32 s53, s3
	s_cbranch_execz .LBB575_44
; %bb.38:                               ;   in Loop: Header=BB575_9 Depth=1
	s_and_not1_b32 vcc_lo, exec_lo, s47
	s_cbranch_vccnz .LBB575_41
; %bb.39:                               ;   in Loop: Header=BB575_9 Depth=1
	v_dual_mov_b32 v23, v19 :: v_dual_mov_b32 v22, v18
	s_mov_b64 s[40:41], 0
	.p2align	6
.LBB575_40:                             ;   Parent Loop BB575_9 Depth=1
                                        ; =>  This Inner Loop Header: Depth=2
	global_load_u16 v40, v[22:23], off
	v_add_co_u32 v22, vcc_lo, v22, s30
	s_cmp_eq_u32 s40, 3
	v_add_co_ci_u32_e32 v23, vcc_lo, s31, v23, vcc_lo
	s_cselect_b32 vcc_lo, -1, 0
	s_cmp_eq_u32 s40, 2
	s_cselect_b32 s6, -1, 0
	s_cmp_eq_u32 s40, 1
	s_cselect_b32 s7, -1, 0
	s_cmp_eq_u32 s40, 0
	s_waitcnt vmcnt(0)
	v_lshlrev_b32_e32 v40, 16, v40
	s_delay_alu instid0(VALU_DEP_1)
	v_cndmask_b32_e32 v4, v4, v40, vcc_lo
	s_cselect_b32 vcc_lo, -1, 0
	v_cndmask_b32_e64 v3, v3, v40, s6
	v_cndmask_b32_e64 v2, v2, v40, s7
	v_cndmask_b32_e32 v1, v1, v40, vcc_lo
	s_add_u32 s40, s40, 1
	s_addc_u32 s41, s41, 0
	s_cmp_eq_u32 s21, s40
	s_cbranch_scc0 .LBB575_40
.LBB575_41:                             ;   in Loop: Header=BB575_9 Depth=1
	v_dual_mov_b32 v40, 0 :: v_dual_mov_b32 v41, 0
	v_dual_mov_b32 v42, 0 :: v_dual_mov_b32 v43, 0
	s_and_not1_b32 vcc_lo, exec_lo, s47
	s_cbranch_vccnz .LBB575_44
; %bb.42:                               ;   in Loop: Header=BB575_9 Depth=1
	v_dual_mov_b32 v23, v21 :: v_dual_mov_b32 v42, 0
	v_dual_mov_b32 v43, 0 :: v_dual_mov_b32 v22, v20
	;; [unrolled: 1-line block ×3, first 2 shown]
	s_mov_b64 s[40:41], 0
	s_set_inst_prefetch_distance 0x1
	.p2align	6
.LBB575_43:                             ;   Parent Loop BB575_9 Depth=1
                                        ; =>  This Inner Loop Header: Depth=2
	s_delay_alu instid0(VALU_DEP_2)
	v_add_co_u32 v44, vcc_lo, v22, s36
	v_add_co_ci_u32_e32 v45, vcc_lo, s37, v23, vcc_lo
	v_add_co_u32 v46, vcc_lo, v22, s38
	v_add_co_ci_u32_e32 v47, vcc_lo, s39, v23, vcc_lo
	v_add_co_u32 v48, vcc_lo, v22, s51
	v_add_co_ci_u32_e32 v49, vcc_lo, s50, v23, vcc_lo
	s_clause 0x3
	global_load_u16 v50, v[22:23], off
	global_load_u16 v44, v[44:45], off
	;; [unrolled: 1-line block ×4, first 2 shown]
	s_cmp_eq_u32 s40, 1
	v_add_co_u32 v22, s6, v22, 2
	s_cselect_b32 vcc_lo, -1, 0
	s_cmp_eq_u32 s40, 2
	v_cndmask_b32_e32 v47, v1, v2, vcc_lo
	s_cselect_b32 vcc_lo, -1, 0
	s_cmp_eq_u32 s40, 3
	v_add_co_ci_u32_e64 v23, s6, 0, v23, s6
	s_waitcnt vmcnt(3)
	v_lshlrev_b32_e32 v48, 16, v50
	s_waitcnt vmcnt(2)
	v_dual_cndmask_b32 v47, v47, v3 :: v_dual_lshlrev_b32 v44, 16, v44
	s_cselect_b32 vcc_lo, -1, 0
	s_waitcnt vmcnt(0)
	v_lshlrev_b32_e32 v46, 16, v46
	s_add_u32 s40, s40, 1
	s_addc_u32 s41, s41, 0
	v_cndmask_b32_e32 v47, v47, v4, vcc_lo
	v_lshlrev_b32_e32 v45, 16, v45
	s_cmp_lg_u32 s21, s40
	s_delay_alu instid0(VALU_DEP_2) | instskip(SKIP_1) | instid1(VALU_DEP_3)
	v_fmac_f32_e32 v42, v47, v44
	v_fmac_f32_e32 v43, v47, v48
	;; [unrolled: 1-line block ×4, first 2 shown]
	s_cbranch_scc1 .LBB575_43
.LBB575_44:                             ;   in Loop: Header=BB575_9 Depth=1
	s_set_inst_prefetch_distance 0x2
	s_or_b32 exec_lo, exec_lo, s53
	s_delay_alu instid0(SALU_CYCLE_1)
	s_or_b32 exec_lo, exec_lo, s52
	s_and_saveexec_b32 s6, s0
	s_cbranch_execnz .LBB575_12
	s_branch .LBB575_13
.LBB575_45:                             ;   in Loop: Header=BB575_9 Depth=1
	ds_load_b32 v22, v37
	s_or_b32 exec_lo, exec_lo, s6
	s_and_saveexec_b32 s6, s0
	s_cbranch_execz .LBB575_17
.LBB575_46:                             ;   in Loop: Header=BB575_9 Depth=1
	s_waitcnt lgkmcnt(0)
	ds_bpermute_b32 v23, v34, v22
	s_waitcnt lgkmcnt(0)
	v_add_f32_e32 v22, v22, v23
	ds_bpermute_b32 v23, v35, v22
	s_waitcnt lgkmcnt(0)
	v_add_f32_e32 v22, v22, v23
	;; [unrolled: 3-line block ×3, first 2 shown]
	s_or_b32 exec_lo, exec_lo, s6
	s_and_saveexec_b32 s6, s0
	s_cbranch_execnz .LBB575_18
	s_branch .LBB575_19
.LBB575_47:                             ;   in Loop: Header=BB575_9 Depth=1
	ds_load_b32 v23, v37
	s_or_b32 exec_lo, exec_lo, s6
	s_and_saveexec_b32 s6, s0
	s_cbranch_execz .LBB575_23
.LBB575_48:                             ;   in Loop: Header=BB575_9 Depth=1
	s_waitcnt lgkmcnt(0)
	ds_bpermute_b32 v42, v34, v23
	s_waitcnt lgkmcnt(0)
	v_add_f32_e32 v23, v23, v42
	ds_bpermute_b32 v42, v35, v23
	s_waitcnt lgkmcnt(0)
	v_add_f32_e32 v23, v23, v42
	;; [unrolled: 3-line block ×3, first 2 shown]
	s_or_b32 exec_lo, exec_lo, s6
	s_and_saveexec_b32 s6, s0
	s_cbranch_execnz .LBB575_24
	s_branch .LBB575_25
.LBB575_49:                             ;   in Loop: Header=BB575_9 Depth=1
	ds_load_b32 v41, v37
	s_or_b32 exec_lo, exec_lo, s6
	s_and_saveexec_b32 s6, s0
	s_cbranch_execz .LBB575_29
.LBB575_50:                             ;   in Loop: Header=BB575_9 Depth=1
	s_waitcnt lgkmcnt(0)
	ds_bpermute_b32 v42, v34, v41
	s_waitcnt lgkmcnt(0)
	v_add_f32_e32 v41, v41, v42
	ds_bpermute_b32 v42, v35, v41
	s_waitcnt lgkmcnt(0)
	v_add_f32_e32 v41, v41, v42
	;; [unrolled: 3-line block ×3, first 2 shown]
	s_or_b32 exec_lo, exec_lo, s6
	s_and_saveexec_b32 s6, s0
	s_cbranch_execnz .LBB575_30
	s_branch .LBB575_31
.LBB575_51:                             ;   in Loop: Header=BB575_9 Depth=1
	ds_load_b32 v40, v37
	s_or_b32 exec_lo, exec_lo, s6
	s_and_saveexec_b32 s6, s0
	s_cbranch_execz .LBB575_35
.LBB575_52:                             ;   in Loop: Header=BB575_9 Depth=1
	s_waitcnt lgkmcnt(0)
	ds_bpermute_b32 v42, v34, v40
	s_waitcnt lgkmcnt(0)
	v_add_f32_e32 v40, v40, v42
	ds_bpermute_b32 v42, v35, v40
	s_waitcnt lgkmcnt(0)
	v_add_f32_e32 v40, v40, v42
	;; [unrolled: 3-line block ×3, first 2 shown]
	s_or_b32 exec_lo, exec_lo, s6
	s_and_saveexec_b32 s6, s5
	s_cbranch_execz .LBB575_8
.LBB575_53:                             ;   in Loop: Header=BB575_9 Depth=1
	s_mul_hi_u32 s41, s15, s20
	s_mul_i32 s40, s15, s20
	v_dual_mul_f32 v22, s33, v22 :: v_dual_mul_f32 v23, s33, v23
	s_lshl_b64 s[40:41], s[40:41], 2
	s_waitcnt lgkmcnt(0)
	v_mul_f32_e32 v40, s33, v40
	s_add_u32 s40, s48, s40
	s_addc_u32 s41, s49, s41
	s_or_b32 s7, s15, 1
	global_store_b32 v39, v22, s[40:41]
	s_mul_hi_u32 s53, s7, s20
	s_mul_i32 s52, s7, s20
	v_mul_f32_e32 v22, s33, v41
	s_lshl_b64 s[52:53], s[52:53], 2
	s_delay_alu instid0(SALU_CYCLE_1)
	s_add_u32 s52, s48, s52
	s_addc_u32 s53, s49, s53
	s_or_b32 s7, s15, 2
	global_store_b32 v39, v23, s[52:53]
	s_mul_hi_u32 s55, s7, s20
	s_mul_i32 s54, s7, s20
	s_delay_alu instid0(SALU_CYCLE_1) | instskip(NEXT) | instid1(SALU_CYCLE_1)
	s_lshl_b64 s[54:55], s[54:55], 2
	s_add_u32 s40, s48, s54
	s_addc_u32 s41, s49, s55
	s_or_b32 s7, s15, 3
	s_delay_alu instid0(SALU_CYCLE_1) | instskip(SKIP_1) | instid1(SALU_CYCLE_1)
	s_mul_hi_u32 s55, s7, s20
	s_mul_i32 s54, s7, s20
	s_lshl_b64 s[54:55], s[54:55], 2
	s_delay_alu instid0(SALU_CYCLE_1)
	s_add_u32 s52, s48, s54
	s_addc_u32 s53, s49, s55
	s_clause 0x1
	global_store_b32 v39, v22, s[40:41]
	global_store_b32 v39, v40, s[52:53]
	s_branch .LBB575_8
.LBB575_54:
	s_mov_b32 s15, 0
                                        ; implicit-def: $vgpr1_vgpr2_vgpr3_vgpr4
.LBB575_55:
	s_delay_alu instid0(SALU_CYCLE_1)
	s_cmp_ge_i32 s15, s13
	s_cbranch_scc1 .LBB575_79
; %bb.56:
	v_cmp_gt_u32_e32 vcc_lo, 16, v27
	v_cmp_ge_i32_e64 s0, s12, v30
	v_cmp_ge_i32_e64 s1, s12, v31
	v_mad_i64_i32 v[19:20], null, s24, v25, 0
	v_cndmask_b32_e64 v10, 0, 1, vcc_lo
	v_cmp_gt_u32_e32 vcc_lo, 24, v27
	s_cmp_gt_i32 s21, 0
	s_mov_b32 s31, 0
	s_mov_b32 s30, s14
	v_lshlrev_b32_e32 v10, 4, v10
	v_cndmask_b32_e64 v11, 0, 1, vcc_lo
	v_cmp_gt_u32_e32 vcc_lo, 28, v27
	s_cselect_b32 s12, -1, 0
	s_lshl_b64 s[6:7], s[30:31], 2
	v_add_lshl_u32 v22, v10, v27, 2
	v_lshlrev_b32_e32 v11, 3, v11
	v_cndmask_b32_e64 v12, 0, 1, vcc_lo
	v_cmp_gt_u32_e32 vcc_lo, 30, v27
	s_add_u32 s14, s42, s6
	s_addc_u32 s30, s43, s7
	v_add_lshl_u32 v23, v11, v27, 2
	v_lshlrev_b32_e32 v12, 2, v12
	v_cndmask_b32_e64 v13, 0, 1, vcc_lo
	v_cmp_ne_u32_e32 vcc_lo, 31, v27
	v_mad_i64_i32 v[10:11], null, s24, v9, 0
	s_delay_alu instid0(VALU_DEP_4) | instskip(NEXT) | instid1(VALU_DEP_4)
	v_add_lshl_u32 v30, v12, v27, 2
	v_lshlrev_b32_e32 v13, 1, v13
	v_add_co_ci_u32_e32 v14, vcc_lo, 0, v27, vcc_lo
	s_add_u32 s6, s18, s28
	s_addc_u32 s7, s19, s29
	s_delay_alu instid0(VALU_DEP_2)
	v_add_lshl_u32 v27, v13, v27, 2
	v_mad_i64_i32 v[12:13], null, s24, v28, 0
	v_lshlrev_b32_e32 v31, 2, v14
	v_mad_i64_i32 v[14:15], null, s24, v26, 0
	v_lshlrev_b64 v[17:18], 1, v[10:11]
	s_add_u32 s18, s6, s26
	s_mul_i32 s6, s23, s15
	s_delay_alu instid0(VALU_DEP_4)
	v_lshlrev_b64 v[11:12], 1, v[12:13]
	s_mul_hi_u32 s19, s22, s15
	s_addc_u32 s26, s7, s27
	v_add_co_u32 v9, vcc_lo, s44, v17
	v_lshlrev_b64 v[13:14], 1, v[14:15]
	v_add_co_ci_u32_e32 v10, vcc_lo, s45, v18, vcc_lo
	v_add_co_u32 v11, vcc_lo, s44, v11
	v_lshlrev_b64 v[15:16], 1, v[19:20]
	v_add_co_ci_u32_e32 v12, vcc_lo, s45, v12, vcc_lo
	v_add_co_u32 v13, vcc_lo, s44, v13
	v_add_co_ci_u32_e32 v14, vcc_lo, s45, v14, vcc_lo
	s_delay_alu instid0(VALU_DEP_4)
	v_add_co_u32 v15, vcc_lo, s44, v15
	s_add_i32 s7, s19, s6
	s_mul_i32 s6, s22, s15
	v_add_co_ci_u32_e32 v16, vcc_lo, s45, v16, vcc_lo
	s_lshl_b64 s[6:7], s[6:7], 1
	v_add_co_u32 v17, vcc_lo, s18, v17
	s_lshl_b64 s[18:19], s[24:25], 1
	s_add_u32 s6, s16, s6
	s_addc_u32 s7, s17, s7
	s_add_u32 s6, s6, s10
	s_addc_u32 s7, s7, s11
	s_add_u32 s6, s8, s6
	v_add_co_ci_u32_e32 v18, vcc_lo, s26, v18, vcc_lo
	s_addc_u32 s7, s9, s7
	v_add_co_u32 v7, vcc_lo, s6, v7
	v_cmp_gt_u32_e64 s2, 32, v0
	v_lshlrev_b32_e32 v21, 2, v24
	v_cmp_eq_u32_e64 s3, 0, v24
	v_and_b32_e32 v24, 28, v29
	v_cmp_gt_u32_e64 s4, 8, v0
	v_cmp_eq_u32_e64 s5, 0, v0
	v_mov_b32_e32 v0, 0
	v_add_co_ci_u32_e32 v8, vcc_lo, s7, v8, vcc_lo
	s_lshl_b64 s[8:9], s[22:23], 1
	s_branch .LBB575_58
.LBB575_57:                             ;   in Loop: Header=BB575_58 Depth=1
	s_or_b32 exec_lo, exec_lo, s6
	v_add_co_u32 v7, vcc_lo, v7, s8
	v_add_co_ci_u32_e32 v8, vcc_lo, s9, v8, vcc_lo
	s_add_i32 s15, s15, 1
	s_delay_alu instid0(SALU_CYCLE_1)
	s_cmp_ge_i32 s15, s13
	s_cbranch_scc1 .LBB575_79
.LBB575_58:                             ; =>This Loop Header: Depth=1
                                        ;     Child Loop BB575_71 Depth 2
                                        ;     Child Loop BB575_74 Depth 2
	v_mov_b32_e32 v25, s31
	s_and_saveexec_b32 s6, s0
	s_delay_alu instid0(SALU_CYCLE_1)
	s_xor_b32 s6, exec_lo, s6
	s_cbranch_execnz .LBB575_67
; %bb.59:                               ;   in Loop: Header=BB575_58 Depth=1
	s_and_not1_saveexec_b32 s16, s6
	s_cbranch_execnz .LBB575_68
.LBB575_60:                             ;   in Loop: Header=BB575_58 Depth=1
	s_or_b32 exec_lo, exec_lo, s16
	s_and_saveexec_b32 s6, s2
	s_cbranch_execz .LBB575_62
.LBB575_61:                             ;   in Loop: Header=BB575_58 Depth=1
	ds_store_b32 v21, v0
.LBB575_62:                             ;   in Loop: Header=BB575_58 Depth=1
	s_or_b32 exec_lo, exec_lo, s6
	s_waitcnt lgkmcnt(0)
	ds_bpermute_b32 v19, v22, v25
	s_waitcnt lgkmcnt(0)
	s_waitcnt_vscnt null, 0x0
	s_barrier
	buffer_gl0_inv
	v_add_f32_e32 v19, v25, v19
	ds_bpermute_b32 v20, v23, v19
	s_waitcnt lgkmcnt(0)
	v_add_f32_e32 v19, v19, v20
	ds_bpermute_b32 v20, v30, v19
	s_waitcnt lgkmcnt(0)
	;; [unrolled: 3-line block ×3, first 2 shown]
	v_add_f32_e32 v19, v19, v20
	ds_bpermute_b32 v20, v31, v19
	s_and_saveexec_b32 s6, s3
	s_cbranch_execz .LBB575_64
; %bb.63:                               ;   in Loop: Header=BB575_58 Depth=1
	s_waitcnt lgkmcnt(0)
	v_add_f32_e32 v19, v19, v20
	ds_store_b32 v24, v19
.LBB575_64:                             ;   in Loop: Header=BB575_58 Depth=1
	s_or_b32 exec_lo, exec_lo, s6
	v_mov_b32_e32 v19, 0
	s_waitcnt lgkmcnt(0)
	s_barrier
	buffer_gl0_inv
	s_and_saveexec_b32 s6, s4
	s_cbranch_execnz .LBB575_76
; %bb.65:                               ;   in Loop: Header=BB575_58 Depth=1
	s_or_b32 exec_lo, exec_lo, s6
	s_and_saveexec_b32 s6, s2
	s_cbranch_execnz .LBB575_77
.LBB575_66:                             ;   in Loop: Header=BB575_58 Depth=1
	s_or_b32 exec_lo, exec_lo, s6
	s_and_saveexec_b32 s6, s5
	s_cbranch_execz .LBB575_57
	s_branch .LBB575_78
.LBB575_67:                             ;   in Loop: Header=BB575_58 Depth=1
	s_mul_i32 s7, s15, s23
	s_mul_hi_u32 s11, s15, s22
	s_mul_i32 s10, s15, s22
	s_add_i32 s11, s11, s7
	s_delay_alu instid0(SALU_CYCLE_1) | instskip(NEXT) | instid1(SALU_CYCLE_1)
	s_lshl_b64 s[10:11], s[10:11], 1
	v_add_co_u32 v1, vcc_lo, v5, s10
	v_add_co_ci_u32_e32 v2, vcc_lo, s11, v6, vcc_lo
	global_load_u16 v3, v[9:10], off
	s_waitcnt lgkmcnt(0)
	global_load_b64 v[19:20], v[1:2], off
	s_clause 0x2
	global_load_u16 v2, v[11:12], off
	global_load_u16 v4, v[13:14], off
	;; [unrolled: 1-line block ×3, first 2 shown]
	s_waitcnt vmcnt(4)
	v_lshlrev_b32_e32 v1, 16, v3
	s_waitcnt vmcnt(3)
	v_lshlrev_b32_e32 v3, 16, v19
	v_and_b32_e32 v19, 0xffff0000, v19
	s_delay_alu instid0(VALU_DEP_2) | instskip(SKIP_4) | instid1(VALU_DEP_1)
	v_fma_f32 v25, v1, v3, 0
	s_waitcnt vmcnt(1)
	v_lshlrev_b32_e32 v3, 16, v4
	v_lshlrev_b32_e32 v2, 16, v2
	s_waitcnt vmcnt(0)
	v_dual_fmac_f32 v25, v2, v19 :: v_dual_lshlrev_b32 v4, 16, v26
	v_lshlrev_b32_e32 v19, 16, v20
	s_delay_alu instid0(VALU_DEP_1) | instskip(NEXT) | instid1(VALU_DEP_1)
	v_dual_fmac_f32 v25, v3, v19 :: v_dual_and_b32 v20, 0xffff0000, v20
	v_fmac_f32_e32 v25, v4, v20
	s_and_not1_saveexec_b32 s16, s6
	s_cbranch_execz .LBB575_60
.LBB575_68:                             ;   in Loop: Header=BB575_58 Depth=1
	s_and_saveexec_b32 s17, s1
	s_cbranch_execz .LBB575_75
; %bb.69:                               ;   in Loop: Header=BB575_58 Depth=1
	s_and_not1_b32 vcc_lo, exec_lo, s12
	s_cbranch_vccnz .LBB575_72
; %bb.70:                               ;   in Loop: Header=BB575_58 Depth=1
	s_waitcnt lgkmcnt(0)
	v_dual_mov_b32 v20, v18 :: v_dual_mov_b32 v19, v17
	s_mov_b64 s[10:11], 0
	.p2align	6
.LBB575_71:                             ;   Parent Loop BB575_58 Depth=1
                                        ; =>  This Inner Loop Header: Depth=2
	global_load_u16 v26, v[19:20], off
	v_add_co_u32 v19, vcc_lo, v19, s18
	s_cmp_eq_u32 s10, 3
	v_add_co_ci_u32_e32 v20, vcc_lo, s19, v20, vcc_lo
	s_cselect_b32 vcc_lo, -1, 0
	s_cmp_eq_u32 s10, 2
	s_cselect_b32 s6, -1, 0
	s_cmp_eq_u32 s10, 1
	s_cselect_b32 s7, -1, 0
	s_cmp_eq_u32 s10, 0
	s_waitcnt vmcnt(0)
	v_lshlrev_b32_e32 v26, 16, v26
	s_delay_alu instid0(VALU_DEP_1)
	v_cndmask_b32_e32 v4, v4, v26, vcc_lo
	s_cselect_b32 vcc_lo, -1, 0
	v_cndmask_b32_e64 v3, v3, v26, s6
	v_cndmask_b32_e64 v2, v2, v26, s7
	v_cndmask_b32_e32 v1, v1, v26, vcc_lo
	s_add_u32 s10, s10, 1
	s_addc_u32 s11, s11, 0
	s_cmp_eq_u32 s21, s10
	s_cbranch_scc0 .LBB575_71
.LBB575_72:                             ;   in Loop: Header=BB575_58 Depth=1
	s_and_not1_b32 vcc_lo, exec_lo, s12
	s_cbranch_vccnz .LBB575_75
; %bb.73:                               ;   in Loop: Header=BB575_58 Depth=1
	s_waitcnt lgkmcnt(0)
	v_dual_mov_b32 v20, v8 :: v_dual_mov_b32 v19, v7
	s_mov_b64 s[6:7], 0
	.p2align	6
.LBB575_74:                             ;   Parent Loop BB575_58 Depth=1
                                        ; =>  This Inner Loop Header: Depth=2
	global_load_u16 v26, v[19:20], off
	s_cmp_eq_u32 s6, 1
	s_cselect_b32 vcc_lo, -1, 0
	s_cmp_eq_u32 s6, 2
	v_cndmask_b32_e32 v28, v1, v2, vcc_lo
	s_cselect_b32 vcc_lo, -1, 0
	s_cmp_eq_u32 s6, 3
	s_delay_alu instid0(VALU_DEP_1)
	v_cndmask_b32_e32 v28, v28, v3, vcc_lo
	s_cselect_b32 vcc_lo, -1, 0
	s_add_u32 s6, s6, 1
	s_addc_u32 s7, s7, 0
	s_cmp_lg_u32 s21, s6
	v_cndmask_b32_e32 v28, v28, v4, vcc_lo
	v_add_co_u32 v19, vcc_lo, v19, 2
	v_add_co_ci_u32_e32 v20, vcc_lo, 0, v20, vcc_lo
	s_waitcnt vmcnt(0)
	v_lshlrev_b32_e32 v26, 16, v26
	s_delay_alu instid0(VALU_DEP_1)
	v_fmac_f32_e32 v25, v28, v26
	s_cbranch_scc1 .LBB575_74
.LBB575_75:                             ;   in Loop: Header=BB575_58 Depth=1
	s_or_b32 exec_lo, exec_lo, s17
	s_delay_alu instid0(SALU_CYCLE_1)
	s_or_b32 exec_lo, exec_lo, s16
	s_and_saveexec_b32 s6, s2
	s_cbranch_execnz .LBB575_61
	s_branch .LBB575_62
.LBB575_76:                             ;   in Loop: Header=BB575_58 Depth=1
	ds_load_b32 v19, v21
	s_or_b32 exec_lo, exec_lo, s6
	s_and_saveexec_b32 s6, s2
	s_cbranch_execz .LBB575_66
.LBB575_77:                             ;   in Loop: Header=BB575_58 Depth=1
	s_waitcnt lgkmcnt(0)
	ds_bpermute_b32 v20, v30, v19
	s_waitcnt lgkmcnt(0)
	v_add_f32_e32 v19, v19, v20
	ds_bpermute_b32 v20, v27, v19
	s_waitcnt lgkmcnt(0)
	v_add_f32_e32 v19, v19, v20
	;; [unrolled: 3-line block ×3, first 2 shown]
	s_or_b32 exec_lo, exec_lo, s6
	s_and_saveexec_b32 s6, s5
	s_cbranch_execz .LBB575_57
.LBB575_78:                             ;   in Loop: Header=BB575_58 Depth=1
	s_mul_hi_u32 s11, s15, s20
	s_mul_i32 s10, s15, s20
	s_waitcnt lgkmcnt(0)
	v_mul_f32_e32 v19, s33, v19
	s_lshl_b64 s[10:11], s[10:11], 2
	s_delay_alu instid0(SALU_CYCLE_1)
	s_add_u32 s10, s14, s10
	s_addc_u32 s11, s30, s11
	global_store_b32 v0, v19, s[10:11]
	s_branch .LBB575_57
.LBB575_79:
	s_nop 0
	s_sendmsg sendmsg(MSG_DEALLOC_VGPRS)
	s_endpgm
	.section	.rodata,"a",@progbits
	.p2align	6, 0x0
	.amdhsa_kernel _ZL23rocblas_gemvt_sn_kernelILb1ELi256ELi4El16rocblas_bfloat16PKffEviiT4_lPKT3_lilS6_lilPT5_i
		.amdhsa_group_segment_fixed_size 128
		.amdhsa_private_segment_fixed_size 0
		.amdhsa_kernarg_size 360
		.amdhsa_user_sgpr_count 14
		.amdhsa_user_sgpr_dispatch_ptr 0
		.amdhsa_user_sgpr_queue_ptr 0
		.amdhsa_user_sgpr_kernarg_segment_ptr 1
		.amdhsa_user_sgpr_dispatch_id 0
		.amdhsa_user_sgpr_private_segment_size 0
		.amdhsa_wavefront_size32 1
		.amdhsa_uses_dynamic_stack 0
		.amdhsa_enable_private_segment 0
		.amdhsa_system_sgpr_workgroup_id_x 1
		.amdhsa_system_sgpr_workgroup_id_y 0
		.amdhsa_system_sgpr_workgroup_id_z 1
		.amdhsa_system_sgpr_workgroup_info 0
		.amdhsa_system_vgpr_workitem_id 0
		.amdhsa_next_free_vgpr 56
		.amdhsa_next_free_sgpr 56
		.amdhsa_reserve_vcc 1
		.amdhsa_float_round_mode_32 0
		.amdhsa_float_round_mode_16_64 0
		.amdhsa_float_denorm_mode_32 3
		.amdhsa_float_denorm_mode_16_64 3
		.amdhsa_dx10_clamp 1
		.amdhsa_ieee_mode 1
		.amdhsa_fp16_overflow 0
		.amdhsa_workgroup_processor_mode 1
		.amdhsa_memory_ordered 1
		.amdhsa_forward_progress 0
		.amdhsa_shared_vgpr_count 0
		.amdhsa_exception_fp_ieee_invalid_op 0
		.amdhsa_exception_fp_denorm_src 0
		.amdhsa_exception_fp_ieee_div_zero 0
		.amdhsa_exception_fp_ieee_overflow 0
		.amdhsa_exception_fp_ieee_underflow 0
		.amdhsa_exception_fp_ieee_inexact 0
		.amdhsa_exception_int_div_zero 0
	.end_amdhsa_kernel
	.section	.text._ZL23rocblas_gemvt_sn_kernelILb1ELi256ELi4El16rocblas_bfloat16PKffEviiT4_lPKT3_lilS6_lilPT5_i,"axG",@progbits,_ZL23rocblas_gemvt_sn_kernelILb1ELi256ELi4El16rocblas_bfloat16PKffEviiT4_lPKT3_lilS6_lilPT5_i,comdat
.Lfunc_end575:
	.size	_ZL23rocblas_gemvt_sn_kernelILb1ELi256ELi4El16rocblas_bfloat16PKffEviiT4_lPKT3_lilS6_lilPT5_i, .Lfunc_end575-_ZL23rocblas_gemvt_sn_kernelILb1ELi256ELi4El16rocblas_bfloat16PKffEviiT4_lPKT3_lilS6_lilPT5_i
                                        ; -- End function
	.section	.AMDGPU.csdata,"",@progbits
; Kernel info:
; codeLenInByte = 4380
; NumSgprs: 58
; NumVgprs: 56
; ScratchSize: 0
; MemoryBound: 0
; FloatMode: 240
; IeeeMode: 1
; LDSByteSize: 128 bytes/workgroup (compile time only)
; SGPRBlocks: 7
; VGPRBlocks: 6
; NumSGPRsForWavesPerEU: 58
; NumVGPRsForWavesPerEU: 56
; Occupancy: 16
; WaveLimiterHint : 1
; COMPUTE_PGM_RSRC2:SCRATCH_EN: 0
; COMPUTE_PGM_RSRC2:USER_SGPR: 14
; COMPUTE_PGM_RSRC2:TRAP_HANDLER: 0
; COMPUTE_PGM_RSRC2:TGID_X_EN: 1
; COMPUTE_PGM_RSRC2:TGID_Y_EN: 0
; COMPUTE_PGM_RSRC2:TGID_Z_EN: 1
; COMPUTE_PGM_RSRC2:TIDIG_COMP_CNT: 0
	.section	.text._ZL23rocblas_gemvt_sn_kernelILb1ELi256ELi4Ei16rocblas_bfloat16ffEviiT4_lPKT3_lilS4_lilPT5_i,"axG",@progbits,_ZL23rocblas_gemvt_sn_kernelILb1ELi256ELi4Ei16rocblas_bfloat16ffEviiT4_lPKT3_lilS4_lilPT5_i,comdat
	.globl	_ZL23rocblas_gemvt_sn_kernelILb1ELi256ELi4Ei16rocblas_bfloat16ffEviiT4_lPKT3_lilS4_lilPT5_i ; -- Begin function _ZL23rocblas_gemvt_sn_kernelILb1ELi256ELi4Ei16rocblas_bfloat16ffEviiT4_lPKT3_lilS4_lilPT5_i
	.p2align	8
	.type	_ZL23rocblas_gemvt_sn_kernelILb1ELi256ELi4Ei16rocblas_bfloat16ffEviiT4_lPKT3_lilS4_lilPT5_i,@function
_ZL23rocblas_gemvt_sn_kernelILb1ELi256ELi4Ei16rocblas_bfloat16ffEviiT4_lPKT3_lilS4_lilPT5_i: ; @_ZL23rocblas_gemvt_sn_kernelILb1ELi256ELi4Ei16rocblas_bfloat16ffEviiT4_lPKT3_lilS4_lilPT5_i
; %bb.0:
	s_clause 0x2
	s_load_b128 s[8:11], s[0:1], 0x0
	s_load_b32 s12, s[0:1], 0x68
	s_load_b128 s[4:7], s[0:1], 0x50
	s_waitcnt lgkmcnt(0)
	s_ashr_i32 s21, s9, 31
	s_mul_hi_u32 s2, s9, s15
	s_mul_i32 s3, s21, s15
	s_mul_i32 s11, s9, s15
	s_add_i32 s2, s2, s3
	s_mul_hi_u32 s3, s11, s12
	s_mul_i32 s13, s2, s12
	s_mul_i32 s2, s11, s12
	s_add_i32 s3, s3, s13
	v_cmp_neq_f32_e64 s11, s10, 0
	s_lshl_b64 s[2:3], s[2:3], 2
	s_mov_b32 s13, 0
	s_add_u32 s38, s6, s2
	v_cmp_eq_u32_e64 s2, 0, v0
	s_addc_u32 s37, s7, s3
	s_and_b32 vcc_lo, exec_lo, s11
	s_cbranch_vccnz .LBB576_5
; %bb.1:
	s_cmp_gt_i32 s9, 0
	s_cselect_b32 s3, -1, 0
	s_delay_alu instid0(SALU_CYCLE_1) | instskip(NEXT) | instid1(SALU_CYCLE_1)
	s_and_b32 s2, s2, s3
	s_and_saveexec_b32 s11, s2
	s_cbranch_execz .LBB576_4
; %bb.2:
	s_mov_b32 s2, s15
	s_mov_b32 s15, 0
	v_mov_b32_e32 v1, 0
	s_lshl_b64 s[6:7], s[14:15], 2
	s_mov_b32 s15, s2
	s_add_u32 s2, s38, s6
	s_addc_u32 s3, s37, s7
	s_lshl_b64 s[6:7], s[12:13], 2
	s_mov_b32 s13, s9
.LBB576_3:                              ; =>This Inner Loop Header: Depth=1
	s_delay_alu instid0(SALU_CYCLE_1)
	s_add_i32 s13, s13, -1
	global_store_b32 v1, v1, s[2:3]
	s_add_u32 s2, s2, s6
	s_addc_u32 s3, s3, s7
	s_cmp_eq_u32 s13, 0
	s_cbranch_scc0 .LBB576_3
.LBB576_4:
	s_or_b32 exec_lo, exec_lo, s11
	s_cbranch_execz .LBB576_6
	s_branch .LBB576_79
.LBB576_5:
.LBB576_6:
	s_clause 0x2
	s_load_b128 s[24:27], s[0:1], 0x30
	s_load_b64 s[2:3], s[0:1], 0x40
	s_load_b128 s[16:19], s[0:1], 0x18
	s_mul_i32 s5, s15, s5
	s_mul_hi_u32 s6, s15, s4
	s_mul_i32 s4, s15, s4
	s_add_i32 s5, s6, s5
	s_clause 0x1
	s_load_b32 s20, s[0:1], 0x28
	s_load_b32 s33, s[0:1], 0x48
	s_lshl_b64 s[4:5], s[4:5], 1
	v_and_b32_e32 v6, 31, v0
	v_cmp_gt_u32_e64 s0, 32, v0
	v_mbcnt_lo_u32_b32 v22, -1, 0
	v_lshrrev_b32_e32 v23, 3, v0
	s_waitcnt lgkmcnt(0)
	s_add_u32 s6, s26, s4
	s_addc_u32 s5, s27, s5
	s_lshl_b64 s[2:3], s[2:3], 1
	s_mul_i32 s7, s15, s25
	s_mul_hi_u32 s22, s15, s24
	s_add_u32 s11, s6, s2
	s_mul_i32 s4, s15, s24
	s_addc_u32 s13, s5, s3
	s_add_i32 s5, s22, s7
	s_delay_alu instid0(SALU_CYCLE_1) | instskip(NEXT) | instid1(SALU_CYCLE_1)
	s_lshl_b64 s[22:23], s[4:5], 1
	s_add_u32 s1, s16, s22
	s_addc_u32 s2, s17, s23
	s_lshl_b64 s[18:19], s[18:19], 1
	s_delay_alu instid0(SALU_CYCLE_1)
	s_add_u32 s3, s1, s18
	s_addc_u32 s2, s2, s19
	s_lshl_b32 s1, s14, 10
	s_ashr_i32 s4, s8, 31
	v_lshl_or_b32 v1, v0, 2, s1
	s_lshr_b32 s4, s4, 30
	s_lshr_b32 s5, s21, 30
	s_add_i32 s4, s8, s4
	s_add_i32 s5, s9, s5
	v_ashrrev_i32_e32 v2, 31, v1
	s_and_b32 s4, s4, -4
	v_mul_lo_u32 v5, v1, s33
	s_sub_i32 s36, s8, s4
	v_cmp_gt_u32_e64 s1, 8, v0
	v_lshlrev_b64 v[7:8], 1, v[1:2]
	v_add_nc_u32_e32 v24, 4, v1
	v_add_nc_u32_e32 v25, s36, v1
	s_and_b32 s15, s5, -4
	s_delay_alu instid0(SALU_CYCLE_1) | instskip(NEXT) | instid1(VALU_DEP_3)
	s_cmp_lt_i32 s15, 1
	v_add_co_u32 v20, vcc_lo, s3, v7
	v_add_co_ci_u32_e32 v21, vcc_lo, s2, v8, vcc_lo
	s_cbranch_scc1 .LBB576_54
; %bb.7:
	v_cmp_gt_u32_e32 vcc_lo, 16, v22
	v_mul_lo_u32 v9, v1, s33
	s_cmp_gt_i32 s36, 0
	s_mov_b32 s25, 0
	s_cselect_b32 s39, -1, 0
	v_cndmask_b32_e64 v2, 0, 1, vcc_lo
	v_cmp_gt_u32_e32 vcc_lo, 24, v22
	s_lshl_b32 s40, s20, 2
	s_lshl_b32 s24, s20, 1
	s_add_u32 s6, s22, s18
	v_dual_mov_b32 v35, 0 :: v_dual_lshlrev_b32 v2, 4, v2
	v_cndmask_b32_e64 v3, 0, 1, vcc_lo
	v_cmp_gt_u32_e32 vcc_lo, 28, v22
	s_addc_u32 s7, s23, s19
	s_delay_alu instid0(VALU_DEP_3)
	v_add_lshl_u32 v26, v2, v22, 2
	s_add_u32 s6, s16, s6
	v_lshlrev_b32_e32 v2, 3, v3
	v_cndmask_b32_e64 v4, 0, 1, vcc_lo
	v_cmp_gt_u32_e32 vcc_lo, 30, v22
	s_addc_u32 s7, s17, s7
	v_cmp_ge_i32_e64 s2, s8, v24
	v_add_lshl_u32 v27, v2, v22, 2
	v_lshlrev_b32_e32 v3, 2, v4
	v_cndmask_b32_e64 v10, 0, 1, vcc_lo
	v_cmp_ne_u32_e32 vcc_lo, 31, v22
	v_cmp_ge_i32_e64 s3, s8, v25
	v_cmp_eq_u32_e64 s4, 0, v6
	v_add_lshl_u32 v28, v3, v22, 2
	v_lshlrev_b32_e32 v1, 1, v10
	v_ashrrev_i32_e32 v10, 31, v9
	v_add_co_ci_u32_e32 v4, vcc_lo, 0, v22, vcc_lo
	v_lshlrev_b32_e32 v31, 2, v6
	s_delay_alu instid0(VALU_DEP_4)
	v_add_lshl_u32 v29, v1, v22, 2
	v_add_nc_u32_e32 v1, s33, v9
	v_lshlrev_b64 v[10:11], 1, v[9:10]
	v_lshlrev_b32_e32 v30, 2, v4
	v_and_b32_e32 v32, 28, v23
	v_cmp_eq_u32_e64 s5, 0, v0
	v_add_nc_u32_e32 v3, s33, v1
	v_ashrrev_i32_e32 v2, 31, v1
	v_add_co_u32 v10, vcc_lo, s11, v10
	v_add_co_ci_u32_e32 v11, vcc_lo, s13, v11, vcc_lo
	s_delay_alu instid0(VALU_DEP_4) | instskip(NEXT) | instid1(VALU_DEP_4)
	v_add_nc_u32_e32 v14, s33, v3
	v_lshlrev_b64 v[1:2], 1, v[1:2]
	v_ashrrev_i32_e32 v4, 31, v3
	s_mov_b32 s21, s25
	s_mul_i32 s41, s20, 3
	v_ashrrev_i32_e32 v15, 31, v14
	s_mov_b32 s42, s25
	v_lshlrev_b64 v[3:4], 1, v[3:4]
	v_add_co_u32 v12, vcc_lo, s11, v1
	v_add_co_ci_u32_e32 v13, vcc_lo, s13, v2, vcc_lo
	v_lshlrev_b64 v[1:2], 1, v[14:15]
	s_delay_alu instid0(VALU_DEP_4) | instskip(SKIP_2) | instid1(VALU_DEP_3)
	v_add_co_u32 v14, vcc_lo, s11, v3
	v_add_co_ci_u32_e32 v15, vcc_lo, s13, v4, vcc_lo
	s_mov_b32 s26, s25
	v_add_co_u32 v16, vcc_lo, s11, v1
	s_delay_alu instid0(VALU_DEP_4)
	v_add_co_ci_u32_e32 v17, vcc_lo, s13, v2, vcc_lo
	v_add_co_u32 v33, vcc_lo, s6, v7
	v_add_co_ci_u32_e32 v34, vcc_lo, s7, v8, vcc_lo
	s_mov_b64 s[28:29], s[24:25]
	s_mov_b64 s[30:31], s[20:21]
	s_mov_b32 s21, 0
                                        ; implicit-def: $vgpr1_vgpr2_vgpr3_vgpr4
	s_branch .LBB576_9
.LBB576_8:                              ;   in Loop: Header=BB576_9 Depth=1
	s_or_b32 exec_lo, exec_lo, s6
	s_add_i32 s21, s21, 4
	s_add_u32 s30, s30, s40
	s_addc_u32 s31, s31, 0
	s_add_u32 s28, s28, s40
	s_addc_u32 s29, s29, 0
	;; [unrolled: 2-line block ×3, first 2 shown]
	s_add_i32 s26, s26, s40
	s_cmp_ge_i32 s21, s15
	s_cbranch_scc1 .LBB576_55
.LBB576_9:                              ; =>This Loop Header: Depth=1
                                        ;     Child Loop BB576_40 Depth 2
                                        ;     Child Loop BB576_43 Depth 2
                                        ; implicit-def: $vgpr36
                                        ; implicit-def: $vgpr37
                                        ; implicit-def: $vgpr38
                                        ; implicit-def: $vgpr39
	s_and_saveexec_b32 s6, s2
	s_delay_alu instid0(SALU_CYCLE_1)
	s_xor_b32 s6, exec_lo, s6
	s_cbranch_execnz .LBB576_36
; %bb.10:                               ;   in Loop: Header=BB576_9 Depth=1
	s_and_not1_saveexec_b32 s24, s6
	s_cbranch_execnz .LBB576_37
.LBB576_11:                             ;   in Loop: Header=BB576_9 Depth=1
	s_or_b32 exec_lo, exec_lo, s24
	s_and_saveexec_b32 s6, s0
	s_cbranch_execz .LBB576_13
.LBB576_12:                             ;   in Loop: Header=BB576_9 Depth=1
	ds_store_b32 v31, v35
.LBB576_13:                             ;   in Loop: Header=BB576_9 Depth=1
	s_or_b32 exec_lo, exec_lo, s6
	ds_bpermute_b32 v18, v26, v39
	s_waitcnt lgkmcnt(0)
	s_waitcnt_vscnt null, 0x0
	s_barrier
	buffer_gl0_inv
	v_add_f32_e32 v18, v39, v18
	ds_bpermute_b32 v19, v27, v18
	s_waitcnt lgkmcnt(0)
	v_add_f32_e32 v18, v18, v19
	ds_bpermute_b32 v19, v28, v18
	s_waitcnt lgkmcnt(0)
	;; [unrolled: 3-line block ×3, first 2 shown]
	v_add_f32_e32 v18, v18, v19
	ds_bpermute_b32 v19, v30, v18
	s_and_saveexec_b32 s6, s4
	s_cbranch_execz .LBB576_15
; %bb.14:                               ;   in Loop: Header=BB576_9 Depth=1
	s_waitcnt lgkmcnt(0)
	v_add_f32_e32 v18, v18, v19
	ds_store_b32 v32, v18
.LBB576_15:                             ;   in Loop: Header=BB576_9 Depth=1
	s_or_b32 exec_lo, exec_lo, s6
	v_mov_b32_e32 v18, 0
	s_waitcnt lgkmcnt(0)
	s_barrier
	buffer_gl0_inv
	s_and_saveexec_b32 s6, s1
	s_cbranch_execnz .LBB576_45
; %bb.16:                               ;   in Loop: Header=BB576_9 Depth=1
	s_or_b32 exec_lo, exec_lo, s6
	s_and_saveexec_b32 s6, s0
	s_cbranch_execnz .LBB576_46
.LBB576_17:                             ;   in Loop: Header=BB576_9 Depth=1
	s_or_b32 exec_lo, exec_lo, s6
	s_and_saveexec_b32 s6, s0
	s_cbranch_execz .LBB576_19
.LBB576_18:                             ;   in Loop: Header=BB576_9 Depth=1
	ds_store_b32 v31, v35
.LBB576_19:                             ;   in Loop: Header=BB576_9 Depth=1
	s_or_b32 exec_lo, exec_lo, s6
	ds_bpermute_b32 v19, v26, v38
	s_waitcnt lgkmcnt(0)
	s_barrier
	buffer_gl0_inv
	v_add_f32_e32 v19, v38, v19
	ds_bpermute_b32 v38, v27, v19
	s_waitcnt lgkmcnt(0)
	v_add_f32_e32 v19, v19, v38
	ds_bpermute_b32 v38, v28, v19
	s_waitcnt lgkmcnt(0)
	v_add_f32_e32 v19, v19, v38
	ds_bpermute_b32 v38, v29, v19
	s_waitcnt lgkmcnt(0)
	v_add_f32_e32 v19, v19, v38
	ds_bpermute_b32 v38, v30, v19
	s_and_saveexec_b32 s6, s4
	s_cbranch_execz .LBB576_21
; %bb.20:                               ;   in Loop: Header=BB576_9 Depth=1
	s_waitcnt lgkmcnt(0)
	v_add_f32_e32 v19, v19, v38
	ds_store_b32 v32, v19
.LBB576_21:                             ;   in Loop: Header=BB576_9 Depth=1
	s_or_b32 exec_lo, exec_lo, s6
	v_mov_b32_e32 v19, 0
	s_waitcnt lgkmcnt(0)
	s_barrier
	buffer_gl0_inv
	s_and_saveexec_b32 s6, s1
	s_cbranch_execnz .LBB576_47
; %bb.22:                               ;   in Loop: Header=BB576_9 Depth=1
	s_or_b32 exec_lo, exec_lo, s6
	s_and_saveexec_b32 s6, s0
	s_cbranch_execnz .LBB576_48
.LBB576_23:                             ;   in Loop: Header=BB576_9 Depth=1
	s_or_b32 exec_lo, exec_lo, s6
	s_and_saveexec_b32 s6, s0
	s_cbranch_execz .LBB576_25
.LBB576_24:                             ;   in Loop: Header=BB576_9 Depth=1
	ds_store_b32 v31, v35
.LBB576_25:                             ;   in Loop: Header=BB576_9 Depth=1
	s_or_b32 exec_lo, exec_lo, s6
	ds_bpermute_b32 v38, v26, v37
	s_waitcnt lgkmcnt(0)
	s_barrier
	buffer_gl0_inv
	v_add_f32_e32 v37, v37, v38
	ds_bpermute_b32 v38, v27, v37
	s_waitcnt lgkmcnt(0)
	v_add_f32_e32 v37, v37, v38
	ds_bpermute_b32 v38, v28, v37
	s_waitcnt lgkmcnt(0)
	;; [unrolled: 3-line block ×3, first 2 shown]
	v_add_f32_e32 v37, v37, v38
	ds_bpermute_b32 v38, v30, v37
	s_and_saveexec_b32 s6, s4
	s_cbranch_execz .LBB576_27
; %bb.26:                               ;   in Loop: Header=BB576_9 Depth=1
	s_waitcnt lgkmcnt(0)
	v_add_f32_e32 v37, v37, v38
	ds_store_b32 v32, v37
.LBB576_27:                             ;   in Loop: Header=BB576_9 Depth=1
	s_or_b32 exec_lo, exec_lo, s6
	v_mov_b32_e32 v37, 0
	s_waitcnt lgkmcnt(0)
	s_barrier
	buffer_gl0_inv
	s_and_saveexec_b32 s6, s1
	s_cbranch_execnz .LBB576_49
; %bb.28:                               ;   in Loop: Header=BB576_9 Depth=1
	s_or_b32 exec_lo, exec_lo, s6
	s_and_saveexec_b32 s6, s0
	s_cbranch_execnz .LBB576_50
.LBB576_29:                             ;   in Loop: Header=BB576_9 Depth=1
	s_or_b32 exec_lo, exec_lo, s6
	s_and_saveexec_b32 s6, s0
	s_cbranch_execz .LBB576_31
.LBB576_30:                             ;   in Loop: Header=BB576_9 Depth=1
	ds_store_b32 v31, v35
.LBB576_31:                             ;   in Loop: Header=BB576_9 Depth=1
	s_or_b32 exec_lo, exec_lo, s6
	ds_bpermute_b32 v38, v26, v36
	s_waitcnt lgkmcnt(0)
	s_barrier
	buffer_gl0_inv
	v_add_f32_e32 v36, v36, v38
	ds_bpermute_b32 v38, v27, v36
	s_waitcnt lgkmcnt(0)
	v_add_f32_e32 v36, v36, v38
	ds_bpermute_b32 v38, v28, v36
	s_waitcnt lgkmcnt(0)
	;; [unrolled: 3-line block ×3, first 2 shown]
	v_add_f32_e32 v36, v36, v38
	ds_bpermute_b32 v38, v30, v36
	s_and_saveexec_b32 s6, s4
	s_cbranch_execz .LBB576_33
; %bb.32:                               ;   in Loop: Header=BB576_9 Depth=1
	s_waitcnt lgkmcnt(0)
	v_add_f32_e32 v36, v36, v38
	ds_store_b32 v32, v36
.LBB576_33:                             ;   in Loop: Header=BB576_9 Depth=1
	s_or_b32 exec_lo, exec_lo, s6
	v_mov_b32_e32 v36, 0
	s_waitcnt lgkmcnt(0)
	s_barrier
	buffer_gl0_inv
	s_and_saveexec_b32 s6, s1
	s_cbranch_execnz .LBB576_51
; %bb.34:                               ;   in Loop: Header=BB576_9 Depth=1
	s_or_b32 exec_lo, exec_lo, s6
	s_and_saveexec_b32 s6, s0
	s_cbranch_execnz .LBB576_52
.LBB576_35:                             ;   in Loop: Header=BB576_9 Depth=1
	s_or_b32 exec_lo, exec_lo, s6
	s_and_saveexec_b32 s6, s5
	s_cbranch_execz .LBB576_8
	s_branch .LBB576_53
.LBB576_36:                             ;   in Loop: Header=BB576_9 Depth=1
	s_mul_i32 s34, s21, s20
	s_delay_alu instid0(SALU_CYCLE_1)
	s_ashr_i32 s35, s34, 31
	s_add_i32 s44, s34, s20
	s_lshl_b64 s[34:35], s[34:35], 1
	s_ashr_i32 s45, s44, 31
	v_add_co_u32 v1, vcc_lo, v20, s34
	v_add_co_ci_u32_e32 v2, vcc_lo, s35, v21, vcc_lo
	s_lshl_b64 s[34:35], s[44:45], 1
	s_delay_alu instid0(SALU_CYCLE_1)
	v_add_co_u32 v3, vcc_lo, v20, s34
	s_add_i32 s34, s44, s20
	v_add_co_ci_u32_e32 v4, vcc_lo, s35, v21, vcc_lo
	s_ashr_i32 s35, s34, 31
	s_add_i32 s44, s34, s20
	s_lshl_b64 s[34:35], s[34:35], 1
	global_load_b64 v[18:19], v[1:2], off
	s_waitcnt lgkmcnt(0)
	global_load_b64 v[36:37], v[3:4], off
	s_ashr_i32 s45, s44, 31
	v_add_co_u32 v1, vcc_lo, v20, s34
	v_add_co_ci_u32_e32 v2, vcc_lo, s35, v21, vcc_lo
	s_lshl_b64 s[34:35], s[44:45], 1
	s_clause 0x3
	global_load_u16 v38, v[10:11], off
	global_load_u16 v43, v[12:13], off
	;; [unrolled: 1-line block ×4, first 2 shown]
	v_add_co_u32 v3, vcc_lo, v20, s34
	v_add_co_ci_u32_e32 v4, vcc_lo, s35, v21, vcc_lo
	s_clause 0x1
	global_load_b64 v[39:40], v[1:2], off
	global_load_b64 v[41:42], v[3:4], off
	s_waitcnt vmcnt(1)
	v_and_b32_e32 v48, 0xffff0000, v39
	v_lshlrev_b32_e32 v49, 16, v40
	s_waitcnt vmcnt(0)
	v_lshlrev_b32_e32 v50, 16, v41
	v_and_b32_e32 v41, 0xffff0000, v41
	v_lshlrev_b32_e32 v3, 16, v44
	v_lshlrev_b32_e32 v2, 16, v43
	;; [unrolled: 1-line block ×4, first 2 shown]
	v_and_b32_e32 v47, 0xffff0000, v37
	v_and_b32_e32 v45, 0xffff0000, v36
	v_lshlrev_b32_e32 v1, 16, v38
	v_lshlrev_b32_e32 v38, 16, v18
	;; [unrolled: 1-line block ×4, first 2 shown]
	s_delay_alu instid0(VALU_DEP_3) | instskip(SKIP_2) | instid1(VALU_DEP_2)
	v_fma_f32 v39, v1, v38, 0
	v_fma_f32 v38, v1, v44, 0
	v_lshlrev_b32_e32 v44, 16, v42
	v_fmac_f32_e32 v38, v2, v45
	v_fma_f32 v37, v1, v36, 0
	v_fma_f32 v36, v1, v50, 0
	s_delay_alu instid0(VALU_DEP_2) | instskip(NEXT) | instid1(VALU_DEP_1)
	v_fmac_f32_e32 v37, v2, v48
	v_fmac_f32_e32 v37, v3, v49
	s_delay_alu instid0(VALU_DEP_3) | instskip(SKIP_2) | instid1(VALU_DEP_3)
	v_dual_fmac_f32 v36, v2, v41 :: v_dual_lshlrev_b32 v43, 16, v19
	v_fmac_f32_e32 v38, v3, v46
	v_and_b32_e32 v18, 0xffff0000, v18
	v_dual_fmac_f32 v36, v3, v44 :: v_dual_and_b32 v19, 0xffff0000, v19
	s_delay_alu instid0(VALU_DEP_2) | instskip(NEXT) | instid1(VALU_DEP_1)
	v_dual_fmac_f32 v39, v2, v18 :: v_dual_and_b32 v18, 0xffff0000, v40
	v_dual_fmac_f32 v39, v3, v43 :: v_dual_and_b32 v40, 0xffff0000, v42
	s_delay_alu instid0(VALU_DEP_2) | instskip(NEXT) | instid1(VALU_DEP_2)
	v_fmac_f32_e32 v37, v4, v18
	v_fmac_f32_e32 v36, v4, v40
	;; [unrolled: 1-line block ×3, first 2 shown]
	s_delay_alu instid0(VALU_DEP_4)
	v_fmac_f32_e32 v39, v4, v19
	s_and_not1_saveexec_b32 s24, s6
	s_cbranch_execz .LBB576_11
.LBB576_37:                             ;   in Loop: Header=BB576_9 Depth=1
	s_waitcnt lgkmcnt(0)
	v_dual_mov_b32 v36, 0 :: v_dual_mov_b32 v37, 0
	v_dual_mov_b32 v38, 0 :: v_dual_mov_b32 v39, 0
	s_and_saveexec_b32 s43, s3
	s_cbranch_execz .LBB576_44
; %bb.38:                               ;   in Loop: Header=BB576_9 Depth=1
	s_and_not1_b32 vcc_lo, exec_lo, s39
	s_cbranch_vccnz .LBB576_41
; %bb.39:                               ;   in Loop: Header=BB576_9 Depth=1
	v_mov_b32_e32 v18, v9
	s_mov_b64 s[34:35], 0
	.p2align	6
.LBB576_40:                             ;   Parent Loop BB576_9 Depth=1
                                        ; =>  This Inner Loop Header: Depth=2
	s_delay_alu instid0(VALU_DEP_1) | instskip(SKIP_1) | instid1(VALU_DEP_1)
	v_ashrrev_i32_e32 v19, 31, v18
	s_cmp_eq_u32 s34, 3
	v_lshlrev_b64 v[36:37], 1, v[18:19]
	s_delay_alu instid0(VALU_DEP_1) | instskip(NEXT) | instid1(VALU_DEP_2)
	v_add_co_u32 v36, vcc_lo, s11, v36
	v_add_co_ci_u32_e32 v37, vcc_lo, s13, v37, vcc_lo
	s_cselect_b32 vcc_lo, -1, 0
	s_cmp_eq_u32 s34, 2
	s_cselect_b32 s6, -1, 0
	global_load_u16 v19, v[36:37], off
	s_cmp_eq_u32 s34, 1
	s_cselect_b32 s7, -1, 0
	s_cmp_eq_u32 s34, 0
	s_waitcnt vmcnt(0)
	v_lshlrev_b32_e32 v19, 16, v19
	s_delay_alu instid0(VALU_DEP_1)
	v_cndmask_b32_e32 v4, v4, v19, vcc_lo
	s_cselect_b32 vcc_lo, -1, 0
	v_dual_cndmask_b32 v1, v1, v19 :: v_dual_add_nc_u32 v18, s33, v18
	v_cndmask_b32_e64 v3, v3, v19, s6
	v_cndmask_b32_e64 v2, v2, v19, s7
	s_add_u32 s34, s34, 1
	s_addc_u32 s35, s35, 0
	s_cmp_eq_u32 s36, s34
	s_cbranch_scc0 .LBB576_40
.LBB576_41:                             ;   in Loop: Header=BB576_9 Depth=1
	v_dual_mov_b32 v36, 0 :: v_dual_mov_b32 v37, 0
	v_dual_mov_b32 v38, 0 :: v_dual_mov_b32 v39, 0
	s_and_not1_b32 vcc_lo, exec_lo, s39
	s_cbranch_vccnz .LBB576_44
; %bb.42:                               ;   in Loop: Header=BB576_9 Depth=1
	s_ashr_i32 s27, s26, 31
	v_dual_mov_b32 v39, 0 :: v_dual_mov_b32 v38, 0
	s_lshl_b64 s[6:7], s[26:27], 1
	v_dual_mov_b32 v37, 0 :: v_dual_mov_b32 v36, 0
	v_add_co_u32 v18, vcc_lo, v33, s6
	v_add_co_ci_u32_e32 v19, vcc_lo, s7, v34, vcc_lo
	s_mov_b64 s[34:35], 0
.LBB576_43:                             ;   Parent Loop BB576_9 Depth=1
                                        ; =>  This Inner Loop Header: Depth=2
	s_delay_alu instid0(SALU_CYCLE_1)
	s_cmp_eq_u32 s34, 1
	s_cselect_b32 vcc_lo, -1, 0
	s_cmp_eq_u32 s34, 2
	v_cndmask_b32_e32 v40, v1, v2, vcc_lo
	s_cselect_b32 vcc_lo, -1, 0
	s_cmp_eq_u32 s34, 3
	s_delay_alu instid0(VALU_DEP_1)
	v_cndmask_b32_e32 v46, v40, v3, vcc_lo
	s_cselect_b32 vcc_lo, -1, 0
	s_add_i32 s6, s30, s34
	s_add_i32 s44, s28, s34
	s_ashr_i32 s7, s6, 31
	s_ashr_i32 s45, s44, 31
	s_lshl_b64 s[6:7], s[6:7], 1
	s_add_i32 s46, s41, s34
	v_add_co_u32 v40, s6, v20, s6
	s_lshl_b64 s[44:45], s[44:45], 1
	s_ashr_i32 s47, s46, 31
	v_add_co_ci_u32_e64 v41, s6, s7, v21, s6
	v_add_co_u32 v42, s6, v20, s44
	s_lshl_b64 s[46:47], s[46:47], 1
	v_add_co_ci_u32_e64 v43, s6, s45, v21, s6
	v_add_co_u32 v44, s6, v20, s46
	s_delay_alu instid0(VALU_DEP_1)
	v_add_co_ci_u32_e64 v45, s6, s47, v21, s6
	global_load_u16 v47, v[18:19], off
	s_clause 0x2
	global_load_u16 v40, v[40:41], off
	global_load_u16 v41, v[42:43], off
	;; [unrolled: 1-line block ×3, first 2 shown]
	v_add_co_u32 v18, s6, v18, 2
	s_delay_alu instid0(VALU_DEP_1)
	v_add_co_ci_u32_e64 v19, s6, 0, v19, s6
	s_add_u32 s34, s34, 1
	s_addc_u32 s35, s35, 0
	s_cmp_lg_u32 s36, s34
	s_waitcnt vmcnt(2)
	v_lshlrev_b32_e32 v40, 16, v40
	s_waitcnt vmcnt(1)
	v_lshlrev_b32_e32 v41, 16, v41
	v_dual_cndmask_b32 v43, v46, v4 :: v_dual_lshlrev_b32 v44, 16, v47
	s_waitcnt vmcnt(0)
	s_delay_alu instid0(VALU_DEP_1) | instskip(NEXT) | instid1(VALU_DEP_2)
	v_dual_fmac_f32 v37, v43, v41 :: v_dual_lshlrev_b32 v42, 16, v42
	v_fmac_f32_e32 v39, v43, v44
	v_fmac_f32_e32 v38, v43, v40
	s_delay_alu instid0(VALU_DEP_3)
	v_fmac_f32_e32 v36, v43, v42
	s_cbranch_scc1 .LBB576_43
.LBB576_44:                             ;   in Loop: Header=BB576_9 Depth=1
	s_or_b32 exec_lo, exec_lo, s43
	s_delay_alu instid0(SALU_CYCLE_1)
	s_or_b32 exec_lo, exec_lo, s24
	s_and_saveexec_b32 s6, s0
	s_cbranch_execnz .LBB576_12
	s_branch .LBB576_13
.LBB576_45:                             ;   in Loop: Header=BB576_9 Depth=1
	ds_load_b32 v18, v31
	s_or_b32 exec_lo, exec_lo, s6
	s_and_saveexec_b32 s6, s0
	s_cbranch_execz .LBB576_17
.LBB576_46:                             ;   in Loop: Header=BB576_9 Depth=1
	s_waitcnt lgkmcnt(0)
	ds_bpermute_b32 v19, v28, v18
	s_waitcnt lgkmcnt(0)
	v_add_f32_e32 v18, v18, v19
	ds_bpermute_b32 v19, v29, v18
	s_waitcnt lgkmcnt(0)
	v_add_f32_e32 v18, v18, v19
	;; [unrolled: 3-line block ×3, first 2 shown]
	s_or_b32 exec_lo, exec_lo, s6
	s_and_saveexec_b32 s6, s0
	s_cbranch_execnz .LBB576_18
	s_branch .LBB576_19
.LBB576_47:                             ;   in Loop: Header=BB576_9 Depth=1
	ds_load_b32 v19, v31
	s_or_b32 exec_lo, exec_lo, s6
	s_and_saveexec_b32 s6, s0
	s_cbranch_execz .LBB576_23
.LBB576_48:                             ;   in Loop: Header=BB576_9 Depth=1
	s_waitcnt lgkmcnt(0)
	ds_bpermute_b32 v38, v28, v19
	s_waitcnt lgkmcnt(0)
	v_add_f32_e32 v19, v19, v38
	ds_bpermute_b32 v38, v29, v19
	s_waitcnt lgkmcnt(0)
	v_add_f32_e32 v19, v19, v38
	;; [unrolled: 3-line block ×3, first 2 shown]
	s_or_b32 exec_lo, exec_lo, s6
	s_and_saveexec_b32 s6, s0
	s_cbranch_execnz .LBB576_24
	s_branch .LBB576_25
.LBB576_49:                             ;   in Loop: Header=BB576_9 Depth=1
	ds_load_b32 v37, v31
	s_or_b32 exec_lo, exec_lo, s6
	s_and_saveexec_b32 s6, s0
	s_cbranch_execz .LBB576_29
.LBB576_50:                             ;   in Loop: Header=BB576_9 Depth=1
	s_waitcnt lgkmcnt(0)
	ds_bpermute_b32 v38, v28, v37
	s_waitcnt lgkmcnt(0)
	v_add_f32_e32 v37, v37, v38
	ds_bpermute_b32 v38, v29, v37
	s_waitcnt lgkmcnt(0)
	v_add_f32_e32 v37, v37, v38
	;; [unrolled: 3-line block ×3, first 2 shown]
	s_or_b32 exec_lo, exec_lo, s6
	s_and_saveexec_b32 s6, s0
	s_cbranch_execnz .LBB576_30
	s_branch .LBB576_31
.LBB576_51:                             ;   in Loop: Header=BB576_9 Depth=1
	ds_load_b32 v36, v31
	s_or_b32 exec_lo, exec_lo, s6
	s_and_saveexec_b32 s6, s0
	s_cbranch_execz .LBB576_35
.LBB576_52:                             ;   in Loop: Header=BB576_9 Depth=1
	s_waitcnt lgkmcnt(0)
	ds_bpermute_b32 v38, v28, v36
	s_waitcnt lgkmcnt(0)
	v_add_f32_e32 v36, v36, v38
	ds_bpermute_b32 v38, v29, v36
	s_waitcnt lgkmcnt(0)
	v_add_f32_e32 v36, v36, v38
	;; [unrolled: 3-line block ×3, first 2 shown]
	s_or_b32 exec_lo, exec_lo, s6
	s_and_saveexec_b32 s6, s5
	s_cbranch_execz .LBB576_8
.LBB576_53:                             ;   in Loop: Header=BB576_9 Depth=1
	s_mul_i32 s7, s21, s12
	v_dual_mul_f32 v18, s10, v18 :: v_dual_mul_f32 v19, s10, v19
	s_add_i32 s24, s7, s14
	v_mul_f32_e32 v37, s10, v37
	s_lshl_b64 s[34:35], s[24:25], 2
	s_delay_alu instid0(SALU_CYCLE_1)
	s_add_u32 s34, s38, s34
	s_addc_u32 s35, s37, s35
	s_add_i32 s24, s24, s12
	global_store_b32 v35, v18, s[34:35]
	s_waitcnt lgkmcnt(0)
	v_mul_f32_e32 v18, s10, v36
	s_lshl_b64 s[44:45], s[24:25], 2
	s_delay_alu instid0(SALU_CYCLE_1) | instskip(SKIP_4) | instid1(SALU_CYCLE_1)
	s_add_u32 s44, s38, s44
	s_addc_u32 s45, s37, s45
	s_add_i32 s24, s24, s12
	global_store_b32 v35, v19, s[44:45]
	s_lshl_b64 s[46:47], s[24:25], 2
	s_add_u32 s34, s38, s46
	s_addc_u32 s35, s37, s47
	s_add_i32 s24, s24, s12
	s_delay_alu instid0(SALU_CYCLE_1) | instskip(NEXT) | instid1(SALU_CYCLE_1)
	s_lshl_b64 s[46:47], s[24:25], 2
	s_add_u32 s44, s38, s46
	s_addc_u32 s45, s37, s47
	s_clause 0x1
	global_store_b32 v35, v37, s[34:35]
	global_store_b32 v35, v18, s[44:45]
	s_branch .LBB576_8
.LBB576_54:
	s_mov_b32 s21, 0
                                        ; implicit-def: $vgpr1_vgpr2_vgpr3_vgpr4
.LBB576_55:
	s_delay_alu instid0(SALU_CYCLE_1)
	s_cmp_ge_i32 s21, s9
	s_cbranch_scc1 .LBB576_79
; %bb.56:
	v_cmp_gt_u32_e32 vcc_lo, 16, v22
	v_lshlrev_b32_e32 v17, 2, v6
	v_cmp_eq_u32_e64 s3, 0, v6
	v_ashrrev_i32_e32 v6, 31, v5
	v_cmp_ge_i32_e64 s0, s8, v24
	v_cndmask_b32_e64 v9, 0, 1, vcc_lo
	v_cmp_gt_u32_e32 vcc_lo, 24, v22
	v_cmp_ge_i32_e64 s1, s8, v25
	s_cmp_gt_i32 s36, 0
	s_mov_b32 s15, 0
	v_lshlrev_b32_e32 v9, 4, v9
	v_cndmask_b32_e64 v10, 0, 1, vcc_lo
	v_cmp_gt_u32_e32 vcc_lo, 28, v22
	s_cselect_b32 s8, -1, 0
	s_lshl_b64 s[6:7], s[14:15], 2
	v_add_lshl_u32 v18, v9, v22, 2
	v_add_nc_u32_e32 v9, s33, v5
	v_cndmask_b32_e64 v11, 0, 1, vcc_lo
	v_cmp_gt_u32_e32 vcc_lo, 30, v22
	v_lshlrev_b32_e32 v10, 3, v10
	s_add_u32 s14, s38, s6
	s_addc_u32 s24, s37, s7
	v_lshlrev_b32_e32 v11, 2, v11
	v_cndmask_b32_e64 v12, 0, 1, vcc_lo
	v_cmp_ne_u32_e32 vcc_lo, 31, v22
	v_add_lshl_u32 v19, v10, v22, 2
	v_ashrrev_i32_e32 v10, 31, v9
	v_add_lshl_u32 v24, v11, v22, 2
	v_add_nc_u32_e32 v11, s33, v9
	v_add_co_ci_u32_e32 v13, vcc_lo, 0, v22, vcc_lo
	v_lshlrev_b32_e32 v12, 1, v12
	v_lshlrev_b64 v[15:16], 1, v[9:10]
	s_delay_alu instid0(VALU_DEP_4) | instskip(NEXT) | instid1(VALU_DEP_4)
	v_add_nc_u32_e32 v26, s33, v11
	v_lshlrev_b32_e32 v25, 2, v13
	v_lshlrev_b64 v[13:14], 1, v[5:6]
	v_add_lshl_u32 v22, v12, v22, 2
	v_ashrrev_i32_e32 v12, 31, v11
	v_ashrrev_i32_e32 v27, 31, v26
	s_add_u32 s6, s22, s18
	s_addc_u32 s7, s23, s19
	v_add_co_u32 v9, vcc_lo, s11, v13
	v_add_co_ci_u32_e32 v10, vcc_lo, s13, v14, vcc_lo
	v_lshlrev_b64 v[13:14], 1, v[11:12]
	v_add_co_u32 v11, vcc_lo, s11, v15
	v_add_co_ci_u32_e32 v12, vcc_lo, s13, v16, vcc_lo
	v_lshlrev_b64 v[15:16], 1, v[26:27]
	v_mov_b32_e32 v26, 0
	v_add_co_u32 v13, vcc_lo, s11, v13
	v_add_co_ci_u32_e32 v14, vcc_lo, s13, v14, vcc_lo
	s_delay_alu instid0(VALU_DEP_4)
	v_add_co_u32 v15, vcc_lo, s11, v15
	s_add_u32 s6, s16, s6
	v_add_co_ci_u32_e32 v16, vcc_lo, s13, v16, vcc_lo
	v_cmp_gt_u32_e64 s2, 32, v0
	v_cmp_gt_u32_e64 s4, 8, v0
	v_cmp_eq_u32_e64 s5, 0, v0
	s_addc_u32 s7, s17, s7
	v_add_co_u32 v0, vcc_lo, s6, v7
	v_and_b32_e32 v23, 28, v23
	v_add_co_ci_u32_e32 v8, vcc_lo, s7, v8, vcc_lo
	s_mul_i32 s16, s21, s20
	s_branch .LBB576_58
.LBB576_57:                             ;   in Loop: Header=BB576_58 Depth=1
	s_or_b32 exec_lo, exec_lo, s6
	s_add_i32 s21, s21, 1
	s_add_i32 s16, s16, s20
	s_cmp_ge_i32 s21, s9
	s_cbranch_scc1 .LBB576_79
.LBB576_58:                             ; =>This Loop Header: Depth=1
                                        ;     Child Loop BB576_71 Depth 2
                                        ;     Child Loop BB576_74 Depth 2
	v_mov_b32_e32 v27, s15
	s_and_saveexec_b32 s6, s0
	s_delay_alu instid0(SALU_CYCLE_1)
	s_xor_b32 s6, exec_lo, s6
	s_cbranch_execnz .LBB576_67
; %bb.59:                               ;   in Loop: Header=BB576_58 Depth=1
	s_and_not1_saveexec_b32 s22, s6
	s_cbranch_execnz .LBB576_68
.LBB576_60:                             ;   in Loop: Header=BB576_58 Depth=1
	s_or_b32 exec_lo, exec_lo, s22
	s_and_saveexec_b32 s6, s2
	s_cbranch_execz .LBB576_62
.LBB576_61:                             ;   in Loop: Header=BB576_58 Depth=1
	ds_store_b32 v17, v26
.LBB576_62:                             ;   in Loop: Header=BB576_58 Depth=1
	s_or_b32 exec_lo, exec_lo, s6
	s_waitcnt lgkmcnt(0)
	ds_bpermute_b32 v6, v18, v27
	s_waitcnt lgkmcnt(0)
	s_waitcnt_vscnt null, 0x0
	s_barrier
	buffer_gl0_inv
	v_add_f32_e32 v6, v27, v6
	ds_bpermute_b32 v7, v19, v6
	s_waitcnt lgkmcnt(0)
	v_add_f32_e32 v6, v6, v7
	ds_bpermute_b32 v7, v24, v6
	s_waitcnt lgkmcnt(0)
	v_add_f32_e32 v6, v6, v7
	ds_bpermute_b32 v7, v22, v6
	s_waitcnt lgkmcnt(0)
	v_add_f32_e32 v6, v6, v7
	ds_bpermute_b32 v7, v25, v6
	s_and_saveexec_b32 s6, s3
	s_cbranch_execz .LBB576_64
; %bb.63:                               ;   in Loop: Header=BB576_58 Depth=1
	s_waitcnt lgkmcnt(0)
	v_add_f32_e32 v6, v6, v7
	ds_store_b32 v23, v6
.LBB576_64:                             ;   in Loop: Header=BB576_58 Depth=1
	s_or_b32 exec_lo, exec_lo, s6
	v_mov_b32_e32 v6, 0
	s_waitcnt lgkmcnt(0)
	s_barrier
	buffer_gl0_inv
	s_and_saveexec_b32 s6, s4
	s_cbranch_execnz .LBB576_76
; %bb.65:                               ;   in Loop: Header=BB576_58 Depth=1
	s_or_b32 exec_lo, exec_lo, s6
	s_and_saveexec_b32 s6, s2
	s_cbranch_execnz .LBB576_77
.LBB576_66:                             ;   in Loop: Header=BB576_58 Depth=1
	s_or_b32 exec_lo, exec_lo, s6
	s_and_saveexec_b32 s6, s5
	s_cbranch_execz .LBB576_57
	s_branch .LBB576_78
.LBB576_67:                             ;   in Loop: Header=BB576_58 Depth=1
	s_mul_i32 s18, s21, s20
	s_delay_alu instid0(SALU_CYCLE_1) | instskip(NEXT) | instid1(SALU_CYCLE_1)
	s_ashr_i32 s19, s18, 31
	s_lshl_b64 s[18:19], s[18:19], 1
	s_delay_alu instid0(SALU_CYCLE_1)
	v_add_co_u32 v1, vcc_lo, v20, s18
	v_add_co_ci_u32_e32 v2, vcc_lo, s19, v21, vcc_lo
	global_load_u16 v3, v[9:10], off
	s_waitcnt lgkmcnt(0)
	global_load_b64 v[6:7], v[1:2], off
	s_clause 0x2
	global_load_u16 v2, v[11:12], off
	global_load_u16 v4, v[13:14], off
	global_load_u16 v28, v[15:16], off
	s_waitcnt vmcnt(4)
	v_lshlrev_b32_e32 v1, 16, v3
	s_waitcnt vmcnt(3)
	v_lshlrev_b32_e32 v3, 16, v6
	v_and_b32_e32 v6, 0xffff0000, v6
	s_delay_alu instid0(VALU_DEP_2)
	v_fma_f32 v27, v1, v3, 0
	s_waitcnt vmcnt(1)
	v_lshlrev_b32_e32 v3, 16, v4
	s_waitcnt vmcnt(0)
	v_lshlrev_b32_e32 v4, 16, v28
	v_lshlrev_b32_e32 v2, 16, v2
	s_delay_alu instid0(VALU_DEP_1) | instskip(SKIP_1) | instid1(VALU_DEP_2)
	v_dual_fmac_f32 v27, v2, v6 :: v_dual_lshlrev_b32 v6, 16, v7
	v_and_b32_e32 v7, 0xffff0000, v7
	v_fmac_f32_e32 v27, v3, v6
	s_delay_alu instid0(VALU_DEP_1)
	v_fmac_f32_e32 v27, v4, v7
	s_and_not1_saveexec_b32 s22, s6
	s_cbranch_execz .LBB576_60
.LBB576_68:                             ;   in Loop: Header=BB576_58 Depth=1
	s_and_saveexec_b32 s23, s1
	s_cbranch_execz .LBB576_75
; %bb.69:                               ;   in Loop: Header=BB576_58 Depth=1
	s_and_not1_b32 vcc_lo, exec_lo, s8
	s_cbranch_vccnz .LBB576_72
; %bb.70:                               ;   in Loop: Header=BB576_58 Depth=1
	s_waitcnt lgkmcnt(0)
	v_mov_b32_e32 v6, v5
	s_mov_b64 s[18:19], 0
	.p2align	6
.LBB576_71:                             ;   Parent Loop BB576_58 Depth=1
                                        ; =>  This Inner Loop Header: Depth=2
	s_delay_alu instid0(VALU_DEP_1) | instskip(SKIP_1) | instid1(VALU_DEP_1)
	v_ashrrev_i32_e32 v7, 31, v6
	s_cmp_eq_u32 s18, 3
	v_lshlrev_b64 v[28:29], 1, v[6:7]
	s_delay_alu instid0(VALU_DEP_1) | instskip(NEXT) | instid1(VALU_DEP_2)
	v_add_co_u32 v28, vcc_lo, s11, v28
	v_add_co_ci_u32_e32 v29, vcc_lo, s13, v29, vcc_lo
	s_cselect_b32 vcc_lo, -1, 0
	s_cmp_eq_u32 s18, 2
	s_cselect_b32 s6, -1, 0
	global_load_u16 v7, v[28:29], off
	s_cmp_eq_u32 s18, 1
	s_cselect_b32 s7, -1, 0
	s_cmp_eq_u32 s18, 0
	s_waitcnt vmcnt(0)
	v_lshlrev_b32_e32 v7, 16, v7
	s_delay_alu instid0(VALU_DEP_1)
	v_cndmask_b32_e32 v4, v4, v7, vcc_lo
	s_cselect_b32 vcc_lo, -1, 0
	v_dual_cndmask_b32 v1, v1, v7 :: v_dual_add_nc_u32 v6, s33, v6
	v_cndmask_b32_e64 v3, v3, v7, s6
	v_cndmask_b32_e64 v2, v2, v7, s7
	s_add_u32 s18, s18, 1
	s_addc_u32 s19, s19, 0
	s_cmp_eq_u32 s36, s18
	s_cbranch_scc0 .LBB576_71
.LBB576_72:                             ;   in Loop: Header=BB576_58 Depth=1
	s_and_not1_b32 vcc_lo, exec_lo, s8
	s_cbranch_vccnz .LBB576_75
; %bb.73:                               ;   in Loop: Header=BB576_58 Depth=1
	s_ashr_i32 s17, s16, 31
	s_delay_alu instid0(SALU_CYCLE_1)
	s_lshl_b64 s[6:7], s[16:17], 1
	s_waitcnt lgkmcnt(0)
	v_add_co_u32 v6, vcc_lo, v0, s6
	v_add_co_ci_u32_e32 v7, vcc_lo, s7, v8, vcc_lo
	s_mov_b64 s[6:7], 0
	.p2align	6
.LBB576_74:                             ;   Parent Loop BB576_58 Depth=1
                                        ; =>  This Inner Loop Header: Depth=2
	global_load_u16 v28, v[6:7], off
	s_cmp_eq_u32 s6, 1
	s_cselect_b32 vcc_lo, -1, 0
	s_cmp_eq_u32 s6, 2
	v_cndmask_b32_e32 v29, v1, v2, vcc_lo
	s_cselect_b32 vcc_lo, -1, 0
	s_cmp_eq_u32 s6, 3
	s_waitcnt vmcnt(0)
	s_delay_alu instid0(VALU_DEP_1)
	v_dual_cndmask_b32 v29, v29, v3 :: v_dual_lshlrev_b32 v28, 16, v28
	s_cselect_b32 vcc_lo, -1, 0
	s_add_u32 s6, s6, 1
	s_addc_u32 s7, s7, 0
	s_cmp_lg_u32 s36, s6
	v_cndmask_b32_e32 v29, v29, v4, vcc_lo
	v_add_co_u32 v6, vcc_lo, v6, 2
	v_add_co_ci_u32_e32 v7, vcc_lo, 0, v7, vcc_lo
	s_delay_alu instid0(VALU_DEP_3)
	v_fmac_f32_e32 v27, v29, v28
	s_cbranch_scc1 .LBB576_74
.LBB576_75:                             ;   in Loop: Header=BB576_58 Depth=1
	s_or_b32 exec_lo, exec_lo, s23
	s_delay_alu instid0(SALU_CYCLE_1)
	s_or_b32 exec_lo, exec_lo, s22
	s_and_saveexec_b32 s6, s2
	s_cbranch_execnz .LBB576_61
	s_branch .LBB576_62
.LBB576_76:                             ;   in Loop: Header=BB576_58 Depth=1
	ds_load_b32 v6, v17
	s_or_b32 exec_lo, exec_lo, s6
	s_and_saveexec_b32 s6, s2
	s_cbranch_execz .LBB576_66
.LBB576_77:                             ;   in Loop: Header=BB576_58 Depth=1
	s_waitcnt lgkmcnt(0)
	ds_bpermute_b32 v7, v24, v6
	s_waitcnt lgkmcnt(0)
	v_add_f32_e32 v6, v6, v7
	ds_bpermute_b32 v7, v22, v6
	s_waitcnt lgkmcnt(0)
	v_add_f32_e32 v6, v6, v7
	;; [unrolled: 3-line block ×3, first 2 shown]
	s_or_b32 exec_lo, exec_lo, s6
	s_and_saveexec_b32 s6, s5
	s_cbranch_execz .LBB576_57
.LBB576_78:                             ;   in Loop: Header=BB576_58 Depth=1
	s_mul_hi_u32 s19, s21, s12
	s_mul_i32 s18, s21, s12
	s_waitcnt lgkmcnt(0)
	v_mul_f32_e32 v6, s10, v6
	s_lshl_b64 s[18:19], s[18:19], 2
	s_delay_alu instid0(SALU_CYCLE_1)
	s_add_u32 s18, s14, s18
	s_addc_u32 s19, s24, s19
	global_store_b32 v26, v6, s[18:19]
	s_branch .LBB576_57
.LBB576_79:
	s_nop 0
	s_sendmsg sendmsg(MSG_DEALLOC_VGPRS)
	s_endpgm
	.section	.rodata,"a",@progbits
	.p2align	6, 0x0
	.amdhsa_kernel _ZL23rocblas_gemvt_sn_kernelILb1ELi256ELi4Ei16rocblas_bfloat16ffEviiT4_lPKT3_lilS4_lilPT5_i
		.amdhsa_group_segment_fixed_size 128
		.amdhsa_private_segment_fixed_size 0
		.amdhsa_kernarg_size 360
		.amdhsa_user_sgpr_count 14
		.amdhsa_user_sgpr_dispatch_ptr 0
		.amdhsa_user_sgpr_queue_ptr 0
		.amdhsa_user_sgpr_kernarg_segment_ptr 1
		.amdhsa_user_sgpr_dispatch_id 0
		.amdhsa_user_sgpr_private_segment_size 0
		.amdhsa_wavefront_size32 1
		.amdhsa_uses_dynamic_stack 0
		.amdhsa_enable_private_segment 0
		.amdhsa_system_sgpr_workgroup_id_x 1
		.amdhsa_system_sgpr_workgroup_id_y 0
		.amdhsa_system_sgpr_workgroup_id_z 1
		.amdhsa_system_sgpr_workgroup_info 0
		.amdhsa_system_vgpr_workitem_id 0
		.amdhsa_next_free_vgpr 51
		.amdhsa_next_free_sgpr 48
		.amdhsa_reserve_vcc 1
		.amdhsa_float_round_mode_32 0
		.amdhsa_float_round_mode_16_64 0
		.amdhsa_float_denorm_mode_32 3
		.amdhsa_float_denorm_mode_16_64 3
		.amdhsa_dx10_clamp 1
		.amdhsa_ieee_mode 1
		.amdhsa_fp16_overflow 0
		.amdhsa_workgroup_processor_mode 1
		.amdhsa_memory_ordered 1
		.amdhsa_forward_progress 0
		.amdhsa_shared_vgpr_count 0
		.amdhsa_exception_fp_ieee_invalid_op 0
		.amdhsa_exception_fp_denorm_src 0
		.amdhsa_exception_fp_ieee_div_zero 0
		.amdhsa_exception_fp_ieee_overflow 0
		.amdhsa_exception_fp_ieee_underflow 0
		.amdhsa_exception_fp_ieee_inexact 0
		.amdhsa_exception_int_div_zero 0
	.end_amdhsa_kernel
	.section	.text._ZL23rocblas_gemvt_sn_kernelILb1ELi256ELi4Ei16rocblas_bfloat16ffEviiT4_lPKT3_lilS4_lilPT5_i,"axG",@progbits,_ZL23rocblas_gemvt_sn_kernelILb1ELi256ELi4Ei16rocblas_bfloat16ffEviiT4_lPKT3_lilS4_lilPT5_i,comdat
.Lfunc_end576:
	.size	_ZL23rocblas_gemvt_sn_kernelILb1ELi256ELi4Ei16rocblas_bfloat16ffEviiT4_lPKT3_lilS4_lilPT5_i, .Lfunc_end576-_ZL23rocblas_gemvt_sn_kernelILb1ELi256ELi4Ei16rocblas_bfloat16ffEviiT4_lPKT3_lilS4_lilPT5_i
                                        ; -- End function
	.section	.AMDGPU.csdata,"",@progbits
; Kernel info:
; codeLenInByte = 4292
; NumSgprs: 50
; NumVgprs: 51
; ScratchSize: 0
; MemoryBound: 0
; FloatMode: 240
; IeeeMode: 1
; LDSByteSize: 128 bytes/workgroup (compile time only)
; SGPRBlocks: 6
; VGPRBlocks: 6
; NumSGPRsForWavesPerEU: 50
; NumVGPRsForWavesPerEU: 51
; Occupancy: 16
; WaveLimiterHint : 1
; COMPUTE_PGM_RSRC2:SCRATCH_EN: 0
; COMPUTE_PGM_RSRC2:USER_SGPR: 14
; COMPUTE_PGM_RSRC2:TRAP_HANDLER: 0
; COMPUTE_PGM_RSRC2:TGID_X_EN: 1
; COMPUTE_PGM_RSRC2:TGID_Y_EN: 0
; COMPUTE_PGM_RSRC2:TGID_Z_EN: 1
; COMPUTE_PGM_RSRC2:TIDIG_COMP_CNT: 0
	.section	.text._ZL23rocblas_gemvt_sn_kernelILb1ELi256ELi4El16rocblas_bfloat16ffEviiT4_lPKT3_lilS4_lilPT5_i,"axG",@progbits,_ZL23rocblas_gemvt_sn_kernelILb1ELi256ELi4El16rocblas_bfloat16ffEviiT4_lPKT3_lilS4_lilPT5_i,comdat
	.globl	_ZL23rocblas_gemvt_sn_kernelILb1ELi256ELi4El16rocblas_bfloat16ffEviiT4_lPKT3_lilS4_lilPT5_i ; -- Begin function _ZL23rocblas_gemvt_sn_kernelILb1ELi256ELi4El16rocblas_bfloat16ffEviiT4_lPKT3_lilS4_lilPT5_i
	.p2align	8
	.type	_ZL23rocblas_gemvt_sn_kernelILb1ELi256ELi4El16rocblas_bfloat16ffEviiT4_lPKT3_lilS4_lilPT5_i,@function
_ZL23rocblas_gemvt_sn_kernelILb1ELi256ELi4El16rocblas_bfloat16ffEviiT4_lPKT3_lilS4_lilPT5_i: ; @_ZL23rocblas_gemvt_sn_kernelILb1ELi256ELi4El16rocblas_bfloat16ffEviiT4_lPKT3_lilS4_lilPT5_i
; %bb.0:
	s_clause 0x2
	s_load_b128 s[8:11], s[0:1], 0x0
	s_load_b32 s12, s[0:1], 0x68
	s_load_b128 s[4:7], s[0:1], 0x50
	s_waitcnt lgkmcnt(0)
	s_ashr_i32 s11, s9, 31
	s_mul_hi_u32 s2, s9, s15
	s_mul_i32 s3, s11, s15
	s_mul_i32 s13, s9, s15
	s_add_i32 s2, s2, s3
	s_mul_hi_u32 s3, s13, s12
	s_mul_i32 s16, s2, s12
	s_mul_i32 s2, s13, s12
	s_add_i32 s3, s3, s16
	v_cmp_neq_f32_e64 s13, s10, 0
	s_lshl_b64 s[2:3], s[2:3], 2
	s_delay_alu instid0(SALU_CYCLE_1)
	s_add_u32 s33, s6, s2
	v_cmp_eq_u32_e64 s2, 0, v0
	s_addc_u32 s44, s7, s3
	s_and_b32 vcc_lo, exec_lo, s13
	s_mov_b32 s13, 0
	s_cbranch_vccnz .LBB577_5
; %bb.1:
	s_cmp_gt_i32 s9, 0
	s_cselect_b32 s3, -1, 0
	s_delay_alu instid0(SALU_CYCLE_1) | instskip(NEXT) | instid1(SALU_CYCLE_1)
	s_and_b32 s2, s2, s3
	s_and_saveexec_b32 s16, s2
	s_cbranch_execz .LBB577_4
; %bb.2:
	s_mov_b32 s2, s15
	s_mov_b32 s15, 0
	v_mov_b32_e32 v1, 0
	s_lshl_b64 s[6:7], s[14:15], 2
	s_mov_b32 s15, s2
	s_add_u32 s2, s33, s6
	s_addc_u32 s3, s44, s7
	s_lshl_b64 s[6:7], s[12:13], 2
	s_mov_b32 s13, s9
.LBB577_3:                              ; =>This Inner Loop Header: Depth=1
	s_delay_alu instid0(SALU_CYCLE_1)
	s_add_i32 s13, s13, -1
	global_store_b32 v1, v1, s[2:3]
	s_add_u32 s2, s2, s6
	s_addc_u32 s3, s3, s7
	s_cmp_eq_u32 s13, 0
	s_cbranch_scc0 .LBB577_3
.LBB577_4:
	s_or_b32 exec_lo, exec_lo, s16
	s_cbranch_execz .LBB577_6
	s_branch .LBB577_79
.LBB577_5:
.LBB577_6:
	s_clause 0x4
	s_load_b32 s24, s[0:1], 0x28
	s_load_b32 s26, s[0:1], 0x48
	s_load_b128 s[20:23], s[0:1], 0x30
	s_load_b64 s[2:3], s[0:1], 0x40
	s_load_b128 s[16:19], s[0:1], 0x18
	s_mul_i32 s1, s15, s5
	s_mul_hi_u32 s5, s15, s4
	s_mul_i32 s0, s15, s4
	s_add_i32 s1, s5, s1
	v_and_b32_e32 v24, 31, v0
	s_lshl_b64 s[28:29], s[0:1], 1
	v_mbcnt_lo_u32_b32 v27, -1, 0
	v_lshrrev_b32_e32 v29, 3, v0
	s_waitcnt lgkmcnt(0)
	s_ashr_i32 s25, s24, 31
	s_ashr_i32 s27, s26, 31
	s_add_u32 s4, s22, s28
	s_addc_u32 s5, s23, s29
	s_lshl_b64 s[30:31], s[2:3], 1
	s_mul_i32 s0, s15, s21
	s_mul_hi_u32 s1, s15, s20
	s_add_u32 s13, s4, s30
	s_mul_i32 s2, s15, s20
	s_addc_u32 s45, s5, s31
	s_add_i32 s3, s1, s0
	v_cmp_gt_u32_e64 s0, 32, v0
	s_lshl_b64 s[20:21], s[2:3], 1
	v_cmp_gt_u32_e64 s1, 8, v0
	s_add_u32 s2, s16, s20
	s_addc_u32 s3, s17, s21
	s_lshl_b64 s[18:19], s[18:19], 1
	s_delay_alu instid0(SALU_CYCLE_1)
	s_add_u32 s2, s2, s18
	s_addc_u32 s3, s3, s19
	s_lshl_b32 s4, s14, 10
	s_ashr_i32 s5, s8, 31
	v_lshl_or_b32 v9, v0, 2, s4
	s_lshr_b32 s4, s11, 30
	s_lshr_b32 s5, s5, 30
	s_add_i32 s4, s9, s4
	s_add_i32 s5, s8, s5
	v_ashrrev_i32_e32 v10, 31, v9
	s_and_b32 s46, s4, -4
	s_and_b32 s4, s5, -4
	v_add_nc_u32_e32 v30, 4, v9
	s_sub_i32 s11, s8, s4
	v_lshlrev_b64 v[7:8], 1, v[9:10]
	v_or_b32_e32 v28, 1, v9
	v_or_b32_e32 v26, 2, v9
	v_add_nc_u32_e32 v31, s11, v9
	v_or_b32_e32 v25, 3, v9
	s_cmp_lt_i32 s46, 1
	v_add_co_u32 v5, vcc_lo, s2, v7
	v_add_co_ci_u32_e32 v6, vcc_lo, s3, v8, vcc_lo
	s_cbranch_scc1 .LBB577_54
; %bb.7:
	v_cmp_gt_u32_e32 vcc_lo, 16, v27
	v_mad_i64_i32 v[12:13], null, s26, v26, 0
	v_mad_i64_i32 v[14:15], null, s26, v25, 0
	v_cndmask_b32_e64 v1, 0, 1, vcc_lo
	v_cmp_gt_u32_e32 vcc_lo, 24, v27
	s_mov_b32 s15, 0
	s_cmp_gt_i32 s11, 0
	s_delay_alu instid0(VALU_DEP_4)
	v_lshlrev_b64 v[16:17], 1, v[12:13]
	v_lshlrev_b32_e32 v1, 4, v1
	v_cndmask_b32_e64 v2, 0, 1, vcc_lo
	v_cmp_gt_u32_e32 vcc_lo, 28, v27
	s_cselect_b32 s47, -1, 0
	s_lshl_b64 s[6:7], s[14:15], 2
	s_delay_alu instid0(VALU_DEP_2)
	v_dual_mov_b32 v39, 0 :: v_dual_lshlrev_b32 v2, 3, v2
	v_cndmask_b32_e64 v3, 0, 1, vcc_lo
	v_cmp_gt_u32_e32 vcc_lo, 30, v27
	s_add_u32 s48, s33, s6
	s_addc_u32 s49, s44, s7
	v_add_lshl_u32 v33, v2, v27, 2
	v_lshlrev_b32_e32 v3, 2, v3
	v_cndmask_b32_e64 v4, 0, 1, vcc_lo
	v_cmp_ne_u32_e32 vcc_lo, 31, v27
	v_dual_mov_b32 v21, v6 :: v_dual_mov_b32 v20, v5
	v_add_lshl_u32 v32, v1, v27, 2
	s_delay_alu instid0(VALU_DEP_4) | instskip(SKIP_3) | instid1(VALU_DEP_4)
	v_lshlrev_b32_e32 v4, 1, v4
	v_mad_i64_i32 v[1:2], null, s26, v9, 0
	v_add_lshl_u32 v34, v3, v27, 2
	v_add_co_ci_u32_e32 v10, vcc_lo, 0, v27, vcc_lo
	v_add_lshl_u32 v35, v4, v27, 2
	v_mad_i64_i32 v[3:4], null, s26, v28, 0
	v_lshlrev_b64 v[1:2], 1, v[1:2]
	s_delay_alu instid0(VALU_DEP_4) | instskip(SKIP_4) | instid1(VALU_DEP_3)
	v_lshlrev_b32_e32 v36, 2, v10
	s_add_u32 s6, s22, s30
	s_addc_u32 s7, s23, s31
	s_add_u32 s6, s6, s28
	s_addc_u32 s7, s7, s29
	v_lshlrev_b64 v[3:4], 1, v[3:4]
	v_add_co_u32 v10, vcc_lo, s13, v1
	v_add_co_ci_u32_e32 v11, vcc_lo, s45, v2, vcc_lo
	v_cmp_ge_i32_e64 s2, s8, v30
	s_delay_alu instid0(VALU_DEP_4)
	v_add_co_u32 v12, vcc_lo, s13, v3
	v_add_co_ci_u32_e32 v13, vcc_lo, s45, v4, vcc_lo
	v_lshlrev_b64 v[3:4], 1, v[14:15]
	v_add_co_u32 v14, vcc_lo, s13, v16
	v_add_co_ci_u32_e32 v15, vcc_lo, s45, v17, vcc_lo
	v_cmp_ge_i32_e64 s3, s8, v31
	s_delay_alu instid0(VALU_DEP_4)
	v_add_co_u32 v16, vcc_lo, s13, v3
	v_add_co_ci_u32_e32 v17, vcc_lo, s45, v4, vcc_lo
	v_add_co_u32 v18, vcc_lo, s6, v1
	v_cmp_eq_u32_e64 s4, 0, v24
	v_lshlrev_b32_e32 v37, 2, v24
	v_and_b32_e32 v38, 28, v29
	v_cmp_eq_u32_e64 s5, 0, v0
	v_add_co_ci_u32_e32 v19, vcc_lo, s7, v2, vcc_lo
	s_lshl_b64 s[34:35], s[26:27], 1
	s_lshl_b64 s[36:37], s[24:25], 3
	;; [unrolled: 1-line block ×4, first 2 shown]
	s_mul_hi_i32 s50, s24, 6
	s_mul_i32 s51, s24, 6
                                        ; implicit-def: $vgpr1_vgpr2_vgpr3_vgpr4
	s_branch .LBB577_9
.LBB577_8:                              ;   in Loop: Header=BB577_9 Depth=1
	s_or_b32 exec_lo, exec_lo, s6
	v_add_co_u32 v20, vcc_lo, v20, s36
	v_add_co_ci_u32_e32 v21, vcc_lo, s37, v21, vcc_lo
	s_add_i32 s15, s15, 4
	s_delay_alu instid0(SALU_CYCLE_1)
	s_cmp_ge_i32 s15, s46
	s_cbranch_scc1 .LBB577_55
.LBB577_9:                              ; =>This Loop Header: Depth=1
                                        ;     Child Loop BB577_40 Depth 2
                                        ;     Child Loop BB577_43 Depth 2
                                        ; implicit-def: $vgpr40
                                        ; implicit-def: $vgpr41
                                        ; implicit-def: $vgpr42
                                        ; implicit-def: $vgpr43
	s_and_saveexec_b32 s6, s2
	s_delay_alu instid0(SALU_CYCLE_1)
	s_xor_b32 s6, exec_lo, s6
	s_cbranch_execnz .LBB577_36
; %bb.10:                               ;   in Loop: Header=BB577_9 Depth=1
	s_and_not1_saveexec_b32 s52, s6
	s_cbranch_execnz .LBB577_37
.LBB577_11:                             ;   in Loop: Header=BB577_9 Depth=1
	s_or_b32 exec_lo, exec_lo, s52
	s_and_saveexec_b32 s6, s0
	s_cbranch_execz .LBB577_13
.LBB577_12:                             ;   in Loop: Header=BB577_9 Depth=1
	ds_store_b32 v37, v39
.LBB577_13:                             ;   in Loop: Header=BB577_9 Depth=1
	s_or_b32 exec_lo, exec_lo, s6
	ds_bpermute_b32 v22, v32, v43
	s_waitcnt lgkmcnt(0)
	s_waitcnt_vscnt null, 0x0
	s_barrier
	buffer_gl0_inv
	v_add_f32_e32 v22, v43, v22
	ds_bpermute_b32 v23, v33, v22
	s_waitcnt lgkmcnt(0)
	v_add_f32_e32 v22, v22, v23
	ds_bpermute_b32 v23, v34, v22
	s_waitcnt lgkmcnt(0)
	;; [unrolled: 3-line block ×3, first 2 shown]
	v_add_f32_e32 v22, v22, v23
	ds_bpermute_b32 v23, v36, v22
	s_and_saveexec_b32 s6, s4
	s_cbranch_execz .LBB577_15
; %bb.14:                               ;   in Loop: Header=BB577_9 Depth=1
	s_waitcnt lgkmcnt(0)
	v_add_f32_e32 v22, v22, v23
	ds_store_b32 v38, v22
.LBB577_15:                             ;   in Loop: Header=BB577_9 Depth=1
	s_or_b32 exec_lo, exec_lo, s6
	v_mov_b32_e32 v22, 0
	s_waitcnt lgkmcnt(0)
	s_barrier
	buffer_gl0_inv
	s_and_saveexec_b32 s6, s1
	s_cbranch_execnz .LBB577_45
; %bb.16:                               ;   in Loop: Header=BB577_9 Depth=1
	s_or_b32 exec_lo, exec_lo, s6
	s_and_saveexec_b32 s6, s0
	s_cbranch_execnz .LBB577_46
.LBB577_17:                             ;   in Loop: Header=BB577_9 Depth=1
	s_or_b32 exec_lo, exec_lo, s6
	s_and_saveexec_b32 s6, s0
	s_cbranch_execz .LBB577_19
.LBB577_18:                             ;   in Loop: Header=BB577_9 Depth=1
	ds_store_b32 v37, v39
.LBB577_19:                             ;   in Loop: Header=BB577_9 Depth=1
	s_or_b32 exec_lo, exec_lo, s6
	ds_bpermute_b32 v23, v32, v42
	s_waitcnt lgkmcnt(0)
	s_barrier
	buffer_gl0_inv
	v_add_f32_e32 v23, v42, v23
	ds_bpermute_b32 v42, v33, v23
	s_waitcnt lgkmcnt(0)
	v_add_f32_e32 v23, v23, v42
	ds_bpermute_b32 v42, v34, v23
	s_waitcnt lgkmcnt(0)
	;; [unrolled: 3-line block ×3, first 2 shown]
	v_add_f32_e32 v23, v23, v42
	ds_bpermute_b32 v42, v36, v23
	s_and_saveexec_b32 s6, s4
	s_cbranch_execz .LBB577_21
; %bb.20:                               ;   in Loop: Header=BB577_9 Depth=1
	s_waitcnt lgkmcnt(0)
	v_add_f32_e32 v23, v23, v42
	ds_store_b32 v38, v23
.LBB577_21:                             ;   in Loop: Header=BB577_9 Depth=1
	s_or_b32 exec_lo, exec_lo, s6
	v_mov_b32_e32 v23, 0
	s_waitcnt lgkmcnt(0)
	s_barrier
	buffer_gl0_inv
	s_and_saveexec_b32 s6, s1
	s_cbranch_execnz .LBB577_47
; %bb.22:                               ;   in Loop: Header=BB577_9 Depth=1
	s_or_b32 exec_lo, exec_lo, s6
	s_and_saveexec_b32 s6, s0
	s_cbranch_execnz .LBB577_48
.LBB577_23:                             ;   in Loop: Header=BB577_9 Depth=1
	s_or_b32 exec_lo, exec_lo, s6
	s_and_saveexec_b32 s6, s0
	s_cbranch_execz .LBB577_25
.LBB577_24:                             ;   in Loop: Header=BB577_9 Depth=1
	ds_store_b32 v37, v39
.LBB577_25:                             ;   in Loop: Header=BB577_9 Depth=1
	s_or_b32 exec_lo, exec_lo, s6
	ds_bpermute_b32 v42, v32, v41
	s_waitcnt lgkmcnt(0)
	s_barrier
	buffer_gl0_inv
	v_add_f32_e32 v41, v41, v42
	ds_bpermute_b32 v42, v33, v41
	s_waitcnt lgkmcnt(0)
	v_add_f32_e32 v41, v41, v42
	ds_bpermute_b32 v42, v34, v41
	s_waitcnt lgkmcnt(0)
	;; [unrolled: 3-line block ×3, first 2 shown]
	v_add_f32_e32 v41, v41, v42
	ds_bpermute_b32 v42, v36, v41
	s_and_saveexec_b32 s6, s4
	s_cbranch_execz .LBB577_27
; %bb.26:                               ;   in Loop: Header=BB577_9 Depth=1
	s_waitcnt lgkmcnt(0)
	v_add_f32_e32 v41, v41, v42
	ds_store_b32 v38, v41
.LBB577_27:                             ;   in Loop: Header=BB577_9 Depth=1
	s_or_b32 exec_lo, exec_lo, s6
	v_mov_b32_e32 v41, 0
	s_waitcnt lgkmcnt(0)
	s_barrier
	buffer_gl0_inv
	s_and_saveexec_b32 s6, s1
	s_cbranch_execnz .LBB577_49
; %bb.28:                               ;   in Loop: Header=BB577_9 Depth=1
	s_or_b32 exec_lo, exec_lo, s6
	s_and_saveexec_b32 s6, s0
	s_cbranch_execnz .LBB577_50
.LBB577_29:                             ;   in Loop: Header=BB577_9 Depth=1
	s_or_b32 exec_lo, exec_lo, s6
	s_and_saveexec_b32 s6, s0
	s_cbranch_execz .LBB577_31
.LBB577_30:                             ;   in Loop: Header=BB577_9 Depth=1
	ds_store_b32 v37, v39
.LBB577_31:                             ;   in Loop: Header=BB577_9 Depth=1
	s_or_b32 exec_lo, exec_lo, s6
	ds_bpermute_b32 v42, v32, v40
	s_waitcnt lgkmcnt(0)
	s_barrier
	buffer_gl0_inv
	v_add_f32_e32 v40, v40, v42
	ds_bpermute_b32 v42, v33, v40
	s_waitcnt lgkmcnt(0)
	v_add_f32_e32 v40, v40, v42
	ds_bpermute_b32 v42, v34, v40
	s_waitcnt lgkmcnt(0)
	;; [unrolled: 3-line block ×3, first 2 shown]
	v_add_f32_e32 v40, v40, v42
	ds_bpermute_b32 v42, v36, v40
	s_and_saveexec_b32 s6, s4
	s_cbranch_execz .LBB577_33
; %bb.32:                               ;   in Loop: Header=BB577_9 Depth=1
	s_waitcnt lgkmcnt(0)
	v_add_f32_e32 v40, v40, v42
	ds_store_b32 v38, v40
.LBB577_33:                             ;   in Loop: Header=BB577_9 Depth=1
	s_or_b32 exec_lo, exec_lo, s6
	v_mov_b32_e32 v40, 0
	s_waitcnt lgkmcnt(0)
	s_barrier
	buffer_gl0_inv
	s_and_saveexec_b32 s6, s1
	s_cbranch_execnz .LBB577_51
; %bb.34:                               ;   in Loop: Header=BB577_9 Depth=1
	s_or_b32 exec_lo, exec_lo, s6
	s_and_saveexec_b32 s6, s0
	s_cbranch_execnz .LBB577_52
.LBB577_35:                             ;   in Loop: Header=BB577_9 Depth=1
	s_or_b32 exec_lo, exec_lo, s6
	s_and_saveexec_b32 s6, s5
	s_cbranch_execz .LBB577_8
	s_branch .LBB577_53
.LBB577_36:                             ;   in Loop: Header=BB577_9 Depth=1
	s_mul_i32 s7, s15, s25
	s_mul_hi_u32 s43, s15, s24
	s_mul_i32 s42, s15, s24
	s_add_i32 s43, s43, s7
	s_or_b32 s7, s15, 1
	s_lshl_b64 s[42:43], s[42:43], 1
	s_delay_alu instid0(SALU_CYCLE_1) | instskip(SKIP_3) | instid1(SALU_CYCLE_1)
	v_add_co_u32 v1, vcc_lo, v5, s42
	v_add_co_ci_u32_e32 v2, vcc_lo, s43, v6, vcc_lo
	s_mul_i32 s42, s7, s25
	s_mul_hi_u32 s43, s7, s24
	s_add_i32 s43, s43, s42
	s_mul_i32 s42, s7, s24
	s_or_b32 s7, s15, 2
	s_lshl_b64 s[42:43], s[42:43], 1
	global_load_b64 v[22:23], v[1:2], off
	s_mul_i32 s52, s7, s25
	s_mul_hi_u32 s53, s7, s24
	v_add_co_u32 v1, vcc_lo, v5, s42
	v_add_co_ci_u32_e32 v2, vcc_lo, s43, v6, vcc_lo
	s_add_i32 s43, s53, s52
	s_or_b32 s52, s15, 3
	s_mul_i32 s42, s7, s24
	s_mul_i32 s7, s52, s25
	s_mul_hi_u32 s53, s52, s24
	s_lshl_b64 s[42:43], s[42:43], 1
	s_add_i32 s53, s53, s7
	s_mul_i32 s52, s52, s24
	v_add_co_u32 v3, vcc_lo, v5, s42
	v_add_co_ci_u32_e32 v4, vcc_lo, s43, v6, vcc_lo
	s_lshl_b64 s[42:43], s[52:53], 1
	s_clause 0x3
	global_load_u16 v48, v[10:11], off
	global_load_u16 v49, v[12:13], off
	;; [unrolled: 1-line block ×4, first 2 shown]
	s_waitcnt lgkmcnt(0)
	v_add_co_u32 v40, vcc_lo, v5, s42
	v_add_co_ci_u32_e32 v41, vcc_lo, s43, v6, vcc_lo
	s_clause 0x2
	global_load_b64 v[42:43], v[1:2], off
	global_load_b64 v[44:45], v[3:4], off
	;; [unrolled: 1-line block ×3, first 2 shown]
	s_waitcnt vmcnt(7)
	v_lshlrev_b32_e32 v40, 16, v22
	s_waitcnt vmcnt(2)
	v_lshlrev_b32_e32 v52, 16, v43
	;; [unrolled: 2-line block ×3, first 2 shown]
	v_and_b32_e32 v22, 0xffff0000, v22
	v_lshlrev_b32_e32 v4, 16, v51
	v_and_b32_e32 v51, 0xffff0000, v42
	v_and_b32_e32 v55, 0xffff0000, v43
	v_lshlrev_b32_e32 v3, 16, v50
	v_lshlrev_b32_e32 v2, 16, v49
	;; [unrolled: 1-line block ×4, first 2 shown]
	v_and_b32_e32 v45, 0xffff0000, v45
	s_waitcnt vmcnt(0)
	v_lshlrev_b32_e32 v54, 16, v47
	s_delay_alu instid0(VALU_DEP_3) | instskip(NEXT) | instid1(VALU_DEP_1)
	v_fma_f32 v42, v1, v41, 0
	v_fmac_f32_e32 v42, v2, v51
	v_fma_f32 v43, v1, v40, 0
	s_delay_alu instid0(VALU_DEP_1) | instskip(SKIP_2) | instid1(VALU_DEP_2)
	v_dual_fmac_f32 v42, v3, v52 :: v_dual_fmac_f32 v43, v2, v22
	v_lshlrev_b32_e32 v48, 16, v23
	v_and_b32_e32 v22, 0xffff0000, v47
	v_dual_fmac_f32 v42, v4, v55 :: v_dual_fmac_f32 v43, v3, v48
	v_lshlrev_b32_e32 v50, 16, v46
	v_and_b32_e32 v46, 0xffff0000, v46
	s_delay_alu instid0(VALU_DEP_2) | instskip(NEXT) | instid1(VALU_DEP_1)
	v_fma_f32 v40, v1, v50, 0
	v_dual_fmac_f32 v40, v2, v46 :: v_dual_and_b32 v23, 0xffff0000, v23
	v_lshlrev_b32_e32 v49, 16, v44
	s_delay_alu instid0(VALU_DEP_2) | instskip(NEXT) | instid1(VALU_DEP_3)
	v_dual_fmac_f32 v43, v4, v23 :: v_dual_and_b32 v44, 0xffff0000, v44
	v_fmac_f32_e32 v40, v3, v54
	s_delay_alu instid0(VALU_DEP_3) | instskip(NEXT) | instid1(VALU_DEP_1)
	v_fma_f32 v41, v1, v49, 0
	v_dual_fmac_f32 v40, v4, v22 :: v_dual_fmac_f32 v41, v2, v44
	s_delay_alu instid0(VALU_DEP_1) | instskip(NEXT) | instid1(VALU_DEP_1)
	v_fmac_f32_e32 v41, v3, v53
	v_fmac_f32_e32 v41, v4, v45
	s_and_not1_saveexec_b32 s52, s6
	s_cbranch_execz .LBB577_11
.LBB577_37:                             ;   in Loop: Header=BB577_9 Depth=1
	s_waitcnt lgkmcnt(0)
	v_dual_mov_b32 v40, 0 :: v_dual_mov_b32 v41, 0
	v_dual_mov_b32 v42, 0 :: v_dual_mov_b32 v43, 0
	s_and_saveexec_b32 s53, s3
	s_cbranch_execz .LBB577_44
; %bb.38:                               ;   in Loop: Header=BB577_9 Depth=1
	s_and_not1_b32 vcc_lo, exec_lo, s47
	s_cbranch_vccnz .LBB577_41
; %bb.39:                               ;   in Loop: Header=BB577_9 Depth=1
	v_dual_mov_b32 v23, v19 :: v_dual_mov_b32 v22, v18
	s_mov_b64 s[42:43], 0
	.p2align	6
.LBB577_40:                             ;   Parent Loop BB577_9 Depth=1
                                        ; =>  This Inner Loop Header: Depth=2
	global_load_u16 v40, v[22:23], off
	v_add_co_u32 v22, vcc_lo, v22, s34
	s_cmp_eq_u32 s42, 3
	v_add_co_ci_u32_e32 v23, vcc_lo, s35, v23, vcc_lo
	s_cselect_b32 vcc_lo, -1, 0
	s_cmp_eq_u32 s42, 2
	s_cselect_b32 s6, -1, 0
	s_cmp_eq_u32 s42, 1
	s_cselect_b32 s7, -1, 0
	s_cmp_eq_u32 s42, 0
	s_waitcnt vmcnt(0)
	v_lshlrev_b32_e32 v40, 16, v40
	s_delay_alu instid0(VALU_DEP_1)
	v_cndmask_b32_e32 v4, v4, v40, vcc_lo
	s_cselect_b32 vcc_lo, -1, 0
	v_cndmask_b32_e64 v3, v3, v40, s6
	v_cndmask_b32_e64 v2, v2, v40, s7
	v_cndmask_b32_e32 v1, v1, v40, vcc_lo
	s_add_u32 s42, s42, 1
	s_addc_u32 s43, s43, 0
	s_cmp_eq_u32 s11, s42
	s_cbranch_scc0 .LBB577_40
.LBB577_41:                             ;   in Loop: Header=BB577_9 Depth=1
	v_dual_mov_b32 v40, 0 :: v_dual_mov_b32 v41, 0
	v_dual_mov_b32 v42, 0 :: v_dual_mov_b32 v43, 0
	s_and_not1_b32 vcc_lo, exec_lo, s47
	s_cbranch_vccnz .LBB577_44
; %bb.42:                               ;   in Loop: Header=BB577_9 Depth=1
	v_dual_mov_b32 v23, v21 :: v_dual_mov_b32 v42, 0
	v_dual_mov_b32 v43, 0 :: v_dual_mov_b32 v22, v20
	;; [unrolled: 1-line block ×3, first 2 shown]
	s_mov_b64 s[42:43], 0
	s_set_inst_prefetch_distance 0x1
	.p2align	6
.LBB577_43:                             ;   Parent Loop BB577_9 Depth=1
                                        ; =>  This Inner Loop Header: Depth=2
	s_delay_alu instid0(VALU_DEP_2)
	v_add_co_u32 v44, vcc_lo, v22, s38
	v_add_co_ci_u32_e32 v45, vcc_lo, s39, v23, vcc_lo
	v_add_co_u32 v46, vcc_lo, v22, s40
	v_add_co_ci_u32_e32 v47, vcc_lo, s41, v23, vcc_lo
	;; [unrolled: 2-line block ×3, first 2 shown]
	s_clause 0x3
	global_load_u16 v50, v[22:23], off
	global_load_u16 v44, v[44:45], off
	;; [unrolled: 1-line block ×4, first 2 shown]
	s_cmp_eq_u32 s42, 1
	v_add_co_u32 v22, s6, v22, 2
	s_cselect_b32 vcc_lo, -1, 0
	s_cmp_eq_u32 s42, 2
	v_cndmask_b32_e32 v47, v1, v2, vcc_lo
	s_cselect_b32 vcc_lo, -1, 0
	s_cmp_eq_u32 s42, 3
	v_add_co_ci_u32_e64 v23, s6, 0, v23, s6
	s_waitcnt vmcnt(3)
	v_lshlrev_b32_e32 v48, 16, v50
	s_waitcnt vmcnt(2)
	v_dual_cndmask_b32 v47, v47, v3 :: v_dual_lshlrev_b32 v44, 16, v44
	s_cselect_b32 vcc_lo, -1, 0
	s_waitcnt vmcnt(0)
	v_lshlrev_b32_e32 v46, 16, v46
	s_add_u32 s42, s42, 1
	s_addc_u32 s43, s43, 0
	v_cndmask_b32_e32 v47, v47, v4, vcc_lo
	v_lshlrev_b32_e32 v45, 16, v45
	s_cmp_lg_u32 s11, s42
	s_delay_alu instid0(VALU_DEP_2) | instskip(SKIP_1) | instid1(VALU_DEP_3)
	v_fmac_f32_e32 v42, v47, v44
	v_fmac_f32_e32 v43, v47, v48
	;; [unrolled: 1-line block ×4, first 2 shown]
	s_cbranch_scc1 .LBB577_43
.LBB577_44:                             ;   in Loop: Header=BB577_9 Depth=1
	s_set_inst_prefetch_distance 0x2
	s_or_b32 exec_lo, exec_lo, s53
	s_delay_alu instid0(SALU_CYCLE_1)
	s_or_b32 exec_lo, exec_lo, s52
	s_and_saveexec_b32 s6, s0
	s_cbranch_execnz .LBB577_12
	s_branch .LBB577_13
.LBB577_45:                             ;   in Loop: Header=BB577_9 Depth=1
	ds_load_b32 v22, v37
	s_or_b32 exec_lo, exec_lo, s6
	s_and_saveexec_b32 s6, s0
	s_cbranch_execz .LBB577_17
.LBB577_46:                             ;   in Loop: Header=BB577_9 Depth=1
	s_waitcnt lgkmcnt(0)
	ds_bpermute_b32 v23, v34, v22
	s_waitcnt lgkmcnt(0)
	v_add_f32_e32 v22, v22, v23
	ds_bpermute_b32 v23, v35, v22
	s_waitcnt lgkmcnt(0)
	v_add_f32_e32 v22, v22, v23
	;; [unrolled: 3-line block ×3, first 2 shown]
	s_or_b32 exec_lo, exec_lo, s6
	s_and_saveexec_b32 s6, s0
	s_cbranch_execnz .LBB577_18
	s_branch .LBB577_19
.LBB577_47:                             ;   in Loop: Header=BB577_9 Depth=1
	ds_load_b32 v23, v37
	s_or_b32 exec_lo, exec_lo, s6
	s_and_saveexec_b32 s6, s0
	s_cbranch_execz .LBB577_23
.LBB577_48:                             ;   in Loop: Header=BB577_9 Depth=1
	s_waitcnt lgkmcnt(0)
	ds_bpermute_b32 v42, v34, v23
	s_waitcnt lgkmcnt(0)
	v_add_f32_e32 v23, v23, v42
	ds_bpermute_b32 v42, v35, v23
	s_waitcnt lgkmcnt(0)
	v_add_f32_e32 v23, v23, v42
	ds_bpermute_b32 v42, v36, v23
	s_waitcnt lgkmcnt(0)
	v_add_f32_e32 v23, v23, v42
	s_or_b32 exec_lo, exec_lo, s6
	s_and_saveexec_b32 s6, s0
	s_cbranch_execnz .LBB577_24
	s_branch .LBB577_25
.LBB577_49:                             ;   in Loop: Header=BB577_9 Depth=1
	ds_load_b32 v41, v37
	s_or_b32 exec_lo, exec_lo, s6
	s_and_saveexec_b32 s6, s0
	s_cbranch_execz .LBB577_29
.LBB577_50:                             ;   in Loop: Header=BB577_9 Depth=1
	s_waitcnt lgkmcnt(0)
	ds_bpermute_b32 v42, v34, v41
	s_waitcnt lgkmcnt(0)
	v_add_f32_e32 v41, v41, v42
	ds_bpermute_b32 v42, v35, v41
	s_waitcnt lgkmcnt(0)
	v_add_f32_e32 v41, v41, v42
	;; [unrolled: 3-line block ×3, first 2 shown]
	s_or_b32 exec_lo, exec_lo, s6
	s_and_saveexec_b32 s6, s0
	s_cbranch_execnz .LBB577_30
	s_branch .LBB577_31
.LBB577_51:                             ;   in Loop: Header=BB577_9 Depth=1
	ds_load_b32 v40, v37
	s_or_b32 exec_lo, exec_lo, s6
	s_and_saveexec_b32 s6, s0
	s_cbranch_execz .LBB577_35
.LBB577_52:                             ;   in Loop: Header=BB577_9 Depth=1
	s_waitcnt lgkmcnt(0)
	ds_bpermute_b32 v42, v34, v40
	s_waitcnt lgkmcnt(0)
	v_add_f32_e32 v40, v40, v42
	ds_bpermute_b32 v42, v35, v40
	s_waitcnt lgkmcnt(0)
	v_add_f32_e32 v40, v40, v42
	;; [unrolled: 3-line block ×3, first 2 shown]
	s_or_b32 exec_lo, exec_lo, s6
	s_and_saveexec_b32 s6, s5
	s_cbranch_execz .LBB577_8
.LBB577_53:                             ;   in Loop: Header=BB577_9 Depth=1
	s_mul_hi_u32 s43, s15, s12
	s_mul_i32 s42, s15, s12
	v_dual_mul_f32 v22, s10, v22 :: v_dual_mul_f32 v23, s10, v23
	s_lshl_b64 s[42:43], s[42:43], 2
	s_waitcnt lgkmcnt(0)
	v_mul_f32_e32 v40, s10, v40
	s_add_u32 s42, s48, s42
	s_addc_u32 s43, s49, s43
	s_or_b32 s7, s15, 1
	global_store_b32 v39, v22, s[42:43]
	s_mul_hi_u32 s53, s7, s12
	s_mul_i32 s52, s7, s12
	v_mul_f32_e32 v22, s10, v41
	s_lshl_b64 s[52:53], s[52:53], 2
	s_delay_alu instid0(SALU_CYCLE_1)
	s_add_u32 s52, s48, s52
	s_addc_u32 s53, s49, s53
	s_or_b32 s7, s15, 2
	global_store_b32 v39, v23, s[52:53]
	s_mul_hi_u32 s55, s7, s12
	s_mul_i32 s54, s7, s12
	s_delay_alu instid0(SALU_CYCLE_1) | instskip(NEXT) | instid1(SALU_CYCLE_1)
	s_lshl_b64 s[54:55], s[54:55], 2
	s_add_u32 s42, s48, s54
	s_addc_u32 s43, s49, s55
	s_or_b32 s7, s15, 3
	s_delay_alu instid0(SALU_CYCLE_1) | instskip(SKIP_1) | instid1(SALU_CYCLE_1)
	s_mul_hi_u32 s55, s7, s12
	s_mul_i32 s54, s7, s12
	s_lshl_b64 s[54:55], s[54:55], 2
	s_delay_alu instid0(SALU_CYCLE_1)
	s_add_u32 s52, s48, s54
	s_addc_u32 s53, s49, s55
	s_clause 0x1
	global_store_b32 v39, v22, s[42:43]
	global_store_b32 v39, v40, s[52:53]
	s_branch .LBB577_8
.LBB577_54:
	s_mov_b32 s15, 0
                                        ; implicit-def: $vgpr1_vgpr2_vgpr3_vgpr4
.LBB577_55:
	s_delay_alu instid0(SALU_CYCLE_1)
	s_cmp_ge_i32 s15, s9
	s_cbranch_scc1 .LBB577_79
; %bb.56:
	v_cmp_gt_u32_e32 vcc_lo, 16, v27
	v_cmp_ge_i32_e64 s0, s8, v30
	v_cmp_ge_i32_e64 s1, s8, v31
	v_mad_i64_i32 v[19:20], null, s26, v25, 0
	v_cndmask_b32_e64 v10, 0, 1, vcc_lo
	v_cmp_gt_u32_e32 vcc_lo, 24, v27
	s_cmp_gt_i32 s11, 0
	s_mov_b32 s35, 0
	s_mov_b32 s34, s14
	v_lshlrev_b32_e32 v10, 4, v10
	v_cndmask_b32_e64 v11, 0, 1, vcc_lo
	v_cmp_gt_u32_e32 vcc_lo, 28, v27
	s_cselect_b32 s8, -1, 0
	s_lshl_b64 s[6:7], s[34:35], 2
	v_add_lshl_u32 v22, v10, v27, 2
	v_lshlrev_b32_e32 v11, 3, v11
	v_cndmask_b32_e64 v12, 0, 1, vcc_lo
	v_cmp_gt_u32_e32 vcc_lo, 30, v27
	s_add_u32 s14, s33, s6
	s_addc_u32 s33, s44, s7
	v_add_lshl_u32 v23, v11, v27, 2
	v_lshlrev_b32_e32 v12, 2, v12
	v_cndmask_b32_e64 v13, 0, 1, vcc_lo
	v_cmp_ne_u32_e32 vcc_lo, 31, v27
	v_mad_i64_i32 v[10:11], null, s26, v9, 0
	s_delay_alu instid0(VALU_DEP_4) | instskip(NEXT) | instid1(VALU_DEP_4)
	v_add_lshl_u32 v30, v12, v27, 2
	v_lshlrev_b32_e32 v13, 1, v13
	v_add_co_ci_u32_e32 v14, vcc_lo, 0, v27, vcc_lo
	s_add_u32 s6, s22, s30
	s_addc_u32 s7, s23, s31
	s_delay_alu instid0(VALU_DEP_2)
	v_add_lshl_u32 v27, v13, v27, 2
	v_mad_i64_i32 v[12:13], null, s26, v28, 0
	v_lshlrev_b32_e32 v31, 2, v14
	v_mad_i64_i32 v[14:15], null, s26, v26, 0
	v_lshlrev_b64 v[17:18], 1, v[10:11]
	s_mul_hi_u32 s22, s24, s15
	v_cmp_gt_u32_e64 s2, 32, v0
	v_lshlrev_b64 v[11:12], 1, v[12:13]
	v_lshlrev_b32_e32 v21, 2, v24
	v_cmp_eq_u32_e64 s3, 0, v24
	v_add_co_u32 v9, vcc_lo, s13, v17
	v_lshlrev_b64 v[13:14], 1, v[14:15]
	v_add_co_ci_u32_e32 v10, vcc_lo, s45, v18, vcc_lo
	v_add_co_u32 v11, vcc_lo, s13, v11
	v_lshlrev_b64 v[15:16], 1, v[19:20]
	v_add_co_ci_u32_e32 v12, vcc_lo, s45, v12, vcc_lo
	v_add_co_u32 v13, vcc_lo, s13, v13
	v_add_co_ci_u32_e32 v14, vcc_lo, s45, v14, vcc_lo
	s_delay_alu instid0(VALU_DEP_4)
	v_add_co_u32 v15, vcc_lo, s13, v15
	s_add_u32 s13, s6, s28
	s_mul_i32 s6, s25, s15
	v_add_co_ci_u32_e32 v16, vcc_lo, s45, v16, vcc_lo
	s_addc_u32 s23, s7, s29
	s_add_i32 s7, s22, s6
	s_mul_i32 s6, s24, s15
	v_add_co_u32 v17, vcc_lo, s13, v17
	s_lshl_b64 s[6:7], s[6:7], 1
	v_add_co_ci_u32_e32 v18, vcc_lo, s23, v18, vcc_lo
	s_lshl_b64 s[22:23], s[26:27], 1
	s_add_u32 s6, s20, s6
	s_addc_u32 s7, s21, s7
	s_add_u32 s6, s6, s18
	s_addc_u32 s7, s7, s19
	;; [unrolled: 2-line block ×3, first 2 shown]
	v_add_co_u32 v7, vcc_lo, s6, v7
	v_and_b32_e32 v24, 28, v29
	v_cmp_gt_u32_e64 s4, 8, v0
	v_cmp_eq_u32_e64 s5, 0, v0
	v_mov_b32_e32 v0, 0
	v_add_co_ci_u32_e32 v8, vcc_lo, s7, v8, vcc_lo
	s_lshl_b64 s[16:17], s[24:25], 1
	s_branch .LBB577_58
.LBB577_57:                             ;   in Loop: Header=BB577_58 Depth=1
	s_or_b32 exec_lo, exec_lo, s6
	v_add_co_u32 v7, vcc_lo, v7, s16
	v_add_co_ci_u32_e32 v8, vcc_lo, s17, v8, vcc_lo
	s_add_i32 s15, s15, 1
	s_delay_alu instid0(SALU_CYCLE_1)
	s_cmp_ge_i32 s15, s9
	s_cbranch_scc1 .LBB577_79
.LBB577_58:                             ; =>This Loop Header: Depth=1
                                        ;     Child Loop BB577_71 Depth 2
                                        ;     Child Loop BB577_74 Depth 2
	v_mov_b32_e32 v25, s35
	s_and_saveexec_b32 s6, s0
	s_delay_alu instid0(SALU_CYCLE_1)
	s_xor_b32 s6, exec_lo, s6
	s_cbranch_execnz .LBB577_67
; %bb.59:                               ;   in Loop: Header=BB577_58 Depth=1
	s_and_not1_saveexec_b32 s13, s6
	s_cbranch_execnz .LBB577_68
.LBB577_60:                             ;   in Loop: Header=BB577_58 Depth=1
	s_or_b32 exec_lo, exec_lo, s13
	s_and_saveexec_b32 s6, s2
	s_cbranch_execz .LBB577_62
.LBB577_61:                             ;   in Loop: Header=BB577_58 Depth=1
	ds_store_b32 v21, v0
.LBB577_62:                             ;   in Loop: Header=BB577_58 Depth=1
	s_or_b32 exec_lo, exec_lo, s6
	s_waitcnt lgkmcnt(0)
	ds_bpermute_b32 v19, v22, v25
	s_waitcnt lgkmcnt(0)
	s_waitcnt_vscnt null, 0x0
	s_barrier
	buffer_gl0_inv
	v_add_f32_e32 v19, v25, v19
	ds_bpermute_b32 v20, v23, v19
	s_waitcnt lgkmcnt(0)
	v_add_f32_e32 v19, v19, v20
	ds_bpermute_b32 v20, v30, v19
	s_waitcnt lgkmcnt(0)
	;; [unrolled: 3-line block ×3, first 2 shown]
	v_add_f32_e32 v19, v19, v20
	ds_bpermute_b32 v20, v31, v19
	s_and_saveexec_b32 s6, s3
	s_cbranch_execz .LBB577_64
; %bb.63:                               ;   in Loop: Header=BB577_58 Depth=1
	s_waitcnt lgkmcnt(0)
	v_add_f32_e32 v19, v19, v20
	ds_store_b32 v24, v19
.LBB577_64:                             ;   in Loop: Header=BB577_58 Depth=1
	s_or_b32 exec_lo, exec_lo, s6
	v_mov_b32_e32 v19, 0
	s_waitcnt lgkmcnt(0)
	s_barrier
	buffer_gl0_inv
	s_and_saveexec_b32 s6, s4
	s_cbranch_execnz .LBB577_76
; %bb.65:                               ;   in Loop: Header=BB577_58 Depth=1
	s_or_b32 exec_lo, exec_lo, s6
	s_and_saveexec_b32 s6, s2
	s_cbranch_execnz .LBB577_77
.LBB577_66:                             ;   in Loop: Header=BB577_58 Depth=1
	s_or_b32 exec_lo, exec_lo, s6
	s_and_saveexec_b32 s6, s5
	s_cbranch_execz .LBB577_57
	s_branch .LBB577_78
.LBB577_67:                             ;   in Loop: Header=BB577_58 Depth=1
	s_mul_i32 s7, s15, s25
	s_mul_hi_u32 s13, s15, s24
	s_mul_i32 s18, s15, s24
	s_add_i32 s19, s13, s7
	s_delay_alu instid0(SALU_CYCLE_1) | instskip(NEXT) | instid1(SALU_CYCLE_1)
	s_lshl_b64 s[18:19], s[18:19], 1
	v_add_co_u32 v1, vcc_lo, v5, s18
	v_add_co_ci_u32_e32 v2, vcc_lo, s19, v6, vcc_lo
	global_load_u16 v3, v[9:10], off
	s_waitcnt lgkmcnt(0)
	global_load_b64 v[19:20], v[1:2], off
	s_clause 0x2
	global_load_u16 v2, v[11:12], off
	global_load_u16 v4, v[13:14], off
	;; [unrolled: 1-line block ×3, first 2 shown]
	s_waitcnt vmcnt(4)
	v_lshlrev_b32_e32 v1, 16, v3
	s_waitcnt vmcnt(3)
	v_lshlrev_b32_e32 v3, 16, v19
	v_and_b32_e32 v19, 0xffff0000, v19
	s_delay_alu instid0(VALU_DEP_2) | instskip(SKIP_4) | instid1(VALU_DEP_1)
	v_fma_f32 v25, v1, v3, 0
	s_waitcnt vmcnt(1)
	v_lshlrev_b32_e32 v3, 16, v4
	v_lshlrev_b32_e32 v2, 16, v2
	s_waitcnt vmcnt(0)
	v_dual_fmac_f32 v25, v2, v19 :: v_dual_lshlrev_b32 v4, 16, v26
	v_lshlrev_b32_e32 v19, 16, v20
	s_delay_alu instid0(VALU_DEP_1) | instskip(NEXT) | instid1(VALU_DEP_1)
	v_dual_fmac_f32 v25, v3, v19 :: v_dual_and_b32 v20, 0xffff0000, v20
	v_fmac_f32_e32 v25, v4, v20
	s_and_not1_saveexec_b32 s13, s6
	s_cbranch_execz .LBB577_60
.LBB577_68:                             ;   in Loop: Header=BB577_58 Depth=1
	s_and_saveexec_b32 s20, s1
	s_cbranch_execz .LBB577_75
; %bb.69:                               ;   in Loop: Header=BB577_58 Depth=1
	s_and_not1_b32 vcc_lo, exec_lo, s8
	s_cbranch_vccnz .LBB577_72
; %bb.70:                               ;   in Loop: Header=BB577_58 Depth=1
	s_waitcnt lgkmcnt(0)
	v_dual_mov_b32 v20, v18 :: v_dual_mov_b32 v19, v17
	s_mov_b64 s[18:19], 0
	.p2align	6
.LBB577_71:                             ;   Parent Loop BB577_58 Depth=1
                                        ; =>  This Inner Loop Header: Depth=2
	global_load_u16 v26, v[19:20], off
	v_add_co_u32 v19, vcc_lo, v19, s22
	s_cmp_eq_u32 s18, 3
	v_add_co_ci_u32_e32 v20, vcc_lo, s23, v20, vcc_lo
	s_cselect_b32 vcc_lo, -1, 0
	s_cmp_eq_u32 s18, 2
	s_cselect_b32 s6, -1, 0
	s_cmp_eq_u32 s18, 1
	s_cselect_b32 s7, -1, 0
	s_cmp_eq_u32 s18, 0
	s_waitcnt vmcnt(0)
	v_lshlrev_b32_e32 v26, 16, v26
	s_delay_alu instid0(VALU_DEP_1)
	v_cndmask_b32_e32 v4, v4, v26, vcc_lo
	s_cselect_b32 vcc_lo, -1, 0
	v_cndmask_b32_e64 v3, v3, v26, s6
	v_cndmask_b32_e64 v2, v2, v26, s7
	v_cndmask_b32_e32 v1, v1, v26, vcc_lo
	s_add_u32 s18, s18, 1
	s_addc_u32 s19, s19, 0
	s_cmp_eq_u32 s11, s18
	s_cbranch_scc0 .LBB577_71
.LBB577_72:                             ;   in Loop: Header=BB577_58 Depth=1
	s_and_not1_b32 vcc_lo, exec_lo, s8
	s_cbranch_vccnz .LBB577_75
; %bb.73:                               ;   in Loop: Header=BB577_58 Depth=1
	s_waitcnt lgkmcnt(0)
	v_dual_mov_b32 v20, v8 :: v_dual_mov_b32 v19, v7
	s_mov_b64 s[6:7], 0
	.p2align	6
.LBB577_74:                             ;   Parent Loop BB577_58 Depth=1
                                        ; =>  This Inner Loop Header: Depth=2
	global_load_u16 v26, v[19:20], off
	s_cmp_eq_u32 s6, 1
	s_cselect_b32 vcc_lo, -1, 0
	s_cmp_eq_u32 s6, 2
	v_cndmask_b32_e32 v28, v1, v2, vcc_lo
	s_cselect_b32 vcc_lo, -1, 0
	s_cmp_eq_u32 s6, 3
	s_delay_alu instid0(VALU_DEP_1)
	v_cndmask_b32_e32 v28, v28, v3, vcc_lo
	s_cselect_b32 vcc_lo, -1, 0
	s_add_u32 s6, s6, 1
	s_addc_u32 s7, s7, 0
	s_cmp_lg_u32 s11, s6
	v_cndmask_b32_e32 v28, v28, v4, vcc_lo
	v_add_co_u32 v19, vcc_lo, v19, 2
	v_add_co_ci_u32_e32 v20, vcc_lo, 0, v20, vcc_lo
	s_waitcnt vmcnt(0)
	v_lshlrev_b32_e32 v26, 16, v26
	s_delay_alu instid0(VALU_DEP_1)
	v_fmac_f32_e32 v25, v28, v26
	s_cbranch_scc1 .LBB577_74
.LBB577_75:                             ;   in Loop: Header=BB577_58 Depth=1
	s_or_b32 exec_lo, exec_lo, s20
	s_delay_alu instid0(SALU_CYCLE_1)
	s_or_b32 exec_lo, exec_lo, s13
	s_and_saveexec_b32 s6, s2
	s_cbranch_execnz .LBB577_61
	s_branch .LBB577_62
.LBB577_76:                             ;   in Loop: Header=BB577_58 Depth=1
	ds_load_b32 v19, v21
	s_or_b32 exec_lo, exec_lo, s6
	s_and_saveexec_b32 s6, s2
	s_cbranch_execz .LBB577_66
.LBB577_77:                             ;   in Loop: Header=BB577_58 Depth=1
	s_waitcnt lgkmcnt(0)
	ds_bpermute_b32 v20, v30, v19
	s_waitcnt lgkmcnt(0)
	v_add_f32_e32 v19, v19, v20
	ds_bpermute_b32 v20, v27, v19
	s_waitcnt lgkmcnt(0)
	v_add_f32_e32 v19, v19, v20
	;; [unrolled: 3-line block ×3, first 2 shown]
	s_or_b32 exec_lo, exec_lo, s6
	s_and_saveexec_b32 s6, s5
	s_cbranch_execz .LBB577_57
.LBB577_78:                             ;   in Loop: Header=BB577_58 Depth=1
	s_mul_hi_u32 s19, s15, s12
	s_mul_i32 s18, s15, s12
	s_waitcnt lgkmcnt(0)
	v_mul_f32_e32 v19, s10, v19
	s_lshl_b64 s[18:19], s[18:19], 2
	s_delay_alu instid0(SALU_CYCLE_1)
	s_add_u32 s18, s14, s18
	s_addc_u32 s19, s33, s19
	global_store_b32 v0, v19, s[18:19]
	s_branch .LBB577_57
.LBB577_79:
	s_nop 0
	s_sendmsg sendmsg(MSG_DEALLOC_VGPRS)
	s_endpgm
	.section	.rodata,"a",@progbits
	.p2align	6, 0x0
	.amdhsa_kernel _ZL23rocblas_gemvt_sn_kernelILb1ELi256ELi4El16rocblas_bfloat16ffEviiT4_lPKT3_lilS4_lilPT5_i
		.amdhsa_group_segment_fixed_size 128
		.amdhsa_private_segment_fixed_size 0
		.amdhsa_kernarg_size 360
		.amdhsa_user_sgpr_count 14
		.amdhsa_user_sgpr_dispatch_ptr 0
		.amdhsa_user_sgpr_queue_ptr 0
		.amdhsa_user_sgpr_kernarg_segment_ptr 1
		.amdhsa_user_sgpr_dispatch_id 0
		.amdhsa_user_sgpr_private_segment_size 0
		.amdhsa_wavefront_size32 1
		.amdhsa_uses_dynamic_stack 0
		.amdhsa_enable_private_segment 0
		.amdhsa_system_sgpr_workgroup_id_x 1
		.amdhsa_system_sgpr_workgroup_id_y 0
		.amdhsa_system_sgpr_workgroup_id_z 1
		.amdhsa_system_sgpr_workgroup_info 0
		.amdhsa_system_vgpr_workitem_id 0
		.amdhsa_next_free_vgpr 56
		.amdhsa_next_free_sgpr 56
		.amdhsa_reserve_vcc 1
		.amdhsa_float_round_mode_32 0
		.amdhsa_float_round_mode_16_64 0
		.amdhsa_float_denorm_mode_32 3
		.amdhsa_float_denorm_mode_16_64 3
		.amdhsa_dx10_clamp 1
		.amdhsa_ieee_mode 1
		.amdhsa_fp16_overflow 0
		.amdhsa_workgroup_processor_mode 1
		.amdhsa_memory_ordered 1
		.amdhsa_forward_progress 0
		.amdhsa_shared_vgpr_count 0
		.amdhsa_exception_fp_ieee_invalid_op 0
		.amdhsa_exception_fp_denorm_src 0
		.amdhsa_exception_fp_ieee_div_zero 0
		.amdhsa_exception_fp_ieee_overflow 0
		.amdhsa_exception_fp_ieee_underflow 0
		.amdhsa_exception_fp_ieee_inexact 0
		.amdhsa_exception_int_div_zero 0
	.end_amdhsa_kernel
	.section	.text._ZL23rocblas_gemvt_sn_kernelILb1ELi256ELi4El16rocblas_bfloat16ffEviiT4_lPKT3_lilS4_lilPT5_i,"axG",@progbits,_ZL23rocblas_gemvt_sn_kernelILb1ELi256ELi4El16rocblas_bfloat16ffEviiT4_lPKT3_lilS4_lilPT5_i,comdat
.Lfunc_end577:
	.size	_ZL23rocblas_gemvt_sn_kernelILb1ELi256ELi4El16rocblas_bfloat16ffEviiT4_lPKT3_lilS4_lilPT5_i, .Lfunc_end577-_ZL23rocblas_gemvt_sn_kernelILb1ELi256ELi4El16rocblas_bfloat16ffEviiT4_lPKT3_lilS4_lilPT5_i
                                        ; -- End function
	.section	.AMDGPU.csdata,"",@progbits
; Kernel info:
; codeLenInByte = 4328
; NumSgprs: 58
; NumVgprs: 56
; ScratchSize: 0
; MemoryBound: 0
; FloatMode: 240
; IeeeMode: 1
; LDSByteSize: 128 bytes/workgroup (compile time only)
; SGPRBlocks: 7
; VGPRBlocks: 6
; NumSGPRsForWavesPerEU: 58
; NumVGPRsForWavesPerEU: 56
; Occupancy: 16
; WaveLimiterHint : 1
; COMPUTE_PGM_RSRC2:SCRATCH_EN: 0
; COMPUTE_PGM_RSRC2:USER_SGPR: 14
; COMPUTE_PGM_RSRC2:TRAP_HANDLER: 0
; COMPUTE_PGM_RSRC2:TGID_X_EN: 1
; COMPUTE_PGM_RSRC2:TGID_Y_EN: 0
; COMPUTE_PGM_RSRC2:TGID_Z_EN: 1
; COMPUTE_PGM_RSRC2:TIDIG_COMP_CNT: 0
	.section	.text._ZL20rocblas_gemvt_kernelILb1ELi256E16rocblas_bfloat16PKfS0_EviiT2_lPKT1_lilS6_lilS3_lPT3_lili,"axG",@progbits,_ZL20rocblas_gemvt_kernelILb1ELi256E16rocblas_bfloat16PKfS0_EviiT2_lPKT1_lilS6_lilS3_lPT3_lili,comdat
	.globl	_ZL20rocblas_gemvt_kernelILb1ELi256E16rocblas_bfloat16PKfS0_EviiT2_lPKT1_lilS6_lilS3_lPT3_lili ; -- Begin function _ZL20rocblas_gemvt_kernelILb1ELi256E16rocblas_bfloat16PKfS0_EviiT2_lPKT1_lilS6_lilS3_lPT3_lili
	.p2align	8
	.type	_ZL20rocblas_gemvt_kernelILb1ELi256E16rocblas_bfloat16PKfS0_EviiT2_lPKT1_lilS6_lilS3_lPT3_lili,@function
_ZL20rocblas_gemvt_kernelILb1ELi256E16rocblas_bfloat16PKfS0_EviiT2_lPKT1_lilS6_lilS3_lPT3_lili: ; @_ZL20rocblas_gemvt_kernelILb1ELi256E16rocblas_bfloat16PKfS0_EviiT2_lPKT1_lilS6_lilS3_lPT3_lili
; %bb.0:
	s_clause 0x1
	s_load_b256 s[16:23], s[0:1], 0x8
	s_load_b256 s[4:11], s[0:1], 0x50
	s_waitcnt lgkmcnt(0)
	s_mul_i32 s3, s15, s19
	s_mul_hi_u32 s12, s15, s18
	s_mul_i32 s2, s15, s18
	s_add_i32 s3, s12, s3
	s_mul_i32 s9, s15, s9
	s_lshl_b64 s[2:3], s[2:3], 2
	s_mul_hi_u32 s12, s15, s8
	s_add_u32 s2, s16, s2
	s_addc_u32 s3, s17, s3
	s_add_i32 s9, s12, s9
	s_mul_i32 s8, s15, s8
	s_mov_b32 s16, 0
	s_lshl_b64 s[8:9], s[8:9], 2
	s_delay_alu instid0(SALU_CYCLE_1)
	s_add_u32 s6, s6, s8
	s_addc_u32 s7, s7, s9
	s_load_b32 s19, s[2:3], 0x0
	s_load_b32 s17, s[6:7], 0x0
	s_waitcnt lgkmcnt(0)
	v_cmp_eq_f32_e64 s2, s19, 0
	v_cmp_eq_f32_e64 s3, s17, 1.0
	s_delay_alu instid0(VALU_DEP_1) | instskip(NEXT) | instid1(SALU_CYCLE_1)
	s_and_b32 s2, s2, s3
	s_and_b32 vcc_lo, exec_lo, s2
	s_cbranch_vccnz .LBB578_64
; %bb.1:
	s_clause 0x2
	s_load_b64 s[2:3], s[0:1], 0x80
	s_load_b64 s[6:7], s[0:1], 0x70
	s_load_b32 s18, s[0:1], 0x78
	s_waitcnt lgkmcnt(0)
	s_mul_i32 s3, s15, s3
	s_mul_hi_u32 s8, s15, s2
	s_mul_i32 s2, s15, s2
	s_add_i32 s3, s8, s3
	v_cmp_neq_f32_e64 s8, s19, 0
	s_lshl_b64 s[2:3], s[2:3], 1
	s_delay_alu instid0(SALU_CYCLE_1) | instskip(SKIP_2) | instid1(SALU_CYCLE_1)
	s_add_u32 s9, s10, s2
	s_addc_u32 s10, s11, s3
	s_lshl_b64 s[2:3], s[6:7], 1
	s_add_u32 s12, s9, s2
	v_cmp_eq_u32_e64 s2, 0, v0
	s_addc_u32 s13, s10, s3
	s_and_b32 vcc_lo, exec_lo, s8
	s_cbranch_vccnz .LBB578_6
; %bb.2:
	s_mov_b32 s3, 0
                                        ; implicit-def: $sgpr8
                                        ; implicit-def: $sgpr6_sgpr7
	s_and_saveexec_b32 s9, s2
	s_cbranch_execz .LBB578_7
; %bb.3:
	v_cmp_eq_f32_e64 s2, s17, 0
	s_mov_b32 s8, 0
	s_mul_hi_i32 s7, s18, s14
	s_mul_i32 s6, s18, s14
	s_delay_alu instid0(VALU_DEP_1)
	s_and_b32 vcc_lo, exec_lo, s2
	s_cbranch_vccnz .LBB578_11
; %bb.4:
	s_lshl_b64 s[10:11], s[6:7], 1
	v_mov_b32_e32 v1, 0
	s_add_u32 s10, s12, s10
	s_addc_u32 s11, s13, s11
	global_load_u16 v1, v1, s[10:11]
	s_waitcnt vmcnt(0)
	v_lshlrev_b32_e32 v1, 16, v1
	s_delay_alu instid0(VALU_DEP_1) | instskip(NEXT) | instid1(VALU_DEP_1)
	v_mul_f32_e32 v1, s17, v1
	v_and_b32_e32 v2, 0x7f800000, v1
	v_readfirstlane_b32 s2, v1
	s_delay_alu instid0(VALU_DEP_2)
	v_cmp_eq_u32_e32 vcc_lo, 0x7f800000, v2
	s_cbranch_vccnz .LBB578_8
; %bb.5:
	s_delay_alu instid0(VALU_DEP_2) | instskip(NEXT) | instid1(SALU_CYCLE_1)
	s_bfe_u32 s8, s2, 0x10010
	s_add_i32 s8, s2, s8
	s_delay_alu instid0(SALU_CYCLE_1)
	s_addk_i32 s8, 0x7fff
	s_cbranch_execz .LBB578_9
	s_branch .LBB578_10
.LBB578_6:
                                        ; implicit-def: $sgpr8
                                        ; implicit-def: $sgpr6_sgpr7
	s_cbranch_execnz .LBB578_12
	s_branch .LBB578_62
.LBB578_7:
	s_or_b32 exec_lo, exec_lo, s9
	s_delay_alu instid0(SALU_CYCLE_1)
	s_and_b32 vcc_lo, exec_lo, s3
	s_cbranch_vccnz .LBB578_12
	s_branch .LBB578_62
.LBB578_8:
                                        ; implicit-def: $sgpr8
.LBB578_9:
	s_delay_alu instid0(VALU_DEP_2)
	s_and_b32 s8, s2, 0xffff
	s_or_b32 s10, s2, 0x10000
	s_cmp_eq_u32 s8, 0
	s_cselect_b32 s8, s2, s10
.LBB578_10:
	s_delay_alu instid0(SALU_CYCLE_1)
	s_lshr_b32 s8, s8, 16
.LBB578_11:
	s_mov_b32 s16, exec_lo
	s_or_b32 exec_lo, exec_lo, s9
	s_delay_alu instid0(SALU_CYCLE_1)
	s_and_b32 vcc_lo, exec_lo, s3
	s_cbranch_vccz .LBB578_62
.LBB578_12:
	s_clause 0x3
	s_load_b128 s[8:11], s[0:1], 0x30
	s_load_b32 s24, s[0:1], 0x0
	s_load_b32 s7, s[0:1], 0x28
	s_load_b64 s[2:3], s[0:1], 0x40
	s_mul_i32 s5, s15, s5
	s_mul_hi_u32 s25, s15, s4
	s_load_b32 s6, s[0:1], 0x48
	s_add_i32 s1, s25, s5
	v_mov_b32_e32 v7, 0
	s_waitcnt lgkmcnt(0)
	s_mul_i32 s0, s15, s9
	s_mul_hi_u32 s5, s15, s8
	v_cmp_gt_i32_e32 vcc_lo, s24, v0
	s_mul_i32 s8, s15, s8
	s_add_i32 s9, s5, s0
	s_mul_hi_i32 s27, s7, s14
	s_lshl_b64 s[8:9], s[8:9], 1
	v_cndmask_b32_e32 v1, 0, v0, vcc_lo
	s_add_u32 s0, s20, s8
	s_addc_u32 s5, s21, s9
	s_lshl_b64 s[8:9], s[22:23], 1
	s_mul_i32 s26, s7, s14
	s_add_u32 s7, s0, s8
	s_addc_u32 s5, s5, s9
	s_lshl_b64 s[8:9], s[26:27], 1
	v_lshlrev_b32_e32 v1, 1, v1
	s_mul_i32 s0, s15, s4
	s_add_u32 s4, s8, s7
	s_addc_u32 s5, s9, s5
	s_ashr_i32 s7, s24, 31
	v_add_co_u32 v1, s4, s4, v1
	s_lshr_b32 s7, s7, 24
	v_add_co_ci_u32_e64 v2, null, s5, 0, s4
	s_add_i32 s7, s24, s7
	s_mov_b32 s5, 0
	s_and_b32 s4, s7, 0xffffff00
	s_cmpk_lt_i32 s24, 0x100
	s_cbranch_scc1 .LBB578_19
; %bb.13:
	v_mad_i64_i32 v[3:4], null, s6, v0, 0
	s_lshl_b64 s[20:21], s[2:3], 1
	s_ashr_i32 s7, s6, 31
	s_lshl_b64 s[8:9], s[0:1], 1
	s_add_u32 s15, s10, s20
	s_addc_u32 s20, s11, s21
	s_add_u32 s8, s15, s8
	s_delay_alu instid0(VALU_DEP_1) | instskip(SKIP_3) | instid1(VALU_DEP_3)
	v_lshlrev_b64 v[3:4], 1, v[3:4]
	s_addc_u32 s9, s20, s9
	v_dual_mov_b32 v7, 0 :: v_dual_mov_b32 v6, v2
	v_mov_b32_e32 v5, v1
	v_add_co_u32 v3, vcc_lo, s8, v3
	s_delay_alu instid0(VALU_DEP_4)
	v_add_co_ci_u32_e32 v4, vcc_lo, s9, v4, vcc_lo
	s_lshl_b64 s[8:9], s[6:7], 9
	s_set_inst_prefetch_distance 0x1
	s_branch .LBB578_15
	.p2align	6
.LBB578_14:                             ;   in Loop: Header=BB578_15 Depth=1
	s_or_b32 exec_lo, exec_lo, s7
	s_delay_alu instid0(VALU_DEP_1) | instskip(SKIP_3) | instid1(VALU_DEP_4)
	v_and_b32_e32 v8, 0xffff0000, v9
	v_add_co_u32 v3, vcc_lo, v3, s8
	v_add_co_ci_u32_e32 v4, vcc_lo, s9, v4, vcc_lo
	v_add_co_u32 v5, vcc_lo, 0x200, v5
	v_add_f32_e32 v7, v7, v8
	v_add_co_ci_u32_e32 v6, vcc_lo, 0, v6, vcc_lo
	s_addk_i32 s5, 0x100
	s_delay_alu instid0(SALU_CYCLE_1)
	s_cmp_ge_i32 s5, s4
	s_cbranch_scc1 .LBB578_19
.LBB578_15:                             ; =>This Inner Loop Header: Depth=1
	global_load_u16 v8, v[3:4], off
	global_load_u16 v9, v[5:6], off
	s_waitcnt vmcnt(1)
	v_lshlrev_b32_e32 v8, 16, v8
	s_waitcnt vmcnt(0)
	v_lshlrev_b32_e32 v9, 16, v9
	s_delay_alu instid0(VALU_DEP_1) | instskip(NEXT) | instid1(VALU_DEP_1)
	v_mul_f32_e32 v8, v9, v8
	v_and_b32_e32 v9, 0x7f800000, v8
	s_delay_alu instid0(VALU_DEP_1) | instskip(SKIP_1) | instid1(SALU_CYCLE_1)
	v_cmp_ne_u32_e32 vcc_lo, 0x7f800000, v9
                                        ; implicit-def: $vgpr9
	s_and_saveexec_b32 s7, vcc_lo
	s_xor_b32 s7, exec_lo, s7
; %bb.16:                               ;   in Loop: Header=BB578_15 Depth=1
	v_bfe_u32 v9, v8, 16, 1
	s_delay_alu instid0(VALU_DEP_1)
	v_add3_u32 v9, v8, v9, 0x7fff
                                        ; implicit-def: $vgpr8
; %bb.17:                               ;   in Loop: Header=BB578_15 Depth=1
	s_and_not1_saveexec_b32 s7, s7
	s_cbranch_execz .LBB578_14
; %bb.18:                               ;   in Loop: Header=BB578_15 Depth=1
	v_and_b32_e32 v9, 0xffff, v8
	v_or_b32_e32 v10, 0x10000, v8
	s_delay_alu instid0(VALU_DEP_2) | instskip(NEXT) | instid1(VALU_DEP_2)
	v_cmp_eq_u32_e32 vcc_lo, 0, v9
	v_cndmask_b32_e32 v9, v10, v8, vcc_lo
	s_branch .LBB578_14
.LBB578_19:
	s_set_inst_prefetch_distance 0x2
	v_add_nc_u32_e32 v3, s4, v0
	s_mov_b32 s7, exec_lo
	s_delay_alu instid0(VALU_DEP_1)
	v_cmpx_gt_i32_e64 s24, v3
	s_cbranch_execz .LBB578_25
; %bb.20:
	v_mad_i64_i32 v[4:5], null, s6, v3, 0
	s_lshl_b64 s[0:1], s[0:1], 1
	s_delay_alu instid0(SALU_CYCLE_1) | instskip(SKIP_2) | instid1(SALU_CYCLE_1)
	s_add_u32 s5, s10, s0
	s_addc_u32 s6, s11, s1
	s_lshl_b64 s[0:1], s[2:3], 1
	s_add_u32 s2, s5, s0
	s_delay_alu instid0(VALU_DEP_1) | instskip(SKIP_2) | instid1(SALU_CYCLE_1)
	v_lshlrev_b64 v[3:4], 1, v[4:5]
	s_addc_u32 s3, s6, s1
	s_ashr_i32 s5, s4, 31
	s_lshl_b64 s[0:1], s[4:5], 1
	s_delay_alu instid0(VALU_DEP_1) | instskip(NEXT) | instid1(VALU_DEP_2)
	v_add_co_u32 v3, vcc_lo, s2, v3
	v_add_co_ci_u32_e32 v4, vcc_lo, s3, v4, vcc_lo
	v_add_co_u32 v1, vcc_lo, v1, s0
	v_add_co_ci_u32_e32 v2, vcc_lo, s1, v2, vcc_lo
	global_load_u16 v3, v[3:4], off
	global_load_u16 v1, v[1:2], off
	s_waitcnt vmcnt(1)
	v_lshlrev_b32_e32 v2, 16, v3
	s_waitcnt vmcnt(0)
	v_lshlrev_b32_e32 v1, 16, v1
	s_delay_alu instid0(VALU_DEP_1) | instskip(NEXT) | instid1(VALU_DEP_1)
	v_mul_f32_e32 v1, v1, v2
	v_and_b32_e32 v2, 0x7f800000, v1
	s_delay_alu instid0(VALU_DEP_1) | instskip(SKIP_1) | instid1(SALU_CYCLE_1)
	v_cmp_ne_u32_e32 vcc_lo, 0x7f800000, v2
                                        ; implicit-def: $vgpr2
	s_and_saveexec_b32 s0, vcc_lo
	s_xor_b32 s0, exec_lo, s0
; %bb.21:
	v_bfe_u32 v2, v1, 16, 1
	s_delay_alu instid0(VALU_DEP_1)
	v_add3_u32 v2, v1, v2, 0x7fff
                                        ; implicit-def: $vgpr1
; %bb.22:
	s_and_not1_saveexec_b32 s0, s0
; %bb.23:
	v_and_b32_e32 v2, 0xffff, v1
	v_or_b32_e32 v3, 0x10000, v1
	s_delay_alu instid0(VALU_DEP_2) | instskip(NEXT) | instid1(VALU_DEP_2)
	v_cmp_eq_u32_e32 vcc_lo, 0, v2
	v_cndmask_b32_e32 v2, v3, v1, vcc_lo
; %bb.24:
	s_or_b32 exec_lo, exec_lo, s0
	s_delay_alu instid0(VALU_DEP_1) | instskip(NEXT) | instid1(VALU_DEP_1)
	v_and_b32_e32 v1, 0xffff0000, v2
	v_add_f32_e32 v7, v7, v1
.LBB578_25:
	s_or_b32 exec_lo, exec_lo, s7
	v_lshlrev_b32_e32 v1, 2, v0
	s_mov_b32 s0, exec_lo
	ds_store_b32 v1, v7
	s_waitcnt lgkmcnt(0)
	s_barrier
	buffer_gl0_inv
	v_cmpx_gt_u32_e32 0x80, v0
	s_cbranch_execz .LBB578_27
; %bb.26:
	ds_load_2addr_stride64_b32 v[2:3], v1 offset1:2
	s_waitcnt lgkmcnt(0)
	v_add_f32_e32 v2, v3, v2
	ds_store_b32 v1, v2
.LBB578_27:
	s_or_b32 exec_lo, exec_lo, s0
	s_delay_alu instid0(SALU_CYCLE_1)
	s_mov_b32 s0, exec_lo
	s_waitcnt lgkmcnt(0)
	s_barrier
	buffer_gl0_inv
	v_cmpx_gt_u32_e32 64, v0
	s_cbranch_execz .LBB578_29
; %bb.28:
	ds_load_2addr_stride64_b32 v[2:3], v1 offset1:1
	s_waitcnt lgkmcnt(0)
	v_add_f32_e32 v2, v3, v2
	ds_store_b32 v1, v2
.LBB578_29:
	s_or_b32 exec_lo, exec_lo, s0
	s_delay_alu instid0(SALU_CYCLE_1)
	s_mov_b32 s0, exec_lo
	s_waitcnt lgkmcnt(0)
	s_barrier
	buffer_gl0_inv
	v_cmpx_gt_u32_e32 32, v0
	s_cbranch_execz .LBB578_31
; %bb.30:
	ds_load_2addr_b32 v[2:3], v1 offset1:32
	s_waitcnt lgkmcnt(0)
	v_add_f32_e32 v2, v3, v2
	ds_store_b32 v1, v2
.LBB578_31:
	s_or_b32 exec_lo, exec_lo, s0
	s_delay_alu instid0(SALU_CYCLE_1)
	s_mov_b32 s0, exec_lo
	s_waitcnt lgkmcnt(0)
	s_barrier
	buffer_gl0_inv
	v_cmpx_gt_u32_e32 16, v0
	s_cbranch_execz .LBB578_33
; %bb.32:
	ds_load_2addr_b32 v[2:3], v1 offset1:16
	s_waitcnt lgkmcnt(0)
	v_add_f32_e32 v2, v3, v2
	ds_store_b32 v1, v2
.LBB578_33:
	s_or_b32 exec_lo, exec_lo, s0
	s_delay_alu instid0(SALU_CYCLE_1)
	s_mov_b32 s0, exec_lo
	s_waitcnt lgkmcnt(0)
	s_barrier
	buffer_gl0_inv
	v_cmpx_gt_u32_e32 8, v0
	s_cbranch_execz .LBB578_35
; %bb.34:
	ds_load_2addr_b32 v[2:3], v1 offset1:8
	s_waitcnt lgkmcnt(0)
	v_add_f32_e32 v2, v3, v2
	ds_store_b32 v1, v2
.LBB578_35:
	s_or_b32 exec_lo, exec_lo, s0
	s_delay_alu instid0(SALU_CYCLE_1)
	s_mov_b32 s0, exec_lo
	s_waitcnt lgkmcnt(0)
	s_barrier
	buffer_gl0_inv
	v_cmpx_gt_u32_e32 4, v0
	s_cbranch_execz .LBB578_37
; %bb.36:
	ds_load_2addr_b32 v[2:3], v1 offset1:4
	s_waitcnt lgkmcnt(0)
	v_add_f32_e32 v2, v3, v2
	ds_store_b32 v1, v2
.LBB578_37:
	s_or_b32 exec_lo, exec_lo, s0
	s_delay_alu instid0(SALU_CYCLE_1)
	s_mov_b32 s0, exec_lo
	s_waitcnt lgkmcnt(0)
	s_barrier
	buffer_gl0_inv
	v_cmpx_gt_u32_e32 2, v0
	s_cbranch_execz .LBB578_39
; %bb.38:
	ds_load_2addr_b32 v[2:3], v1 offset1:2
	s_waitcnt lgkmcnt(0)
	v_add_f32_e32 v2, v3, v2
	ds_store_b32 v1, v2
.LBB578_39:
	s_or_b32 exec_lo, exec_lo, s0
	v_cmp_eq_u32_e32 vcc_lo, 0, v0
	s_waitcnt lgkmcnt(0)
	s_barrier
	buffer_gl0_inv
	s_and_saveexec_b32 s0, vcc_lo
	s_cbranch_execz .LBB578_41
; %bb.40:
	v_mov_b32_e32 v2, 0
	ds_load_b64 v[0:1], v2
	s_waitcnt lgkmcnt(0)
	v_add_f32_e32 v0, v1, v0
	ds_store_b32 v2, v0
.LBB578_41:
	s_or_b32 exec_lo, exec_lo, s0
	s_waitcnt lgkmcnt(0)
	s_barrier
	buffer_gl0_inv
                                        ; implicit-def: $sgpr8
                                        ; implicit-def: $sgpr6_sgpr7
	s_and_saveexec_b32 s0, vcc_lo
	s_cbranch_execz .LBB578_61
; %bb.42:
	v_mov_b32_e32 v0, 0
	v_cmp_eq_f32_e64 s2, s17, 0
	ds_load_b32 v0, v0
	s_and_b32 vcc_lo, exec_lo, s2
	s_waitcnt lgkmcnt(0)
	v_mul_f32_e32 v0, s19, v0
	s_delay_alu instid0(VALU_DEP_1)
	v_readfirstlane_b32 s1, v0
	s_cbranch_vccz .LBB578_45
; %bb.43:
	s_delay_alu instid0(VALU_DEP_1) | instskip(NEXT) | instid1(SALU_CYCLE_1)
	s_and_b32 s2, s1, 0x7f800000
	s_cmp_eq_u32 s2, 0x7f800000
	s_cbranch_scc1 .LBB578_46
; %bb.44:
	s_bfe_u32 s2, s1, 0x10010
	s_mov_b32 s3, 0
	s_add_i32 s2, s1, s2
	s_delay_alu instid0(SALU_CYCLE_1)
	s_addk_i32 s2, 0x7fff
	s_branch .LBB578_47
.LBB578_45:
                                        ; implicit-def: $sgpr2
	s_mul_hi_i32 s7, s18, s14
	s_mul_i32 s6, s18, s14
	s_branch .LBB578_50
.LBB578_46:
	s_mov_b32 s3, -1
                                        ; implicit-def: $sgpr2
.LBB578_47:
	s_delay_alu instid0(SALU_CYCLE_1)
	s_and_not1_b32 vcc_lo, exec_lo, s3
	s_cbranch_vccnz .LBB578_49
; %bb.48:
	s_and_b32 s2, s1, 0xffff
	s_or_b32 s3, s1, 0x10000
	s_cmp_eq_u32 s2, 0
	s_cselect_b32 s2, s1, s3
.LBB578_49:
	s_mul_hi_i32 s7, s18, s14
	s_mul_i32 s6, s18, s14
	s_cbranch_execnz .LBB578_60
.LBB578_50:
	s_lshl_b64 s[2:3], s[6:7], 1
	v_mov_b32_e32 v0, 0
	s_add_u32 s2, s12, s2
	s_addc_u32 s3, s13, s3
	global_load_u16 v0, v0, s[2:3]
	s_waitcnt vmcnt(0)
	v_lshlrev_b32_e32 v0, 16, v0
	s_delay_alu instid0(VALU_DEP_1) | instskip(NEXT) | instid1(VALU_DEP_1)
	v_mul_f32_e32 v0, s17, v0
	v_and_b32_e32 v1, 0x7f800000, v0
	v_readfirstlane_b32 s2, v0
	s_delay_alu instid0(VALU_DEP_2)
	v_cmp_eq_u32_e32 vcc_lo, 0x7f800000, v1
	s_cbranch_vccnz .LBB578_52
; %bb.51:
	s_delay_alu instid0(VALU_DEP_2) | instskip(SKIP_2) | instid1(SALU_CYCLE_1)
	s_bfe_u32 s3, s2, 0x10010
	s_mov_b32 s4, 0
	s_add_i32 s3, s2, s3
	s_addk_i32 s3, 0x7fff
	s_branch .LBB578_53
.LBB578_52:
	s_mov_b32 s4, -1
                                        ; implicit-def: $sgpr3
.LBB578_53:
	s_delay_alu instid0(SALU_CYCLE_1)
	s_and_not1_b32 vcc_lo, exec_lo, s4
	s_cbranch_vccnz .LBB578_55
; %bb.54:
	s_and_b32 s3, s2, 0xffff
	s_or_b32 s4, s2, 0x10000
	s_cmp_eq_u32 s3, 0
	s_cselect_b32 s3, s2, s4
.LBB578_55:
	s_delay_alu instid0(SALU_CYCLE_1) | instskip(NEXT) | instid1(SALU_CYCLE_1)
	s_and_b32 s2, s3, 0xffff0000
	v_add_f32_e64 v0, s1, s2
	s_delay_alu instid0(VALU_DEP_1) | instskip(SKIP_1) | instid1(VALU_DEP_2)
	v_and_b32_e32 v1, 0x7f800000, v0
	v_readfirstlane_b32 s1, v0
	v_cmp_eq_u32_e32 vcc_lo, 0x7f800000, v1
	s_cbranch_vccnz .LBB578_57
; %bb.56:
	s_delay_alu instid0(VALU_DEP_2) | instskip(SKIP_2) | instid1(SALU_CYCLE_1)
	s_bfe_u32 s2, s1, 0x10010
	s_mov_b32 s3, 0
	s_add_i32 s2, s1, s2
	s_addk_i32 s2, 0x7fff
	s_branch .LBB578_58
.LBB578_57:
	s_mov_b32 s3, -1
                                        ; implicit-def: $sgpr2
.LBB578_58:
	s_delay_alu instid0(SALU_CYCLE_1)
	s_and_not1_b32 vcc_lo, exec_lo, s3
	s_cbranch_vccnz .LBB578_60
; %bb.59:
	s_and_b32 s2, s1, 0xffff
	s_or_b32 s3, s1, 0x10000
	s_cmp_eq_u32 s2, 0
	s_cselect_b32 s2, s1, s3
.LBB578_60:
	s_delay_alu instid0(SALU_CYCLE_1)
	s_lshr_b32 s8, s2, 16
	s_or_b32 s16, s16, exec_lo
.LBB578_61:
	s_or_b32 exec_lo, exec_lo, s0
.LBB578_62:
	s_and_saveexec_b32 s0, s16
	s_cbranch_execz .LBB578_64
; %bb.63:
	s_lshl_b64 s[0:1], s[6:7], 1
	v_dual_mov_b32 v0, 0 :: v_dual_mov_b32 v1, s8
	s_add_u32 s0, s12, s0
	s_addc_u32 s1, s13, s1
	global_store_b16 v0, v1, s[0:1]
.LBB578_64:
	s_nop 0
	s_sendmsg sendmsg(MSG_DEALLOC_VGPRS)
	s_endpgm
	.section	.rodata,"a",@progbits
	.p2align	6, 0x0
	.amdhsa_kernel _ZL20rocblas_gemvt_kernelILb1ELi256E16rocblas_bfloat16PKfS0_EviiT2_lPKT1_lilS6_lilS3_lPT3_lili
		.amdhsa_group_segment_fixed_size 1024
		.amdhsa_private_segment_fixed_size 0
		.amdhsa_kernarg_size 140
		.amdhsa_user_sgpr_count 14
		.amdhsa_user_sgpr_dispatch_ptr 0
		.amdhsa_user_sgpr_queue_ptr 0
		.amdhsa_user_sgpr_kernarg_segment_ptr 1
		.amdhsa_user_sgpr_dispatch_id 0
		.amdhsa_user_sgpr_private_segment_size 0
		.amdhsa_wavefront_size32 1
		.amdhsa_uses_dynamic_stack 0
		.amdhsa_enable_private_segment 0
		.amdhsa_system_sgpr_workgroup_id_x 1
		.amdhsa_system_sgpr_workgroup_id_y 0
		.amdhsa_system_sgpr_workgroup_id_z 1
		.amdhsa_system_sgpr_workgroup_info 0
		.amdhsa_system_vgpr_workitem_id 0
		.amdhsa_next_free_vgpr 11
		.amdhsa_next_free_sgpr 28
		.amdhsa_reserve_vcc 1
		.amdhsa_float_round_mode_32 0
		.amdhsa_float_round_mode_16_64 0
		.amdhsa_float_denorm_mode_32 3
		.amdhsa_float_denorm_mode_16_64 3
		.amdhsa_dx10_clamp 1
		.amdhsa_ieee_mode 1
		.amdhsa_fp16_overflow 0
		.amdhsa_workgroup_processor_mode 1
		.amdhsa_memory_ordered 1
		.amdhsa_forward_progress 0
		.amdhsa_shared_vgpr_count 0
		.amdhsa_exception_fp_ieee_invalid_op 0
		.amdhsa_exception_fp_denorm_src 0
		.amdhsa_exception_fp_ieee_div_zero 0
		.amdhsa_exception_fp_ieee_overflow 0
		.amdhsa_exception_fp_ieee_underflow 0
		.amdhsa_exception_fp_ieee_inexact 0
		.amdhsa_exception_int_div_zero 0
	.end_amdhsa_kernel
	.section	.text._ZL20rocblas_gemvt_kernelILb1ELi256E16rocblas_bfloat16PKfS0_EviiT2_lPKT1_lilS6_lilS3_lPT3_lili,"axG",@progbits,_ZL20rocblas_gemvt_kernelILb1ELi256E16rocblas_bfloat16PKfS0_EviiT2_lPKT1_lilS6_lilS3_lPT3_lili,comdat
.Lfunc_end578:
	.size	_ZL20rocblas_gemvt_kernelILb1ELi256E16rocblas_bfloat16PKfS0_EviiT2_lPKT1_lilS6_lilS3_lPT3_lili, .Lfunc_end578-_ZL20rocblas_gemvt_kernelILb1ELi256E16rocblas_bfloat16PKfS0_EviiT2_lPKT1_lilS6_lilS3_lPT3_lili
                                        ; -- End function
	.section	.AMDGPU.csdata,"",@progbits
; Kernel info:
; codeLenInByte = 2192
; NumSgprs: 30
; NumVgprs: 11
; ScratchSize: 0
; MemoryBound: 0
; FloatMode: 240
; IeeeMode: 1
; LDSByteSize: 1024 bytes/workgroup (compile time only)
; SGPRBlocks: 3
; VGPRBlocks: 1
; NumSGPRsForWavesPerEU: 30
; NumVGPRsForWavesPerEU: 11
; Occupancy: 16
; WaveLimiterHint : 1
; COMPUTE_PGM_RSRC2:SCRATCH_EN: 0
; COMPUTE_PGM_RSRC2:USER_SGPR: 14
; COMPUTE_PGM_RSRC2:TRAP_HANDLER: 0
; COMPUTE_PGM_RSRC2:TGID_X_EN: 1
; COMPUTE_PGM_RSRC2:TGID_Y_EN: 0
; COMPUTE_PGM_RSRC2:TGID_Z_EN: 1
; COMPUTE_PGM_RSRC2:TIDIG_COMP_CNT: 0
	.section	.text._ZL20rocblas_gemvt_kernelILb1ELi256E16rocblas_bfloat16fS0_EviiT2_lPKT1_lilS4_lilS1_lPT3_lili,"axG",@progbits,_ZL20rocblas_gemvt_kernelILb1ELi256E16rocblas_bfloat16fS0_EviiT2_lPKT1_lilS4_lilS1_lPT3_lili,comdat
	.globl	_ZL20rocblas_gemvt_kernelILb1ELi256E16rocblas_bfloat16fS0_EviiT2_lPKT1_lilS4_lilS1_lPT3_lili ; -- Begin function _ZL20rocblas_gemvt_kernelILb1ELi256E16rocblas_bfloat16fS0_EviiT2_lPKT1_lilS4_lilS1_lPT3_lili
	.p2align	8
	.type	_ZL20rocblas_gemvt_kernelILb1ELi256E16rocblas_bfloat16fS0_EviiT2_lPKT1_lilS4_lilS1_lPT3_lili,@function
_ZL20rocblas_gemvt_kernelILb1ELi256E16rocblas_bfloat16fS0_EviiT2_lPKT1_lilS4_lilS1_lPT3_lili: ; @_ZL20rocblas_gemvt_kernelILb1ELi256E16rocblas_bfloat16fS0_EviiT2_lPKT1_lilS4_lilS1_lPT3_lili
; %bb.0:
	s_clause 0x1
	s_load_b32 s19, s[0:1], 0x8
	s_load_b32 s17, s[0:1], 0x58
	s_mov_b32 s16, 0
	s_waitcnt lgkmcnt(0)
	v_cmp_eq_f32_e64 s2, s19, 0
	v_cmp_eq_f32_e64 s3, s17, 1.0
	s_delay_alu instid0(VALU_DEP_1) | instskip(NEXT) | instid1(SALU_CYCLE_1)
	s_and_b32 s2, s2, s3
	s_and_b32 vcc_lo, exec_lo, s2
	s_cbranch_vccnz .LBB579_64
; %bb.1:
	s_clause 0x2
	s_load_b64 s[2:3], s[0:1], 0x80
	s_load_b128 s[4:7], s[0:1], 0x68
	s_load_b32 s18, s[0:1], 0x78
	s_waitcnt lgkmcnt(0)
	s_mul_i32 s3, s15, s3
	s_mul_hi_u32 s8, s15, s2
	s_mul_i32 s2, s15, s2
	s_add_i32 s3, s8, s3
	v_cmp_neq_f32_e64 s8, s19, 0
	s_lshl_b64 s[2:3], s[2:3], 1
	s_delay_alu instid0(SALU_CYCLE_1) | instskip(SKIP_2) | instid1(SALU_CYCLE_1)
	s_add_u32 s4, s4, s2
	s_addc_u32 s5, s5, s3
	s_lshl_b64 s[2:3], s[6:7], 1
	s_add_u32 s12, s4, s2
	v_cmp_eq_u32_e64 s2, 0, v0
	s_addc_u32 s13, s5, s3
	s_and_b32 vcc_lo, exec_lo, s8
	s_cbranch_vccnz .LBB579_6
; %bb.2:
	s_mov_b32 s3, 0
                                        ; implicit-def: $sgpr6
                                        ; implicit-def: $sgpr4_sgpr5
	s_and_saveexec_b32 s7, s2
	s_cbranch_execz .LBB579_7
; %bb.3:
	v_cmp_eq_f32_e64 s2, s17, 0
	s_mov_b32 s6, 0
	s_mul_hi_i32 s5, s18, s14
	s_mul_i32 s4, s18, s14
	s_delay_alu instid0(VALU_DEP_1)
	s_and_b32 vcc_lo, exec_lo, s2
	s_cbranch_vccnz .LBB579_11
; %bb.4:
	s_lshl_b64 s[8:9], s[4:5], 1
	v_mov_b32_e32 v1, 0
	s_add_u32 s8, s12, s8
	s_addc_u32 s9, s13, s9
	global_load_u16 v1, v1, s[8:9]
	s_waitcnt vmcnt(0)
	v_lshlrev_b32_e32 v1, 16, v1
	s_delay_alu instid0(VALU_DEP_1) | instskip(NEXT) | instid1(VALU_DEP_1)
	v_mul_f32_e32 v1, s17, v1
	v_and_b32_e32 v2, 0x7f800000, v1
	v_readfirstlane_b32 s2, v1
	s_delay_alu instid0(VALU_DEP_2)
	v_cmp_eq_u32_e32 vcc_lo, 0x7f800000, v2
	s_cbranch_vccnz .LBB579_8
; %bb.5:
	s_delay_alu instid0(VALU_DEP_2) | instskip(NEXT) | instid1(SALU_CYCLE_1)
	s_bfe_u32 s6, s2, 0x10010
	s_add_i32 s6, s2, s6
	s_delay_alu instid0(SALU_CYCLE_1)
	s_addk_i32 s6, 0x7fff
	s_cbranch_execz .LBB579_9
	s_branch .LBB579_10
.LBB579_6:
                                        ; implicit-def: $sgpr6
                                        ; implicit-def: $sgpr4_sgpr5
	s_cbranch_execnz .LBB579_12
	s_branch .LBB579_62
.LBB579_7:
	s_or_b32 exec_lo, exec_lo, s7
	s_delay_alu instid0(SALU_CYCLE_1)
	s_and_b32 vcc_lo, exec_lo, s3
	s_cbranch_vccnz .LBB579_12
	s_branch .LBB579_62
.LBB579_8:
                                        ; implicit-def: $sgpr6
.LBB579_9:
	s_delay_alu instid0(VALU_DEP_2)
	s_and_b32 s6, s2, 0xffff
	s_or_b32 s8, s2, 0x10000
	s_cmp_eq_u32 s6, 0
	s_cselect_b32 s6, s2, s8
.LBB579_10:
	s_delay_alu instid0(SALU_CYCLE_1)
	s_lshr_b32 s6, s6, 16
.LBB579_11:
	s_mov_b32 s16, exec_lo
	s_or_b32 exec_lo, exec_lo, s7
	s_delay_alu instid0(SALU_CYCLE_1)
	s_and_b32 vcc_lo, exec_lo, s3
	s_cbranch_vccz .LBB579_62
.LBB579_12:
	s_clause 0x6
	s_load_b64 s[10:11], s[0:1], 0x50
	s_load_b128 s[4:7], s[0:1], 0x30
	s_load_b32 s9, s[0:1], 0x0
	s_load_b32 s8, s[0:1], 0x28
	s_load_b128 s[20:23], s[0:1], 0x18
	s_load_b64 s[2:3], s[0:1], 0x40
	s_load_b32 s0, s[0:1], 0x48
	v_mov_b32_e32 v7, 0
	s_waitcnt lgkmcnt(0)
	s_mul_i32 s1, s15, s11
	s_mul_i32 s5, s15, s5
	s_mul_hi_u32 s24, s15, s4
	v_cmp_gt_i32_e32 vcc_lo, s9, v0
	s_mul_i32 s4, s15, s4
	s_add_i32 s5, s24, s5
	s_mul_hi_u32 s11, s15, s10
	s_lshl_b64 s[26:27], s[4:5], 1
	v_cndmask_b32_e32 v1, 0, v0, vcc_lo
	s_add_i32 s5, s11, s1
	s_add_u32 s1, s20, s26
	s_addc_u32 s4, s21, s27
	s_lshl_b64 s[20:21], s[22:23], 1
	s_mul_hi_i32 s25, s8, s14
	s_mul_i32 s24, s8, s14
	s_add_u32 s1, s1, s20
	s_addc_u32 s4, s4, s21
	s_lshl_b64 s[20:21], s[24:25], 1
	v_lshlrev_b32_e32 v1, 1, v1
	s_add_u32 s1, s20, s1
	s_addc_u32 s8, s21, s4
	s_ashr_i32 s4, s9, 31
	s_delay_alu instid0(SALU_CYCLE_1)
	s_lshr_b32 s11, s4, 24
	v_add_co_u32 v1, s1, s1, v1
	s_mul_i32 s4, s15, s10
	s_add_i32 s10, s9, s11
	v_add_co_ci_u32_e64 v2, null, s8, 0, s1
	s_and_b32 s8, s10, 0xffffff00
	s_cmpk_lt_i32 s9, 0x100
	s_mov_b32 s15, 0
	s_cbranch_scc1 .LBB579_19
; %bb.13:
	v_mad_i64_i32 v[3:4], null, s0, v0, 0
	s_lshl_b64 s[20:21], s[2:3], 1
	s_ashr_i32 s1, s0, 31
	s_lshl_b64 s[10:11], s[4:5], 1
	s_add_u32 s20, s6, s20
	s_addc_u32 s21, s7, s21
	s_add_u32 s10, s20, s10
	s_delay_alu instid0(VALU_DEP_1) | instskip(SKIP_3) | instid1(VALU_DEP_3)
	v_lshlrev_b64 v[3:4], 1, v[3:4]
	s_addc_u32 s11, s21, s11
	v_dual_mov_b32 v7, 0 :: v_dual_mov_b32 v6, v2
	v_mov_b32_e32 v5, v1
	v_add_co_u32 v3, vcc_lo, s10, v3
	s_delay_alu instid0(VALU_DEP_4)
	v_add_co_ci_u32_e32 v4, vcc_lo, s11, v4, vcc_lo
	s_lshl_b64 s[10:11], s[0:1], 9
	s_set_inst_prefetch_distance 0x1
	s_branch .LBB579_15
	.p2align	6
.LBB579_14:                             ;   in Loop: Header=BB579_15 Depth=1
	s_or_b32 exec_lo, exec_lo, s1
	s_delay_alu instid0(VALU_DEP_1) | instskip(SKIP_3) | instid1(VALU_DEP_4)
	v_and_b32_e32 v8, 0xffff0000, v9
	v_add_co_u32 v3, vcc_lo, v3, s10
	v_add_co_ci_u32_e32 v4, vcc_lo, s11, v4, vcc_lo
	v_add_co_u32 v5, vcc_lo, 0x200, v5
	v_add_f32_e32 v7, v7, v8
	v_add_co_ci_u32_e32 v6, vcc_lo, 0, v6, vcc_lo
	s_addk_i32 s15, 0x100
	s_delay_alu instid0(SALU_CYCLE_1)
	s_cmp_ge_i32 s15, s8
	s_cbranch_scc1 .LBB579_19
.LBB579_15:                             ; =>This Inner Loop Header: Depth=1
	global_load_u16 v8, v[3:4], off
	global_load_u16 v9, v[5:6], off
	s_waitcnt vmcnt(1)
	v_lshlrev_b32_e32 v8, 16, v8
	s_waitcnt vmcnt(0)
	v_lshlrev_b32_e32 v9, 16, v9
	s_delay_alu instid0(VALU_DEP_1) | instskip(NEXT) | instid1(VALU_DEP_1)
	v_mul_f32_e32 v8, v9, v8
	v_and_b32_e32 v9, 0x7f800000, v8
	s_delay_alu instid0(VALU_DEP_1) | instskip(SKIP_1) | instid1(SALU_CYCLE_1)
	v_cmp_ne_u32_e32 vcc_lo, 0x7f800000, v9
                                        ; implicit-def: $vgpr9
	s_and_saveexec_b32 s1, vcc_lo
	s_xor_b32 s1, exec_lo, s1
; %bb.16:                               ;   in Loop: Header=BB579_15 Depth=1
	v_bfe_u32 v9, v8, 16, 1
	s_delay_alu instid0(VALU_DEP_1)
	v_add3_u32 v9, v8, v9, 0x7fff
                                        ; implicit-def: $vgpr8
; %bb.17:                               ;   in Loop: Header=BB579_15 Depth=1
	s_and_not1_saveexec_b32 s1, s1
	s_cbranch_execz .LBB579_14
; %bb.18:                               ;   in Loop: Header=BB579_15 Depth=1
	v_and_b32_e32 v9, 0xffff, v8
	v_or_b32_e32 v10, 0x10000, v8
	s_delay_alu instid0(VALU_DEP_2) | instskip(NEXT) | instid1(VALU_DEP_2)
	v_cmp_eq_u32_e32 vcc_lo, 0, v9
	v_cndmask_b32_e32 v9, v10, v8, vcc_lo
	s_branch .LBB579_14
.LBB579_19:
	s_set_inst_prefetch_distance 0x2
	v_add_nc_u32_e32 v3, s8, v0
	s_mov_b32 s1, exec_lo
	s_delay_alu instid0(VALU_DEP_1)
	v_cmpx_gt_i32_e64 s9, v3
	s_cbranch_execz .LBB579_25
; %bb.20:
	v_mad_i64_i32 v[4:5], null, s0, v3, 0
	s_lshl_b64 s[4:5], s[4:5], 1
	s_delay_alu instid0(SALU_CYCLE_1) | instskip(SKIP_2) | instid1(SALU_CYCLE_1)
	s_add_u32 s0, s6, s4
	s_addc_u32 s4, s7, s5
	s_lshl_b64 s[2:3], s[2:3], 1
	s_add_u32 s0, s0, s2
	s_delay_alu instid0(VALU_DEP_1) | instskip(SKIP_2) | instid1(SALU_CYCLE_1)
	v_lshlrev_b64 v[3:4], 1, v[4:5]
	s_addc_u32 s4, s4, s3
	s_ashr_i32 s9, s8, 31
	s_lshl_b64 s[2:3], s[8:9], 1
	s_delay_alu instid0(VALU_DEP_1) | instskip(NEXT) | instid1(VALU_DEP_2)
	v_add_co_u32 v3, vcc_lo, s0, v3
	v_add_co_ci_u32_e32 v4, vcc_lo, s4, v4, vcc_lo
	v_add_co_u32 v1, vcc_lo, v1, s2
	v_add_co_ci_u32_e32 v2, vcc_lo, s3, v2, vcc_lo
	global_load_u16 v3, v[3:4], off
	global_load_u16 v1, v[1:2], off
	s_waitcnt vmcnt(1)
	v_lshlrev_b32_e32 v2, 16, v3
	s_waitcnt vmcnt(0)
	v_lshlrev_b32_e32 v1, 16, v1
	s_delay_alu instid0(VALU_DEP_1) | instskip(NEXT) | instid1(VALU_DEP_1)
	v_mul_f32_e32 v1, v1, v2
	v_and_b32_e32 v2, 0x7f800000, v1
	s_delay_alu instid0(VALU_DEP_1) | instskip(SKIP_1) | instid1(SALU_CYCLE_1)
	v_cmp_ne_u32_e32 vcc_lo, 0x7f800000, v2
                                        ; implicit-def: $vgpr2
	s_and_saveexec_b32 s0, vcc_lo
	s_xor_b32 s0, exec_lo, s0
; %bb.21:
	v_bfe_u32 v2, v1, 16, 1
	s_delay_alu instid0(VALU_DEP_1)
	v_add3_u32 v2, v1, v2, 0x7fff
                                        ; implicit-def: $vgpr1
; %bb.22:
	s_and_not1_saveexec_b32 s0, s0
; %bb.23:
	v_and_b32_e32 v2, 0xffff, v1
	v_or_b32_e32 v3, 0x10000, v1
	s_delay_alu instid0(VALU_DEP_2) | instskip(NEXT) | instid1(VALU_DEP_2)
	v_cmp_eq_u32_e32 vcc_lo, 0, v2
	v_cndmask_b32_e32 v2, v3, v1, vcc_lo
; %bb.24:
	s_or_b32 exec_lo, exec_lo, s0
	s_delay_alu instid0(VALU_DEP_1) | instskip(NEXT) | instid1(VALU_DEP_1)
	v_and_b32_e32 v1, 0xffff0000, v2
	v_add_f32_e32 v7, v7, v1
.LBB579_25:
	s_or_b32 exec_lo, exec_lo, s1
	v_lshlrev_b32_e32 v1, 2, v0
	s_mov_b32 s0, exec_lo
	ds_store_b32 v1, v7
	s_waitcnt lgkmcnt(0)
	s_barrier
	buffer_gl0_inv
	v_cmpx_gt_u32_e32 0x80, v0
	s_cbranch_execz .LBB579_27
; %bb.26:
	ds_load_2addr_stride64_b32 v[2:3], v1 offset1:2
	s_waitcnt lgkmcnt(0)
	v_add_f32_e32 v2, v3, v2
	ds_store_b32 v1, v2
.LBB579_27:
	s_or_b32 exec_lo, exec_lo, s0
	s_delay_alu instid0(SALU_CYCLE_1)
	s_mov_b32 s0, exec_lo
	s_waitcnt lgkmcnt(0)
	s_barrier
	buffer_gl0_inv
	v_cmpx_gt_u32_e32 64, v0
	s_cbranch_execz .LBB579_29
; %bb.28:
	ds_load_2addr_stride64_b32 v[2:3], v1 offset1:1
	s_waitcnt lgkmcnt(0)
	v_add_f32_e32 v2, v3, v2
	ds_store_b32 v1, v2
.LBB579_29:
	s_or_b32 exec_lo, exec_lo, s0
	s_delay_alu instid0(SALU_CYCLE_1)
	s_mov_b32 s0, exec_lo
	s_waitcnt lgkmcnt(0)
	s_barrier
	buffer_gl0_inv
	v_cmpx_gt_u32_e32 32, v0
	s_cbranch_execz .LBB579_31
; %bb.30:
	ds_load_2addr_b32 v[2:3], v1 offset1:32
	s_waitcnt lgkmcnt(0)
	v_add_f32_e32 v2, v3, v2
	ds_store_b32 v1, v2
.LBB579_31:
	s_or_b32 exec_lo, exec_lo, s0
	s_delay_alu instid0(SALU_CYCLE_1)
	s_mov_b32 s0, exec_lo
	s_waitcnt lgkmcnt(0)
	s_barrier
	buffer_gl0_inv
	v_cmpx_gt_u32_e32 16, v0
	s_cbranch_execz .LBB579_33
; %bb.32:
	ds_load_2addr_b32 v[2:3], v1 offset1:16
	s_waitcnt lgkmcnt(0)
	v_add_f32_e32 v2, v3, v2
	ds_store_b32 v1, v2
.LBB579_33:
	;; [unrolled: 14-line block ×5, first 2 shown]
	s_or_b32 exec_lo, exec_lo, s0
	v_cmp_eq_u32_e32 vcc_lo, 0, v0
	s_waitcnt lgkmcnt(0)
	s_barrier
	buffer_gl0_inv
	s_and_saveexec_b32 s0, vcc_lo
	s_cbranch_execz .LBB579_41
; %bb.40:
	v_mov_b32_e32 v2, 0
	ds_load_b64 v[0:1], v2
	s_waitcnt lgkmcnt(0)
	v_add_f32_e32 v0, v1, v0
	ds_store_b32 v2, v0
.LBB579_41:
	s_or_b32 exec_lo, exec_lo, s0
	s_waitcnt lgkmcnt(0)
	s_barrier
	buffer_gl0_inv
                                        ; implicit-def: $sgpr6
                                        ; implicit-def: $sgpr4_sgpr5
	s_and_saveexec_b32 s0, vcc_lo
	s_cbranch_execz .LBB579_61
; %bb.42:
	v_mov_b32_e32 v0, 0
	v_cmp_eq_f32_e64 s2, s17, 0
	ds_load_b32 v0, v0
	s_and_b32 vcc_lo, exec_lo, s2
	s_waitcnt lgkmcnt(0)
	v_mul_f32_e32 v0, s19, v0
	s_delay_alu instid0(VALU_DEP_1)
	v_readfirstlane_b32 s1, v0
	s_cbranch_vccz .LBB579_45
; %bb.43:
	s_delay_alu instid0(VALU_DEP_1) | instskip(NEXT) | instid1(SALU_CYCLE_1)
	s_and_b32 s2, s1, 0x7f800000
	s_cmp_eq_u32 s2, 0x7f800000
	s_cbranch_scc1 .LBB579_46
; %bb.44:
	s_bfe_u32 s2, s1, 0x10010
	s_mov_b32 s3, 0
	s_add_i32 s2, s1, s2
	s_delay_alu instid0(SALU_CYCLE_1)
	s_addk_i32 s2, 0x7fff
	s_branch .LBB579_47
.LBB579_45:
                                        ; implicit-def: $sgpr2
	s_mul_hi_i32 s5, s18, s14
	s_mul_i32 s4, s18, s14
	s_branch .LBB579_50
.LBB579_46:
	s_mov_b32 s3, -1
                                        ; implicit-def: $sgpr2
.LBB579_47:
	s_delay_alu instid0(SALU_CYCLE_1)
	s_and_not1_b32 vcc_lo, exec_lo, s3
	s_cbranch_vccnz .LBB579_49
; %bb.48:
	s_and_b32 s2, s1, 0xffff
	s_or_b32 s3, s1, 0x10000
	s_cmp_eq_u32 s2, 0
	s_cselect_b32 s2, s1, s3
.LBB579_49:
	s_mul_hi_i32 s5, s18, s14
	s_mul_i32 s4, s18, s14
	s_cbranch_execnz .LBB579_60
.LBB579_50:
	s_lshl_b64 s[2:3], s[4:5], 1
	v_mov_b32_e32 v0, 0
	s_add_u32 s2, s12, s2
	s_addc_u32 s3, s13, s3
	global_load_u16 v0, v0, s[2:3]
	s_waitcnt vmcnt(0)
	v_lshlrev_b32_e32 v0, 16, v0
	s_delay_alu instid0(VALU_DEP_1) | instskip(NEXT) | instid1(VALU_DEP_1)
	v_mul_f32_e32 v0, s17, v0
	v_and_b32_e32 v1, 0x7f800000, v0
	v_readfirstlane_b32 s2, v0
	s_delay_alu instid0(VALU_DEP_2)
	v_cmp_eq_u32_e32 vcc_lo, 0x7f800000, v1
	s_cbranch_vccnz .LBB579_52
; %bb.51:
	s_delay_alu instid0(VALU_DEP_2) | instskip(SKIP_2) | instid1(SALU_CYCLE_1)
	s_bfe_u32 s3, s2, 0x10010
	s_mov_b32 s6, 0
	s_add_i32 s3, s2, s3
	s_addk_i32 s3, 0x7fff
	s_branch .LBB579_53
.LBB579_52:
	s_mov_b32 s6, -1
                                        ; implicit-def: $sgpr3
.LBB579_53:
	s_delay_alu instid0(SALU_CYCLE_1)
	s_and_not1_b32 vcc_lo, exec_lo, s6
	s_cbranch_vccnz .LBB579_55
; %bb.54:
	s_and_b32 s3, s2, 0xffff
	s_or_b32 s6, s2, 0x10000
	s_cmp_eq_u32 s3, 0
	s_cselect_b32 s3, s2, s6
.LBB579_55:
	s_delay_alu instid0(SALU_CYCLE_1) | instskip(NEXT) | instid1(SALU_CYCLE_1)
	s_and_b32 s2, s3, 0xffff0000
	v_add_f32_e64 v0, s1, s2
	s_delay_alu instid0(VALU_DEP_1) | instskip(SKIP_1) | instid1(VALU_DEP_2)
	v_and_b32_e32 v1, 0x7f800000, v0
	v_readfirstlane_b32 s1, v0
	v_cmp_eq_u32_e32 vcc_lo, 0x7f800000, v1
	s_cbranch_vccnz .LBB579_57
; %bb.56:
	s_delay_alu instid0(VALU_DEP_2) | instskip(SKIP_2) | instid1(SALU_CYCLE_1)
	s_bfe_u32 s2, s1, 0x10010
	s_mov_b32 s3, 0
	s_add_i32 s2, s1, s2
	s_addk_i32 s2, 0x7fff
	s_branch .LBB579_58
.LBB579_57:
	s_mov_b32 s3, -1
                                        ; implicit-def: $sgpr2
.LBB579_58:
	s_delay_alu instid0(SALU_CYCLE_1)
	s_and_not1_b32 vcc_lo, exec_lo, s3
	s_cbranch_vccnz .LBB579_60
; %bb.59:
	s_and_b32 s2, s1, 0xffff
	s_or_b32 s3, s1, 0x10000
	s_cmp_eq_u32 s2, 0
	s_cselect_b32 s2, s1, s3
.LBB579_60:
	s_delay_alu instid0(SALU_CYCLE_1)
	s_lshr_b32 s6, s2, 16
	s_or_b32 s16, s16, exec_lo
.LBB579_61:
	s_or_b32 exec_lo, exec_lo, s0
.LBB579_62:
	s_and_saveexec_b32 s0, s16
	s_cbranch_execz .LBB579_64
; %bb.63:
	s_lshl_b64 s[0:1], s[4:5], 1
	v_dual_mov_b32 v0, 0 :: v_dual_mov_b32 v1, s6
	s_add_u32 s0, s12, s0
	s_addc_u32 s1, s13, s1
	global_store_b16 v0, v1, s[0:1]
.LBB579_64:
	s_nop 0
	s_sendmsg sendmsg(MSG_DEALLOC_VGPRS)
	s_endpgm
	.section	.rodata,"a",@progbits
	.p2align	6, 0x0
	.amdhsa_kernel _ZL20rocblas_gemvt_kernelILb1ELi256E16rocblas_bfloat16fS0_EviiT2_lPKT1_lilS4_lilS1_lPT3_lili
		.amdhsa_group_segment_fixed_size 1024
		.amdhsa_private_segment_fixed_size 0
		.amdhsa_kernarg_size 140
		.amdhsa_user_sgpr_count 14
		.amdhsa_user_sgpr_dispatch_ptr 0
		.amdhsa_user_sgpr_queue_ptr 0
		.amdhsa_user_sgpr_kernarg_segment_ptr 1
		.amdhsa_user_sgpr_dispatch_id 0
		.amdhsa_user_sgpr_private_segment_size 0
		.amdhsa_wavefront_size32 1
		.amdhsa_uses_dynamic_stack 0
		.amdhsa_enable_private_segment 0
		.amdhsa_system_sgpr_workgroup_id_x 1
		.amdhsa_system_sgpr_workgroup_id_y 0
		.amdhsa_system_sgpr_workgroup_id_z 1
		.amdhsa_system_sgpr_workgroup_info 0
		.amdhsa_system_vgpr_workitem_id 0
		.amdhsa_next_free_vgpr 11
		.amdhsa_next_free_sgpr 28
		.amdhsa_reserve_vcc 1
		.amdhsa_float_round_mode_32 0
		.amdhsa_float_round_mode_16_64 0
		.amdhsa_float_denorm_mode_32 3
		.amdhsa_float_denorm_mode_16_64 3
		.amdhsa_dx10_clamp 1
		.amdhsa_ieee_mode 1
		.amdhsa_fp16_overflow 0
		.amdhsa_workgroup_processor_mode 1
		.amdhsa_memory_ordered 1
		.amdhsa_forward_progress 0
		.amdhsa_shared_vgpr_count 0
		.amdhsa_exception_fp_ieee_invalid_op 0
		.amdhsa_exception_fp_denorm_src 0
		.amdhsa_exception_fp_ieee_div_zero 0
		.amdhsa_exception_fp_ieee_overflow 0
		.amdhsa_exception_fp_ieee_underflow 0
		.amdhsa_exception_fp_ieee_inexact 0
		.amdhsa_exception_int_div_zero 0
	.end_amdhsa_kernel
	.section	.text._ZL20rocblas_gemvt_kernelILb1ELi256E16rocblas_bfloat16fS0_EviiT2_lPKT1_lilS4_lilS1_lPT3_lili,"axG",@progbits,_ZL20rocblas_gemvt_kernelILb1ELi256E16rocblas_bfloat16fS0_EviiT2_lPKT1_lilS4_lilS1_lPT3_lili,comdat
.Lfunc_end579:
	.size	_ZL20rocblas_gemvt_kernelILb1ELi256E16rocblas_bfloat16fS0_EviiT2_lPKT1_lilS4_lilS1_lPT3_lili, .Lfunc_end579-_ZL20rocblas_gemvt_kernelILb1ELi256E16rocblas_bfloat16fS0_EviiT2_lPKT1_lilS4_lilS1_lPT3_lili
                                        ; -- End function
	.section	.AMDGPU.csdata,"",@progbits
; Kernel info:
; codeLenInByte = 2132
; NumSgprs: 30
; NumVgprs: 11
; ScratchSize: 0
; MemoryBound: 0
; FloatMode: 240
; IeeeMode: 1
; LDSByteSize: 1024 bytes/workgroup (compile time only)
; SGPRBlocks: 3
; VGPRBlocks: 1
; NumSGPRsForWavesPerEU: 30
; NumVGPRsForWavesPerEU: 11
; Occupancy: 16
; WaveLimiterHint : 1
; COMPUTE_PGM_RSRC2:SCRATCH_EN: 0
; COMPUTE_PGM_RSRC2:USER_SGPR: 14
; COMPUTE_PGM_RSRC2:TRAP_HANDLER: 0
; COMPUTE_PGM_RSRC2:TGID_X_EN: 1
; COMPUTE_PGM_RSRC2:TGID_Y_EN: 0
; COMPUTE_PGM_RSRC2:TGID_Z_EN: 1
; COMPUTE_PGM_RSRC2:TIDIG_COMP_CNT: 0
	.section	.text._ZL32rocblas_gemvt_warp_reduce_kernelILb1ELi1024Ei16rocblas_bfloat16PKfS0_EviiT3_lPKT2_lT1_lS6_lS7_lS3_lPT4_lS7_li,"axG",@progbits,_ZL32rocblas_gemvt_warp_reduce_kernelILb1ELi1024Ei16rocblas_bfloat16PKfS0_EviiT3_lPKT2_lT1_lS6_lS7_lS3_lPT4_lS7_li,comdat
	.globl	_ZL32rocblas_gemvt_warp_reduce_kernelILb1ELi1024Ei16rocblas_bfloat16PKfS0_EviiT3_lPKT2_lT1_lS6_lS7_lS3_lPT4_lS7_li ; -- Begin function _ZL32rocblas_gemvt_warp_reduce_kernelILb1ELi1024Ei16rocblas_bfloat16PKfS0_EviiT3_lPKT2_lT1_lS6_lS7_lS3_lPT4_lS7_li
	.p2align	8
	.type	_ZL32rocblas_gemvt_warp_reduce_kernelILb1ELi1024Ei16rocblas_bfloat16PKfS0_EviiT3_lPKT2_lT1_lS6_lS7_lS3_lPT4_lS7_li,@function
_ZL32rocblas_gemvt_warp_reduce_kernelILb1ELi1024Ei16rocblas_bfloat16PKfS0_EviiT3_lPKT2_lT1_lS6_lS7_lS3_lPT4_lS7_li: ; @_ZL32rocblas_gemvt_warp_reduce_kernelILb1ELi1024Ei16rocblas_bfloat16PKfS0_EviiT3_lPKT2_lT1_lS6_lS7_lS3_lPT4_lS7_li
; %bb.0:
	s_clause 0x1
	s_load_b256 s[4:11], s[0:1], 0x8
	s_load_b256 s[16:23], s[0:1], 0x50
	s_mov_b32 s12, 0
	s_waitcnt lgkmcnt(0)
	s_mul_i32 s3, s15, s7
	s_mul_hi_u32 s7, s15, s6
	s_mul_i32 s2, s15, s6
	s_add_i32 s3, s7, s3
	s_mul_i32 s6, s15, s21
	s_lshl_b64 s[2:3], s[2:3], 2
	s_mul_hi_u32 s7, s15, s20
	s_add_u32 s2, s4, s2
	s_addc_u32 s3, s5, s3
	s_add_i32 s5, s7, s6
	s_mul_i32 s4, s15, s20
	s_delay_alu instid0(SALU_CYCLE_1) | instskip(NEXT) | instid1(SALU_CYCLE_1)
	s_lshl_b64 s[4:5], s[4:5], 2
	s_add_u32 s4, s18, s4
	s_addc_u32 s5, s19, s5
	s_load_b32 s19, s[2:3], 0x0
	s_load_b32 s13, s[4:5], 0x0
	s_waitcnt lgkmcnt(0)
	v_cmp_eq_f32_e64 s2, s19, 0
	v_cmp_eq_f32_e64 s3, s13, 1.0
	s_delay_alu instid0(VALU_DEP_1) | instskip(NEXT) | instid1(SALU_CYCLE_1)
	s_and_b32 s2, s2, s3
	s_and_b32 vcc_lo, exec_lo, s2
	s_cbranch_vccnz .LBB580_56
; %bb.1:
	s_clause 0x2
	s_load_b64 s[2:3], s[0:1], 0x80
	s_load_b64 s[4:5], s[0:1], 0x70
	s_load_b32 s18, s[0:1], 0x78
	v_cmp_neq_f32_e64 s20, s19, 0
	s_waitcnt lgkmcnt(0)
	s_mul_i32 s3, s15, s3
	s_mul_hi_u32 s6, s15, s2
	s_mul_i32 s2, s15, s2
	s_add_i32 s3, s6, s3
	s_delay_alu instid0(SALU_CYCLE_1) | instskip(NEXT) | instid1(SALU_CYCLE_1)
	s_lshl_b64 s[2:3], s[2:3], 1
	s_add_u32 s6, s22, s2
	s_addc_u32 s7, s23, s3
	s_lshl_b64 s[2:3], s[4:5], 1
	s_delay_alu instid0(SALU_CYCLE_1)
	s_add_u32 s6, s6, s2
	v_cmp_eq_u32_e64 s2, 0, v0
	s_addc_u32 s7, s7, s3
	s_and_b32 vcc_lo, exec_lo, s20
	s_cbranch_vccnz .LBB580_6
; %bb.2:
	s_mov_b32 s3, 0
                                        ; implicit-def: $sgpr21
                                        ; implicit-def: $sgpr4_sgpr5
	s_and_saveexec_b32 s20, s2
	s_cbranch_execz .LBB580_7
; %bb.3:
	v_cmp_eq_f32_e64 s2, s13, 0
	s_mul_i32 s4, s14, s18
	s_mov_b32 s21, 0
	s_ashr_i32 s5, s4, 31
	s_delay_alu instid0(VALU_DEP_1)
	s_and_b32 vcc_lo, exec_lo, s2
	s_cbranch_vccnz .LBB580_12
; %bb.4:
	s_lshl_b64 s[22:23], s[4:5], 1
	v_mov_b32_e32 v1, 0
	s_add_u32 s22, s6, s22
	s_addc_u32 s23, s7, s23
	global_load_u16 v1, v1, s[22:23]
	s_waitcnt vmcnt(0)
	v_lshlrev_b32_e32 v1, 16, v1
	s_delay_alu instid0(VALU_DEP_1) | instskip(NEXT) | instid1(VALU_DEP_1)
	v_mul_f32_e32 v1, s13, v1
	v_and_b32_e32 v2, 0x7f800000, v1
	v_readfirstlane_b32 s2, v1
	s_delay_alu instid0(VALU_DEP_2)
	v_cmp_eq_u32_e32 vcc_lo, 0x7f800000, v2
	s_cbranch_vccnz .LBB580_9
; %bb.5:
	s_delay_alu instid0(VALU_DEP_2) | instskip(NEXT) | instid1(SALU_CYCLE_1)
	s_bfe_u32 s12, s2, 0x10010
	s_add_i32 s12, s2, s12
	s_delay_alu instid0(SALU_CYCLE_1)
	s_addk_i32 s12, 0x7fff
	s_and_not1_b32 vcc_lo, exec_lo, s21
	s_cbranch_vccz .LBB580_10
	s_branch .LBB580_11
.LBB580_6:
                                        ; implicit-def: $sgpr21
                                        ; implicit-def: $sgpr4_sgpr5
	s_cbranch_execz .LBB580_8
	s_branch .LBB580_13
.LBB580_7:
	s_or_b32 exec_lo, exec_lo, s20
	s_delay_alu instid0(SALU_CYCLE_1)
	s_and_b32 vcc_lo, exec_lo, s3
	s_cbranch_vccnz .LBB580_13
.LBB580_8:
	v_mov_b32_e32 v1, s21
	s_and_saveexec_b32 s0, s12
	s_cbranch_execnz .LBB580_55
	s_branch .LBB580_56
.LBB580_9:
                                        ; implicit-def: $sgpr12
.LBB580_10:
	s_delay_alu instid0(VALU_DEP_2)
	s_and_b32 s12, s2, 0xffff
	s_or_b32 s21, s2, 0x10000
	s_cmp_eq_u32 s12, 0
	s_cselect_b32 s12, s2, s21
.LBB580_11:
	s_delay_alu instid0(SALU_CYCLE_1)
	s_lshr_b32 s21, s12, 16
.LBB580_12:
	s_mov_b32 s12, exec_lo
	s_or_b32 exec_lo, exec_lo, s20
	s_delay_alu instid0(SALU_CYCLE_1)
	s_and_b32 vcc_lo, exec_lo, s3
	s_cbranch_vccz .LBB580_8
.LBB580_13:
	s_mul_i32 s3, s15, s17
	s_mul_hi_u32 s17, s15, s16
	s_mul_i32 s2, s15, s16
	s_add_i32 s3, s17, s3
	s_clause 0x2
	s_load_b128 s[20:23], s[0:1], 0x30
	s_load_b64 s[4:5], s[0:1], 0x40
	s_load_b32 s24, s[0:1], 0x28
	s_lshl_b64 s[16:17], s[2:3], 1
	s_clause 0x1
	s_load_b32 s3, s[0:1], 0x0
	s_load_b32 s1, s[0:1], 0x48
	v_mov_b32_e32 v7, 0
	s_waitcnt lgkmcnt(0)
	s_add_u32 s2, s22, s16
	s_addc_u32 s17, s23, s17
	s_lshl_b64 s[4:5], s[4:5], 1
	s_mul_i32 s21, s15, s21
	s_mul_hi_u32 s22, s15, s20
	s_add_u32 s4, s2, s4
	v_cmp_gt_i32_e32 vcc_lo, s3, v0
	s_mul_i32 s16, s15, s20
	s_addc_u32 s5, s17, s5
	s_add_i32 s17, s22, s21
	s_delay_alu instid0(SALU_CYCLE_1)
	s_lshl_b64 s[16:17], s[16:17], 1
	v_cndmask_b32_e32 v1, 0, v0, vcc_lo
	s_add_u32 s2, s8, s16
	s_addc_u32 s15, s9, s17
	s_lshl_b64 s[8:9], s[10:11], 1
	s_mul_i32 s10, s14, s24
	s_add_u32 s2, s2, s8
	s_addc_u32 s15, s15, s9
	s_ashr_i32 s11, s10, 31
	v_lshlrev_b32_e32 v1, 1, v1
	s_lshl_b64 s[8:9], s[10:11], 1
	s_delay_alu instid0(SALU_CYCLE_1)
	s_add_u32 s0, s8, s2
	s_addc_u32 s8, s9, s15
	s_ashr_i32 s2, s3, 31
	v_add_co_u32 v1, s0, s0, v1
	s_lshr_b32 s2, s2, 22
	v_add_co_ci_u32_e64 v2, null, s8, 0, s0
	s_add_i32 s2, s3, s2
	s_mov_b32 s9, 0
	s_and_b32 s2, s2, 0xfffffc00
	s_mov_b32 s8, exec_lo
	v_cmpx_gt_i32_e64 s2, v0
	s_cbranch_execz .LBB580_21
; %bb.14:
	v_mul_lo_u32 v3, v0, s1
	v_dual_mov_b32 v7, 0 :: v_dual_mov_b32 v6, v2
	v_dual_mov_b32 v5, v1 :: v_dual_mov_b32 v8, v0
	s_lshl_b32 s10, s1, 10
	s_branch .LBB580_16
.LBB580_15:                             ;   in Loop: Header=BB580_16 Depth=1
	s_or_b32 exec_lo, exec_lo, s0
	v_add_nc_u32_e32 v8, 0x400, v8
	s_delay_alu instid0(VALU_DEP_2) | instskip(SKIP_2) | instid1(VALU_DEP_4)
	v_and_b32_e32 v4, 0xffff0000, v9
	v_add_co_u32 v5, s0, 0x800, v5
	v_add_nc_u32_e32 v3, s10, v3
	v_cmp_le_i32_e32 vcc_lo, s2, v8
	s_delay_alu instid0(VALU_DEP_4) | instskip(SKIP_2) | instid1(SALU_CYCLE_1)
	v_add_f32_e32 v7, v7, v4
	v_add_co_ci_u32_e64 v6, s0, 0, v6, s0
	s_or_b32 s9, vcc_lo, s9
	s_and_not1_b32 exec_lo, exec_lo, s9
	s_cbranch_execz .LBB580_20
.LBB580_16:                             ; =>This Inner Loop Header: Depth=1
	s_delay_alu instid0(VALU_DEP_3) | instskip(NEXT) | instid1(VALU_DEP_1)
	v_ashrrev_i32_e32 v4, 31, v3
	v_lshlrev_b64 v[9:10], 1, v[3:4]
	s_delay_alu instid0(VALU_DEP_1) | instskip(NEXT) | instid1(VALU_DEP_2)
	v_add_co_u32 v9, vcc_lo, s4, v9
	v_add_co_ci_u32_e32 v10, vcc_lo, s5, v10, vcc_lo
	global_load_u16 v4, v[5:6], off
	global_load_u16 v9, v[9:10], off
	s_waitcnt vmcnt(1)
	v_lshlrev_b32_e32 v4, 16, v4
	s_waitcnt vmcnt(0)
	v_lshlrev_b32_e32 v9, 16, v9
	s_delay_alu instid0(VALU_DEP_1) | instskip(NEXT) | instid1(VALU_DEP_1)
	v_mul_f32_e32 v4, v4, v9
	v_and_b32_e32 v9, 0x7f800000, v4
	s_delay_alu instid0(VALU_DEP_1) | instskip(SKIP_1) | instid1(SALU_CYCLE_1)
	v_cmp_ne_u32_e32 vcc_lo, 0x7f800000, v9
                                        ; implicit-def: $vgpr9
	s_and_saveexec_b32 s0, vcc_lo
	s_xor_b32 s0, exec_lo, s0
; %bb.17:                               ;   in Loop: Header=BB580_16 Depth=1
	v_bfe_u32 v9, v4, 16, 1
	s_delay_alu instid0(VALU_DEP_1)
	v_add3_u32 v9, v4, v9, 0x7fff
                                        ; implicit-def: $vgpr4
; %bb.18:                               ;   in Loop: Header=BB580_16 Depth=1
	s_and_not1_saveexec_b32 s0, s0
	s_cbranch_execz .LBB580_15
; %bb.19:                               ;   in Loop: Header=BB580_16 Depth=1
	v_and_b32_e32 v9, 0xffff, v4
	v_or_b32_e32 v10, 0x10000, v4
	s_delay_alu instid0(VALU_DEP_2) | instskip(NEXT) | instid1(VALU_DEP_2)
	v_cmp_eq_u32_e32 vcc_lo, 0, v9
	v_cndmask_b32_e32 v9, v10, v4, vcc_lo
	s_branch .LBB580_15
.LBB580_20:
	s_or_b32 exec_lo, exec_lo, s9
.LBB580_21:
	s_delay_alu instid0(SALU_CYCLE_1) | instskip(SKIP_2) | instid1(VALU_DEP_1)
	s_or_b32 exec_lo, exec_lo, s8
	v_or_b32_e32 v3, s2, v0
	s_mov_b32 s0, exec_lo
	v_cmpx_gt_i32_e64 s3, v3
	s_cbranch_execz .LBB580_27
; %bb.22:
	v_mul_lo_u32 v3, v3, s1
	s_ashr_i32 s3, s2, 31
	s_delay_alu instid0(SALU_CYCLE_1) | instskip(NEXT) | instid1(VALU_DEP_1)
	s_lshl_b64 s[2:3], s[2:3], 1
	v_ashrrev_i32_e32 v4, 31, v3
	s_delay_alu instid0(VALU_DEP_1) | instskip(NEXT) | instid1(VALU_DEP_1)
	v_lshlrev_b64 v[3:4], 1, v[3:4]
	v_add_co_u32 v3, vcc_lo, s4, v3
	s_delay_alu instid0(VALU_DEP_2)
	v_add_co_ci_u32_e32 v4, vcc_lo, s5, v4, vcc_lo
	v_add_co_u32 v1, vcc_lo, v1, s2
	v_add_co_ci_u32_e32 v2, vcc_lo, s3, v2, vcc_lo
	global_load_u16 v3, v[3:4], off
	global_load_u16 v1, v[1:2], off
	s_waitcnt vmcnt(1)
	v_lshlrev_b32_e32 v2, 16, v3
	s_waitcnt vmcnt(0)
	v_lshlrev_b32_e32 v1, 16, v1
	s_delay_alu instid0(VALU_DEP_1) | instskip(NEXT) | instid1(VALU_DEP_1)
	v_mul_f32_e32 v1, v1, v2
	v_and_b32_e32 v2, 0x7f800000, v1
	s_delay_alu instid0(VALU_DEP_1) | instskip(SKIP_1) | instid1(SALU_CYCLE_1)
	v_cmp_ne_u32_e32 vcc_lo, 0x7f800000, v2
                                        ; implicit-def: $vgpr2
	s_and_saveexec_b32 s1, vcc_lo
	s_xor_b32 s1, exec_lo, s1
; %bb.23:
	v_bfe_u32 v2, v1, 16, 1
	s_delay_alu instid0(VALU_DEP_1)
	v_add3_u32 v2, v1, v2, 0x7fff
                                        ; implicit-def: $vgpr1
; %bb.24:
	s_and_not1_saveexec_b32 s1, s1
; %bb.25:
	v_and_b32_e32 v2, 0xffff, v1
	v_or_b32_e32 v3, 0x10000, v1
	s_delay_alu instid0(VALU_DEP_2) | instskip(NEXT) | instid1(VALU_DEP_2)
	v_cmp_eq_u32_e32 vcc_lo, 0, v2
	v_cndmask_b32_e32 v2, v3, v1, vcc_lo
; %bb.26:
	s_or_b32 exec_lo, exec_lo, s1
	s_delay_alu instid0(VALU_DEP_1) | instskip(NEXT) | instid1(VALU_DEP_1)
	v_and_b32_e32 v1, 0xffff0000, v2
	v_add_f32_e32 v7, v7, v1
.LBB580_27:
	s_or_b32 exec_lo, exec_lo, s0
	v_and_b32_e32 v6, 31, v0
	v_cmp_gt_u32_e32 vcc_lo, 32, v0
	s_delay_alu instid0(VALU_DEP_2)
	v_lshlrev_b32_e32 v1, 2, v6
	s_and_saveexec_b32 s0, vcc_lo
	s_cbranch_execz .LBB580_29
; %bb.28:
	v_mov_b32_e32 v2, 0
	ds_store_b32 v1, v2
.LBB580_29:
	s_or_b32 exec_lo, exec_lo, s0
	v_mbcnt_lo_u32_b32 v8, -1, 0
	s_mov_b32 s1, exec_lo
	s_waitcnt lgkmcnt(0)
	s_barrier
	buffer_gl0_inv
	v_cmp_gt_u32_e64 s0, 16, v8
	s_delay_alu instid0(VALU_DEP_1) | instskip(SKIP_1) | instid1(VALU_DEP_2)
	v_cndmask_b32_e64 v2, 0, 1, s0
	v_cmp_gt_u32_e64 s0, 24, v8
	v_lshlrev_b32_e32 v2, 4, v2
	s_delay_alu instid0(VALU_DEP_2) | instskip(SKIP_1) | instid1(VALU_DEP_3)
	v_cndmask_b32_e64 v3, 0, 1, s0
	v_cmp_gt_u32_e64 s0, 28, v8
	v_add_lshl_u32 v2, v2, v8, 2
	s_delay_alu instid0(VALU_DEP_3)
	v_lshlrev_b32_e32 v3, 3, v3
	ds_bpermute_b32 v4, v2, v7
	v_add_lshl_u32 v3, v3, v8, 2
	s_waitcnt lgkmcnt(0)
	v_add_f32_e32 v5, v7, v4
	v_cndmask_b32_e64 v4, 0, 1, s0
	v_cmp_gt_u32_e64 s0, 30, v8
	ds_bpermute_b32 v7, v3, v5
	s_waitcnt lgkmcnt(0)
	v_dual_add_f32 v7, v5, v7 :: v_dual_lshlrev_b32 v4, 2, v4
	s_delay_alu instid0(VALU_DEP_1)
	v_add_lshl_u32 v4, v4, v8, 2
	v_cndmask_b32_e64 v5, 0, 1, s0
	v_cmp_ne_u32_e64 s0, 31, v8
	ds_bpermute_b32 v9, v4, v7
	v_lshlrev_b32_e32 v5, 1, v5
	v_add_co_ci_u32_e64 v10, s0, 0, v8, s0
	s_delay_alu instid0(VALU_DEP_2)
	v_add_lshl_u32 v5, v5, v8, 2
	s_waitcnt lgkmcnt(0)
	v_add_f32_e32 v7, v7, v9
	ds_bpermute_b32 v9, v5, v7
	s_waitcnt lgkmcnt(0)
	v_dual_add_f32 v8, v7, v9 :: v_dual_lshlrev_b32 v7, 2, v10
	ds_bpermute_b32 v9, v7, v8
	v_cmpx_eq_u32_e32 0, v6
	s_cbranch_execz .LBB580_31
; %bb.30:
	v_lshrrev_b32_e32 v6, 3, v0
	s_waitcnt lgkmcnt(0)
	v_add_f32_e32 v8, v8, v9
	s_delay_alu instid0(VALU_DEP_2)
	v_and_b32_e32 v6, 0x7c, v6
	ds_store_b32 v6, v8
.LBB580_31:
	s_or_b32 exec_lo, exec_lo, s1
	v_mov_b32_e32 v6, 0
	s_waitcnt lgkmcnt(0)
	s_barrier
	buffer_gl0_inv
	s_and_saveexec_b32 s0, vcc_lo
	s_cbranch_execz .LBB580_33
; %bb.32:
	ds_load_b32 v6, v1
.LBB580_33:
	s_or_b32 exec_lo, exec_lo, s0
	s_and_saveexec_b32 s0, vcc_lo
	s_cbranch_execz .LBB580_35
; %bb.34:
	s_waitcnt lgkmcnt(0)
	ds_bpermute_b32 v1, v2, v6
	s_waitcnt lgkmcnt(0)
	v_add_f32_e32 v1, v6, v1
	ds_bpermute_b32 v2, v3, v1
	s_waitcnt lgkmcnt(0)
	v_add_f32_e32 v1, v1, v2
	;; [unrolled: 3-line block ×5, first 2 shown]
.LBB580_35:
	s_or_b32 exec_lo, exec_lo, s0
	s_delay_alu instid0(SALU_CYCLE_1)
	s_mov_b32 s0, exec_lo
                                        ; implicit-def: $vgpr1
                                        ; implicit-def: $sgpr4_sgpr5
	v_cmpx_eq_u32_e32 0, v0
	s_cbranch_execz .LBB580_54
; %bb.36:
	v_cmp_eq_f32_e64 s1, s13, 0
	s_waitcnt lgkmcnt(0)
	v_mul_f32_e32 v0, s19, v6
	s_delay_alu instid0(VALU_DEP_2)
	s_and_b32 vcc_lo, exec_lo, s1
	s_cbranch_vccz .LBB580_42
; %bb.37:
	s_delay_alu instid0(VALU_DEP_1) | instskip(NEXT) | instid1(VALU_DEP_1)
	v_and_b32_e32 v1, 0x7f800000, v0
	v_cmp_ne_u32_e32 vcc_lo, 0x7f800000, v1
                                        ; implicit-def: $vgpr1
	s_and_saveexec_b32 s1, vcc_lo
	s_delay_alu instid0(SALU_CYCLE_1)
	s_xor_b32 s1, exec_lo, s1
; %bb.38:
	v_bfe_u32 v1, v0, 16, 1
	s_delay_alu instid0(VALU_DEP_1)
	v_add3_u32 v1, v0, v1, 0x7fff
; %bb.39:
	s_and_not1_saveexec_b32 s1, s1
; %bb.40:
	v_and_b32_e32 v1, 0xffff, v0
	v_or_b32_e32 v2, 0x10000, v0
	s_delay_alu instid0(VALU_DEP_2) | instskip(NEXT) | instid1(VALU_DEP_2)
	v_cmp_eq_u32_e32 vcc_lo, 0, v1
	v_cndmask_b32_e32 v1, v2, v0, vcc_lo
; %bb.41:
	s_or_b32 exec_lo, exec_lo, s1
	s_mul_i32 s4, s14, s18
	s_cbranch_execz .LBB580_43
	s_branch .LBB580_53
.LBB580_42:
                                        ; implicit-def: $vgpr1
	s_mul_i32 s4, s14, s18
.LBB580_43:
	s_delay_alu instid0(SALU_CYCLE_1) | instskip(SKIP_2) | instid1(SALU_CYCLE_1)
	s_ashr_i32 s5, s4, 31
	v_mov_b32_e32 v1, 0
	s_lshl_b64 s[2:3], s[4:5], 1
	s_add_u32 s2, s6, s2
	s_addc_u32 s3, s7, s3
	global_load_u16 v1, v1, s[2:3]
	s_waitcnt vmcnt(0)
	v_lshlrev_b32_e32 v1, 16, v1
	s_delay_alu instid0(VALU_DEP_1) | instskip(NEXT) | instid1(VALU_DEP_1)
	v_mul_f32_e32 v1, s13, v1
	v_and_b32_e32 v2, 0x7f800000, v1
	v_readfirstlane_b32 s1, v1
	s_delay_alu instid0(VALU_DEP_2)
	v_cmp_eq_u32_e32 vcc_lo, 0x7f800000, v2
	s_cbranch_vccnz .LBB580_45
; %bb.44:
	s_delay_alu instid0(VALU_DEP_2) | instskip(SKIP_2) | instid1(SALU_CYCLE_1)
	s_bfe_u32 s2, s1, 0x10010
	s_mov_b32 s3, 0
	s_add_i32 s2, s1, s2
	s_addk_i32 s2, 0x7fff
	s_branch .LBB580_46
.LBB580_45:
	s_mov_b32 s3, -1
                                        ; implicit-def: $sgpr2
.LBB580_46:
	s_delay_alu instid0(SALU_CYCLE_1)
	s_and_not1_b32 vcc_lo, exec_lo, s3
	s_cbranch_vccnz .LBB580_48
; %bb.47:
	s_and_b32 s2, s1, 0xffff
	s_or_b32 s3, s1, 0x10000
	s_cmp_eq_u32 s2, 0
	s_cselect_b32 s2, s1, s3
.LBB580_48:
	s_delay_alu instid0(SALU_CYCLE_1) | instskip(NEXT) | instid1(SALU_CYCLE_1)
	s_and_b32 s1, s2, 0xffff0000
	v_add_f32_e32 v0, s1, v0
	s_delay_alu instid0(VALU_DEP_1) | instskip(NEXT) | instid1(VALU_DEP_1)
	v_and_b32_e32 v1, 0x7f800000, v0
	v_cmp_ne_u32_e32 vcc_lo, 0x7f800000, v1
                                        ; implicit-def: $vgpr1
	s_and_saveexec_b32 s1, vcc_lo
	s_delay_alu instid0(SALU_CYCLE_1)
	s_xor_b32 s1, exec_lo, s1
; %bb.49:
	v_bfe_u32 v1, v0, 16, 1
	s_delay_alu instid0(VALU_DEP_1)
	v_add3_u32 v1, v0, v1, 0x7fff
                                        ; implicit-def: $vgpr0
; %bb.50:
	s_and_not1_saveexec_b32 s1, s1
; %bb.51:
	v_and_b32_e32 v1, 0xffff, v0
	v_or_b32_e32 v2, 0x10000, v0
	s_delay_alu instid0(VALU_DEP_2) | instskip(NEXT) | instid1(VALU_DEP_2)
	v_cmp_eq_u32_e32 vcc_lo, 0, v1
	v_cndmask_b32_e32 v1, v2, v0, vcc_lo
; %bb.52:
	s_or_b32 exec_lo, exec_lo, s1
.LBB580_53:
	s_delay_alu instid0(VALU_DEP_1)
	v_lshrrev_b32_e32 v1, 16, v1
	s_ashr_i32 s5, s4, 31
	s_or_b32 s12, s12, exec_lo
.LBB580_54:
	s_or_b32 exec_lo, exec_lo, s0
	s_and_saveexec_b32 s0, s12
	s_cbranch_execz .LBB580_56
.LBB580_55:
	s_lshl_b64 s[0:1], s[4:5], 1
	v_mov_b32_e32 v0, 0
	s_add_u32 s0, s6, s0
	s_addc_u32 s1, s7, s1
	global_store_b16 v0, v1, s[0:1]
.LBB580_56:
	s_nop 0
	s_sendmsg sendmsg(MSG_DEALLOC_VGPRS)
	s_endpgm
	.section	.rodata,"a",@progbits
	.p2align	6, 0x0
	.amdhsa_kernel _ZL32rocblas_gemvt_warp_reduce_kernelILb1ELi1024Ei16rocblas_bfloat16PKfS0_EviiT3_lPKT2_lT1_lS6_lS7_lS3_lPT4_lS7_li
		.amdhsa_group_segment_fixed_size 128
		.amdhsa_private_segment_fixed_size 0
		.amdhsa_kernarg_size 140
		.amdhsa_user_sgpr_count 14
		.amdhsa_user_sgpr_dispatch_ptr 0
		.amdhsa_user_sgpr_queue_ptr 0
		.amdhsa_user_sgpr_kernarg_segment_ptr 1
		.amdhsa_user_sgpr_dispatch_id 0
		.amdhsa_user_sgpr_private_segment_size 0
		.amdhsa_wavefront_size32 1
		.amdhsa_uses_dynamic_stack 0
		.amdhsa_enable_private_segment 0
		.amdhsa_system_sgpr_workgroup_id_x 1
		.amdhsa_system_sgpr_workgroup_id_y 0
		.amdhsa_system_sgpr_workgroup_id_z 1
		.amdhsa_system_sgpr_workgroup_info 0
		.amdhsa_system_vgpr_workitem_id 0
		.amdhsa_next_free_vgpr 11
		.amdhsa_next_free_sgpr 25
		.amdhsa_reserve_vcc 1
		.amdhsa_float_round_mode_32 0
		.amdhsa_float_round_mode_16_64 0
		.amdhsa_float_denorm_mode_32 3
		.amdhsa_float_denorm_mode_16_64 3
		.amdhsa_dx10_clamp 1
		.amdhsa_ieee_mode 1
		.amdhsa_fp16_overflow 0
		.amdhsa_workgroup_processor_mode 1
		.amdhsa_memory_ordered 1
		.amdhsa_forward_progress 0
		.amdhsa_shared_vgpr_count 0
		.amdhsa_exception_fp_ieee_invalid_op 0
		.amdhsa_exception_fp_denorm_src 0
		.amdhsa_exception_fp_ieee_div_zero 0
		.amdhsa_exception_fp_ieee_overflow 0
		.amdhsa_exception_fp_ieee_underflow 0
		.amdhsa_exception_fp_ieee_inexact 0
		.amdhsa_exception_int_div_zero 0
	.end_amdhsa_kernel
	.section	.text._ZL32rocblas_gemvt_warp_reduce_kernelILb1ELi1024Ei16rocblas_bfloat16PKfS0_EviiT3_lPKT2_lT1_lS6_lS7_lS3_lPT4_lS7_li,"axG",@progbits,_ZL32rocblas_gemvt_warp_reduce_kernelILb1ELi1024Ei16rocblas_bfloat16PKfS0_EviiT3_lPKT2_lT1_lS6_lS7_lS3_lPT4_lS7_li,comdat
.Lfunc_end580:
	.size	_ZL32rocblas_gemvt_warp_reduce_kernelILb1ELi1024Ei16rocblas_bfloat16PKfS0_EviiT3_lPKT2_lT1_lS6_lS7_lS3_lPT4_lS7_li, .Lfunc_end580-_ZL32rocblas_gemvt_warp_reduce_kernelILb1ELi1024Ei16rocblas_bfloat16PKfS0_EviiT3_lPKT2_lT1_lS6_lS7_lS3_lPT4_lS7_li
                                        ; -- End function
	.section	.AMDGPU.csdata,"",@progbits
; Kernel info:
; codeLenInByte = 2172
; NumSgprs: 27
; NumVgprs: 11
; ScratchSize: 0
; MemoryBound: 0
; FloatMode: 240
; IeeeMode: 1
; LDSByteSize: 128 bytes/workgroup (compile time only)
; SGPRBlocks: 3
; VGPRBlocks: 1
; NumSGPRsForWavesPerEU: 27
; NumVGPRsForWavesPerEU: 11
; Occupancy: 16
; WaveLimiterHint : 1
; COMPUTE_PGM_RSRC2:SCRATCH_EN: 0
; COMPUTE_PGM_RSRC2:USER_SGPR: 14
; COMPUTE_PGM_RSRC2:TRAP_HANDLER: 0
; COMPUTE_PGM_RSRC2:TGID_X_EN: 1
; COMPUTE_PGM_RSRC2:TGID_Y_EN: 0
; COMPUTE_PGM_RSRC2:TGID_Z_EN: 1
; COMPUTE_PGM_RSRC2:TIDIG_COMP_CNT: 0
	.section	.text._ZL32rocblas_gemvt_warp_reduce_kernelILb1ELi1024El16rocblas_bfloat16PKfS0_EviiT3_lPKT2_lT1_lS6_lS7_lS3_lPT4_lS7_li,"axG",@progbits,_ZL32rocblas_gemvt_warp_reduce_kernelILb1ELi1024El16rocblas_bfloat16PKfS0_EviiT3_lPKT2_lT1_lS6_lS7_lS3_lPT4_lS7_li,comdat
	.globl	_ZL32rocblas_gemvt_warp_reduce_kernelILb1ELi1024El16rocblas_bfloat16PKfS0_EviiT3_lPKT2_lT1_lS6_lS7_lS3_lPT4_lS7_li ; -- Begin function _ZL32rocblas_gemvt_warp_reduce_kernelILb1ELi1024El16rocblas_bfloat16PKfS0_EviiT3_lPKT2_lT1_lS6_lS7_lS3_lPT4_lS7_li
	.p2align	8
	.type	_ZL32rocblas_gemvt_warp_reduce_kernelILb1ELi1024El16rocblas_bfloat16PKfS0_EviiT3_lPKT2_lT1_lS6_lS7_lS3_lPT4_lS7_li,@function
_ZL32rocblas_gemvt_warp_reduce_kernelILb1ELi1024El16rocblas_bfloat16PKfS0_EviiT3_lPKT2_lT1_lS6_lS7_lS3_lPT4_lS7_li: ; @_ZL32rocblas_gemvt_warp_reduce_kernelILb1ELi1024El16rocblas_bfloat16PKfS0_EviiT3_lPKT2_lT1_lS6_lS7_lS3_lPT4_lS7_li
; %bb.0:
	s_clause 0x1
	s_load_b512 s[36:51], s[0:1], 0x8
	s_load_b512 s[16:31], s[0:1], 0x48
	s_mov_b32 s10, 0
	s_waitcnt lgkmcnt(0)
	s_mul_i32 s3, s15, s39
	s_mul_hi_u32 s4, s15, s38
	s_mul_i32 s2, s15, s38
	s_add_i32 s3, s4, s3
	s_mul_i32 s4, s15, s23
	s_lshl_b64 s[2:3], s[2:3], 2
	s_mul_hi_u32 s5, s15, s22
	s_add_u32 s2, s36, s2
	s_addc_u32 s3, s37, s3
	s_add_i32 s5, s5, s4
	s_mul_i32 s4, s15, s22
	s_delay_alu instid0(SALU_CYCLE_1) | instskip(NEXT) | instid1(SALU_CYCLE_1)
	s_lshl_b64 s[4:5], s[4:5], 2
	s_add_u32 s4, s20, s4
	s_addc_u32 s5, s21, s5
	s_load_b32 s12, s[2:3], 0x0
	s_load_b32 s11, s[4:5], 0x0
	s_waitcnt lgkmcnt(0)
	v_cmp_eq_f32_e64 s2, s12, 0
	v_cmp_eq_f32_e64 s3, s11, 1.0
	s_delay_alu instid0(VALU_DEP_1) | instskip(NEXT) | instid1(SALU_CYCLE_1)
	s_and_b32 s2, s2, s3
	s_and_b32 vcc_lo, exec_lo, s2
	s_cbranch_vccnz .LBB581_57
; %bb.1:
	s_mul_i32 s3, s15, s31
	s_mul_hi_u32 s4, s15, s30
	s_mul_i32 s2, s15, s30
	s_add_i32 s3, s4, s3
	v_cmp_neq_f32_e64 s4, s12, 0
	s_lshl_b64 s[2:3], s[2:3], 1
	s_delay_alu instid0(SALU_CYCLE_1) | instskip(SKIP_2) | instid1(SALU_CYCLE_1)
	s_add_u32 s5, s24, s2
	s_addc_u32 s6, s25, s3
	s_lshl_b64 s[2:3], s[26:27], 1
	s_add_u32 s8, s5, s2
	v_cmp_eq_u32_e64 s2, 0, v0
	s_addc_u32 s9, s6, s3
	s_and_b32 vcc_lo, exec_lo, s4
	s_cbranch_vccnz .LBB581_6
; %bb.2:
	s_mov_b32 s3, 0
                                        ; implicit-def: $sgpr7
                                        ; implicit-def: $sgpr4_sgpr5
	s_and_saveexec_b32 s6, s2
	s_cbranch_execz .LBB581_7
; %bb.3:
	v_cmp_eq_f32_e64 s2, s11, 0
	s_mul_i32 s4, s14, s29
	s_mul_hi_u32 s5, s14, s28
	s_ashr_i32 s7, s14, 31
	s_add_i32 s4, s5, s4
	s_mul_i32 s5, s7, s28
	s_mov_b32 s7, 0
	s_add_i32 s5, s4, s5
	s_and_b32 vcc_lo, exec_lo, s2
	s_mul_i32 s4, s14, s28
	s_cbranch_vccnz .LBB581_12
; %bb.4:
	s_lshl_b64 s[20:21], s[4:5], 1
	v_mov_b32_e32 v1, 0
	s_add_u32 s20, s8, s20
	s_addc_u32 s21, s9, s21
	global_load_u16 v1, v1, s[20:21]
	s_waitcnt vmcnt(0)
	v_lshlrev_b32_e32 v1, 16, v1
	s_delay_alu instid0(VALU_DEP_1) | instskip(NEXT) | instid1(VALU_DEP_1)
	v_mul_f32_e32 v1, s11, v1
	v_and_b32_e32 v2, 0x7f800000, v1
	v_readfirstlane_b32 s2, v1
	s_delay_alu instid0(VALU_DEP_2)
	v_cmp_eq_u32_e32 vcc_lo, 0x7f800000, v2
	s_cbranch_vccnz .LBB581_9
; %bb.5:
	s_delay_alu instid0(VALU_DEP_2) | instskip(NEXT) | instid1(SALU_CYCLE_1)
	s_bfe_u32 s7, s2, 0x10010
	s_add_i32 s7, s2, s7
	s_delay_alu instid0(SALU_CYCLE_1)
	s_addk_i32 s7, 0x7fff
	s_and_not1_b32 vcc_lo, exec_lo, s10
	s_cbranch_vccz .LBB581_10
	s_branch .LBB581_11
.LBB581_6:
                                        ; implicit-def: $sgpr7
                                        ; implicit-def: $sgpr4_sgpr5
	s_cbranch_execz .LBB581_8
	s_branch .LBB581_13
.LBB581_7:
	s_or_b32 exec_lo, exec_lo, s6
	s_delay_alu instid0(SALU_CYCLE_1)
	s_and_b32 vcc_lo, exec_lo, s3
	s_cbranch_vccnz .LBB581_13
.LBB581_8:
	v_mov_b32_e32 v1, s7
	s_and_saveexec_b32 s0, s10
	s_cbranch_execnz .LBB581_56
	s_branch .LBB581_57
.LBB581_9:
                                        ; implicit-def: $sgpr7
.LBB581_10:
	s_delay_alu instid0(VALU_DEP_2)
	s_and_b32 s7, s2, 0xffff
	s_or_b32 s10, s2, 0x10000
	s_cmp_eq_u32 s7, 0
	s_cselect_b32 s7, s2, s10
.LBB581_11:
	s_delay_alu instid0(SALU_CYCLE_1)
	s_lshr_b32 s7, s7, 16
.LBB581_12:
	s_mov_b32 s10, exec_lo
	s_or_b32 exec_lo, exec_lo, s6
	s_delay_alu instid0(SALU_CYCLE_1)
	s_and_b32 vcc_lo, exec_lo, s3
	s_cbranch_vccz .LBB581_8
.LBB581_13:
	s_load_b32 s5, s[0:1], 0x0
	s_mul_i32 s3, s15, s47
	s_mul_hi_u32 s4, s15, s46
	s_mul_i32 s0, s15, s46
	s_add_i32 s1, s4, s3
	s_mul_i32 s2, s15, s19
	s_mul_hi_u32 s3, s15, s18
	s_lshl_b64 s[0:1], s[0:1], 1
	s_add_i32 s3, s3, s2
	s_add_u32 s2, s40, s0
	s_addc_u32 s4, s41, s1
	s_lshl_b64 s[0:1], s[42:43], 1
	s_mul_hi_u32 s6, s14, s44
	s_add_u32 s0, s2, s0
	s_addc_u32 s2, s4, s1
	s_mul_i32 s4, s14, s45
	s_ashr_i32 s1, s14, 31
	s_add_i32 s4, s6, s4
	s_mul_i32 s6, s1, s44
	v_mov_b32_e32 v7, 0
	s_waitcnt lgkmcnt(0)
	v_cmp_gt_i32_e32 vcc_lo, s5, v0
	s_add_i32 s7, s4, s6
	s_mul_i32 s6, s14, s44
	s_mov_b32 s13, exec_lo
	s_lshl_b64 s[6:7], s[6:7], 1
	v_cndmask_b32_e32 v1, 0, v0, vcc_lo
	s_add_u32 s0, s6, s0
	s_addc_u32 s2, s7, s2
	s_ashr_i32 s4, s5, 31
	s_delay_alu instid0(SALU_CYCLE_1) | instskip(SKIP_2) | instid1(SALU_CYCLE_1)
	s_lshr_b32 s4, s4, 22
	v_lshlrev_b32_e32 v1, 1, v1
	s_add_i32 s4, s5, s4
	s_and_b32 s4, s4, 0xfffffc00
	s_delay_alu instid0(VALU_DEP_1) | instskip(NEXT) | instid1(VALU_DEP_1)
	v_add_co_u32 v1, s0, s0, v1
	v_add_co_ci_u32_e64 v2, null, s2, 0, s0
	s_mul_i32 s2, s15, s18
	s_mov_b32 s15, 0
	v_cmpx_gt_i32_e64 s4, v0
	s_cbranch_execz .LBB581_21
; %bb.14:
	v_mad_u64_u32 v[5:6], null, s16, v0, 0
	s_lshl_b64 s[18:19], s[50:51], 1
	s_lshl_b64 s[6:7], s[2:3], 1
	s_add_u32 s0, s48, s18
	s_addc_u32 s18, s49, s19
	s_add_u32 s0, s0, s6
	s_addc_u32 s6, s18, s7
	s_delay_alu instid0(VALU_DEP_1) | instskip(NEXT) | instid1(VALU_DEP_1)
	v_dual_mov_b32 v3, v6 :: v_dual_mov_b32 v8, v0
	v_mad_u64_u32 v[6:7], null, s17, v0, v[3:4]
	v_dual_mov_b32 v7, 0 :: v_dual_mov_b32 v4, v2
	v_mov_b32_e32 v3, v1
	s_delay_alu instid0(VALU_DEP_3) | instskip(NEXT) | instid1(VALU_DEP_1)
	v_lshlrev_b64 v[5:6], 1, v[5:6]
	v_add_co_u32 v5, vcc_lo, s0, v5
	s_delay_alu instid0(VALU_DEP_2)
	v_add_co_ci_u32_e32 v6, vcc_lo, s6, v6, vcc_lo
	s_lshl_b64 s[6:7], s[16:17], 11
	s_set_inst_prefetch_distance 0x1
	s_branch .LBB581_16
	.p2align	6
.LBB581_15:                             ;   in Loop: Header=BB581_16 Depth=1
	s_or_b32 exec_lo, exec_lo, s0
	s_delay_alu instid0(VALU_DEP_1) | instskip(SKIP_3) | instid1(VALU_DEP_4)
	v_and_b32_e32 v9, 0xffff0000, v10
	v_add_nc_u32_e32 v8, 0x400, v8
	v_add_co_u32 v3, vcc_lo, 0x800, v3
	v_add_co_ci_u32_e32 v4, vcc_lo, 0, v4, vcc_lo
	v_add_f32_e32 v7, v7, v9
	s_delay_alu instid0(VALU_DEP_4) | instskip(SKIP_1) | instid1(VALU_DEP_1)
	v_cmp_le_i32_e32 vcc_lo, s4, v8
	v_add_co_u32 v5, s0, v5, s6
	v_add_co_ci_u32_e64 v6, s0, s7, v6, s0
	s_or_b32 s15, vcc_lo, s15
	s_delay_alu instid0(SALU_CYCLE_1)
	s_and_not1_b32 exec_lo, exec_lo, s15
	s_cbranch_execz .LBB581_20
.LBB581_16:                             ; =>This Inner Loop Header: Depth=1
	global_load_u16 v9, v[5:6], off
	global_load_u16 v10, v[3:4], off
	s_waitcnt vmcnt(1)
	v_lshlrev_b32_e32 v9, 16, v9
	s_waitcnt vmcnt(0)
	v_lshlrev_b32_e32 v10, 16, v10
	s_delay_alu instid0(VALU_DEP_1) | instskip(NEXT) | instid1(VALU_DEP_1)
	v_mul_f32_e32 v9, v10, v9
	v_and_b32_e32 v10, 0x7f800000, v9
	s_delay_alu instid0(VALU_DEP_1) | instskip(SKIP_1) | instid1(SALU_CYCLE_1)
	v_cmp_ne_u32_e32 vcc_lo, 0x7f800000, v10
                                        ; implicit-def: $vgpr10
	s_and_saveexec_b32 s0, vcc_lo
	s_xor_b32 s0, exec_lo, s0
; %bb.17:                               ;   in Loop: Header=BB581_16 Depth=1
	v_bfe_u32 v10, v9, 16, 1
	s_delay_alu instid0(VALU_DEP_1)
	v_add3_u32 v10, v9, v10, 0x7fff
                                        ; implicit-def: $vgpr9
; %bb.18:                               ;   in Loop: Header=BB581_16 Depth=1
	s_and_not1_saveexec_b32 s0, s0
	s_cbranch_execz .LBB581_15
; %bb.19:                               ;   in Loop: Header=BB581_16 Depth=1
	v_and_b32_e32 v10, 0xffff, v9
	v_or_b32_e32 v11, 0x10000, v9
	s_delay_alu instid0(VALU_DEP_2) | instskip(NEXT) | instid1(VALU_DEP_2)
	v_cmp_eq_u32_e32 vcc_lo, 0, v10
	v_cndmask_b32_e32 v10, v11, v9, vcc_lo
	s_branch .LBB581_15
.LBB581_20:
	s_set_inst_prefetch_distance 0x2
	s_or_b32 exec_lo, exec_lo, s15
.LBB581_21:
	s_delay_alu instid0(SALU_CYCLE_1) | instskip(SKIP_2) | instid1(VALU_DEP_1)
	s_or_b32 exec_lo, exec_lo, s13
	v_or_b32_e32 v3, s4, v0
	s_mov_b32 s0, exec_lo
	v_cmpx_gt_i32_e64 s5, v3
	s_cbranch_execz .LBB581_27
; %bb.22:
	v_ashrrev_i32_e32 v6, 31, v3
	v_mul_lo_u32 v8, v3, s17
	v_mad_u64_u32 v[4:5], null, v3, s16, 0
	s_lshl_b64 s[2:3], s[2:3], 1
	s_delay_alu instid0(VALU_DEP_3) | instskip(SKIP_3) | instid1(SALU_CYCLE_1)
	v_mul_lo_u32 v3, v6, s16
	s_add_u32 s5, s48, s2
	s_addc_u32 s6, s49, s3
	s_lshl_b64 s[2:3], s[50:51], 1
	s_add_u32 s7, s5, s2
	s_addc_u32 s6, s6, s3
	s_ashr_i32 s5, s4, 31
	s_delay_alu instid0(VALU_DEP_1) | instskip(SKIP_1) | instid1(VALU_DEP_1)
	v_add3_u32 v5, v5, v8, v3
	s_lshl_b64 s[2:3], s[4:5], 1
	v_lshlrev_b64 v[3:4], 1, v[4:5]
	s_delay_alu instid0(VALU_DEP_1) | instskip(NEXT) | instid1(VALU_DEP_2)
	v_add_co_u32 v3, vcc_lo, s7, v3
	v_add_co_ci_u32_e32 v4, vcc_lo, s6, v4, vcc_lo
	v_add_co_u32 v1, vcc_lo, v1, s2
	v_add_co_ci_u32_e32 v2, vcc_lo, s3, v2, vcc_lo
	global_load_u16 v3, v[3:4], off
	global_load_u16 v1, v[1:2], off
	s_waitcnt vmcnt(1)
	v_lshlrev_b32_e32 v2, 16, v3
	s_waitcnt vmcnt(0)
	v_lshlrev_b32_e32 v1, 16, v1
	s_delay_alu instid0(VALU_DEP_1) | instskip(NEXT) | instid1(VALU_DEP_1)
	v_mul_f32_e32 v1, v1, v2
	v_and_b32_e32 v2, 0x7f800000, v1
	s_delay_alu instid0(VALU_DEP_1) | instskip(SKIP_1) | instid1(SALU_CYCLE_1)
	v_cmp_ne_u32_e32 vcc_lo, 0x7f800000, v2
                                        ; implicit-def: $vgpr2
	s_and_saveexec_b32 s2, vcc_lo
	s_xor_b32 s2, exec_lo, s2
; %bb.23:
	v_bfe_u32 v2, v1, 16, 1
	s_delay_alu instid0(VALU_DEP_1)
	v_add3_u32 v2, v1, v2, 0x7fff
                                        ; implicit-def: $vgpr1
; %bb.24:
	s_and_not1_saveexec_b32 s2, s2
; %bb.25:
	v_and_b32_e32 v2, 0xffff, v1
	v_or_b32_e32 v3, 0x10000, v1
	s_delay_alu instid0(VALU_DEP_2) | instskip(NEXT) | instid1(VALU_DEP_2)
	v_cmp_eq_u32_e32 vcc_lo, 0, v2
	v_cndmask_b32_e32 v2, v3, v1, vcc_lo
; %bb.26:
	s_or_b32 exec_lo, exec_lo, s2
	s_delay_alu instid0(VALU_DEP_1) | instskip(NEXT) | instid1(VALU_DEP_1)
	v_and_b32_e32 v1, 0xffff0000, v2
	v_add_f32_e32 v7, v7, v1
.LBB581_27:
	s_or_b32 exec_lo, exec_lo, s0
	v_and_b32_e32 v6, 31, v0
	v_cmp_gt_u32_e32 vcc_lo, 32, v0
	s_delay_alu instid0(VALU_DEP_2)
	v_lshlrev_b32_e32 v1, 2, v6
	s_and_saveexec_b32 s0, vcc_lo
	s_cbranch_execz .LBB581_29
; %bb.28:
	v_mov_b32_e32 v2, 0
	ds_store_b32 v1, v2
.LBB581_29:
	s_or_b32 exec_lo, exec_lo, s0
	v_mbcnt_lo_u32_b32 v8, -1, 0
	s_mov_b32 s2, exec_lo
	s_waitcnt lgkmcnt(0)
	s_barrier
	buffer_gl0_inv
	v_cmp_gt_u32_e64 s0, 16, v8
	s_delay_alu instid0(VALU_DEP_1) | instskip(SKIP_1) | instid1(VALU_DEP_2)
	v_cndmask_b32_e64 v2, 0, 1, s0
	v_cmp_gt_u32_e64 s0, 24, v8
	v_lshlrev_b32_e32 v2, 4, v2
	s_delay_alu instid0(VALU_DEP_2) | instskip(SKIP_1) | instid1(VALU_DEP_3)
	v_cndmask_b32_e64 v3, 0, 1, s0
	v_cmp_gt_u32_e64 s0, 28, v8
	v_add_lshl_u32 v2, v2, v8, 2
	s_delay_alu instid0(VALU_DEP_3)
	v_lshlrev_b32_e32 v3, 3, v3
	ds_bpermute_b32 v4, v2, v7
	v_add_lshl_u32 v3, v3, v8, 2
	s_waitcnt lgkmcnt(0)
	v_add_f32_e32 v5, v7, v4
	v_cndmask_b32_e64 v4, 0, 1, s0
	v_cmp_gt_u32_e64 s0, 30, v8
	ds_bpermute_b32 v7, v3, v5
	s_waitcnt lgkmcnt(0)
	v_dual_add_f32 v7, v5, v7 :: v_dual_lshlrev_b32 v4, 2, v4
	s_delay_alu instid0(VALU_DEP_1)
	v_add_lshl_u32 v4, v4, v8, 2
	v_cndmask_b32_e64 v5, 0, 1, s0
	v_cmp_ne_u32_e64 s0, 31, v8
	ds_bpermute_b32 v9, v4, v7
	v_lshlrev_b32_e32 v5, 1, v5
	v_add_co_ci_u32_e64 v10, s0, 0, v8, s0
	s_delay_alu instid0(VALU_DEP_2)
	v_add_lshl_u32 v5, v5, v8, 2
	s_waitcnt lgkmcnt(0)
	v_add_f32_e32 v7, v7, v9
	ds_bpermute_b32 v9, v5, v7
	s_waitcnt lgkmcnt(0)
	v_dual_add_f32 v8, v7, v9 :: v_dual_lshlrev_b32 v7, 2, v10
	ds_bpermute_b32 v9, v7, v8
	v_cmpx_eq_u32_e32 0, v6
	s_cbranch_execz .LBB581_31
; %bb.30:
	v_lshrrev_b32_e32 v6, 3, v0
	s_waitcnt lgkmcnt(0)
	v_add_f32_e32 v8, v8, v9
	s_delay_alu instid0(VALU_DEP_2)
	v_and_b32_e32 v6, 0x7c, v6
	ds_store_b32 v6, v8
.LBB581_31:
	s_or_b32 exec_lo, exec_lo, s2
	v_mov_b32_e32 v6, 0
	s_waitcnt lgkmcnt(0)
	s_barrier
	buffer_gl0_inv
	s_and_saveexec_b32 s0, vcc_lo
	s_cbranch_execz .LBB581_33
; %bb.32:
	ds_load_b32 v6, v1
.LBB581_33:
	s_or_b32 exec_lo, exec_lo, s0
	s_and_saveexec_b32 s0, vcc_lo
	s_cbranch_execz .LBB581_35
; %bb.34:
	s_waitcnt lgkmcnt(0)
	ds_bpermute_b32 v1, v2, v6
	s_waitcnt lgkmcnt(0)
	v_add_f32_e32 v1, v6, v1
	ds_bpermute_b32 v2, v3, v1
	s_waitcnt lgkmcnt(0)
	v_add_f32_e32 v1, v1, v2
	;; [unrolled: 3-line block ×5, first 2 shown]
.LBB581_35:
	s_or_b32 exec_lo, exec_lo, s0
	s_delay_alu instid0(SALU_CYCLE_1)
	s_mov_b32 s0, exec_lo
                                        ; implicit-def: $vgpr1
                                        ; implicit-def: $sgpr4_sgpr5
	v_cmpx_eq_u32_e32 0, v0
	s_cbranch_execz .LBB581_55
; %bb.36:
	v_cmp_eq_f32_e64 s2, s11, 0
	s_waitcnt lgkmcnt(0)
	v_mul_f32_e32 v0, s12, v6
	s_delay_alu instid0(VALU_DEP_2)
	s_and_b32 vcc_lo, exec_lo, s2
	s_cbranch_vccz .LBB581_42
; %bb.37:
	s_delay_alu instid0(VALU_DEP_1) | instskip(NEXT) | instid1(VALU_DEP_1)
	v_and_b32_e32 v1, 0x7f800000, v0
	v_cmp_ne_u32_e32 vcc_lo, 0x7f800000, v1
                                        ; implicit-def: $vgpr1
	s_and_saveexec_b32 s2, vcc_lo
	s_delay_alu instid0(SALU_CYCLE_1)
	s_xor_b32 s2, exec_lo, s2
; %bb.38:
	v_bfe_u32 v1, v0, 16, 1
	s_delay_alu instid0(VALU_DEP_1)
	v_add3_u32 v1, v0, v1, 0x7fff
; %bb.39:
	s_and_not1_saveexec_b32 s2, s2
; %bb.40:
	v_and_b32_e32 v1, 0xffff, v0
	v_or_b32_e32 v2, 0x10000, v0
	s_delay_alu instid0(VALU_DEP_2) | instskip(NEXT) | instid1(VALU_DEP_2)
	v_cmp_eq_u32_e32 vcc_lo, 0, v1
	v_cndmask_b32_e32 v1, v2, v0, vcc_lo
; %bb.41:
	s_or_b32 exec_lo, exec_lo, s2
	s_mov_b32 s4, 0
	s_branch .LBB581_43
.LBB581_42:
	s_mov_b32 s4, -1
                                        ; implicit-def: $vgpr1
.LBB581_43:
	s_mul_i32 s2, s14, s29
	s_mul_hi_u32 s3, s14, s28
	s_and_not1_b32 vcc_lo, exec_lo, s4
	s_mul_i32 s1, s1, s28
	s_mul_i32 s4, s14, s28
	s_cbranch_vccnz .LBB581_54
; %bb.44:
	s_add_i32 s5, s3, s2
	v_mov_b32_e32 v1, 0
	s_add_i32 s5, s5, s1
	s_delay_alu instid0(SALU_CYCLE_1) | instskip(NEXT) | instid1(SALU_CYCLE_1)
	s_lshl_b64 s[6:7], s[4:5], 1
	s_add_u32 s6, s8, s6
	s_addc_u32 s7, s9, s7
	global_load_u16 v1, v1, s[6:7]
	s_waitcnt vmcnt(0)
	v_lshlrev_b32_e32 v1, 16, v1
	s_delay_alu instid0(VALU_DEP_1) | instskip(NEXT) | instid1(VALU_DEP_1)
	v_mul_f32_e32 v1, s11, v1
	v_and_b32_e32 v2, 0x7f800000, v1
	v_readfirstlane_b32 s5, v1
	s_delay_alu instid0(VALU_DEP_2)
	v_cmp_eq_u32_e32 vcc_lo, 0x7f800000, v2
	s_cbranch_vccnz .LBB581_46
; %bb.45:
	s_delay_alu instid0(VALU_DEP_2) | instskip(SKIP_2) | instid1(SALU_CYCLE_1)
	s_bfe_u32 s6, s5, 0x10010
	s_mov_b32 s7, 0
	s_add_i32 s6, s5, s6
	s_addk_i32 s6, 0x7fff
	s_branch .LBB581_47
.LBB581_46:
	s_mov_b32 s7, -1
                                        ; implicit-def: $sgpr6
.LBB581_47:
	s_delay_alu instid0(SALU_CYCLE_1)
	s_and_not1_b32 vcc_lo, exec_lo, s7
	s_cbranch_vccnz .LBB581_49
; %bb.48:
	s_and_b32 s6, s5, 0xffff
	s_or_b32 s7, s5, 0x10000
	s_cmp_eq_u32 s6, 0
	s_cselect_b32 s6, s5, s7
.LBB581_49:
	s_delay_alu instid0(SALU_CYCLE_1) | instskip(NEXT) | instid1(SALU_CYCLE_1)
	s_and_b32 s5, s6, 0xffff0000
	v_add_f32_e32 v0, s5, v0
	s_delay_alu instid0(VALU_DEP_1) | instskip(NEXT) | instid1(VALU_DEP_1)
	v_and_b32_e32 v1, 0x7f800000, v0
	v_cmp_ne_u32_e32 vcc_lo, 0x7f800000, v1
                                        ; implicit-def: $vgpr1
	s_and_saveexec_b32 s5, vcc_lo
	s_delay_alu instid0(SALU_CYCLE_1)
	s_xor_b32 s5, exec_lo, s5
; %bb.50:
	v_bfe_u32 v1, v0, 16, 1
	s_delay_alu instid0(VALU_DEP_1)
	v_add3_u32 v1, v0, v1, 0x7fff
                                        ; implicit-def: $vgpr0
; %bb.51:
	s_and_not1_saveexec_b32 s5, s5
; %bb.52:
	v_and_b32_e32 v1, 0xffff, v0
	v_or_b32_e32 v2, 0x10000, v0
	s_delay_alu instid0(VALU_DEP_2) | instskip(NEXT) | instid1(VALU_DEP_2)
	v_cmp_eq_u32_e32 vcc_lo, 0, v1
	v_cndmask_b32_e32 v1, v2, v0, vcc_lo
; %bb.53:
	s_or_b32 exec_lo, exec_lo, s5
.LBB581_54:
	s_delay_alu instid0(VALU_DEP_1)
	v_lshrrev_b32_e32 v1, 16, v1
	s_add_i32 s2, s3, s2
	s_or_b32 s10, s10, exec_lo
	s_add_i32 s5, s2, s1
.LBB581_55:
	s_or_b32 exec_lo, exec_lo, s0
	s_and_saveexec_b32 s0, s10
	s_cbranch_execz .LBB581_57
.LBB581_56:
	s_lshl_b64 s[0:1], s[4:5], 1
	v_mov_b32_e32 v0, 0
	s_add_u32 s0, s8, s0
	s_addc_u32 s1, s9, s1
	global_store_b16 v0, v1, s[0:1]
.LBB581_57:
	s_nop 0
	s_sendmsg sendmsg(MSG_DEALLOC_VGPRS)
	s_endpgm
	.section	.rodata,"a",@progbits
	.p2align	6, 0x0
	.amdhsa_kernel _ZL32rocblas_gemvt_warp_reduce_kernelILb1ELi1024El16rocblas_bfloat16PKfS0_EviiT3_lPKT2_lT1_lS6_lS7_lS3_lPT4_lS7_li
		.amdhsa_group_segment_fixed_size 128
		.amdhsa_private_segment_fixed_size 0
		.amdhsa_kernarg_size 140
		.amdhsa_user_sgpr_count 14
		.amdhsa_user_sgpr_dispatch_ptr 0
		.amdhsa_user_sgpr_queue_ptr 0
		.amdhsa_user_sgpr_kernarg_segment_ptr 1
		.amdhsa_user_sgpr_dispatch_id 0
		.amdhsa_user_sgpr_private_segment_size 0
		.amdhsa_wavefront_size32 1
		.amdhsa_uses_dynamic_stack 0
		.amdhsa_enable_private_segment 0
		.amdhsa_system_sgpr_workgroup_id_x 1
		.amdhsa_system_sgpr_workgroup_id_y 0
		.amdhsa_system_sgpr_workgroup_id_z 1
		.amdhsa_system_sgpr_workgroup_info 0
		.amdhsa_system_vgpr_workitem_id 0
		.amdhsa_next_free_vgpr 12
		.amdhsa_next_free_sgpr 52
		.amdhsa_reserve_vcc 1
		.amdhsa_float_round_mode_32 0
		.amdhsa_float_round_mode_16_64 0
		.amdhsa_float_denorm_mode_32 3
		.amdhsa_float_denorm_mode_16_64 3
		.amdhsa_dx10_clamp 1
		.amdhsa_ieee_mode 1
		.amdhsa_fp16_overflow 0
		.amdhsa_workgroup_processor_mode 1
		.amdhsa_memory_ordered 1
		.amdhsa_forward_progress 0
		.amdhsa_shared_vgpr_count 0
		.amdhsa_exception_fp_ieee_invalid_op 0
		.amdhsa_exception_fp_denorm_src 0
		.amdhsa_exception_fp_ieee_div_zero 0
		.amdhsa_exception_fp_ieee_overflow 0
		.amdhsa_exception_fp_ieee_underflow 0
		.amdhsa_exception_fp_ieee_inexact 0
		.amdhsa_exception_int_div_zero 0
	.end_amdhsa_kernel
	.section	.text._ZL32rocblas_gemvt_warp_reduce_kernelILb1ELi1024El16rocblas_bfloat16PKfS0_EviiT3_lPKT2_lT1_lS6_lS7_lS3_lPT4_lS7_li,"axG",@progbits,_ZL32rocblas_gemvt_warp_reduce_kernelILb1ELi1024El16rocblas_bfloat16PKfS0_EviiT3_lPKT2_lT1_lS6_lS7_lS3_lPT4_lS7_li,comdat
.Lfunc_end581:
	.size	_ZL32rocblas_gemvt_warp_reduce_kernelILb1ELi1024El16rocblas_bfloat16PKfS0_EviiT3_lPKT2_lT1_lS6_lS7_lS3_lPT4_lS7_li, .Lfunc_end581-_ZL32rocblas_gemvt_warp_reduce_kernelILb1ELi1024El16rocblas_bfloat16PKfS0_EviiT3_lPKT2_lT1_lS6_lS7_lS3_lPT4_lS7_li
                                        ; -- End function
	.section	.AMDGPU.csdata,"",@progbits
; Kernel info:
; codeLenInByte = 2240
; NumSgprs: 54
; NumVgprs: 12
; ScratchSize: 0
; MemoryBound: 0
; FloatMode: 240
; IeeeMode: 1
; LDSByteSize: 128 bytes/workgroup (compile time only)
; SGPRBlocks: 6
; VGPRBlocks: 1
; NumSGPRsForWavesPerEU: 54
; NumVGPRsForWavesPerEU: 12
; Occupancy: 16
; WaveLimiterHint : 0
; COMPUTE_PGM_RSRC2:SCRATCH_EN: 0
; COMPUTE_PGM_RSRC2:USER_SGPR: 14
; COMPUTE_PGM_RSRC2:TRAP_HANDLER: 0
; COMPUTE_PGM_RSRC2:TGID_X_EN: 1
; COMPUTE_PGM_RSRC2:TGID_Y_EN: 0
; COMPUTE_PGM_RSRC2:TGID_Z_EN: 1
; COMPUTE_PGM_RSRC2:TIDIG_COMP_CNT: 0
	.section	.text._ZL32rocblas_gemvt_warp_reduce_kernelILb1ELi1024Ei16rocblas_bfloat16fS0_EviiT3_lPKT2_lT1_lS4_lS5_lS1_lPT4_lS5_li,"axG",@progbits,_ZL32rocblas_gemvt_warp_reduce_kernelILb1ELi1024Ei16rocblas_bfloat16fS0_EviiT3_lPKT2_lT1_lS4_lS5_lS1_lPT4_lS5_li,comdat
	.globl	_ZL32rocblas_gemvt_warp_reduce_kernelILb1ELi1024Ei16rocblas_bfloat16fS0_EviiT3_lPKT2_lT1_lS4_lS5_lS1_lPT4_lS5_li ; -- Begin function _ZL32rocblas_gemvt_warp_reduce_kernelILb1ELi1024Ei16rocblas_bfloat16fS0_EviiT3_lPKT2_lT1_lS4_lS5_lS1_lPT4_lS5_li
	.p2align	8
	.type	_ZL32rocblas_gemvt_warp_reduce_kernelILb1ELi1024Ei16rocblas_bfloat16fS0_EviiT3_lPKT2_lT1_lS4_lS5_lS1_lPT4_lS5_li,@function
_ZL32rocblas_gemvt_warp_reduce_kernelILb1ELi1024Ei16rocblas_bfloat16fS0_EviiT3_lPKT2_lT1_lS4_lS5_lS1_lPT4_lS5_li: ; @_ZL32rocblas_gemvt_warp_reduce_kernelILb1ELi1024Ei16rocblas_bfloat16fS0_EviiT3_lPKT2_lT1_lS4_lS5_lS1_lPT4_lS5_li
; %bb.0:
	s_clause 0x1
	s_load_b32 s11, s[0:1], 0x8
	s_load_b32 s9, s[0:1], 0x58
	s_mov_b32 s8, 0
	s_waitcnt lgkmcnt(0)
	v_cmp_eq_f32_e64 s2, s11, 0
	v_cmp_eq_f32_e64 s3, s9, 1.0
	s_delay_alu instid0(VALU_DEP_1) | instskip(NEXT) | instid1(SALU_CYCLE_1)
	s_and_b32 s2, s2, s3
	s_and_b32 vcc_lo, exec_lo, s2
	s_cbranch_vccnz .LBB582_56
; %bb.1:
	s_clause 0x2
	s_load_b64 s[2:3], s[0:1], 0x80
	s_load_b128 s[4:7], s[0:1], 0x68
	s_load_b32 s10, s[0:1], 0x78
	s_waitcnt lgkmcnt(0)
	s_mul_i32 s3, s15, s3
	s_mul_hi_u32 s12, s15, s2
	s_mul_i32 s2, s15, s2
	s_add_i32 s3, s12, s3
	v_cmp_neq_f32_e64 s12, s11, 0
	s_lshl_b64 s[2:3], s[2:3], 1
	s_delay_alu instid0(SALU_CYCLE_1) | instskip(SKIP_2) | instid1(SALU_CYCLE_1)
	s_add_u32 s4, s4, s2
	s_addc_u32 s5, s5, s3
	s_lshl_b64 s[2:3], s[6:7], 1
	s_add_u32 s6, s4, s2
	v_cmp_eq_u32_e64 s2, 0, v0
	s_addc_u32 s7, s5, s3
	s_and_b32 vcc_lo, exec_lo, s12
	s_cbranch_vccnz .LBB582_6
; %bb.2:
	s_mov_b32 s3, 0
                                        ; implicit-def: $sgpr13
                                        ; implicit-def: $sgpr4_sgpr5
	s_and_saveexec_b32 s12, s2
	s_cbranch_execz .LBB582_7
; %bb.3:
	v_cmp_eq_f32_e64 s2, s9, 0
	s_mul_i32 s4, s14, s10
	s_mov_b32 s13, 0
	s_ashr_i32 s5, s4, 31
	s_delay_alu instid0(VALU_DEP_1)
	s_and_b32 vcc_lo, exec_lo, s2
	s_cbranch_vccnz .LBB582_12
; %bb.4:
	s_lshl_b64 s[16:17], s[4:5], 1
	v_mov_b32_e32 v1, 0
	s_add_u32 s16, s6, s16
	s_addc_u32 s17, s7, s17
	global_load_u16 v1, v1, s[16:17]
	s_waitcnt vmcnt(0)
	v_lshlrev_b32_e32 v1, 16, v1
	s_delay_alu instid0(VALU_DEP_1) | instskip(NEXT) | instid1(VALU_DEP_1)
	v_mul_f32_e32 v1, s9, v1
	v_and_b32_e32 v2, 0x7f800000, v1
	v_readfirstlane_b32 s2, v1
	s_delay_alu instid0(VALU_DEP_2)
	v_cmp_eq_u32_e32 vcc_lo, 0x7f800000, v2
	s_cbranch_vccnz .LBB582_9
; %bb.5:
	s_delay_alu instid0(VALU_DEP_2) | instskip(NEXT) | instid1(SALU_CYCLE_1)
	s_bfe_u32 s8, s2, 0x10010
	s_add_i32 s8, s2, s8
	s_delay_alu instid0(SALU_CYCLE_1)
	s_addk_i32 s8, 0x7fff
	s_and_not1_b32 vcc_lo, exec_lo, s13
	s_cbranch_vccz .LBB582_10
	s_branch .LBB582_11
.LBB582_6:
                                        ; implicit-def: $sgpr13
                                        ; implicit-def: $sgpr4_sgpr5
	s_cbranch_execz .LBB582_8
	s_branch .LBB582_13
.LBB582_7:
	s_or_b32 exec_lo, exec_lo, s12
	s_delay_alu instid0(SALU_CYCLE_1)
	s_and_b32 vcc_lo, exec_lo, s3
	s_cbranch_vccnz .LBB582_13
.LBB582_8:
	v_mov_b32_e32 v1, s13
	s_and_saveexec_b32 s0, s8
	s_cbranch_execnz .LBB582_55
	s_branch .LBB582_56
.LBB582_9:
                                        ; implicit-def: $sgpr8
.LBB582_10:
	s_delay_alu instid0(VALU_DEP_2)
	s_and_b32 s8, s2, 0xffff
	s_or_b32 s13, s2, 0x10000
	s_cmp_eq_u32 s8, 0
	s_cselect_b32 s8, s2, s13
.LBB582_11:
	s_delay_alu instid0(SALU_CYCLE_1)
	s_lshr_b32 s13, s8, 16
.LBB582_12:
	s_mov_b32 s8, exec_lo
	s_or_b32 exec_lo, exec_lo, s12
	s_delay_alu instid0(SALU_CYCLE_1)
	s_and_b32 vcc_lo, exec_lo, s3
	s_cbranch_vccz .LBB582_8
.LBB582_13:
	s_clause 0x6
	s_load_b64 s[4:5], s[0:1], 0x50
	s_load_b128 s[16:19], s[0:1], 0x30
	s_load_b64 s[12:13], s[0:1], 0x40
	s_load_b32 s3, s[0:1], 0x0
	s_load_b128 s[20:23], s[0:1], 0x18
	s_load_b32 s2, s[0:1], 0x28
	s_load_b32 s1, s[0:1], 0x48
	v_mov_b32_e32 v7, 0
	s_waitcnt lgkmcnt(0)
	s_mul_i32 s0, s15, s5
	s_mul_hi_u32 s5, s15, s4
	s_mul_i32 s4, s15, s4
	s_add_i32 s5, s5, s0
	s_mul_i32 s0, s15, s17
	s_lshl_b64 s[4:5], s[4:5], 1
	s_mul_hi_u32 s17, s15, s16
	s_add_u32 s18, s18, s4
	s_addc_u32 s19, s19, s5
	s_lshl_b64 s[4:5], s[12:13], 1
	v_cmp_gt_i32_e32 vcc_lo, s3, v0
	s_add_u32 s4, s18, s4
	s_mul_i32 s12, s15, s16
	s_addc_u32 s5, s19, s5
	s_add_i32 s13, s17, s0
	v_cndmask_b32_e32 v1, 0, v0, vcc_lo
	s_lshl_b64 s[12:13], s[12:13], 1
	s_mul_i32 s16, s14, s2
	s_add_u32 s0, s20, s12
	s_addc_u32 s15, s21, s13
	s_lshl_b64 s[12:13], s[22:23], 1
	v_lshlrev_b32_e32 v1, 1, v1
	s_add_u32 s0, s0, s12
	s_addc_u32 s2, s15, s13
	s_ashr_i32 s17, s16, 31
	s_delay_alu instid0(SALU_CYCLE_1) | instskip(NEXT) | instid1(SALU_CYCLE_1)
	s_lshl_b64 s[12:13], s[16:17], 1
	s_add_u32 s0, s12, s0
	s_addc_u32 s12, s13, s2
	s_ashr_i32 s2, s3, 31
	v_add_co_u32 v1, s0, s0, v1
	s_lshr_b32 s2, s2, 22
	v_add_co_ci_u32_e64 v2, null, s12, 0, s0
	s_add_i32 s2, s3, s2
	s_mov_b32 s13, 0
	s_and_b32 s2, s2, 0xfffffc00
	s_mov_b32 s12, exec_lo
	v_cmpx_gt_i32_e64 s2, v0
	s_cbranch_execz .LBB582_21
; %bb.14:
	v_mul_lo_u32 v3, v0, s1
	v_dual_mov_b32 v7, 0 :: v_dual_mov_b32 v6, v2
	v_dual_mov_b32 v5, v1 :: v_dual_mov_b32 v8, v0
	s_lshl_b32 s15, s1, 10
	s_branch .LBB582_16
.LBB582_15:                             ;   in Loop: Header=BB582_16 Depth=1
	s_or_b32 exec_lo, exec_lo, s0
	v_add_nc_u32_e32 v8, 0x400, v8
	s_delay_alu instid0(VALU_DEP_2) | instskip(SKIP_2) | instid1(VALU_DEP_4)
	v_and_b32_e32 v4, 0xffff0000, v9
	v_add_co_u32 v5, s0, 0x800, v5
	v_add_nc_u32_e32 v3, s15, v3
	v_cmp_le_i32_e32 vcc_lo, s2, v8
	s_delay_alu instid0(VALU_DEP_4) | instskip(SKIP_2) | instid1(SALU_CYCLE_1)
	v_add_f32_e32 v7, v7, v4
	v_add_co_ci_u32_e64 v6, s0, 0, v6, s0
	s_or_b32 s13, vcc_lo, s13
	s_and_not1_b32 exec_lo, exec_lo, s13
	s_cbranch_execz .LBB582_20
.LBB582_16:                             ; =>This Inner Loop Header: Depth=1
	s_delay_alu instid0(VALU_DEP_3) | instskip(NEXT) | instid1(VALU_DEP_1)
	v_ashrrev_i32_e32 v4, 31, v3
	v_lshlrev_b64 v[9:10], 1, v[3:4]
	s_delay_alu instid0(VALU_DEP_1) | instskip(NEXT) | instid1(VALU_DEP_2)
	v_add_co_u32 v9, vcc_lo, s4, v9
	v_add_co_ci_u32_e32 v10, vcc_lo, s5, v10, vcc_lo
	global_load_u16 v4, v[5:6], off
	global_load_u16 v9, v[9:10], off
	s_waitcnt vmcnt(1)
	v_lshlrev_b32_e32 v4, 16, v4
	s_waitcnt vmcnt(0)
	v_lshlrev_b32_e32 v9, 16, v9
	s_delay_alu instid0(VALU_DEP_1) | instskip(NEXT) | instid1(VALU_DEP_1)
	v_mul_f32_e32 v4, v4, v9
	v_and_b32_e32 v9, 0x7f800000, v4
	s_delay_alu instid0(VALU_DEP_1) | instskip(SKIP_1) | instid1(SALU_CYCLE_1)
	v_cmp_ne_u32_e32 vcc_lo, 0x7f800000, v9
                                        ; implicit-def: $vgpr9
	s_and_saveexec_b32 s0, vcc_lo
	s_xor_b32 s0, exec_lo, s0
; %bb.17:                               ;   in Loop: Header=BB582_16 Depth=1
	v_bfe_u32 v9, v4, 16, 1
	s_delay_alu instid0(VALU_DEP_1)
	v_add3_u32 v9, v4, v9, 0x7fff
                                        ; implicit-def: $vgpr4
; %bb.18:                               ;   in Loop: Header=BB582_16 Depth=1
	s_and_not1_saveexec_b32 s0, s0
	s_cbranch_execz .LBB582_15
; %bb.19:                               ;   in Loop: Header=BB582_16 Depth=1
	v_and_b32_e32 v9, 0xffff, v4
	v_or_b32_e32 v10, 0x10000, v4
	s_delay_alu instid0(VALU_DEP_2) | instskip(NEXT) | instid1(VALU_DEP_2)
	v_cmp_eq_u32_e32 vcc_lo, 0, v9
	v_cndmask_b32_e32 v9, v10, v4, vcc_lo
	s_branch .LBB582_15
.LBB582_20:
	s_or_b32 exec_lo, exec_lo, s13
.LBB582_21:
	s_delay_alu instid0(SALU_CYCLE_1) | instskip(SKIP_2) | instid1(VALU_DEP_1)
	s_or_b32 exec_lo, exec_lo, s12
	v_or_b32_e32 v3, s2, v0
	s_mov_b32 s0, exec_lo
	v_cmpx_gt_i32_e64 s3, v3
	s_cbranch_execz .LBB582_27
; %bb.22:
	v_mul_lo_u32 v3, v3, s1
	s_ashr_i32 s3, s2, 31
	s_delay_alu instid0(SALU_CYCLE_1) | instskip(NEXT) | instid1(VALU_DEP_1)
	s_lshl_b64 s[2:3], s[2:3], 1
	v_ashrrev_i32_e32 v4, 31, v3
	s_delay_alu instid0(VALU_DEP_1) | instskip(NEXT) | instid1(VALU_DEP_1)
	v_lshlrev_b64 v[3:4], 1, v[3:4]
	v_add_co_u32 v3, vcc_lo, s4, v3
	s_delay_alu instid0(VALU_DEP_2)
	v_add_co_ci_u32_e32 v4, vcc_lo, s5, v4, vcc_lo
	v_add_co_u32 v1, vcc_lo, v1, s2
	v_add_co_ci_u32_e32 v2, vcc_lo, s3, v2, vcc_lo
	global_load_u16 v3, v[3:4], off
	global_load_u16 v1, v[1:2], off
	s_waitcnt vmcnt(1)
	v_lshlrev_b32_e32 v2, 16, v3
	s_waitcnt vmcnt(0)
	v_lshlrev_b32_e32 v1, 16, v1
	s_delay_alu instid0(VALU_DEP_1) | instskip(NEXT) | instid1(VALU_DEP_1)
	v_mul_f32_e32 v1, v1, v2
	v_and_b32_e32 v2, 0x7f800000, v1
	s_delay_alu instid0(VALU_DEP_1) | instskip(SKIP_1) | instid1(SALU_CYCLE_1)
	v_cmp_ne_u32_e32 vcc_lo, 0x7f800000, v2
                                        ; implicit-def: $vgpr2
	s_and_saveexec_b32 s1, vcc_lo
	s_xor_b32 s1, exec_lo, s1
; %bb.23:
	v_bfe_u32 v2, v1, 16, 1
	s_delay_alu instid0(VALU_DEP_1)
	v_add3_u32 v2, v1, v2, 0x7fff
                                        ; implicit-def: $vgpr1
; %bb.24:
	s_and_not1_saveexec_b32 s1, s1
; %bb.25:
	v_and_b32_e32 v2, 0xffff, v1
	v_or_b32_e32 v3, 0x10000, v1
	s_delay_alu instid0(VALU_DEP_2) | instskip(NEXT) | instid1(VALU_DEP_2)
	v_cmp_eq_u32_e32 vcc_lo, 0, v2
	v_cndmask_b32_e32 v2, v3, v1, vcc_lo
; %bb.26:
	s_or_b32 exec_lo, exec_lo, s1
	s_delay_alu instid0(VALU_DEP_1) | instskip(NEXT) | instid1(VALU_DEP_1)
	v_and_b32_e32 v1, 0xffff0000, v2
	v_add_f32_e32 v7, v7, v1
.LBB582_27:
	s_or_b32 exec_lo, exec_lo, s0
	v_and_b32_e32 v6, 31, v0
	v_cmp_gt_u32_e32 vcc_lo, 32, v0
	s_delay_alu instid0(VALU_DEP_2)
	v_lshlrev_b32_e32 v1, 2, v6
	s_and_saveexec_b32 s0, vcc_lo
	s_cbranch_execz .LBB582_29
; %bb.28:
	v_mov_b32_e32 v2, 0
	ds_store_b32 v1, v2
.LBB582_29:
	s_or_b32 exec_lo, exec_lo, s0
	v_mbcnt_lo_u32_b32 v8, -1, 0
	s_mov_b32 s1, exec_lo
	s_waitcnt lgkmcnt(0)
	s_barrier
	buffer_gl0_inv
	v_cmp_gt_u32_e64 s0, 16, v8
	s_delay_alu instid0(VALU_DEP_1) | instskip(SKIP_1) | instid1(VALU_DEP_2)
	v_cndmask_b32_e64 v2, 0, 1, s0
	v_cmp_gt_u32_e64 s0, 24, v8
	v_lshlrev_b32_e32 v2, 4, v2
	s_delay_alu instid0(VALU_DEP_2) | instskip(SKIP_1) | instid1(VALU_DEP_3)
	v_cndmask_b32_e64 v3, 0, 1, s0
	v_cmp_gt_u32_e64 s0, 28, v8
	v_add_lshl_u32 v2, v2, v8, 2
	s_delay_alu instid0(VALU_DEP_3)
	v_lshlrev_b32_e32 v3, 3, v3
	ds_bpermute_b32 v4, v2, v7
	v_add_lshl_u32 v3, v3, v8, 2
	s_waitcnt lgkmcnt(0)
	v_add_f32_e32 v5, v7, v4
	v_cndmask_b32_e64 v4, 0, 1, s0
	v_cmp_gt_u32_e64 s0, 30, v8
	ds_bpermute_b32 v7, v3, v5
	s_waitcnt lgkmcnt(0)
	v_dual_add_f32 v7, v5, v7 :: v_dual_lshlrev_b32 v4, 2, v4
	s_delay_alu instid0(VALU_DEP_1)
	v_add_lshl_u32 v4, v4, v8, 2
	v_cndmask_b32_e64 v5, 0, 1, s0
	v_cmp_ne_u32_e64 s0, 31, v8
	ds_bpermute_b32 v9, v4, v7
	v_lshlrev_b32_e32 v5, 1, v5
	v_add_co_ci_u32_e64 v10, s0, 0, v8, s0
	s_delay_alu instid0(VALU_DEP_2)
	v_add_lshl_u32 v5, v5, v8, 2
	s_waitcnt lgkmcnt(0)
	v_add_f32_e32 v7, v7, v9
	ds_bpermute_b32 v9, v5, v7
	s_waitcnt lgkmcnt(0)
	v_dual_add_f32 v8, v7, v9 :: v_dual_lshlrev_b32 v7, 2, v10
	ds_bpermute_b32 v9, v7, v8
	v_cmpx_eq_u32_e32 0, v6
	s_cbranch_execz .LBB582_31
; %bb.30:
	v_lshrrev_b32_e32 v6, 3, v0
	s_waitcnt lgkmcnt(0)
	v_add_f32_e32 v8, v8, v9
	s_delay_alu instid0(VALU_DEP_2)
	v_and_b32_e32 v6, 0x7c, v6
	ds_store_b32 v6, v8
.LBB582_31:
	s_or_b32 exec_lo, exec_lo, s1
	v_mov_b32_e32 v6, 0
	s_waitcnt lgkmcnt(0)
	s_barrier
	buffer_gl0_inv
	s_and_saveexec_b32 s0, vcc_lo
	s_cbranch_execz .LBB582_33
; %bb.32:
	ds_load_b32 v6, v1
.LBB582_33:
	s_or_b32 exec_lo, exec_lo, s0
	s_and_saveexec_b32 s0, vcc_lo
	s_cbranch_execz .LBB582_35
; %bb.34:
	s_waitcnt lgkmcnt(0)
	ds_bpermute_b32 v1, v2, v6
	s_waitcnt lgkmcnt(0)
	v_add_f32_e32 v1, v6, v1
	ds_bpermute_b32 v2, v3, v1
	s_waitcnt lgkmcnt(0)
	v_add_f32_e32 v1, v1, v2
	;; [unrolled: 3-line block ×5, first 2 shown]
.LBB582_35:
	s_or_b32 exec_lo, exec_lo, s0
	s_delay_alu instid0(SALU_CYCLE_1)
	s_mov_b32 s0, exec_lo
                                        ; implicit-def: $vgpr1
                                        ; implicit-def: $sgpr4_sgpr5
	v_cmpx_eq_u32_e32 0, v0
	s_cbranch_execz .LBB582_54
; %bb.36:
	v_cmp_eq_f32_e64 s1, s9, 0
	s_waitcnt lgkmcnt(0)
	v_mul_f32_e32 v0, s11, v6
	s_delay_alu instid0(VALU_DEP_2)
	s_and_b32 vcc_lo, exec_lo, s1
	s_cbranch_vccz .LBB582_42
; %bb.37:
	s_delay_alu instid0(VALU_DEP_1) | instskip(NEXT) | instid1(VALU_DEP_1)
	v_and_b32_e32 v1, 0x7f800000, v0
	v_cmp_ne_u32_e32 vcc_lo, 0x7f800000, v1
                                        ; implicit-def: $vgpr1
	s_and_saveexec_b32 s1, vcc_lo
	s_delay_alu instid0(SALU_CYCLE_1)
	s_xor_b32 s1, exec_lo, s1
; %bb.38:
	v_bfe_u32 v1, v0, 16, 1
	s_delay_alu instid0(VALU_DEP_1)
	v_add3_u32 v1, v0, v1, 0x7fff
; %bb.39:
	s_and_not1_saveexec_b32 s1, s1
; %bb.40:
	v_and_b32_e32 v1, 0xffff, v0
	v_or_b32_e32 v2, 0x10000, v0
	s_delay_alu instid0(VALU_DEP_2) | instskip(NEXT) | instid1(VALU_DEP_2)
	v_cmp_eq_u32_e32 vcc_lo, 0, v1
	v_cndmask_b32_e32 v1, v2, v0, vcc_lo
; %bb.41:
	s_or_b32 exec_lo, exec_lo, s1
	s_mul_i32 s4, s14, s10
	s_cbranch_execz .LBB582_43
	s_branch .LBB582_53
.LBB582_42:
                                        ; implicit-def: $vgpr1
	s_mul_i32 s4, s14, s10
.LBB582_43:
	s_delay_alu instid0(SALU_CYCLE_1) | instskip(SKIP_2) | instid1(SALU_CYCLE_1)
	s_ashr_i32 s5, s4, 31
	v_mov_b32_e32 v1, 0
	s_lshl_b64 s[2:3], s[4:5], 1
	s_add_u32 s2, s6, s2
	s_addc_u32 s3, s7, s3
	global_load_u16 v1, v1, s[2:3]
	s_waitcnt vmcnt(0)
	v_lshlrev_b32_e32 v1, 16, v1
	s_delay_alu instid0(VALU_DEP_1) | instskip(NEXT) | instid1(VALU_DEP_1)
	v_mul_f32_e32 v1, s9, v1
	v_and_b32_e32 v2, 0x7f800000, v1
	v_readfirstlane_b32 s1, v1
	s_delay_alu instid0(VALU_DEP_2)
	v_cmp_eq_u32_e32 vcc_lo, 0x7f800000, v2
	s_cbranch_vccnz .LBB582_45
; %bb.44:
	s_delay_alu instid0(VALU_DEP_2) | instskip(SKIP_2) | instid1(SALU_CYCLE_1)
	s_bfe_u32 s2, s1, 0x10010
	s_mov_b32 s3, 0
	s_add_i32 s2, s1, s2
	s_addk_i32 s2, 0x7fff
	s_branch .LBB582_46
.LBB582_45:
	s_mov_b32 s3, -1
                                        ; implicit-def: $sgpr2
.LBB582_46:
	s_delay_alu instid0(SALU_CYCLE_1)
	s_and_not1_b32 vcc_lo, exec_lo, s3
	s_cbranch_vccnz .LBB582_48
; %bb.47:
	s_and_b32 s2, s1, 0xffff
	s_or_b32 s3, s1, 0x10000
	s_cmp_eq_u32 s2, 0
	s_cselect_b32 s2, s1, s3
.LBB582_48:
	s_delay_alu instid0(SALU_CYCLE_1) | instskip(NEXT) | instid1(SALU_CYCLE_1)
	s_and_b32 s1, s2, 0xffff0000
	v_add_f32_e32 v0, s1, v0
	s_delay_alu instid0(VALU_DEP_1) | instskip(NEXT) | instid1(VALU_DEP_1)
	v_and_b32_e32 v1, 0x7f800000, v0
	v_cmp_ne_u32_e32 vcc_lo, 0x7f800000, v1
                                        ; implicit-def: $vgpr1
	s_and_saveexec_b32 s1, vcc_lo
	s_delay_alu instid0(SALU_CYCLE_1)
	s_xor_b32 s1, exec_lo, s1
; %bb.49:
	v_bfe_u32 v1, v0, 16, 1
	s_delay_alu instid0(VALU_DEP_1)
	v_add3_u32 v1, v0, v1, 0x7fff
                                        ; implicit-def: $vgpr0
; %bb.50:
	s_and_not1_saveexec_b32 s1, s1
; %bb.51:
	v_and_b32_e32 v1, 0xffff, v0
	v_or_b32_e32 v2, 0x10000, v0
	s_delay_alu instid0(VALU_DEP_2) | instskip(NEXT) | instid1(VALU_DEP_2)
	v_cmp_eq_u32_e32 vcc_lo, 0, v1
	v_cndmask_b32_e32 v1, v2, v0, vcc_lo
; %bb.52:
	s_or_b32 exec_lo, exec_lo, s1
.LBB582_53:
	s_delay_alu instid0(VALU_DEP_1)
	v_lshrrev_b32_e32 v1, 16, v1
	s_ashr_i32 s5, s4, 31
	s_or_b32 s8, s8, exec_lo
.LBB582_54:
	s_or_b32 exec_lo, exec_lo, s0
	s_and_saveexec_b32 s0, s8
	s_cbranch_execz .LBB582_56
.LBB582_55:
	s_lshl_b64 s[0:1], s[4:5], 1
	v_mov_b32_e32 v0, 0
	s_add_u32 s0, s6, s0
	s_addc_u32 s1, s7, s1
	global_store_b16 v0, v1, s[0:1]
.LBB582_56:
	s_nop 0
	s_sendmsg sendmsg(MSG_DEALLOC_VGPRS)
	s_endpgm
	.section	.rodata,"a",@progbits
	.p2align	6, 0x0
	.amdhsa_kernel _ZL32rocblas_gemvt_warp_reduce_kernelILb1ELi1024Ei16rocblas_bfloat16fS0_EviiT3_lPKT2_lT1_lS4_lS5_lS1_lPT4_lS5_li
		.amdhsa_group_segment_fixed_size 128
		.amdhsa_private_segment_fixed_size 0
		.amdhsa_kernarg_size 140
		.amdhsa_user_sgpr_count 14
		.amdhsa_user_sgpr_dispatch_ptr 0
		.amdhsa_user_sgpr_queue_ptr 0
		.amdhsa_user_sgpr_kernarg_segment_ptr 1
		.amdhsa_user_sgpr_dispatch_id 0
		.amdhsa_user_sgpr_private_segment_size 0
		.amdhsa_wavefront_size32 1
		.amdhsa_uses_dynamic_stack 0
		.amdhsa_enable_private_segment 0
		.amdhsa_system_sgpr_workgroup_id_x 1
		.amdhsa_system_sgpr_workgroup_id_y 0
		.amdhsa_system_sgpr_workgroup_id_z 1
		.amdhsa_system_sgpr_workgroup_info 0
		.amdhsa_system_vgpr_workitem_id 0
		.amdhsa_next_free_vgpr 11
		.amdhsa_next_free_sgpr 24
		.amdhsa_reserve_vcc 1
		.amdhsa_float_round_mode_32 0
		.amdhsa_float_round_mode_16_64 0
		.amdhsa_float_denorm_mode_32 3
		.amdhsa_float_denorm_mode_16_64 3
		.amdhsa_dx10_clamp 1
		.amdhsa_ieee_mode 1
		.amdhsa_fp16_overflow 0
		.amdhsa_workgroup_processor_mode 1
		.amdhsa_memory_ordered 1
		.amdhsa_forward_progress 0
		.amdhsa_shared_vgpr_count 0
		.amdhsa_exception_fp_ieee_invalid_op 0
		.amdhsa_exception_fp_denorm_src 0
		.amdhsa_exception_fp_ieee_div_zero 0
		.amdhsa_exception_fp_ieee_overflow 0
		.amdhsa_exception_fp_ieee_underflow 0
		.amdhsa_exception_fp_ieee_inexact 0
		.amdhsa_exception_int_div_zero 0
	.end_amdhsa_kernel
	.section	.text._ZL32rocblas_gemvt_warp_reduce_kernelILb1ELi1024Ei16rocblas_bfloat16fS0_EviiT3_lPKT2_lT1_lS4_lS5_lS1_lPT4_lS5_li,"axG",@progbits,_ZL32rocblas_gemvt_warp_reduce_kernelILb1ELi1024Ei16rocblas_bfloat16fS0_EviiT3_lPKT2_lT1_lS4_lS5_lS1_lPT4_lS5_li,comdat
.Lfunc_end582:
	.size	_ZL32rocblas_gemvt_warp_reduce_kernelILb1ELi1024Ei16rocblas_bfloat16fS0_EviiT3_lPKT2_lT1_lS4_lS5_lS1_lPT4_lS5_li, .Lfunc_end582-_ZL32rocblas_gemvt_warp_reduce_kernelILb1ELi1024Ei16rocblas_bfloat16fS0_EviiT3_lPKT2_lT1_lS4_lS5_lS1_lPT4_lS5_li
                                        ; -- End function
	.section	.AMDGPU.csdata,"",@progbits
; Kernel info:
; codeLenInByte = 2096
; NumSgprs: 26
; NumVgprs: 11
; ScratchSize: 0
; MemoryBound: 0
; FloatMode: 240
; IeeeMode: 1
; LDSByteSize: 128 bytes/workgroup (compile time only)
; SGPRBlocks: 3
; VGPRBlocks: 1
; NumSGPRsForWavesPerEU: 26
; NumVGPRsForWavesPerEU: 11
; Occupancy: 16
; WaveLimiterHint : 1
; COMPUTE_PGM_RSRC2:SCRATCH_EN: 0
; COMPUTE_PGM_RSRC2:USER_SGPR: 14
; COMPUTE_PGM_RSRC2:TRAP_HANDLER: 0
; COMPUTE_PGM_RSRC2:TGID_X_EN: 1
; COMPUTE_PGM_RSRC2:TGID_Y_EN: 0
; COMPUTE_PGM_RSRC2:TGID_Z_EN: 1
; COMPUTE_PGM_RSRC2:TIDIG_COMP_CNT: 0
	.section	.text._ZL32rocblas_gemvt_warp_reduce_kernelILb1ELi1024El16rocblas_bfloat16fS0_EviiT3_lPKT2_lT1_lS4_lS5_lS1_lPT4_lS5_li,"axG",@progbits,_ZL32rocblas_gemvt_warp_reduce_kernelILb1ELi1024El16rocblas_bfloat16fS0_EviiT3_lPKT2_lT1_lS4_lS5_lS1_lPT4_lS5_li,comdat
	.globl	_ZL32rocblas_gemvt_warp_reduce_kernelILb1ELi1024El16rocblas_bfloat16fS0_EviiT3_lPKT2_lT1_lS4_lS5_lS1_lPT4_lS5_li ; -- Begin function _ZL32rocblas_gemvt_warp_reduce_kernelILb1ELi1024El16rocblas_bfloat16fS0_EviiT3_lPKT2_lT1_lS4_lS5_lS1_lPT4_lS5_li
	.p2align	8
	.type	_ZL32rocblas_gemvt_warp_reduce_kernelILb1ELi1024El16rocblas_bfloat16fS0_EviiT3_lPKT2_lT1_lS4_lS5_lS1_lPT4_lS5_li,@function
_ZL32rocblas_gemvt_warp_reduce_kernelILb1ELi1024El16rocblas_bfloat16fS0_EviiT3_lPKT2_lT1_lS4_lS5_lS1_lPT4_lS5_li: ; @_ZL32rocblas_gemvt_warp_reduce_kernelILb1ELi1024El16rocblas_bfloat16fS0_EviiT3_lPKT2_lT1_lS4_lS5_lS1_lPT4_lS5_li
; %bb.0:
	s_clause 0x1
	s_load_b32 s33, s[0:1], 0x8
	s_load_b32 s13, s[0:1], 0x58
	s_mov_b32 s12, 0
	s_waitcnt lgkmcnt(0)
	v_cmp_eq_f32_e64 s2, s33, 0
	v_cmp_eq_f32_e64 s3, s13, 1.0
	s_delay_alu instid0(VALU_DEP_1) | instskip(NEXT) | instid1(SALU_CYCLE_1)
	s_and_b32 s2, s2, s3
	s_and_b32 vcc_lo, exec_lo, s2
	s_cbranch_vccnz .LBB583_57
; %bb.1:
	s_load_b256 s[4:11], s[0:1], 0x68
	v_cmp_neq_f32_e64 s16, s33, 0
	s_waitcnt lgkmcnt(0)
	s_mul_i32 s3, s15, s11
	s_mul_hi_u32 s11, s15, s10
	s_mul_i32 s2, s15, s10
	s_add_i32 s3, s11, s3
	s_delay_alu instid0(SALU_CYCLE_1) | instskip(NEXT) | instid1(SALU_CYCLE_1)
	s_lshl_b64 s[2:3], s[2:3], 1
	s_add_u32 s4, s4, s2
	s_addc_u32 s5, s5, s3
	s_lshl_b64 s[2:3], s[6:7], 1
	s_delay_alu instid0(SALU_CYCLE_1)
	s_add_u32 s10, s4, s2
	v_cmp_eq_u32_e64 s2, 0, v0
	s_addc_u32 s11, s5, s3
	s_and_b32 vcc_lo, exec_lo, s16
	s_cbranch_vccnz .LBB583_6
; %bb.2:
	s_mov_b32 s3, 0
                                        ; implicit-def: $sgpr7
                                        ; implicit-def: $sgpr4_sgpr5
	s_and_saveexec_b32 s6, s2
	s_cbranch_execz .LBB583_7
; %bb.3:
	v_cmp_eq_f32_e64 s2, s13, 0
	s_mul_i32 s4, s14, s9
	s_mul_hi_u32 s5, s14, s8
	s_ashr_i32 s7, s14, 31
	s_add_i32 s4, s5, s4
	s_mul_i32 s5, s7, s8
	s_mov_b32 s7, 0
	s_add_i32 s5, s4, s5
	s_and_b32 vcc_lo, exec_lo, s2
	s_mul_i32 s4, s14, s8
	s_cbranch_vccnz .LBB583_12
; %bb.4:
	s_lshl_b64 s[16:17], s[4:5], 1
	v_mov_b32_e32 v1, 0
	s_add_u32 s16, s10, s16
	s_addc_u32 s17, s11, s17
	global_load_u16 v1, v1, s[16:17]
	s_waitcnt vmcnt(0)
	v_lshlrev_b32_e32 v1, 16, v1
	s_delay_alu instid0(VALU_DEP_1) | instskip(NEXT) | instid1(VALU_DEP_1)
	v_mul_f32_e32 v1, s13, v1
	v_and_b32_e32 v2, 0x7f800000, v1
	v_readfirstlane_b32 s2, v1
	s_delay_alu instid0(VALU_DEP_2)
	v_cmp_eq_u32_e32 vcc_lo, 0x7f800000, v2
	s_cbranch_vccnz .LBB583_9
; %bb.5:
	s_delay_alu instid0(VALU_DEP_2) | instskip(NEXT) | instid1(SALU_CYCLE_1)
	s_bfe_u32 s7, s2, 0x10010
	s_add_i32 s7, s2, s7
	s_delay_alu instid0(SALU_CYCLE_1)
	s_addk_i32 s7, 0x7fff
	s_and_not1_b32 vcc_lo, exec_lo, s12
	s_cbranch_vccz .LBB583_10
	s_branch .LBB583_11
.LBB583_6:
                                        ; implicit-def: $sgpr7
                                        ; implicit-def: $sgpr4_sgpr5
	s_cbranch_execz .LBB583_8
	s_branch .LBB583_13
.LBB583_7:
	s_or_b32 exec_lo, exec_lo, s6
	s_delay_alu instid0(SALU_CYCLE_1)
	s_and_b32 vcc_lo, exec_lo, s3
	s_cbranch_vccnz .LBB583_13
.LBB583_8:
	v_mov_b32_e32 v1, s7
	s_and_saveexec_b32 s0, s12
	s_cbranch_execnz .LBB583_56
	s_branch .LBB583_57
.LBB583_9:
                                        ; implicit-def: $sgpr7
.LBB583_10:
	s_delay_alu instid0(VALU_DEP_2)
	s_and_b32 s7, s2, 0xffff
	s_or_b32 s12, s2, 0x10000
	s_cmp_eq_u32 s7, 0
	s_cselect_b32 s7, s2, s12
.LBB583_11:
	s_delay_alu instid0(SALU_CYCLE_1)
	s_lshr_b32 s7, s7, 16
.LBB583_12:
	s_mov_b32 s12, exec_lo
	s_or_b32 exec_lo, exec_lo, s6
	s_delay_alu instid0(SALU_CYCLE_1)
	s_and_b32 vcc_lo, exec_lo, s3
	s_cbranch_vccz .LBB583_8
.LBB583_13:
	s_clause 0x1
	s_load_b512 s[16:31], s[0:1], 0x18
	s_load_b32 s5, s[0:1], 0x0
	v_mov_b32_e32 v7, 0
	s_waitcnt lgkmcnt(0)
	s_mul_i32 s1, s15, s23
	s_mul_hi_u32 s4, s15, s22
	s_mul_i32 s0, s15, s22
	s_add_i32 s1, s4, s1
	s_mul_i32 s2, s15, s31
	s_mul_hi_u32 s3, s15, s30
	s_lshl_b64 s[0:1], s[0:1], 1
	s_add_i32 s3, s3, s2
	v_cmp_gt_i32_e32 vcc_lo, s5, v0
	s_add_u32 s2, s16, s0
	s_addc_u32 s6, s17, s1
	s_lshl_b64 s[0:1], s[18:19], 1
	s_mul_i32 s4, s14, s21
	s_add_u32 s0, s2, s0
	s_mul_hi_u32 s7, s14, s20
	s_addc_u32 s2, s6, s1
	s_ashr_i32 s1, s14, 31
	v_cndmask_b32_e32 v1, 0, v0, vcc_lo
	s_add_i32 s4, s7, s4
	s_mul_i32 s7, s1, s20
	s_mul_i32 s6, s14, s20
	s_add_i32 s7, s4, s7
	v_lshlrev_b32_e32 v1, 1, v1
	s_lshl_b64 s[6:7], s[6:7], 1
	s_mov_b32 s16, 0
	s_add_u32 s0, s6, s0
	s_addc_u32 s2, s7, s2
	s_ashr_i32 s4, s5, 31
	v_add_co_u32 v1, s0, s0, v1
	s_lshr_b32 s4, s4, 22
	v_add_co_ci_u32_e64 v2, null, s2, 0, s0
	s_add_i32 s4, s5, s4
	s_mul_i32 s2, s15, s30
	s_and_b32 s4, s4, 0xfffffc00
	s_mov_b32 s15, exec_lo
	v_cmpx_gt_i32_e64 s4, v0
	s_cbranch_execz .LBB583_21
; %bb.14:
	v_mad_u64_u32 v[5:6], null, s28, v0, 0
	s_lshl_b64 s[18:19], s[26:27], 1
	s_lshl_b64 s[6:7], s[2:3], 1
	s_add_u32 s0, s24, s18
	s_addc_u32 s17, s25, s19
	s_add_u32 s0, s0, s6
	s_addc_u32 s6, s17, s7
	s_delay_alu instid0(VALU_DEP_1) | instskip(NEXT) | instid1(VALU_DEP_1)
	v_dual_mov_b32 v3, v6 :: v_dual_mov_b32 v8, v0
	v_mad_u64_u32 v[6:7], null, s29, v0, v[3:4]
	v_dual_mov_b32 v7, 0 :: v_dual_mov_b32 v4, v2
	v_mov_b32_e32 v3, v1
	s_delay_alu instid0(VALU_DEP_3) | instskip(NEXT) | instid1(VALU_DEP_1)
	v_lshlrev_b64 v[5:6], 1, v[5:6]
	v_add_co_u32 v5, vcc_lo, s0, v5
	s_delay_alu instid0(VALU_DEP_2)
	v_add_co_ci_u32_e32 v6, vcc_lo, s6, v6, vcc_lo
	s_lshl_b64 s[6:7], s[28:29], 11
	s_set_inst_prefetch_distance 0x1
	s_branch .LBB583_16
	.p2align	6
.LBB583_15:                             ;   in Loop: Header=BB583_16 Depth=1
	s_or_b32 exec_lo, exec_lo, s0
	s_delay_alu instid0(VALU_DEP_1) | instskip(SKIP_3) | instid1(VALU_DEP_4)
	v_and_b32_e32 v9, 0xffff0000, v10
	v_add_nc_u32_e32 v8, 0x400, v8
	v_add_co_u32 v3, vcc_lo, 0x800, v3
	v_add_co_ci_u32_e32 v4, vcc_lo, 0, v4, vcc_lo
	v_add_f32_e32 v7, v7, v9
	s_delay_alu instid0(VALU_DEP_4) | instskip(SKIP_1) | instid1(VALU_DEP_1)
	v_cmp_le_i32_e32 vcc_lo, s4, v8
	v_add_co_u32 v5, s0, v5, s6
	v_add_co_ci_u32_e64 v6, s0, s7, v6, s0
	s_or_b32 s16, vcc_lo, s16
	s_delay_alu instid0(SALU_CYCLE_1)
	s_and_not1_b32 exec_lo, exec_lo, s16
	s_cbranch_execz .LBB583_20
.LBB583_16:                             ; =>This Inner Loop Header: Depth=1
	global_load_u16 v9, v[5:6], off
	global_load_u16 v10, v[3:4], off
	s_waitcnt vmcnt(1)
	v_lshlrev_b32_e32 v9, 16, v9
	s_waitcnt vmcnt(0)
	v_lshlrev_b32_e32 v10, 16, v10
	s_delay_alu instid0(VALU_DEP_1) | instskip(NEXT) | instid1(VALU_DEP_1)
	v_mul_f32_e32 v9, v10, v9
	v_and_b32_e32 v10, 0x7f800000, v9
	s_delay_alu instid0(VALU_DEP_1) | instskip(SKIP_1) | instid1(SALU_CYCLE_1)
	v_cmp_ne_u32_e32 vcc_lo, 0x7f800000, v10
                                        ; implicit-def: $vgpr10
	s_and_saveexec_b32 s0, vcc_lo
	s_xor_b32 s0, exec_lo, s0
; %bb.17:                               ;   in Loop: Header=BB583_16 Depth=1
	v_bfe_u32 v10, v9, 16, 1
	s_delay_alu instid0(VALU_DEP_1)
	v_add3_u32 v10, v9, v10, 0x7fff
                                        ; implicit-def: $vgpr9
; %bb.18:                               ;   in Loop: Header=BB583_16 Depth=1
	s_and_not1_saveexec_b32 s0, s0
	s_cbranch_execz .LBB583_15
; %bb.19:                               ;   in Loop: Header=BB583_16 Depth=1
	v_and_b32_e32 v10, 0xffff, v9
	v_or_b32_e32 v11, 0x10000, v9
	s_delay_alu instid0(VALU_DEP_2) | instskip(NEXT) | instid1(VALU_DEP_2)
	v_cmp_eq_u32_e32 vcc_lo, 0, v10
	v_cndmask_b32_e32 v10, v11, v9, vcc_lo
	s_branch .LBB583_15
.LBB583_20:
	s_set_inst_prefetch_distance 0x2
	s_or_b32 exec_lo, exec_lo, s16
.LBB583_21:
	s_delay_alu instid0(SALU_CYCLE_1) | instskip(SKIP_2) | instid1(VALU_DEP_1)
	s_or_b32 exec_lo, exec_lo, s15
	v_or_b32_e32 v3, s4, v0
	s_mov_b32 s0, exec_lo
	v_cmpx_gt_i32_e64 s5, v3
	s_cbranch_execz .LBB583_27
; %bb.22:
	v_ashrrev_i32_e32 v6, 31, v3
	v_mul_lo_u32 v8, v3, s29
	v_mad_u64_u32 v[4:5], null, v3, s28, 0
	s_lshl_b64 s[2:3], s[2:3], 1
	s_delay_alu instid0(VALU_DEP_3) | instskip(SKIP_3) | instid1(SALU_CYCLE_1)
	v_mul_lo_u32 v3, v6, s28
	s_add_u32 s5, s24, s2
	s_addc_u32 s6, s25, s3
	s_lshl_b64 s[2:3], s[26:27], 1
	s_add_u32 s7, s5, s2
	s_addc_u32 s6, s6, s3
	s_ashr_i32 s5, s4, 31
	s_delay_alu instid0(VALU_DEP_1) | instskip(SKIP_1) | instid1(VALU_DEP_1)
	v_add3_u32 v5, v5, v8, v3
	s_lshl_b64 s[2:3], s[4:5], 1
	v_lshlrev_b64 v[3:4], 1, v[4:5]
	s_delay_alu instid0(VALU_DEP_1) | instskip(NEXT) | instid1(VALU_DEP_2)
	v_add_co_u32 v3, vcc_lo, s7, v3
	v_add_co_ci_u32_e32 v4, vcc_lo, s6, v4, vcc_lo
	v_add_co_u32 v1, vcc_lo, v1, s2
	v_add_co_ci_u32_e32 v2, vcc_lo, s3, v2, vcc_lo
	global_load_u16 v3, v[3:4], off
	global_load_u16 v1, v[1:2], off
	s_waitcnt vmcnt(1)
	v_lshlrev_b32_e32 v2, 16, v3
	s_waitcnt vmcnt(0)
	v_lshlrev_b32_e32 v1, 16, v1
	s_delay_alu instid0(VALU_DEP_1) | instskip(NEXT) | instid1(VALU_DEP_1)
	v_mul_f32_e32 v1, v1, v2
	v_and_b32_e32 v2, 0x7f800000, v1
	s_delay_alu instid0(VALU_DEP_1) | instskip(SKIP_1) | instid1(SALU_CYCLE_1)
	v_cmp_ne_u32_e32 vcc_lo, 0x7f800000, v2
                                        ; implicit-def: $vgpr2
	s_and_saveexec_b32 s2, vcc_lo
	s_xor_b32 s2, exec_lo, s2
; %bb.23:
	v_bfe_u32 v2, v1, 16, 1
	s_delay_alu instid0(VALU_DEP_1)
	v_add3_u32 v2, v1, v2, 0x7fff
                                        ; implicit-def: $vgpr1
; %bb.24:
	s_and_not1_saveexec_b32 s2, s2
; %bb.25:
	v_and_b32_e32 v2, 0xffff, v1
	v_or_b32_e32 v3, 0x10000, v1
	s_delay_alu instid0(VALU_DEP_2) | instskip(NEXT) | instid1(VALU_DEP_2)
	v_cmp_eq_u32_e32 vcc_lo, 0, v2
	v_cndmask_b32_e32 v2, v3, v1, vcc_lo
; %bb.26:
	s_or_b32 exec_lo, exec_lo, s2
	s_delay_alu instid0(VALU_DEP_1) | instskip(NEXT) | instid1(VALU_DEP_1)
	v_and_b32_e32 v1, 0xffff0000, v2
	v_add_f32_e32 v7, v7, v1
.LBB583_27:
	s_or_b32 exec_lo, exec_lo, s0
	v_and_b32_e32 v6, 31, v0
	v_cmp_gt_u32_e32 vcc_lo, 32, v0
	s_delay_alu instid0(VALU_DEP_2)
	v_lshlrev_b32_e32 v1, 2, v6
	s_and_saveexec_b32 s0, vcc_lo
	s_cbranch_execz .LBB583_29
; %bb.28:
	v_mov_b32_e32 v2, 0
	ds_store_b32 v1, v2
.LBB583_29:
	s_or_b32 exec_lo, exec_lo, s0
	v_mbcnt_lo_u32_b32 v8, -1, 0
	s_mov_b32 s2, exec_lo
	s_waitcnt lgkmcnt(0)
	s_barrier
	buffer_gl0_inv
	v_cmp_gt_u32_e64 s0, 16, v8
	s_delay_alu instid0(VALU_DEP_1) | instskip(SKIP_1) | instid1(VALU_DEP_2)
	v_cndmask_b32_e64 v2, 0, 1, s0
	v_cmp_gt_u32_e64 s0, 24, v8
	v_lshlrev_b32_e32 v2, 4, v2
	s_delay_alu instid0(VALU_DEP_2) | instskip(SKIP_1) | instid1(VALU_DEP_3)
	v_cndmask_b32_e64 v3, 0, 1, s0
	v_cmp_gt_u32_e64 s0, 28, v8
	v_add_lshl_u32 v2, v2, v8, 2
	s_delay_alu instid0(VALU_DEP_3)
	v_lshlrev_b32_e32 v3, 3, v3
	ds_bpermute_b32 v4, v2, v7
	v_add_lshl_u32 v3, v3, v8, 2
	s_waitcnt lgkmcnt(0)
	v_add_f32_e32 v5, v7, v4
	v_cndmask_b32_e64 v4, 0, 1, s0
	v_cmp_gt_u32_e64 s0, 30, v8
	ds_bpermute_b32 v7, v3, v5
	s_waitcnt lgkmcnt(0)
	v_dual_add_f32 v7, v5, v7 :: v_dual_lshlrev_b32 v4, 2, v4
	s_delay_alu instid0(VALU_DEP_1)
	v_add_lshl_u32 v4, v4, v8, 2
	v_cndmask_b32_e64 v5, 0, 1, s0
	v_cmp_ne_u32_e64 s0, 31, v8
	ds_bpermute_b32 v9, v4, v7
	v_lshlrev_b32_e32 v5, 1, v5
	v_add_co_ci_u32_e64 v10, s0, 0, v8, s0
	s_delay_alu instid0(VALU_DEP_2)
	v_add_lshl_u32 v5, v5, v8, 2
	s_waitcnt lgkmcnt(0)
	v_add_f32_e32 v7, v7, v9
	ds_bpermute_b32 v9, v5, v7
	s_waitcnt lgkmcnt(0)
	v_dual_add_f32 v8, v7, v9 :: v_dual_lshlrev_b32 v7, 2, v10
	ds_bpermute_b32 v9, v7, v8
	v_cmpx_eq_u32_e32 0, v6
	s_cbranch_execz .LBB583_31
; %bb.30:
	v_lshrrev_b32_e32 v6, 3, v0
	s_waitcnt lgkmcnt(0)
	v_add_f32_e32 v8, v8, v9
	s_delay_alu instid0(VALU_DEP_2)
	v_and_b32_e32 v6, 0x7c, v6
	ds_store_b32 v6, v8
.LBB583_31:
	s_or_b32 exec_lo, exec_lo, s2
	v_mov_b32_e32 v6, 0
	s_waitcnt lgkmcnt(0)
	s_barrier
	buffer_gl0_inv
	s_and_saveexec_b32 s0, vcc_lo
	s_cbranch_execz .LBB583_33
; %bb.32:
	ds_load_b32 v6, v1
.LBB583_33:
	s_or_b32 exec_lo, exec_lo, s0
	s_and_saveexec_b32 s0, vcc_lo
	s_cbranch_execz .LBB583_35
; %bb.34:
	s_waitcnt lgkmcnt(0)
	ds_bpermute_b32 v1, v2, v6
	s_waitcnt lgkmcnt(0)
	v_add_f32_e32 v1, v6, v1
	ds_bpermute_b32 v2, v3, v1
	s_waitcnt lgkmcnt(0)
	v_add_f32_e32 v1, v1, v2
	;; [unrolled: 3-line block ×5, first 2 shown]
.LBB583_35:
	s_or_b32 exec_lo, exec_lo, s0
	s_delay_alu instid0(SALU_CYCLE_1)
	s_mov_b32 s0, exec_lo
                                        ; implicit-def: $vgpr1
                                        ; implicit-def: $sgpr4_sgpr5
	v_cmpx_eq_u32_e32 0, v0
	s_cbranch_execz .LBB583_55
; %bb.36:
	v_cmp_eq_f32_e64 s2, s13, 0
	s_waitcnt lgkmcnt(0)
	v_mul_f32_e32 v0, s33, v6
	s_delay_alu instid0(VALU_DEP_2)
	s_and_b32 vcc_lo, exec_lo, s2
	s_cbranch_vccz .LBB583_42
; %bb.37:
	s_delay_alu instid0(VALU_DEP_1) | instskip(NEXT) | instid1(VALU_DEP_1)
	v_and_b32_e32 v1, 0x7f800000, v0
	v_cmp_ne_u32_e32 vcc_lo, 0x7f800000, v1
                                        ; implicit-def: $vgpr1
	s_and_saveexec_b32 s2, vcc_lo
	s_delay_alu instid0(SALU_CYCLE_1)
	s_xor_b32 s2, exec_lo, s2
; %bb.38:
	v_bfe_u32 v1, v0, 16, 1
	s_delay_alu instid0(VALU_DEP_1)
	v_add3_u32 v1, v0, v1, 0x7fff
; %bb.39:
	s_and_not1_saveexec_b32 s2, s2
; %bb.40:
	v_and_b32_e32 v1, 0xffff, v0
	v_or_b32_e32 v2, 0x10000, v0
	s_delay_alu instid0(VALU_DEP_2) | instskip(NEXT) | instid1(VALU_DEP_2)
	v_cmp_eq_u32_e32 vcc_lo, 0, v1
	v_cndmask_b32_e32 v1, v2, v0, vcc_lo
; %bb.41:
	s_or_b32 exec_lo, exec_lo, s2
	s_mov_b32 s4, 0
	s_branch .LBB583_43
.LBB583_42:
	s_mov_b32 s4, -1
                                        ; implicit-def: $vgpr1
.LBB583_43:
	s_mul_i32 s2, s14, s9
	s_mul_hi_u32 s3, s14, s8
	s_and_not1_b32 vcc_lo, exec_lo, s4
	s_mul_i32 s1, s1, s8
	s_mul_i32 s4, s14, s8
	s_cbranch_vccnz .LBB583_54
; %bb.44:
	s_add_i32 s5, s3, s2
	v_mov_b32_e32 v1, 0
	s_add_i32 s5, s5, s1
	s_delay_alu instid0(SALU_CYCLE_1) | instskip(NEXT) | instid1(SALU_CYCLE_1)
	s_lshl_b64 s[6:7], s[4:5], 1
	s_add_u32 s6, s10, s6
	s_addc_u32 s7, s11, s7
	global_load_u16 v1, v1, s[6:7]
	s_waitcnt vmcnt(0)
	v_lshlrev_b32_e32 v1, 16, v1
	s_delay_alu instid0(VALU_DEP_1) | instskip(NEXT) | instid1(VALU_DEP_1)
	v_mul_f32_e32 v1, s13, v1
	v_and_b32_e32 v2, 0x7f800000, v1
	v_readfirstlane_b32 s5, v1
	s_delay_alu instid0(VALU_DEP_2)
	v_cmp_eq_u32_e32 vcc_lo, 0x7f800000, v2
	s_cbranch_vccnz .LBB583_46
; %bb.45:
	s_delay_alu instid0(VALU_DEP_2) | instskip(SKIP_2) | instid1(SALU_CYCLE_1)
	s_bfe_u32 s6, s5, 0x10010
	s_mov_b32 s7, 0
	s_add_i32 s6, s5, s6
	s_addk_i32 s6, 0x7fff
	s_branch .LBB583_47
.LBB583_46:
	s_mov_b32 s7, -1
                                        ; implicit-def: $sgpr6
.LBB583_47:
	s_delay_alu instid0(SALU_CYCLE_1)
	s_and_not1_b32 vcc_lo, exec_lo, s7
	s_cbranch_vccnz .LBB583_49
; %bb.48:
	s_and_b32 s6, s5, 0xffff
	s_or_b32 s7, s5, 0x10000
	s_cmp_eq_u32 s6, 0
	s_cselect_b32 s6, s5, s7
.LBB583_49:
	s_delay_alu instid0(SALU_CYCLE_1) | instskip(NEXT) | instid1(SALU_CYCLE_1)
	s_and_b32 s5, s6, 0xffff0000
	v_add_f32_e32 v0, s5, v0
	s_delay_alu instid0(VALU_DEP_1) | instskip(NEXT) | instid1(VALU_DEP_1)
	v_and_b32_e32 v1, 0x7f800000, v0
	v_cmp_ne_u32_e32 vcc_lo, 0x7f800000, v1
                                        ; implicit-def: $vgpr1
	s_and_saveexec_b32 s5, vcc_lo
	s_delay_alu instid0(SALU_CYCLE_1)
	s_xor_b32 s5, exec_lo, s5
; %bb.50:
	v_bfe_u32 v1, v0, 16, 1
	s_delay_alu instid0(VALU_DEP_1)
	v_add3_u32 v1, v0, v1, 0x7fff
                                        ; implicit-def: $vgpr0
; %bb.51:
	s_and_not1_saveexec_b32 s5, s5
; %bb.52:
	v_and_b32_e32 v1, 0xffff, v0
	v_or_b32_e32 v2, 0x10000, v0
	s_delay_alu instid0(VALU_DEP_2) | instskip(NEXT) | instid1(VALU_DEP_2)
	v_cmp_eq_u32_e32 vcc_lo, 0, v1
	v_cndmask_b32_e32 v1, v2, v0, vcc_lo
; %bb.53:
	s_or_b32 exec_lo, exec_lo, s5
.LBB583_54:
	s_delay_alu instid0(VALU_DEP_1)
	v_lshrrev_b32_e32 v1, 16, v1
	s_add_i32 s2, s3, s2
	s_or_b32 s12, s12, exec_lo
	s_add_i32 s5, s2, s1
.LBB583_55:
	s_or_b32 exec_lo, exec_lo, s0
	s_and_saveexec_b32 s0, s12
	s_cbranch_execz .LBB583_57
.LBB583_56:
	s_lshl_b64 s[0:1], s[4:5], 1
	v_mov_b32_e32 v0, 0
	s_add_u32 s0, s10, s0
	s_addc_u32 s1, s11, s1
	global_store_b16 v0, v1, s[0:1]
.LBB583_57:
	s_nop 0
	s_sendmsg sendmsg(MSG_DEALLOC_VGPRS)
	s_endpgm
	.section	.rodata,"a",@progbits
	.p2align	6, 0x0
	.amdhsa_kernel _ZL32rocblas_gemvt_warp_reduce_kernelILb1ELi1024El16rocblas_bfloat16fS0_EviiT3_lPKT2_lT1_lS4_lS5_lS1_lPT4_lS5_li
		.amdhsa_group_segment_fixed_size 128
		.amdhsa_private_segment_fixed_size 0
		.amdhsa_kernarg_size 140
		.amdhsa_user_sgpr_count 14
		.amdhsa_user_sgpr_dispatch_ptr 0
		.amdhsa_user_sgpr_queue_ptr 0
		.amdhsa_user_sgpr_kernarg_segment_ptr 1
		.amdhsa_user_sgpr_dispatch_id 0
		.amdhsa_user_sgpr_private_segment_size 0
		.amdhsa_wavefront_size32 1
		.amdhsa_uses_dynamic_stack 0
		.amdhsa_enable_private_segment 0
		.amdhsa_system_sgpr_workgroup_id_x 1
		.amdhsa_system_sgpr_workgroup_id_y 0
		.amdhsa_system_sgpr_workgroup_id_z 1
		.amdhsa_system_sgpr_workgroup_info 0
		.amdhsa_system_vgpr_workitem_id 0
		.amdhsa_next_free_vgpr 12
		.amdhsa_next_free_sgpr 34
		.amdhsa_reserve_vcc 1
		.amdhsa_float_round_mode_32 0
		.amdhsa_float_round_mode_16_64 0
		.amdhsa_float_denorm_mode_32 3
		.amdhsa_float_denorm_mode_16_64 3
		.amdhsa_dx10_clamp 1
		.amdhsa_ieee_mode 1
		.amdhsa_fp16_overflow 0
		.amdhsa_workgroup_processor_mode 1
		.amdhsa_memory_ordered 1
		.amdhsa_forward_progress 0
		.amdhsa_shared_vgpr_count 0
		.amdhsa_exception_fp_ieee_invalid_op 0
		.amdhsa_exception_fp_denorm_src 0
		.amdhsa_exception_fp_ieee_div_zero 0
		.amdhsa_exception_fp_ieee_overflow 0
		.amdhsa_exception_fp_ieee_underflow 0
		.amdhsa_exception_fp_ieee_inexact 0
		.amdhsa_exception_int_div_zero 0
	.end_amdhsa_kernel
	.section	.text._ZL32rocblas_gemvt_warp_reduce_kernelILb1ELi1024El16rocblas_bfloat16fS0_EviiT3_lPKT2_lT1_lS4_lS5_lS1_lPT4_lS5_li,"axG",@progbits,_ZL32rocblas_gemvt_warp_reduce_kernelILb1ELi1024El16rocblas_bfloat16fS0_EviiT3_lPKT2_lT1_lS4_lS5_lS1_lPT4_lS5_li,comdat
.Lfunc_end583:
	.size	_ZL32rocblas_gemvt_warp_reduce_kernelILb1ELi1024El16rocblas_bfloat16fS0_EviiT3_lPKT2_lT1_lS4_lS5_lS1_lPT4_lS5_li, .Lfunc_end583-_ZL32rocblas_gemvt_warp_reduce_kernelILb1ELi1024El16rocblas_bfloat16fS0_EviiT3_lPKT2_lT1_lS4_lS5_lS1_lPT4_lS5_li
                                        ; -- End function
	.section	.AMDGPU.csdata,"",@progbits
; Kernel info:
; codeLenInByte = 2180
; NumSgprs: 36
; NumVgprs: 12
; ScratchSize: 0
; MemoryBound: 0
; FloatMode: 240
; IeeeMode: 1
; LDSByteSize: 128 bytes/workgroup (compile time only)
; SGPRBlocks: 4
; VGPRBlocks: 1
; NumSGPRsForWavesPerEU: 36
; NumVGPRsForWavesPerEU: 12
; Occupancy: 16
; WaveLimiterHint : 1
; COMPUTE_PGM_RSRC2:SCRATCH_EN: 0
; COMPUTE_PGM_RSRC2:USER_SGPR: 14
; COMPUTE_PGM_RSRC2:TRAP_HANDLER: 0
; COMPUTE_PGM_RSRC2:TGID_X_EN: 1
; COMPUTE_PGM_RSRC2:TGID_Y_EN: 0
; COMPUTE_PGM_RSRC2:TGID_Z_EN: 1
; COMPUTE_PGM_RSRC2:TIDIG_COMP_CNT: 0
	.section	.text._ZL34rocblas_gemvn_sm_mn_batched_kernelILi32ELi24EPK16rocblas_bfloat16PKfKPS0_EviiT2_lPKT1_lilSA_lilS7_lPT3_lili,"axG",@progbits,_ZL34rocblas_gemvn_sm_mn_batched_kernelILi32ELi24EPK16rocblas_bfloat16PKfKPS0_EviiT2_lPKT1_lilSA_lilS7_lPT3_lili,comdat
	.globl	_ZL34rocblas_gemvn_sm_mn_batched_kernelILi32ELi24EPK16rocblas_bfloat16PKfKPS0_EviiT2_lPKT1_lilSA_lilS7_lPT3_lili ; -- Begin function _ZL34rocblas_gemvn_sm_mn_batched_kernelILi32ELi24EPK16rocblas_bfloat16PKfKPS0_EviiT2_lPKT1_lilSA_lilS7_lPT3_lili
	.p2align	8
	.type	_ZL34rocblas_gemvn_sm_mn_batched_kernelILi32ELi24EPK16rocblas_bfloat16PKfKPS0_EviiT2_lPKT1_lilSA_lilS7_lPT3_lili,@function
_ZL34rocblas_gemvn_sm_mn_batched_kernelILi32ELi24EPK16rocblas_bfloat16PKfKPS0_EviiT2_lPKT1_lilSA_lilS7_lPT3_lili: ; @_ZL34rocblas_gemvn_sm_mn_batched_kernelILi32ELi24EPK16rocblas_bfloat16PKfKPS0_EviiT2_lPKT1_lilSA_lilS7_lPT3_lili
; %bb.0:
	s_endpgm
	.section	.rodata,"a",@progbits
	.p2align	6, 0x0
	.amdhsa_kernel _ZL34rocblas_gemvn_sm_mn_batched_kernelILi32ELi24EPK16rocblas_bfloat16PKfKPS0_EviiT2_lPKT1_lilSA_lilS7_lPT3_lili
		.amdhsa_group_segment_fixed_size 0
		.amdhsa_private_segment_fixed_size 0
		.amdhsa_kernarg_size 140
		.amdhsa_user_sgpr_count 15
		.amdhsa_user_sgpr_dispatch_ptr 0
		.amdhsa_user_sgpr_queue_ptr 0
		.amdhsa_user_sgpr_kernarg_segment_ptr 1
		.amdhsa_user_sgpr_dispatch_id 0
		.amdhsa_user_sgpr_private_segment_size 0
		.amdhsa_wavefront_size32 1
		.amdhsa_uses_dynamic_stack 0
		.amdhsa_enable_private_segment 0
		.amdhsa_system_sgpr_workgroup_id_x 1
		.amdhsa_system_sgpr_workgroup_id_y 0
		.amdhsa_system_sgpr_workgroup_id_z 0
		.amdhsa_system_sgpr_workgroup_info 0
		.amdhsa_system_vgpr_workitem_id 0
		.amdhsa_next_free_vgpr 1
		.amdhsa_next_free_sgpr 1
		.amdhsa_reserve_vcc 0
		.amdhsa_float_round_mode_32 0
		.amdhsa_float_round_mode_16_64 0
		.amdhsa_float_denorm_mode_32 3
		.amdhsa_float_denorm_mode_16_64 3
		.amdhsa_dx10_clamp 1
		.amdhsa_ieee_mode 1
		.amdhsa_fp16_overflow 0
		.amdhsa_workgroup_processor_mode 1
		.amdhsa_memory_ordered 1
		.amdhsa_forward_progress 0
		.amdhsa_shared_vgpr_count 0
		.amdhsa_exception_fp_ieee_invalid_op 0
		.amdhsa_exception_fp_denorm_src 0
		.amdhsa_exception_fp_ieee_div_zero 0
		.amdhsa_exception_fp_ieee_overflow 0
		.amdhsa_exception_fp_ieee_underflow 0
		.amdhsa_exception_fp_ieee_inexact 0
		.amdhsa_exception_int_div_zero 0
	.end_amdhsa_kernel
	.section	.text._ZL34rocblas_gemvn_sm_mn_batched_kernelILi32ELi24EPK16rocblas_bfloat16PKfKPS0_EviiT2_lPKT1_lilSA_lilS7_lPT3_lili,"axG",@progbits,_ZL34rocblas_gemvn_sm_mn_batched_kernelILi32ELi24EPK16rocblas_bfloat16PKfKPS0_EviiT2_lPKT1_lilSA_lilS7_lPT3_lili,comdat
.Lfunc_end584:
	.size	_ZL34rocblas_gemvn_sm_mn_batched_kernelILi32ELi24EPK16rocblas_bfloat16PKfKPS0_EviiT2_lPKT1_lilSA_lilS7_lPT3_lili, .Lfunc_end584-_ZL34rocblas_gemvn_sm_mn_batched_kernelILi32ELi24EPK16rocblas_bfloat16PKfKPS0_EviiT2_lPKT1_lilSA_lilS7_lPT3_lili
                                        ; -- End function
	.section	.AMDGPU.csdata,"",@progbits
; Kernel info:
; codeLenInByte = 4
; NumSgprs: 0
; NumVgprs: 0
; ScratchSize: 0
; MemoryBound: 0
; FloatMode: 240
; IeeeMode: 1
; LDSByteSize: 0 bytes/workgroup (compile time only)
; SGPRBlocks: 0
; VGPRBlocks: 0
; NumSGPRsForWavesPerEU: 1
; NumVGPRsForWavesPerEU: 1
; Occupancy: 12
; WaveLimiterHint : 0
; COMPUTE_PGM_RSRC2:SCRATCH_EN: 0
; COMPUTE_PGM_RSRC2:USER_SGPR: 15
; COMPUTE_PGM_RSRC2:TRAP_HANDLER: 0
; COMPUTE_PGM_RSRC2:TGID_X_EN: 1
; COMPUTE_PGM_RSRC2:TGID_Y_EN: 0
; COMPUTE_PGM_RSRC2:TGID_Z_EN: 0
; COMPUTE_PGM_RSRC2:TIDIG_COMP_CNT: 0
	.section	.text._ZL34rocblas_gemvn_sm_mn_batched_kernelILi32ELi24EPK16rocblas_bfloat16fKPS0_EviiT2_lPKT1_lilS8_lilS5_lPT3_lili,"axG",@progbits,_ZL34rocblas_gemvn_sm_mn_batched_kernelILi32ELi24EPK16rocblas_bfloat16fKPS0_EviiT2_lPKT1_lilS8_lilS5_lPT3_lili,comdat
	.globl	_ZL34rocblas_gemvn_sm_mn_batched_kernelILi32ELi24EPK16rocblas_bfloat16fKPS0_EviiT2_lPKT1_lilS8_lilS5_lPT3_lili ; -- Begin function _ZL34rocblas_gemvn_sm_mn_batched_kernelILi32ELi24EPK16rocblas_bfloat16fKPS0_EviiT2_lPKT1_lilS8_lilS5_lPT3_lili
	.p2align	8
	.type	_ZL34rocblas_gemvn_sm_mn_batched_kernelILi32ELi24EPK16rocblas_bfloat16fKPS0_EviiT2_lPKT1_lilS8_lilS5_lPT3_lili,@function
_ZL34rocblas_gemvn_sm_mn_batched_kernelILi32ELi24EPK16rocblas_bfloat16fKPS0_EviiT2_lPKT1_lilS8_lilS5_lPT3_lili: ; @_ZL34rocblas_gemvn_sm_mn_batched_kernelILi32ELi24EPK16rocblas_bfloat16fKPS0_EviiT2_lPKT1_lilS8_lilS5_lPT3_lili
; %bb.0:
	s_endpgm
	.section	.rodata,"a",@progbits
	.p2align	6, 0x0
	.amdhsa_kernel _ZL34rocblas_gemvn_sm_mn_batched_kernelILi32ELi24EPK16rocblas_bfloat16fKPS0_EviiT2_lPKT1_lilS8_lilS5_lPT3_lili
		.amdhsa_group_segment_fixed_size 0
		.amdhsa_private_segment_fixed_size 0
		.amdhsa_kernarg_size 140
		.amdhsa_user_sgpr_count 15
		.amdhsa_user_sgpr_dispatch_ptr 0
		.amdhsa_user_sgpr_queue_ptr 0
		.amdhsa_user_sgpr_kernarg_segment_ptr 1
		.amdhsa_user_sgpr_dispatch_id 0
		.amdhsa_user_sgpr_private_segment_size 0
		.amdhsa_wavefront_size32 1
		.amdhsa_uses_dynamic_stack 0
		.amdhsa_enable_private_segment 0
		.amdhsa_system_sgpr_workgroup_id_x 1
		.amdhsa_system_sgpr_workgroup_id_y 0
		.amdhsa_system_sgpr_workgroup_id_z 0
		.amdhsa_system_sgpr_workgroup_info 0
		.amdhsa_system_vgpr_workitem_id 0
		.amdhsa_next_free_vgpr 1
		.amdhsa_next_free_sgpr 1
		.amdhsa_reserve_vcc 0
		.amdhsa_float_round_mode_32 0
		.amdhsa_float_round_mode_16_64 0
		.amdhsa_float_denorm_mode_32 3
		.amdhsa_float_denorm_mode_16_64 3
		.amdhsa_dx10_clamp 1
		.amdhsa_ieee_mode 1
		.amdhsa_fp16_overflow 0
		.amdhsa_workgroup_processor_mode 1
		.amdhsa_memory_ordered 1
		.amdhsa_forward_progress 0
		.amdhsa_shared_vgpr_count 0
		.amdhsa_exception_fp_ieee_invalid_op 0
		.amdhsa_exception_fp_denorm_src 0
		.amdhsa_exception_fp_ieee_div_zero 0
		.amdhsa_exception_fp_ieee_overflow 0
		.amdhsa_exception_fp_ieee_underflow 0
		.amdhsa_exception_fp_ieee_inexact 0
		.amdhsa_exception_int_div_zero 0
	.end_amdhsa_kernel
	.section	.text._ZL34rocblas_gemvn_sm_mn_batched_kernelILi32ELi24EPK16rocblas_bfloat16fKPS0_EviiT2_lPKT1_lilS8_lilS5_lPT3_lili,"axG",@progbits,_ZL34rocblas_gemvn_sm_mn_batched_kernelILi32ELi24EPK16rocblas_bfloat16fKPS0_EviiT2_lPKT1_lilS8_lilS5_lPT3_lili,comdat
.Lfunc_end585:
	.size	_ZL34rocblas_gemvn_sm_mn_batched_kernelILi32ELi24EPK16rocblas_bfloat16fKPS0_EviiT2_lPKT1_lilS8_lilS5_lPT3_lili, .Lfunc_end585-_ZL34rocblas_gemvn_sm_mn_batched_kernelILi32ELi24EPK16rocblas_bfloat16fKPS0_EviiT2_lPKT1_lilS8_lilS5_lPT3_lili
                                        ; -- End function
	.section	.AMDGPU.csdata,"",@progbits
; Kernel info:
; codeLenInByte = 4
; NumSgprs: 0
; NumVgprs: 0
; ScratchSize: 0
; MemoryBound: 0
; FloatMode: 240
; IeeeMode: 1
; LDSByteSize: 0 bytes/workgroup (compile time only)
; SGPRBlocks: 0
; VGPRBlocks: 0
; NumSGPRsForWavesPerEU: 1
; NumVGPRsForWavesPerEU: 1
; Occupancy: 12
; WaveLimiterHint : 0
; COMPUTE_PGM_RSRC2:SCRATCH_EN: 0
; COMPUTE_PGM_RSRC2:USER_SGPR: 15
; COMPUTE_PGM_RSRC2:TRAP_HANDLER: 0
; COMPUTE_PGM_RSRC2:TGID_X_EN: 1
; COMPUTE_PGM_RSRC2:TGID_Y_EN: 0
; COMPUTE_PGM_RSRC2:TGID_Z_EN: 0
; COMPUTE_PGM_RSRC2:TIDIG_COMP_CNT: 0
	.section	.text._ZL20rocblas_gemvn_kernelILi64ELi4EiPK16rocblas_bfloat16PKfKPS0_EviiT3_lPKT2_lT1_lSA_lSB_lS7_lPT4_lSB_li,"axG",@progbits,_ZL20rocblas_gemvn_kernelILi64ELi4EiPK16rocblas_bfloat16PKfKPS0_EviiT3_lPKT2_lT1_lSA_lSB_lS7_lPT4_lSB_li,comdat
	.globl	_ZL20rocblas_gemvn_kernelILi64ELi4EiPK16rocblas_bfloat16PKfKPS0_EviiT3_lPKT2_lT1_lSA_lSB_lS7_lPT4_lSB_li ; -- Begin function _ZL20rocblas_gemvn_kernelILi64ELi4EiPK16rocblas_bfloat16PKfKPS0_EviiT3_lPKT2_lT1_lSA_lSB_lS7_lPT4_lSB_li
	.p2align	8
	.type	_ZL20rocblas_gemvn_kernelILi64ELi4EiPK16rocblas_bfloat16PKfKPS0_EviiT3_lPKT2_lT1_lSA_lSB_lS7_lPT4_lSB_li,@function
_ZL20rocblas_gemvn_kernelILi64ELi4EiPK16rocblas_bfloat16PKfKPS0_EviiT3_lPKT2_lT1_lSA_lSB_lS7_lPT4_lSB_li: ; @_ZL20rocblas_gemvn_kernelILi64ELi4EiPK16rocblas_bfloat16PKfKPS0_EviiT3_lPKT2_lT1_lSA_lSB_lS7_lPT4_lSB_li
; %bb.0:
	s_load_b64 s[4:5], s[0:1], 0x9c
	s_waitcnt lgkmcnt(0)
	s_lshr_b32 s3, s4, 16
	s_and_b32 s4, s4, 0xffff
	s_and_b32 s5, s5, 0xffff
	s_mul_i32 s3, s3, s4
	s_delay_alu instid0(SALU_CYCLE_1) | instskip(NEXT) | instid1(SALU_CYCLE_1)
	s_mul_i32 s3, s3, s5
	s_cmpk_lg_i32 s3, 0x100
	s_cbranch_scc1 .LBB586_74
; %bb.1:
	s_clause 0x1
	s_load_b256 s[16:23], s[0:1], 0x8
	s_load_b256 s[4:11], s[0:1], 0x58
	s_mov_b32 s2, s15
	s_waitcnt lgkmcnt(0)
	s_mul_i32 s3, s15, s19
	s_mul_hi_u32 s13, s15, s18
	s_mul_i32 s12, s15, s18
	s_add_i32 s13, s13, s3
	s_mul_i32 s3, s15, s7
	s_lshl_b64 s[12:13], s[12:13], 2
	s_mul_hi_u32 s7, s15, s6
	s_add_u32 s12, s16, s12
	s_addc_u32 s13, s17, s13
	s_add_i32 s7, s7, s3
	s_mul_i32 s6, s15, s6
	s_delay_alu instid0(SALU_CYCLE_1) | instskip(NEXT) | instid1(SALU_CYCLE_1)
	s_lshl_b64 s[6:7], s[6:7], 2
	s_add_u32 s4, s4, s6
	s_addc_u32 s5, s5, s7
	s_load_b32 s16, s[12:13], 0x0
	s_load_b32 s15, s[4:5], 0x0
	s_waitcnt lgkmcnt(0)
	v_cmp_eq_f32_e64 s18, s16, 0
	v_cmp_eq_f32_e64 s3, s15, 1.0
	s_delay_alu instid0(VALU_DEP_1) | instskip(NEXT) | instid1(SALU_CYCLE_1)
	s_and_b32 s3, s18, s3
	s_and_b32 vcc_lo, exec_lo, s3
	s_mov_b32 s3, 0
	s_cbranch_vccnz .LBB586_74
; %bb.2:
	v_cmp_neq_f32_e64 s4, s16, 0
	s_mov_b64 s[12:13], 0
	s_and_b32 vcc_lo, exec_lo, s18
	s_mov_b64 s[6:7], 0
	s_cbranch_vccnz .LBB586_4
; %bb.3:
	s_lshl_b64 s[6:7], s[2:3], 3
	s_delay_alu instid0(SALU_CYCLE_1)
	s_add_u32 s6, s20, s6
	s_addc_u32 s7, s21, s7
	s_lshl_b64 s[20:21], s[22:23], 1
	s_load_b64 s[6:7], s[6:7], 0x0
	s_waitcnt lgkmcnt(0)
	s_add_u32 s6, s6, s20
	s_addc_u32 s7, s7, s21
.LBB586_4:
	s_and_not1_b32 vcc_lo, exec_lo, s4
	s_cbranch_vccnz .LBB586_6
; %bb.5:
	s_load_b128 s[20:23], s[0:1], 0x38
	s_lshl_b64 s[4:5], s[2:3], 3
	s_waitcnt lgkmcnt(0)
	s_add_u32 s4, s20, s4
	s_addc_u32 s5, s21, s5
	s_lshl_b64 s[12:13], s[22:23], 1
	s_load_b64 s[4:5], s[4:5], 0x0
	s_waitcnt lgkmcnt(0)
	s_add_u32 s12, s4, s12
	s_addc_u32 s13, s5, s13
.LBB586_6:
	s_lshl_b64 s[2:3], s[2:3], 3
	v_and_b32_e32 v1, 0x3ff, v0
	s_add_u32 s2, s8, s2
	s_addc_u32 s3, s9, s3
	v_bfe_u32 v13, v0, 10, 10
	s_load_b64 s[20:21], s[2:3], 0x0
	s_clause 0x1
	s_load_b64 s[4:5], s[0:1], 0x0
	s_load_b32 s17, s[0:1], 0x78
	s_lshl_b64 s[10:11], s[10:11], 1
	v_lshl_add_u32 v0, v13, 6, v1
	s_delay_alu instid0(VALU_DEP_1)
	v_cmp_gt_u32_e64 s2, 0x100, v0
	s_waitcnt lgkmcnt(0)
	s_add_u32 s9, s20, s10
	s_addc_u32 s10, s21, s11
	s_and_not1_b32 vcc_lo, exec_lo, s18
	s_cbranch_vccnz .LBB586_15
; %bb.7:
	s_mov_b32 s3, 0
	s_mov_b32 s11, 0
                                        ; implicit-def: $vgpr5
                                        ; implicit-def: $vgpr2_vgpr3
	s_and_saveexec_b32 s8, s2
	s_cbranch_execz .LBB586_16
; %bb.8:
	v_lshl_or_b32 v4, s14, 8, v0
	v_mov_b32_e32 v5, 0
	s_ashr_i32 s19, s4, 31
	s_mov_b32 s18, s4
                                        ; implicit-def: $vgpr2_vgpr3
	s_delay_alu instid0(VALU_DEP_1) | instid1(SALU_CYCLE_1)
	v_cmp_gt_i64_e32 vcc_lo, s[18:19], v[4:5]
                                        ; implicit-def: $vgpr5
	s_and_saveexec_b32 s2, vcc_lo
	s_cbranch_execz .LBB586_19
; %bb.9:
	v_mad_u64_u32 v[2:3], null, s17, v4, 0
	s_ashr_i32 s11, s17, 31
	s_delay_alu instid0(VALU_DEP_1) | instid1(SALU_CYCLE_1)
	v_mad_u64_u32 v[5:6], null, s11, v4, v[3:4]
	v_cmp_eq_f32_e64 s11, s15, 0
	s_delay_alu instid0(VALU_DEP_1) | instskip(NEXT) | instid1(VALU_DEP_2)
	s_and_b32 vcc_lo, exec_lo, s11
	v_mov_b32_e32 v3, v5
	s_cbranch_vccnz .LBB586_17
; %bb.10:
	s_delay_alu instid0(VALU_DEP_1) | instskip(NEXT) | instid1(VALU_DEP_1)
	v_lshlrev_b64 v[4:5], 1, v[2:3]
	v_add_co_u32 v4, vcc_lo, s9, v4
	s_delay_alu instid0(VALU_DEP_2) | instskip(SKIP_3) | instid1(VALU_DEP_1)
	v_add_co_ci_u32_e32 v5, vcc_lo, s10, v5, vcc_lo
	global_load_u16 v4, v[4:5], off
	s_waitcnt vmcnt(0)
	v_lshlrev_b32_e32 v4, 16, v4
	v_mul_f32_e32 v4, s15, v4
	s_delay_alu instid0(VALU_DEP_1) | instskip(NEXT) | instid1(VALU_DEP_1)
	v_and_b32_e32 v5, 0x7f800000, v4
	v_cmp_ne_u32_e32 vcc_lo, 0x7f800000, v5
                                        ; implicit-def: $vgpr5
	s_and_saveexec_b32 s11, vcc_lo
	s_delay_alu instid0(SALU_CYCLE_1)
	s_xor_b32 s11, exec_lo, s11
; %bb.11:
	v_bfe_u32 v5, v4, 16, 1
	s_delay_alu instid0(VALU_DEP_1)
	v_add3_u32 v5, v4, v5, 0x7fff
                                        ; implicit-def: $vgpr4
; %bb.12:
	s_and_not1_saveexec_b32 s11, s11
; %bb.13:
	v_and_b32_e32 v5, 0xffff, v4
	v_or_b32_e32 v6, 0x10000, v4
	s_delay_alu instid0(VALU_DEP_2) | instskip(NEXT) | instid1(VALU_DEP_2)
	v_cmp_eq_u32_e32 vcc_lo, 0, v5
	v_cndmask_b32_e32 v5, v6, v4, vcc_lo
; %bb.14:
	s_or_b32 exec_lo, exec_lo, s11
	s_delay_alu instid0(VALU_DEP_1)
	v_lshrrev_b32_e32 v5, 16, v5
	s_branch .LBB586_18
.LBB586_15:
	s_mov_b32 s11, 0
                                        ; implicit-def: $vgpr5
                                        ; implicit-def: $vgpr2_vgpr3
	s_cbranch_execnz .LBB586_20
	s_branch .LBB586_72
.LBB586_16:
	s_or_b32 exec_lo, exec_lo, s8
	s_delay_alu instid0(SALU_CYCLE_1)
	s_and_b32 vcc_lo, exec_lo, s3
	s_cbranch_vccnz .LBB586_20
	s_branch .LBB586_72
.LBB586_17:
	v_mov_b32_e32 v5, 0
.LBB586_18:
	s_mov_b32 s11, exec_lo
.LBB586_19:
	s_or_b32 exec_lo, exec_lo, s2
	s_delay_alu instid0(SALU_CYCLE_1) | instskip(SKIP_1) | instid1(SALU_CYCLE_1)
	s_and_b32 s11, s11, exec_lo
	s_or_b32 exec_lo, exec_lo, s8
	s_and_b32 vcc_lo, exec_lo, s3
	s_cbranch_vccz .LBB586_72
.LBB586_20:
	s_clause 0x1
	s_load_b32 s18, s[0:1], 0x28
	s_load_b32 s8, s[0:1], 0x48
	s_ashr_i32 s0, s5, 31
	s_lshl_b32 s14, s14, 8
	s_lshr_b32 s0, s0, 28
	v_dual_mov_b32 v14, 0 :: v_dual_lshlrev_b32 v19, 2, v13
	v_dual_mov_b32 v15, 0 :: v_dual_add_nc_u32 v18, s14, v1
	v_dual_mov_b32 v16, 0 :: v_dual_mov_b32 v17, 0
	s_add_i32 s0, s5, s0
	s_mov_b32 s20, exec_lo
	s_and_b32 s19, s0, -16
	s_delay_alu instid0(SALU_CYCLE_1)
	v_cmpx_gt_i32_e64 s19, v19
	s_cbranch_execz .LBB586_32
; %bb.21:
	s_waitcnt lgkmcnt(0)
	v_mul_lo_u32 v3, s18, v19
	v_dual_mov_b32 v15, 0 :: v_dual_add_nc_u32 v2, 64, v18
	v_add_nc_u32_e32 v6, 2, v19
	v_dual_mov_b32 v14, 0 :: v_dual_add_nc_u32 v5, 0xc0, v18
	s_delay_alu instid0(VALU_DEP_3)
	v_cmp_gt_i32_e64 s0, s4, v2
	v_dual_mov_b32 v17, 0 :: v_dual_add_nc_u32 v4, 0x80, v18
	v_add3_u32 v20, v3, s18, v1
	v_mad_u64_u32 v[2:3], null, s18, v6, v[1:2]
	v_cmp_gt_i32_e64 s2, s4, v5
	v_mul_lo_u32 v5, v13, s18
	v_dual_mov_b32 v16, 0 :: v_dual_add_nc_u32 v7, 3, v19
	v_mul_lo_u32 v8, v13, s8
	v_cmp_gt_i32_e64 s1, s4, v4
	v_mul_lo_u32 v22, s8, v6
	s_delay_alu instid0(VALU_DEP_4)
	v_mad_u64_u32 v[3:4], null, s18, v7, v[1:2]
	v_lshl_add_u32 v21, v5, 2, v1
	v_mad_u64_u32 v[4:5], null, s8, v19, s[8:9]
	v_mul_lo_u32 v23, s8, v7
	v_cmp_gt_i32_e32 vcc_lo, s4, v18
	v_lshlrev_b32_e32 v24, 2, v8
	s_lshl_b32 s21, s18, 4
	s_lshl_b32 s23, s8, 4
	s_mov_b32 s22, 0
	s_mov_b32 s24, 0
	s_branch .LBB586_26
.LBB586_22:                             ;   in Loop: Header=BB586_26 Depth=1
	s_or_b32 exec_lo, exec_lo, s27
	s_waitcnt vmcnt(2) lgkmcnt(2)
	v_lshlrev_b32_e32 v6, 16, v39
	v_lshlrev_b32_e32 v5, 16, v40
	s_waitcnt vmcnt(1) lgkmcnt(1)
	s_delay_alu instid0(VALU_DEP_1) | instskip(NEXT) | instid1(VALU_DEP_1)
	v_dual_fmac_f32 v16, v32, v5 :: v_dual_lshlrev_b32 v5, 16, v38
	v_fmac_f32_e32 v16, v30, v6
	s_delay_alu instid0(VALU_DEP_1) | instskip(SKIP_2) | instid1(VALU_DEP_1)
	v_fmac_f32_e32 v16, v28, v5
	s_waitcnt vmcnt(0) lgkmcnt(0)
	v_lshlrev_b32_e32 v5, 16, v37
	v_fmac_f32_e32 v16, v27, v5
.LBB586_23:                             ;   in Loop: Header=BB586_26 Depth=1
	s_or_b32 exec_lo, exec_lo, s26
	s_waitcnt vmcnt(3) lgkmcnt(3)
	v_lshlrev_b32_e32 v5, 16, v36
	s_waitcnt vmcnt(2) lgkmcnt(2)
	s_delay_alu instid0(VALU_DEP_1) | instskip(SKIP_2) | instid1(VALU_DEP_2)
	v_dual_fmac_f32 v15, v32, v5 :: v_dual_lshlrev_b32 v6, 16, v35
	s_waitcnt vmcnt(1) lgkmcnt(1)
	v_lshlrev_b32_e32 v5, 16, v34
	v_fmac_f32_e32 v15, v30, v6
	s_delay_alu instid0(VALU_DEP_1) | instskip(SKIP_2) | instid1(VALU_DEP_1)
	v_fmac_f32_e32 v15, v28, v5
	s_waitcnt vmcnt(0) lgkmcnt(0)
	v_lshlrev_b32_e32 v5, 16, v33
	v_fmac_f32_e32 v15, v27, v5
.LBB586_24:                             ;   in Loop: Header=BB586_26 Depth=1
	s_or_b32 exec_lo, exec_lo, s3
	s_waitcnt vmcnt(2) lgkmcnt(2)
	v_lshlrev_b32_e32 v6, 16, v29
	v_lshlrev_b32_e32 v5, 16, v31
	s_waitcnt vmcnt(1) lgkmcnt(1)
	s_delay_alu instid0(VALU_DEP_1) | instskip(NEXT) | instid1(VALU_DEP_1)
	v_dual_fmac_f32 v14, v32, v5 :: v_dual_lshlrev_b32 v5, 16, v26
	v_fmac_f32_e32 v14, v30, v6
	s_delay_alu instid0(VALU_DEP_1) | instskip(SKIP_2) | instid1(VALU_DEP_1)
	v_fmac_f32_e32 v14, v28, v5
	s_waitcnt vmcnt(0) lgkmcnt(0)
	v_lshlrev_b32_e32 v5, 16, v25
	v_fmac_f32_e32 v14, v27, v5
.LBB586_25:                             ;   in Loop: Header=BB586_26 Depth=1
	s_or_b32 exec_lo, exec_lo, s25
	v_add_nc_u32_e32 v19, 16, v19
	v_add_nc_u32_e32 v20, s21, v20
	;; [unrolled: 1-line block ×5, first 2 shown]
	v_cmp_le_i32_e64 s3, s19, v19
	s_add_i32 s24, s24, s23
	s_delay_alu instid0(VALU_DEP_1) | instskip(NEXT) | instid1(SALU_CYCLE_1)
	s_or_b32 s22, s3, s22
	s_and_not1_b32 exec_lo, exec_lo, s22
	s_cbranch_execz .LBB586_31
.LBB586_26:                             ; =>This Inner Loop Header: Depth=1
	s_and_saveexec_b32 s25, vcc_lo
	s_cbranch_execz .LBB586_25
; %bb.27:                               ;   in Loop: Header=BB586_26 Depth=1
	v_add_nc_u32_e32 v5, s24, v24
	v_add_nc_u32_e32 v7, s24, v4
	;; [unrolled: 1-line block ×5, first 2 shown]
	v_ashrrev_i32_e32 v6, 31, v5
	v_ashrrev_i32_e32 v8, 31, v7
	;; [unrolled: 1-line block ×4, first 2 shown]
	v_add_nc_u32_e32 v27, s14, v20
	v_lshlrev_b64 v[5:6], 1, v[5:6]
	v_lshlrev_b64 v[7:8], 1, v[7:8]
	;; [unrolled: 1-line block ×4, first 2 shown]
	v_ashrrev_i32_e32 v26, 31, v25
	v_ashrrev_i32_e32 v28, 31, v27
	v_add_co_u32 v5, s3, s12, v5
	s_delay_alu instid0(VALU_DEP_1) | instskip(SKIP_1) | instid1(VALU_DEP_1)
	v_add_co_ci_u32_e64 v6, s3, s13, v6, s3
	v_add_co_u32 v7, s3, s12, v7
	v_add_co_ci_u32_e64 v8, s3, s13, v8, s3
	v_add_co_u32 v9, s3, s12, v9
	s_delay_alu instid0(VALU_DEP_1)
	v_add_co_ci_u32_e64 v10, s3, s13, v10, s3
	v_add_co_u32 v11, s3, s12, v11
	v_add_nc_u32_e32 v29, s14, v2
	v_add_co_ci_u32_e64 v12, s3, s13, v12, s3
	v_lshlrev_b64 v[25:26], 1, v[25:26]
	s_clause 0x3
	flat_load_u16 v32, v[5:6]
	flat_load_u16 v33, v[7:8]
	;; [unrolled: 1-line block ×4, first 2 shown]
	v_add_nc_u32_e32 v11, s14, v3
	v_lshlrev_b64 v[5:6], 1, v[27:28]
	v_ashrrev_i32_e32 v30, 31, v29
	v_add_co_u32 v7, s3, s6, v25
	s_delay_alu instid0(VALU_DEP_4) | instskip(SKIP_1) | instid1(VALU_DEP_4)
	v_ashrrev_i32_e32 v12, 31, v11
	v_add_co_ci_u32_e64 v8, s3, s7, v26, s3
	v_lshlrev_b64 v[25:26], 1, v[29:30]
	v_add_co_u32 v9, s3, s6, v5
	s_delay_alu instid0(VALU_DEP_1) | instskip(SKIP_1) | instid1(VALU_DEP_4)
	v_add_co_ci_u32_e64 v10, s3, s7, v6, s3
	v_lshlrev_b64 v[5:6], 1, v[11:12]
	v_add_co_u32 v11, s3, s6, v25
	s_delay_alu instid0(VALU_DEP_1) | instskip(NEXT) | instid1(VALU_DEP_3)
	v_add_co_ci_u32_e64 v12, s3, s7, v26, s3
	v_add_co_u32 v5, s3, s6, v5
	s_delay_alu instid0(VALU_DEP_1)
	v_add_co_ci_u32_e64 v6, s3, s7, v6, s3
	s_clause 0x3
	flat_load_u16 v31, v[7:8]
	flat_load_u16 v29, v[9:10]
	;; [unrolled: 1-line block ×4, first 2 shown]
	s_waitcnt vmcnt(7) lgkmcnt(7)
	v_lshlrev_b32_e32 v32, 16, v32
	s_waitcnt vmcnt(6) lgkmcnt(6)
	v_lshlrev_b32_e32 v30, 16, v33
	;; [unrolled: 2-line block ×4, first 2 shown]
	s_and_saveexec_b32 s3, s0
	s_cbranch_execz .LBB586_24
; %bb.28:                               ;   in Loop: Header=BB586_26 Depth=1
	s_clause 0x3
	flat_load_u16 v36, v[7:8] offset:128
	flat_load_u16 v35, v[9:10] offset:128
	flat_load_u16 v34, v[11:12] offset:128
	flat_load_u16 v33, v[5:6] offset:128
	s_and_saveexec_b32 s26, s1
	s_cbranch_execz .LBB586_23
; %bb.29:                               ;   in Loop: Header=BB586_26 Depth=1
	s_clause 0x3
	flat_load_u16 v40, v[7:8] offset:256
	flat_load_u16 v39, v[9:10] offset:256
	flat_load_u16 v38, v[11:12] offset:256
	flat_load_u16 v37, v[5:6] offset:256
	;; [unrolled: 8-line block ×3, first 2 shown]
	s_waitcnt vmcnt(0) lgkmcnt(0)
	v_lshlrev_b32_e32 v5, 16, v5
	v_lshlrev_b32_e32 v6, 16, v7
	;; [unrolled: 1-line block ×3, first 2 shown]
	s_delay_alu instid0(VALU_DEP_2) | instskip(NEXT) | instid1(VALU_DEP_1)
	v_dual_fmac_f32 v17, v32, v6 :: v_dual_lshlrev_b32 v6, 16, v9
	v_fmac_f32_e32 v17, v30, v7
	s_delay_alu instid0(VALU_DEP_1) | instskip(NEXT) | instid1(VALU_DEP_1)
	v_fmac_f32_e32 v17, v28, v6
	v_fmac_f32_e32 v17, v27, v5
	s_branch .LBB586_22
.LBB586_31:
	s_or_b32 exec_lo, exec_lo, s22
.LBB586_32:
	s_delay_alu instid0(SALU_CYCLE_1) | instskip(SKIP_1) | instid1(SALU_CYCLE_1)
	s_or_b32 exec_lo, exec_lo, s20
	s_sub_i32 s0, s5, s19
	s_cmp_lt_i32 s0, 1
	s_cbranch_scc1 .LBB586_50
; %bb.33:
	v_cmp_gt_i32_e32 vcc_lo, s5, v19
	v_dual_mov_b32 v10, 0 :: v_dual_mov_b32 v11, 0
	v_or_b32_e32 v2, 1, v19
	v_mov_b32_e32 v12, 0
	v_mov_b32_e32 v20, 0
	s_and_saveexec_b32 s1, vcc_lo
	s_cbranch_execz .LBB586_41
; %bb.34:
	s_waitcnt lgkmcnt(0)
	v_mul_lo_u32 v3, v19, s8
	v_dual_mov_b32 v12, 0 :: v_dual_mov_b32 v11, 0
	v_mov_b32_e32 v10, 0
	s_mov_b32 s2, exec_lo
	s_delay_alu instid0(VALU_DEP_3) | instskip(NEXT) | instid1(VALU_DEP_1)
	v_ashrrev_i32_e32 v4, 31, v3
	v_lshlrev_b64 v[3:4], 1, v[3:4]
	s_delay_alu instid0(VALU_DEP_1) | instskip(NEXT) | instid1(VALU_DEP_1)
	v_add_co_u32 v3, s0, s12, v3
	v_add_co_ci_u32_e64 v4, s0, s13, v4, s0
	flat_load_u16 v3, v[3:4]
	v_cmpx_gt_i32_e64 s5, v2
	s_cbranch_execz .LBB586_40
; %bb.35:
	v_mul_lo_u32 v4, v2, s8
	v_dual_mov_b32 v11, 0 :: v_dual_mov_b32 v10, 0
	s_mov_b32 s3, exec_lo
	s_delay_alu instid0(VALU_DEP_2) | instskip(NEXT) | instid1(VALU_DEP_1)
	v_ashrrev_i32_e32 v5, 31, v4
	v_lshlrev_b64 v[4:5], 1, v[4:5]
	s_delay_alu instid0(VALU_DEP_1) | instskip(NEXT) | instid1(VALU_DEP_1)
	v_add_co_u32 v4, s0, s12, v4
	v_add_co_ci_u32_e64 v5, s0, s13, v5, s0
	flat_load_u16 v4, v[4:5]
	v_or_b32_e32 v5, 2, v19
	s_delay_alu instid0(VALU_DEP_1)
	v_cmpx_gt_i32_e64 s5, v5
	s_cbranch_execz .LBB586_39
; %bb.36:
	v_mul_lo_u32 v5, v5, s8
	v_mov_b32_e32 v10, 0
	s_mov_b32 s19, exec_lo
	s_delay_alu instid0(VALU_DEP_2) | instskip(NEXT) | instid1(VALU_DEP_1)
	v_ashrrev_i32_e32 v6, 31, v5
	v_lshlrev_b64 v[5:6], 1, v[5:6]
	s_delay_alu instid0(VALU_DEP_1) | instskip(NEXT) | instid1(VALU_DEP_1)
	v_add_co_u32 v5, s0, s12, v5
	v_add_co_ci_u32_e64 v6, s0, s13, v6, s0
	flat_load_u16 v5, v[5:6]
	v_or_b32_e32 v6, 3, v19
	s_delay_alu instid0(VALU_DEP_1)
	v_cmpx_gt_i32_e64 s5, v6
	s_cbranch_execz .LBB586_38
; %bb.37:
	v_mul_lo_u32 v6, v6, s8
	s_delay_alu instid0(VALU_DEP_1) | instskip(NEXT) | instid1(VALU_DEP_1)
	v_ashrrev_i32_e32 v7, 31, v6
	v_lshlrev_b64 v[6:7], 1, v[6:7]
	s_delay_alu instid0(VALU_DEP_1) | instskip(NEXT) | instid1(VALU_DEP_1)
	v_add_co_u32 v6, s0, s12, v6
	v_add_co_ci_u32_e64 v7, s0, s13, v7, s0
	flat_load_u16 v6, v[6:7]
	s_waitcnt vmcnt(0) lgkmcnt(0)
	v_lshlrev_b32_e32 v10, 16, v6
.LBB586_38:
	s_or_b32 exec_lo, exec_lo, s19
	s_waitcnt vmcnt(0) lgkmcnt(0)
	v_lshlrev_b32_e32 v11, 16, v5
.LBB586_39:
	s_or_b32 exec_lo, exec_lo, s3
	s_waitcnt vmcnt(0) lgkmcnt(0)
	v_lshlrev_b32_e32 v12, 16, v4
.LBB586_40:
	s_or_b32 exec_lo, exec_lo, s2
	s_waitcnt vmcnt(0) lgkmcnt(0)
	v_lshlrev_b32_e32 v20, 16, v3
.LBB586_41:
	s_or_b32 exec_lo, exec_lo, s1
	s_delay_alu instid0(SALU_CYCLE_1)
	s_mov_b32 s1, exec_lo
	v_cmpx_gt_i32_e64 s4, v18
	s_cbranch_execz .LBB586_49
; %bb.42:
	s_waitcnt lgkmcnt(0)
	v_mul_lo_u32 v3, v19, s18
	v_mul_lo_u32 v4, v2, s18
	v_or_b32_e32 v5, 2, v19
	v_or_b32_e32 v6, 3, v19
	s_mov_b32 s0, exec_lo
	s_delay_alu instid0(VALU_DEP_2)
	v_mul_lo_u32 v7, v5, s18
	v_cndmask_b32_e32 v3, 0, v3, vcc_lo
	v_cmp_gt_i32_e32 vcc_lo, s5, v2
	v_mul_lo_u32 v8, v6, s18
	v_cndmask_b32_e32 v4, 0, v4, vcc_lo
	v_cmp_gt_i32_e32 vcc_lo, s5, v5
	v_add_nc_u32_e32 v2, v3, v18
	s_delay_alu instid0(VALU_DEP_3) | instskip(NEXT) | instid1(VALU_DEP_2)
	v_dual_cndmask_b32 v7, 0, v7 :: v_dual_add_nc_u32 v4, v4, v18
	v_ashrrev_i32_e32 v3, 31, v2
	v_cmp_gt_i32_e32 vcc_lo, s5, v6
	s_delay_alu instid0(VALU_DEP_3) | instskip(NEXT) | instid1(VALU_DEP_4)
	v_ashrrev_i32_e32 v5, 31, v4
	v_add_nc_u32_e32 v6, v7, v18
	s_delay_alu instid0(VALU_DEP_4) | instskip(SKIP_1) | instid1(VALU_DEP_4)
	v_lshlrev_b64 v[2:3], 1, v[2:3]
	v_cndmask_b32_e32 v8, 0, v8, vcc_lo
	v_lshlrev_b64 v[21:22], 1, v[4:5]
	s_delay_alu instid0(VALU_DEP_4) | instskip(NEXT) | instid1(VALU_DEP_4)
	v_ashrrev_i32_e32 v7, 31, v6
	v_add_co_u32 v4, vcc_lo, s6, v2
	v_add_co_ci_u32_e32 v5, vcc_lo, s7, v3, vcc_lo
	s_delay_alu instid0(VALU_DEP_4)
	v_add_co_u32 v2, vcc_lo, s6, v21
	v_add_co_ci_u32_e32 v3, vcc_lo, s7, v22, vcc_lo
	s_clause 0x1
	flat_load_u16 v19, v[4:5]
	flat_load_u16 v23, v[2:3]
	v_lshlrev_b64 v[6:7], 1, v[6:7]
	s_waitcnt vmcnt(1) lgkmcnt(1)
	v_lshlrev_b32_e32 v19, 16, v19
	v_add_nc_u32_e32 v8, v8, v18
	s_delay_alu instid0(VALU_DEP_1) | instskip(NEXT) | instid1(VALU_DEP_1)
	v_ashrrev_i32_e32 v9, 31, v8
	v_lshlrev_b64 v[21:22], 1, v[8:9]
	v_add_co_u32 v8, vcc_lo, s6, v6
	v_add_co_ci_u32_e32 v9, vcc_lo, s7, v7, vcc_lo
	s_delay_alu instid0(VALU_DEP_3) | instskip(NEXT) | instid1(VALU_DEP_4)
	v_add_co_u32 v6, vcc_lo, s6, v21
	v_add_co_ci_u32_e32 v7, vcc_lo, s7, v22, vcc_lo
	s_clause 0x1
	flat_load_u16 v21, v[8:9]
	flat_load_u16 v22, v[6:7]
	s_waitcnt vmcnt(1) lgkmcnt(1)
	v_dual_fmac_f32 v14, v20, v19 :: v_dual_lshlrev_b32 v21, 16, v21
	v_lshlrev_b32_e32 v23, 16, v23
	s_waitcnt vmcnt(0) lgkmcnt(0)
	s_delay_alu instid0(VALU_DEP_1) | instskip(NEXT) | instid1(VALU_DEP_1)
	v_dual_fmac_f32 v14, v12, v23 :: v_dual_lshlrev_b32 v19, 16, v22
	v_dual_fmac_f32 v14, v11, v21 :: v_dual_add_nc_u32 v23, 64, v18
	s_delay_alu instid0(VALU_DEP_1)
	v_cmpx_gt_i32_e64 s4, v23
	s_cbranch_execz .LBB586_48
; %bb.43:
	s_clause 0x3
	flat_load_u16 v21, v[4:5] offset:128
	flat_load_u16 v22, v[2:3] offset:128
	;; [unrolled: 1-line block ×4, first 2 shown]
	s_mov_b32 s2, exec_lo
	s_waitcnt vmcnt(3) lgkmcnt(3)
	v_lshlrev_b32_e32 v21, 16, v21
	s_waitcnt vmcnt(2) lgkmcnt(2)
	v_lshlrev_b32_e32 v22, 16, v22
	;; [unrolled: 2-line block ×3, first 2 shown]
	v_fmac_f32_e32 v15, v20, v21
	s_waitcnt vmcnt(0) lgkmcnt(0)
	v_lshlrev_b32_e32 v21, 16, v24
	s_delay_alu instid0(VALU_DEP_2) | instskip(NEXT) | instid1(VALU_DEP_1)
	v_fmac_f32_e32 v15, v12, v22
	v_dual_fmac_f32 v15, v11, v23 :: v_dual_add_nc_u32 v22, 0x80, v18
	s_delay_alu instid0(VALU_DEP_1)
	v_cmpx_gt_i32_e64 s4, v22
	s_cbranch_execz .LBB586_47
; %bb.44:
	s_clause 0x3
	flat_load_u16 v22, v[4:5] offset:256
	flat_load_u16 v23, v[2:3] offset:256
	;; [unrolled: 1-line block ×4, first 2 shown]
	s_mov_b32 s3, exec_lo
	s_waitcnt vmcnt(3) lgkmcnt(3)
	v_lshlrev_b32_e32 v22, 16, v22
	s_waitcnt vmcnt(2) lgkmcnt(2)
	s_delay_alu instid0(VALU_DEP_1) | instskip(SKIP_2) | instid1(VALU_DEP_2)
	v_dual_fmac_f32 v16, v20, v22 :: v_dual_lshlrev_b32 v23, 16, v23
	s_waitcnt vmcnt(1) lgkmcnt(1)
	v_lshlrev_b32_e32 v22, 16, v24
	v_dual_fmac_f32 v16, v12, v23 :: v_dual_add_nc_u32 v23, 0xc0, v18
	s_waitcnt vmcnt(0) lgkmcnt(0)
	v_lshlrev_b32_e32 v18, 16, v25
	s_delay_alu instid0(VALU_DEP_2) | instskip(NEXT) | instid1(VALU_DEP_3)
	v_fmac_f32_e32 v16, v11, v22
	v_cmpx_gt_i32_e64 s4, v23
	s_cbranch_execz .LBB586_46
; %bb.45:
	s_clause 0x3
	flat_load_u16 v4, v[4:5] offset:384
	flat_load_u16 v2, v[2:3] offset:384
	;; [unrolled: 1-line block ×4, first 2 shown]
	s_waitcnt vmcnt(2) lgkmcnt(2)
	v_lshlrev_b32_e32 v2, 16, v2
	v_lshlrev_b32_e32 v4, 16, v4
	s_waitcnt vmcnt(1) lgkmcnt(1)
	v_lshlrev_b32_e32 v3, 16, v3
	s_delay_alu instid0(VALU_DEP_2) | instskip(SKIP_1) | instid1(VALU_DEP_1)
	v_fmac_f32_e32 v17, v20, v4
	s_waitcnt vmcnt(0) lgkmcnt(0)
	v_dual_fmac_f32 v17, v12, v2 :: v_dual_lshlrev_b32 v2, 16, v5
	s_delay_alu instid0(VALU_DEP_1) | instskip(NEXT) | instid1(VALU_DEP_1)
	v_fmac_f32_e32 v17, v11, v3
	v_fmac_f32_e32 v17, v10, v2
.LBB586_46:
	s_or_b32 exec_lo, exec_lo, s3
	s_delay_alu instid0(VALU_DEP_2)
	v_fmac_f32_e32 v16, v10, v18
.LBB586_47:
	s_or_b32 exec_lo, exec_lo, s2
	s_delay_alu instid0(VALU_DEP_2)
	v_fmac_f32_e32 v15, v10, v21
.LBB586_48:
	s_or_b32 exec_lo, exec_lo, s0
	s_delay_alu instid0(VALU_DEP_2)
	v_fmac_f32_e32 v14, v10, v19
.LBB586_49:
	s_or_b32 exec_lo, exec_lo, s1
.LBB586_50:
	v_lshlrev_b32_e32 v2, 8, v13
	s_mov_b32 s0, exec_lo
                                        ; implicit-def: $vgpr5
	s_delay_alu instid0(VALU_DEP_1)
	v_add_lshl_u32 v1, v2, v1, 2
                                        ; implicit-def: $vgpr2_vgpr3
	ds_store_2addr_stride64_b32 v1, v14, v15 offset1:1
	ds_store_2addr_stride64_b32 v1, v16, v17 offset0:2 offset1:3
	s_waitcnt lgkmcnt(0)
	s_barrier
	buffer_gl0_inv
	v_cmpx_gt_u32_e32 0x100, v0
	s_cbranch_execz .LBB586_71
; %bb.51:
	v_lshlrev_b32_e32 v3, 2, v0
	s_mov_b32 s2, s11
	s_mov_b32 s1, exec_lo
	ds_load_2addr_stride64_b32 v[1:2], v3 offset1:4
	ds_load_2addr_stride64_b32 v[4:5], v3 offset0:8 offset1:12
	s_waitcnt lgkmcnt(1)
	v_add_f32_e32 v1, v1, v2
	s_waitcnt lgkmcnt(0)
	s_delay_alu instid0(VALU_DEP_1) | instskip(SKIP_1) | instid1(VALU_DEP_2)
	v_add_f32_e32 v1, v4, v1
	v_or_b32_e32 v4, s14, v0
	v_add_f32_e32 v0, v5, v1
                                        ; implicit-def: $vgpr5
	ds_store_b32 v3, v0
                                        ; implicit-def: $vgpr2_vgpr3
	v_cmpx_gt_i32_e64 s4, v4
	s_cbranch_execz .LBB586_70
; %bb.52:
	v_cmp_eq_f32_e64 s2, s15, 0
	v_mul_f32_e32 v0, s16, v0
	s_delay_alu instid0(VALU_DEP_2)
	s_and_b32 vcc_lo, exec_lo, s2
	s_cbranch_vccz .LBB586_58
; %bb.53:
	s_delay_alu instid0(VALU_DEP_1) | instskip(NEXT) | instid1(VALU_DEP_1)
	v_and_b32_e32 v1, 0x7f800000, v0
	v_cmp_ne_u32_e32 vcc_lo, 0x7f800000, v1
                                        ; implicit-def: $vgpr1
	s_and_saveexec_b32 s2, vcc_lo
	s_delay_alu instid0(SALU_CYCLE_1)
	s_xor_b32 s2, exec_lo, s2
; %bb.54:
	v_bfe_u32 v1, v0, 16, 1
	s_delay_alu instid0(VALU_DEP_1)
	v_add3_u32 v1, v0, v1, 0x7fff
; %bb.55:
	s_and_not1_saveexec_b32 s2, s2
; %bb.56:
	v_and_b32_e32 v1, 0xffff, v0
	v_or_b32_e32 v2, 0x10000, v0
	s_delay_alu instid0(VALU_DEP_2) | instskip(NEXT) | instid1(VALU_DEP_2)
	v_cmp_eq_u32_e32 vcc_lo, 0, v1
	v_cndmask_b32_e32 v1, v2, v0, vcc_lo
; %bb.57:
	s_or_b32 exec_lo, exec_lo, s2
	s_mov_b32 s2, 0
	s_branch .LBB586_59
.LBB586_58:
	s_mov_b32 s2, -1
                                        ; implicit-def: $vgpr1
.LBB586_59:
	v_mul_lo_u32 v2, v4, s17
	s_and_not1_b32 vcc_lo, exec_lo, s2
	s_delay_alu instid0(VALU_DEP_1)
	v_ashrrev_i32_e32 v3, 31, v2
	s_cbranch_vccnz .LBB586_69
; %bb.60:
	s_delay_alu instid0(VALU_DEP_1) | instskip(NEXT) | instid1(VALU_DEP_1)
	v_lshlrev_b64 v[4:5], 1, v[2:3]
	v_add_co_u32 v4, vcc_lo, s9, v4
	s_delay_alu instid0(VALU_DEP_2) | instskip(SKIP_3) | instid1(VALU_DEP_1)
	v_add_co_ci_u32_e32 v5, vcc_lo, s10, v5, vcc_lo
	global_load_u16 v1, v[4:5], off
	s_waitcnt vmcnt(0)
	v_lshlrev_b32_e32 v1, 16, v1
	v_mul_f32_e32 v1, s15, v1
	s_delay_alu instid0(VALU_DEP_1) | instskip(NEXT) | instid1(VALU_DEP_1)
	v_and_b32_e32 v4, 0x7f800000, v1
	v_cmp_ne_u32_e32 vcc_lo, 0x7f800000, v4
                                        ; implicit-def: $vgpr4
	s_and_saveexec_b32 s2, vcc_lo
	s_delay_alu instid0(SALU_CYCLE_1)
	s_xor_b32 s2, exec_lo, s2
; %bb.61:
	v_bfe_u32 v4, v1, 16, 1
	s_delay_alu instid0(VALU_DEP_1)
	v_add3_u32 v4, v1, v4, 0x7fff
                                        ; implicit-def: $vgpr1
; %bb.62:
	s_and_not1_saveexec_b32 s2, s2
; %bb.63:
	v_and_b32_e32 v4, 0xffff, v1
	v_or_b32_e32 v5, 0x10000, v1
	s_delay_alu instid0(VALU_DEP_2) | instskip(NEXT) | instid1(VALU_DEP_2)
	v_cmp_eq_u32_e32 vcc_lo, 0, v4
	v_cndmask_b32_e32 v4, v5, v1, vcc_lo
; %bb.64:
	s_or_b32 exec_lo, exec_lo, s2
	s_delay_alu instid0(VALU_DEP_1) | instskip(NEXT) | instid1(VALU_DEP_1)
	v_and_b32_e32 v1, 0xffff0000, v4
	v_add_f32_e32 v0, v0, v1
	s_delay_alu instid0(VALU_DEP_1) | instskip(NEXT) | instid1(VALU_DEP_1)
	v_and_b32_e32 v1, 0x7f800000, v0
	v_cmp_ne_u32_e32 vcc_lo, 0x7f800000, v1
                                        ; implicit-def: $vgpr1
	s_and_saveexec_b32 s2, vcc_lo
	s_delay_alu instid0(SALU_CYCLE_1)
	s_xor_b32 s2, exec_lo, s2
; %bb.65:
	v_bfe_u32 v1, v0, 16, 1
	s_delay_alu instid0(VALU_DEP_1)
	v_add3_u32 v1, v0, v1, 0x7fff
                                        ; implicit-def: $vgpr0
; %bb.66:
	s_and_not1_saveexec_b32 s2, s2
; %bb.67:
	v_and_b32_e32 v1, 0xffff, v0
	v_or_b32_e32 v4, 0x10000, v0
	s_delay_alu instid0(VALU_DEP_2) | instskip(NEXT) | instid1(VALU_DEP_2)
	v_cmp_eq_u32_e32 vcc_lo, 0, v1
	v_cndmask_b32_e32 v1, v4, v0, vcc_lo
; %bb.68:
	s_or_b32 exec_lo, exec_lo, s2
.LBB586_69:
	s_delay_alu instid0(VALU_DEP_1)
	v_lshrrev_b32_e32 v5, 16, v1
	s_or_b32 s2, s11, exec_lo
.LBB586_70:
	s_or_b32 exec_lo, exec_lo, s1
	s_delay_alu instid0(SALU_CYCLE_1) | instskip(SKIP_1) | instid1(SALU_CYCLE_1)
	s_and_not1_b32 s1, s11, exec_lo
	s_and_b32 s2, s2, exec_lo
	s_or_b32 s11, s1, s2
.LBB586_71:
	s_or_b32 exec_lo, exec_lo, s0
.LBB586_72:
	s_and_saveexec_b32 s0, s11
	s_cbranch_execz .LBB586_74
; %bb.73:
	v_lshlrev_b64 v[0:1], 1, v[2:3]
	s_delay_alu instid0(VALU_DEP_1) | instskip(NEXT) | instid1(VALU_DEP_2)
	v_add_co_u32 v0, vcc_lo, s9, v0
	v_add_co_ci_u32_e32 v1, vcc_lo, s10, v1, vcc_lo
	global_store_b16 v[0:1], v5, off
.LBB586_74:
	s_nop 0
	s_sendmsg sendmsg(MSG_DEALLOC_VGPRS)
	s_endpgm
	.section	.rodata,"a",@progbits
	.p2align	6, 0x0
	.amdhsa_kernel _ZL20rocblas_gemvn_kernelILi64ELi4EiPK16rocblas_bfloat16PKfKPS0_EviiT3_lPKT2_lT1_lSA_lSB_lS7_lPT4_lSB_li
		.amdhsa_group_segment_fixed_size 4096
		.amdhsa_private_segment_fixed_size 0
		.amdhsa_kernarg_size 400
		.amdhsa_user_sgpr_count 14
		.amdhsa_user_sgpr_dispatch_ptr 0
		.amdhsa_user_sgpr_queue_ptr 0
		.amdhsa_user_sgpr_kernarg_segment_ptr 1
		.amdhsa_user_sgpr_dispatch_id 0
		.amdhsa_user_sgpr_private_segment_size 0
		.amdhsa_wavefront_size32 1
		.amdhsa_uses_dynamic_stack 0
		.amdhsa_enable_private_segment 0
		.amdhsa_system_sgpr_workgroup_id_x 1
		.amdhsa_system_sgpr_workgroup_id_y 0
		.amdhsa_system_sgpr_workgroup_id_z 1
		.amdhsa_system_sgpr_workgroup_info 0
		.amdhsa_system_vgpr_workitem_id 1
		.amdhsa_next_free_vgpr 41
		.amdhsa_next_free_sgpr 28
		.amdhsa_reserve_vcc 1
		.amdhsa_float_round_mode_32 0
		.amdhsa_float_round_mode_16_64 0
		.amdhsa_float_denorm_mode_32 3
		.amdhsa_float_denorm_mode_16_64 3
		.amdhsa_dx10_clamp 1
		.amdhsa_ieee_mode 1
		.amdhsa_fp16_overflow 0
		.amdhsa_workgroup_processor_mode 1
		.amdhsa_memory_ordered 1
		.amdhsa_forward_progress 0
		.amdhsa_shared_vgpr_count 0
		.amdhsa_exception_fp_ieee_invalid_op 0
		.amdhsa_exception_fp_denorm_src 0
		.amdhsa_exception_fp_ieee_div_zero 0
		.amdhsa_exception_fp_ieee_overflow 0
		.amdhsa_exception_fp_ieee_underflow 0
		.amdhsa_exception_fp_ieee_inexact 0
		.amdhsa_exception_int_div_zero 0
	.end_amdhsa_kernel
	.section	.text._ZL20rocblas_gemvn_kernelILi64ELi4EiPK16rocblas_bfloat16PKfKPS0_EviiT3_lPKT2_lT1_lSA_lSB_lS7_lPT4_lSB_li,"axG",@progbits,_ZL20rocblas_gemvn_kernelILi64ELi4EiPK16rocblas_bfloat16PKfKPS0_EviiT3_lPKT2_lT1_lSA_lSB_lS7_lPT4_lSB_li,comdat
.Lfunc_end586:
	.size	_ZL20rocblas_gemvn_kernelILi64ELi4EiPK16rocblas_bfloat16PKfKPS0_EviiT3_lPKT2_lT1_lSA_lSB_lS7_lPT4_lSB_li, .Lfunc_end586-_ZL20rocblas_gemvn_kernelILi64ELi4EiPK16rocblas_bfloat16PKfKPS0_EviiT3_lPKT2_lT1_lSA_lSB_lS7_lPT4_lSB_li
                                        ; -- End function
	.section	.AMDGPU.csdata,"",@progbits
; Kernel info:
; codeLenInByte = 3532
; NumSgprs: 30
; NumVgprs: 41
; ScratchSize: 0
; MemoryBound: 0
; FloatMode: 240
; IeeeMode: 1
; LDSByteSize: 4096 bytes/workgroup (compile time only)
; SGPRBlocks: 3
; VGPRBlocks: 5
; NumSGPRsForWavesPerEU: 30
; NumVGPRsForWavesPerEU: 41
; Occupancy: 16
; WaveLimiterHint : 1
; COMPUTE_PGM_RSRC2:SCRATCH_EN: 0
; COMPUTE_PGM_RSRC2:USER_SGPR: 14
; COMPUTE_PGM_RSRC2:TRAP_HANDLER: 0
; COMPUTE_PGM_RSRC2:TGID_X_EN: 1
; COMPUTE_PGM_RSRC2:TGID_Y_EN: 0
; COMPUTE_PGM_RSRC2:TGID_Z_EN: 1
; COMPUTE_PGM_RSRC2:TIDIG_COMP_CNT: 1
	.section	.text._ZL20rocblas_gemvn_kernelILi64ELi4ElPK16rocblas_bfloat16PKfKPS0_EviiT3_lPKT2_lT1_lSA_lSB_lS7_lPT4_lSB_li,"axG",@progbits,_ZL20rocblas_gemvn_kernelILi64ELi4ElPK16rocblas_bfloat16PKfKPS0_EviiT3_lPKT2_lT1_lSA_lSB_lS7_lPT4_lSB_li,comdat
	.globl	_ZL20rocblas_gemvn_kernelILi64ELi4ElPK16rocblas_bfloat16PKfKPS0_EviiT3_lPKT2_lT1_lSA_lSB_lS7_lPT4_lSB_li ; -- Begin function _ZL20rocblas_gemvn_kernelILi64ELi4ElPK16rocblas_bfloat16PKfKPS0_EviiT3_lPKT2_lT1_lSA_lSB_lS7_lPT4_lSB_li
	.p2align	8
	.type	_ZL20rocblas_gemvn_kernelILi64ELi4ElPK16rocblas_bfloat16PKfKPS0_EviiT3_lPKT2_lT1_lSA_lSB_lS7_lPT4_lSB_li,@function
_ZL20rocblas_gemvn_kernelILi64ELi4ElPK16rocblas_bfloat16PKfKPS0_EviiT3_lPKT2_lT1_lSA_lSB_lS7_lPT4_lSB_li: ; @_ZL20rocblas_gemvn_kernelILi64ELi4ElPK16rocblas_bfloat16PKfKPS0_EviiT3_lPKT2_lT1_lSA_lSB_lS7_lPT4_lSB_li
; %bb.0:
	s_load_b64 s[4:5], s[0:1], 0x9c
	s_waitcnt lgkmcnt(0)
	s_lshr_b32 s3, s4, 16
	s_and_b32 s4, s4, 0xffff
	s_and_b32 s5, s5, 0xffff
	s_mul_i32 s3, s3, s4
	s_delay_alu instid0(SALU_CYCLE_1) | instskip(NEXT) | instid1(SALU_CYCLE_1)
	s_mul_i32 s3, s3, s5
	s_cmpk_lg_i32 s3, 0x100
	s_cbranch_scc1 .LBB587_74
; %bb.1:
	s_clause 0x1
	s_load_b256 s[16:23], s[0:1], 0x8
	s_load_b256 s[4:11], s[0:1], 0x58
	s_mov_b32 s2, s15
	s_waitcnt lgkmcnt(0)
	s_mul_i32 s3, s15, s19
	s_mul_hi_u32 s13, s15, s18
	s_mul_i32 s12, s15, s18
	s_add_i32 s13, s13, s3
	s_mul_i32 s3, s15, s7
	s_lshl_b64 s[12:13], s[12:13], 2
	s_mul_hi_u32 s7, s15, s6
	s_add_u32 s12, s16, s12
	s_addc_u32 s13, s17, s13
	s_add_i32 s7, s7, s3
	s_mul_i32 s6, s15, s6
	s_delay_alu instid0(SALU_CYCLE_1) | instskip(NEXT) | instid1(SALU_CYCLE_1)
	s_lshl_b64 s[6:7], s[6:7], 2
	s_add_u32 s4, s4, s6
	s_addc_u32 s5, s5, s7
	s_load_b32 s27, s[12:13], 0x0
	s_load_b32 s26, s[4:5], 0x0
	s_waitcnt lgkmcnt(0)
	v_cmp_eq_f32_e64 s15, s27, 0
	v_cmp_eq_f32_e64 s3, s26, 1.0
	s_delay_alu instid0(VALU_DEP_1) | instskip(NEXT) | instid1(SALU_CYCLE_1)
	s_and_b32 s3, s15, s3
	s_and_b32 vcc_lo, exec_lo, s3
	s_mov_b32 s3, 0
	s_cbranch_vccnz .LBB587_74
; %bb.2:
	s_clause 0x1
	s_load_b64 s[16:17], s[0:1], 0x28
	s_load_b64 s[12:13], s[0:1], 0x78
	v_cmp_neq_f32_e64 s28, s27, 0
	s_mov_b64 s[24:25], 0
	s_and_b32 vcc_lo, exec_lo, s15
	s_mov_b64 s[18:19], 0
	s_cbranch_vccnz .LBB587_4
; %bb.3:
	s_lshl_b64 s[4:5], s[2:3], 3
	s_delay_alu instid0(SALU_CYCLE_1)
	s_add_u32 s4, s20, s4
	s_addc_u32 s5, s21, s5
	s_lshl_b64 s[6:7], s[22:23], 1
	s_load_b64 s[4:5], s[4:5], 0x0
	s_waitcnt lgkmcnt(0)
	s_add_u32 s18, s4, s6
	s_addc_u32 s19, s5, s7
.LBB587_4:
	s_clause 0x1
	s_load_b128 s[4:7], s[0:1], 0x38
	s_load_b64 s[20:21], s[0:1], 0x48
	s_and_not1_b32 vcc_lo, exec_lo, s28
	s_cbranch_vccnz .LBB587_6
; %bb.5:
	s_lshl_b64 s[22:23], s[2:3], 3
	s_waitcnt lgkmcnt(0)
	s_add_u32 s4, s4, s22
	s_addc_u32 s5, s5, s23
	s_lshl_b64 s[6:7], s[6:7], 1
	s_load_b64 s[4:5], s[4:5], 0x0
	s_waitcnt lgkmcnt(0)
	s_add_u32 s24, s4, s6
	s_addc_u32 s25, s5, s7
.LBB587_6:
	s_lshl_b64 s[2:3], s[2:3], 3
	v_and_b32_e32 v20, 0x3ff, v0
	s_add_u32 s2, s8, s2
	s_addc_u32 s3, s9, s3
	v_bfe_u32 v21, v0, 10, 10
	s_load_b64 s[2:3], s[2:3], 0x0
	s_waitcnt lgkmcnt(0)
	s_load_b64 s[6:7], s[0:1], 0x0
	s_lshl_b64 s[8:9], s[10:11], 1
	v_lshl_add_u32 v19, v21, 6, v20
	s_delay_alu instid0(VALU_DEP_1)
	v_cmp_gt_u32_e64 s0, 0x100, v19
	s_add_u32 s5, s2, s8
	s_addc_u32 s22, s3, s9
	s_and_not1_b32 vcc_lo, exec_lo, s15
	s_cbranch_vccnz .LBB587_15
; %bb.7:
	s_mov_b32 s1, 0
	s_mov_b32 s23, 0
                                        ; implicit-def: $vgpr3
                                        ; implicit-def: $vgpr0_vgpr1
	s_and_saveexec_b32 s2, s0
	s_cbranch_execz .LBB587_16
; %bb.8:
	v_lshl_or_b32 v2, s14, 8, v19
	v_mov_b32_e32 v3, 0
	s_waitcnt lgkmcnt(0)
	s_ashr_i32 s9, s6, 31
	s_mov_b32 s8, s6
	s_mov_b32 s3, 0
                                        ; implicit-def: $vgpr0_vgpr1
	v_cmp_gt_i64_e32 vcc_lo, s[8:9], v[2:3]
                                        ; implicit-def: $vgpr3
	s_and_saveexec_b32 s0, vcc_lo
	s_cbranch_execz .LBB587_19
; %bb.9:
	v_mad_u64_u32 v[0:1], null, v2, s12, 0
	v_cmp_eq_f32_e64 s3, s26, 0
	s_delay_alu instid0(VALU_DEP_1) | instskip(NEXT) | instid1(VALU_DEP_2)
	s_and_b32 vcc_lo, exec_lo, s3
	v_mad_u64_u32 v[3:4], null, v2, s13, v[1:2]
	s_delay_alu instid0(VALU_DEP_1)
	v_mov_b32_e32 v1, v3
	s_cbranch_vccnz .LBB587_17
; %bb.10:
	s_delay_alu instid0(VALU_DEP_1) | instskip(NEXT) | instid1(VALU_DEP_1)
	v_lshlrev_b64 v[2:3], 1, v[0:1]
	v_add_co_u32 v2, vcc_lo, s5, v2
	s_delay_alu instid0(VALU_DEP_2) | instskip(SKIP_3) | instid1(VALU_DEP_1)
	v_add_co_ci_u32_e32 v3, vcc_lo, s22, v3, vcc_lo
	global_load_u16 v2, v[2:3], off
	s_waitcnt vmcnt(0)
	v_lshlrev_b32_e32 v2, 16, v2
	v_mul_f32_e32 v2, s26, v2
	s_delay_alu instid0(VALU_DEP_1) | instskip(NEXT) | instid1(VALU_DEP_1)
	v_and_b32_e32 v3, 0x7f800000, v2
	v_cmp_ne_u32_e32 vcc_lo, 0x7f800000, v3
                                        ; implicit-def: $vgpr3
	s_and_saveexec_b32 s3, vcc_lo
	s_delay_alu instid0(SALU_CYCLE_1)
	s_xor_b32 s3, exec_lo, s3
; %bb.11:
	v_bfe_u32 v3, v2, 16, 1
	s_delay_alu instid0(VALU_DEP_1)
	v_add3_u32 v3, v2, v3, 0x7fff
                                        ; implicit-def: $vgpr2
; %bb.12:
	s_and_not1_saveexec_b32 s3, s3
; %bb.13:
	v_and_b32_e32 v3, 0xffff, v2
	v_or_b32_e32 v4, 0x10000, v2
	s_delay_alu instid0(VALU_DEP_2) | instskip(NEXT) | instid1(VALU_DEP_2)
	v_cmp_eq_u32_e32 vcc_lo, 0, v3
	v_cndmask_b32_e32 v3, v4, v2, vcc_lo
; %bb.14:
	s_or_b32 exec_lo, exec_lo, s3
	s_delay_alu instid0(VALU_DEP_1)
	v_lshrrev_b32_e32 v3, 16, v3
	s_branch .LBB587_18
.LBB587_15:
	s_mov_b32 s23, 0
                                        ; implicit-def: $vgpr3
                                        ; implicit-def: $vgpr0_vgpr1
	s_cbranch_execnz .LBB587_20
	s_branch .LBB587_72
.LBB587_16:
	s_or_b32 exec_lo, exec_lo, s2
	s_delay_alu instid0(SALU_CYCLE_1)
	s_and_b32 vcc_lo, exec_lo, s1
	s_cbranch_vccnz .LBB587_20
	s_branch .LBB587_72
.LBB587_17:
	v_mov_b32_e32 v3, 0
.LBB587_18:
	s_mov_b32 s3, exec_lo
.LBB587_19:
	s_or_b32 exec_lo, exec_lo, s0
	s_delay_alu instid0(SALU_CYCLE_1) | instskip(SKIP_1) | instid1(SALU_CYCLE_1)
	s_and_b32 s23, s3, exec_lo
	s_or_b32 exec_lo, exec_lo, s2
	s_and_b32 vcc_lo, exec_lo, s1
	s_cbranch_vccz .LBB587_72
.LBB587_20:
	s_waitcnt lgkmcnt(0)
	s_ashr_i32 s0, s7, 31
	s_lshl_b32 s28, s14, 8
	s_lshr_b32 s0, s0, 28
	v_dual_mov_b32 v23, 0 :: v_dual_lshlrev_b32 v26, 2, v21
	v_dual_mov_b32 v22, 0 :: v_dual_mov_b32 v25, 0
	v_add_nc_u32_e32 v0, s28, v20
	v_mov_b32_e32 v24, 0
	s_add_i32 s0, s7, s0
	s_mov_b32 s30, exec_lo
	s_and_b32 s29, s0, -16
	s_delay_alu instid0(SALU_CYCLE_1)
	v_cmpx_gt_i32_e64 s29, v26
	s_cbranch_execz .LBB587_32
; %bb.21:
	v_lshlrev_b32_e32 v29, 2, v21
	v_mad_u64_u32 v[5:6], null, s20, v21, 0
	v_add_nc_u32_e32 v2, 64, v0
	v_mad_u64_u32 v[7:8], null, s16, v21, 0
	s_delay_alu instid0(VALU_DEP_4) | instskip(SKIP_1) | instid1(VALU_DEP_4)
	v_or_b32_e32 v25, 3, v29
	v_add_nc_u32_e32 v9, 0x80, v0
	v_cmp_gt_i32_e64 s0, s6, v2
	v_ashrrev_i32_e32 v1, 31, v0
	v_cmp_gt_i32_e32 vcc_lo, s6, v0
	v_mad_u64_u32 v[3:4], null, s16, v25, 0
	v_mad_u64_u32 v[16:17], null, s20, v25, 0
	v_add_nc_u32_e32 v10, 0xc0, v0
	s_lshl_b64 s[8:9], s[16:17], 5
	s_lshl_b64 s[10:11], s[20:21], 5
	s_mov_b32 s31, 0
	s_delay_alu instid0(VALU_DEP_3)
	v_mov_b32_e32 v2, v4
	v_mov_b32_e32 v4, v6
	v_cmp_gt_i32_e64 s1, s6, v9
	v_cmp_gt_i32_e64 s2, s6, v10
	v_mov_b32_e32 v6, v8
	v_mad_u64_u32 v[9:10], null, s17, v25, v[2:3]
	v_or_b32_e32 v31, 2, v29
	v_mad_u64_u32 v[10:11], null, s21, v21, v[4:5]
	s_delay_alu instid0(VALU_DEP_4) | instskip(SKIP_1) | instid1(VALU_DEP_4)
	v_mad_u64_u32 v[11:12], null, s17, v21, v[6:7]
	v_mad_u64_u32 v[12:13], null, s20, v29, s[20:21]
	;; [unrolled: 1-line block ×3, first 2 shown]
	v_mov_b32_e32 v4, v9
	v_mov_b32_e32 v6, v10
	v_lshlrev_b64 v[1:2], 1, v[0:1]
	s_mov_b64 s[14:15], s[24:25]
	s_delay_alu instid0(VALU_DEP_3) | instskip(NEXT) | instid1(VALU_DEP_3)
	v_lshlrev_b64 v[9:10], 1, v[3:4]
	v_lshlrev_b64 v[3:4], 3, v[5:6]
	v_dual_mov_b32 v5, v15 :: v_dual_mov_b32 v6, v13
	s_delay_alu instid0(VALU_DEP_3) | instskip(NEXT) | instid1(VALU_DEP_2)
	v_add_co_u32 v27, s3, s18, v9
	v_mad_u64_u32 v[22:23], null, s17, v31, v[5:6]
	v_mov_b32_e32 v5, v17
	v_add_co_ci_u32_e64 v28, s3, s19, v10, s3
	v_mad_u64_u32 v[9:10], null, s16, v29, s[16:17]
	s_delay_alu instid0(VALU_DEP_3) | instskip(SKIP_2) | instid1(VALU_DEP_4)
	v_mad_u64_u32 v[23:24], null, s21, v25, v[5:6]
	v_mad_u64_u32 v[24:25], null, s20, v31, 0
	v_dual_mov_b32 v8, v11 :: v_dual_mov_b32 v15, v22
	v_mov_b32_e32 v5, v10
	s_delay_alu instid0(VALU_DEP_2) | instskip(NEXT) | instid1(VALU_DEP_2)
	v_lshlrev_b64 v[14:15], 1, v[14:15]
	v_mad_u64_u32 v[10:11], null, s17, v29, v[5:6]
	v_mov_b32_e32 v5, v25
	v_lshlrev_b64 v[7:8], 3, v[7:8]
	s_delay_alu instid0(VALU_DEP_3) | instskip(NEXT) | instid1(VALU_DEP_2)
	v_lshlrev_b64 v[9:10], 1, v[9:10]
	v_mad_u64_u32 v[17:18], null, s21, v29, v[6:7]
	v_add_co_u32 v29, s3, s18, v7
	s_delay_alu instid0(VALU_DEP_1) | instskip(NEXT) | instid1(VALU_DEP_3)
	v_add_co_ci_u32_e64 v30, s3, s19, v8, s3
	v_mov_b32_e32 v13, v17
	v_mov_b32_e32 v17, v23
	v_mad_u64_u32 v[22:23], null, s21, v31, v[5:6]
	v_add_co_u32 v31, s3, s18, v14
	s_delay_alu instid0(VALU_DEP_1) | instskip(SKIP_1) | instid1(VALU_DEP_4)
	v_add_co_ci_u32_e64 v32, s3, s19, v15, s3
	v_add_co_u32 v33, s3, s18, v9
	v_dual_mov_b32 v25, v22 :: v_dual_mov_b32 v22, 0
	v_lshlrev_b64 v[5:6], 1, v[12:13]
	v_lshlrev_b64 v[7:8], 1, v[16:17]
	v_add_co_ci_u32_e64 v34, s3, s19, v10, s3
	s_delay_alu instid0(VALU_DEP_4)
	v_lshlrev_b64 v[9:10], 1, v[24:25]
	v_dual_mov_b32 v23, 0 :: v_dual_mov_b32 v24, 0
	v_mov_b32_e32 v25, 0
	s_branch .LBB587_26
.LBB587_22:                             ;   in Loop: Header=BB587_26 Depth=1
	s_or_b32 exec_lo, exec_lo, s34
	s_waitcnt vmcnt(2) lgkmcnt(2)
	v_lshlrev_b32_e32 v12, 16, v49
	v_lshlrev_b32_e32 v11, 16, v50
	s_waitcnt vmcnt(1) lgkmcnt(1)
	s_delay_alu instid0(VALU_DEP_1) | instskip(NEXT) | instid1(VALU_DEP_1)
	v_dual_fmac_f32 v24, v42, v11 :: v_dual_lshlrev_b32 v11, 16, v48
	v_fmac_f32_e32 v24, v40, v12
	s_delay_alu instid0(VALU_DEP_1) | instskip(SKIP_2) | instid1(VALU_DEP_1)
	v_fmac_f32_e32 v24, v38, v11
	s_waitcnt vmcnt(0) lgkmcnt(0)
	v_lshlrev_b32_e32 v11, 16, v47
	v_fmac_f32_e32 v24, v37, v11
.LBB587_23:                             ;   in Loop: Header=BB587_26 Depth=1
	s_or_b32 exec_lo, exec_lo, s33
	s_waitcnt vmcnt(3) lgkmcnt(3)
	v_lshlrev_b32_e32 v11, 16, v46
	s_waitcnt vmcnt(2) lgkmcnt(2)
	s_delay_alu instid0(VALU_DEP_1) | instskip(SKIP_2) | instid1(VALU_DEP_2)
	v_dual_fmac_f32 v23, v42, v11 :: v_dual_lshlrev_b32 v12, 16, v45
	s_waitcnt vmcnt(1) lgkmcnt(1)
	v_lshlrev_b32_e32 v11, 16, v44
	v_fmac_f32_e32 v23, v40, v12
	s_delay_alu instid0(VALU_DEP_1) | instskip(SKIP_2) | instid1(VALU_DEP_1)
	v_fmac_f32_e32 v23, v38, v11
	s_waitcnt vmcnt(0) lgkmcnt(0)
	v_lshlrev_b32_e32 v11, 16, v43
	v_fmac_f32_e32 v23, v37, v11
.LBB587_24:                             ;   in Loop: Header=BB587_26 Depth=1
	s_or_b32 exec_lo, exec_lo, s3
	s_waitcnt vmcnt(2) lgkmcnt(2)
	v_lshlrev_b32_e32 v12, 16, v39
	v_lshlrev_b32_e32 v11, 16, v41
	s_waitcnt vmcnt(1) lgkmcnt(1)
	s_delay_alu instid0(VALU_DEP_1) | instskip(NEXT) | instid1(VALU_DEP_1)
	v_dual_fmac_f32 v22, v42, v11 :: v_dual_lshlrev_b32 v11, 16, v36
	v_fmac_f32_e32 v22, v40, v12
	s_delay_alu instid0(VALU_DEP_1) | instskip(SKIP_2) | instid1(VALU_DEP_1)
	v_fmac_f32_e32 v22, v38, v11
	s_waitcnt vmcnt(0) lgkmcnt(0)
	v_lshlrev_b32_e32 v11, 16, v35
	v_fmac_f32_e32 v22, v37, v11
.LBB587_25:                             ;   in Loop: Header=BB587_26 Depth=1
	s_or_b32 exec_lo, exec_lo, s4
	v_add_co_u32 v27, s3, v27, s8
	s_delay_alu instid0(VALU_DEP_1) | instskip(SKIP_4) | instid1(VALU_DEP_1)
	v_add_co_ci_u32_e64 v28, s3, s9, v28, s3
	v_add_co_u32 v29, s3, v29, s8
	v_add_nc_u32_e32 v26, 16, v26
	v_add_co_ci_u32_e64 v30, s3, s9, v30, s3
	v_add_co_u32 v31, s3, v31, s8
	v_add_co_ci_u32_e64 v32, s3, s9, v32, s3
	s_delay_alu instid0(VALU_DEP_4) | instskip(SKIP_1) | instid1(VALU_DEP_1)
	v_cmp_le_i32_e64 s3, s29, v26
	v_add_co_u32 v33, s4, v33, s8
	v_add_co_ci_u32_e64 v34, s4, s9, v34, s4
	s_add_u32 s14, s14, s10
	s_addc_u32 s15, s15, s11
	s_or_b32 s31, s3, s31
	s_delay_alu instid0(SALU_CYCLE_1)
	s_and_not1_b32 exec_lo, exec_lo, s31
	s_cbranch_execz .LBB587_31
.LBB587_26:                             ; =>This Inner Loop Header: Depth=1
	s_and_saveexec_b32 s4, vcc_lo
	s_cbranch_execz .LBB587_25
; %bb.27:                               ;   in Loop: Header=BB587_26 Depth=1
	v_add_co_u32 v11, s3, s14, v3
	s_delay_alu instid0(VALU_DEP_1) | instskip(SKIP_1) | instid1(VALU_DEP_1)
	v_add_co_ci_u32_e64 v12, s3, s15, v4, s3
	v_add_co_u32 v13, s3, s14, v5
	v_add_co_ci_u32_e64 v14, s3, s15, v6, s3
	v_add_co_u32 v15, s3, s14, v9
	s_delay_alu instid0(VALU_DEP_1) | instskip(SKIP_1) | instid1(VALU_DEP_1)
	v_add_co_ci_u32_e64 v16, s3, s15, v10, s3
	v_add_co_u32 v17, s3, s14, v7
	v_add_co_ci_u32_e64 v18, s3, s15, v8, s3
	s_clause 0x3
	flat_load_u16 v37, v[11:12]
	flat_load_u16 v38, v[13:14]
	;; [unrolled: 1-line block ×4, first 2 shown]
	v_add_co_u32 v11, s3, v29, v1
	s_delay_alu instid0(VALU_DEP_1) | instskip(SKIP_1) | instid1(VALU_DEP_1)
	v_add_co_ci_u32_e64 v12, s3, v30, v2, s3
	v_add_co_u32 v13, s3, v33, v1
	v_add_co_ci_u32_e64 v14, s3, v34, v2, s3
	v_add_co_u32 v15, s3, v31, v1
	s_delay_alu instid0(VALU_DEP_1) | instskip(SKIP_1) | instid1(VALU_DEP_1)
	v_add_co_ci_u32_e64 v16, s3, v32, v2, s3
	v_add_co_u32 v17, s3, v27, v1
	v_add_co_ci_u32_e64 v18, s3, v28, v2, s3
	flat_load_u16 v41, v[11:12]
	flat_load_u16 v39, v[13:14]
	;; [unrolled: 1-line block ×4, first 2 shown]
	s_waitcnt vmcnt(7) lgkmcnt(7)
	v_lshlrev_b32_e32 v42, 16, v37
	s_waitcnt vmcnt(6) lgkmcnt(6)
	v_lshlrev_b32_e32 v40, 16, v38
	s_waitcnt vmcnt(5) lgkmcnt(5)
	v_lshlrev_b32_e32 v38, 16, v43
	s_waitcnt vmcnt(4) lgkmcnt(4)
	v_lshlrev_b32_e32 v37, 16, v44
	s_and_saveexec_b32 s3, s0
	s_cbranch_execz .LBB587_24
; %bb.28:                               ;   in Loop: Header=BB587_26 Depth=1
	flat_load_u16 v46, v[11:12] offset:128
	flat_load_u16 v45, v[13:14] offset:128
	flat_load_u16 v44, v[15:16] offset:128
	flat_load_u16 v43, v[17:18] offset:128
	s_and_saveexec_b32 s33, s1
	s_cbranch_execz .LBB587_23
; %bb.29:                               ;   in Loop: Header=BB587_26 Depth=1
	flat_load_u16 v50, v[11:12] offset:256
	flat_load_u16 v49, v[13:14] offset:256
	flat_load_u16 v48, v[15:16] offset:256
	flat_load_u16 v47, v[17:18] offset:256
	;; [unrolled: 7-line block ×3, first 2 shown]
	s_waitcnt vmcnt(3) lgkmcnt(3)
	v_lshlrev_b32_e32 v11, 16, v11
	s_waitcnt vmcnt(2) lgkmcnt(2)
	s_delay_alu instid0(VALU_DEP_1) | instskip(SKIP_2) | instid1(VALU_DEP_2)
	v_dual_fmac_f32 v25, v42, v11 :: v_dual_lshlrev_b32 v12, 16, v12
	s_waitcnt vmcnt(1) lgkmcnt(1)
	v_lshlrev_b32_e32 v11, 16, v13
	v_fmac_f32_e32 v25, v40, v12
	s_delay_alu instid0(VALU_DEP_1) | instskip(SKIP_2) | instid1(VALU_DEP_1)
	v_fmac_f32_e32 v25, v38, v11
	s_waitcnt vmcnt(0) lgkmcnt(0)
	v_lshlrev_b32_e32 v11, 16, v14
	v_fmac_f32_e32 v25, v37, v11
	s_branch .LBB587_22
.LBB587_31:
	s_or_b32 exec_lo, exec_lo, s31
.LBB587_32:
	s_delay_alu instid0(SALU_CYCLE_1) | instskip(SKIP_1) | instid1(SALU_CYCLE_1)
	s_or_b32 exec_lo, exec_lo, s30
	s_sub_i32 s0, s7, s29
	s_cmp_lt_i32 s0, 1
	s_cbranch_scc1 .LBB587_50
; %bb.33:
	v_cmp_gt_i32_e32 vcc_lo, s7, v26
	v_dual_mov_b32 v9, 0 :: v_dual_mov_b32 v10, 0
	v_or_b32_e32 v2, 1, v26
	v_dual_mov_b32 v11, 0 :: v_dual_mov_b32 v12, 0
	s_and_saveexec_b32 s1, vcc_lo
	s_cbranch_execz .LBB587_41
; %bb.34:
	v_mad_u64_u32 v[3:4], null, v26, s20, 0
	v_mov_b32_e32 v11, 0
	v_mov_b32_e32 v9, 0
	s_mov_b32 s2, exec_lo
	s_delay_alu instid0(VALU_DEP_3) | instskip(NEXT) | instid1(VALU_DEP_1)
	v_dual_mov_b32 v10, 0 :: v_dual_mov_b32 v1, v4
	v_mad_u64_u32 v[4:5], null, v26, s21, v[1:2]
	s_delay_alu instid0(VALU_DEP_1) | instskip(NEXT) | instid1(VALU_DEP_1)
	v_lshlrev_b64 v[3:4], 1, v[3:4]
	v_add_co_u32 v3, s0, s24, v3
	s_delay_alu instid0(VALU_DEP_1)
	v_add_co_ci_u32_e64 v4, s0, s25, v4, s0
	flat_load_u16 v1, v[3:4]
	v_cmpx_gt_i32_e64 s7, v2
	s_cbranch_execz .LBB587_40
; %bb.35:
	v_mad_u64_u32 v[3:4], null, v2, s20, 0
	v_mov_b32_e32 v10, 0
	s_mov_b32 s3, exec_lo
	v_mov_b32_e32 v9, 0
	s_delay_alu instid0(VALU_DEP_3) | instskip(NEXT) | instid1(VALU_DEP_1)
	v_mad_u64_u32 v[5:6], null, v2, s21, v[4:5]
	v_mov_b32_e32 v4, v5
	s_delay_alu instid0(VALU_DEP_1) | instskip(NEXT) | instid1(VALU_DEP_1)
	v_lshlrev_b64 v[3:4], 1, v[3:4]
	v_add_co_u32 v3, s0, s24, v3
	s_delay_alu instid0(VALU_DEP_1) | instskip(SKIP_2) | instid1(VALU_DEP_1)
	v_add_co_ci_u32_e64 v4, s0, s25, v4, s0
	flat_load_u16 v3, v[3:4]
	v_or_b32_e32 v4, 2, v26
	v_cmpx_gt_i32_e64 s7, v4
	s_cbranch_execz .LBB587_39
; %bb.36:
	v_mad_u64_u32 v[5:6], null, v4, s20, 0
	s_mov_b32 s4, exec_lo
	v_mov_b32_e32 v9, 0
	s_delay_alu instid0(VALU_DEP_2) | instskip(NEXT) | instid1(VALU_DEP_1)
	v_mad_u64_u32 v[7:8], null, v4, s21, v[6:7]
	v_mov_b32_e32 v6, v7
	s_delay_alu instid0(VALU_DEP_1) | instskip(NEXT) | instid1(VALU_DEP_1)
	v_lshlrev_b64 v[4:5], 1, v[5:6]
	v_add_co_u32 v4, s0, s24, v4
	s_delay_alu instid0(VALU_DEP_1) | instskip(SKIP_2) | instid1(VALU_DEP_1)
	v_add_co_ci_u32_e64 v5, s0, s25, v5, s0
	flat_load_u16 v4, v[4:5]
	v_or_b32_e32 v5, 3, v26
	v_cmpx_gt_i32_e64 s7, v5
	s_cbranch_execz .LBB587_38
; %bb.37:
	v_mad_u64_u32 v[6:7], null, v5, s20, 0
	s_delay_alu instid0(VALU_DEP_1) | instskip(NEXT) | instid1(VALU_DEP_1)
	v_mad_u64_u32 v[8:9], null, v5, s21, v[7:8]
	v_mov_b32_e32 v7, v8
	s_delay_alu instid0(VALU_DEP_1) | instskip(NEXT) | instid1(VALU_DEP_1)
	v_lshlrev_b64 v[5:6], 1, v[6:7]
	v_add_co_u32 v5, s0, s24, v5
	s_delay_alu instid0(VALU_DEP_1)
	v_add_co_ci_u32_e64 v6, s0, s25, v6, s0
	flat_load_u16 v5, v[5:6]
	s_waitcnt vmcnt(0) lgkmcnt(0)
	v_lshlrev_b32_e32 v9, 16, v5
.LBB587_38:
	s_or_b32 exec_lo, exec_lo, s4
	s_waitcnt vmcnt(0) lgkmcnt(0)
	v_lshlrev_b32_e32 v10, 16, v4
.LBB587_39:
	s_or_b32 exec_lo, exec_lo, s3
	s_waitcnt vmcnt(0) lgkmcnt(0)
	v_lshlrev_b32_e32 v11, 16, v3
.LBB587_40:
	s_or_b32 exec_lo, exec_lo, s2
	s_waitcnt vmcnt(0) lgkmcnt(0)
	v_lshlrev_b32_e32 v12, 16, v1
.LBB587_41:
	s_or_b32 exec_lo, exec_lo, s1
	s_delay_alu instid0(SALU_CYCLE_1)
	s_mov_b32 s1, exec_lo
	v_cmpx_gt_i32_e64 s6, v0
	s_cbranch_execz .LBB587_49
; %bb.42:
	v_mad_u64_u32 v[3:4], null, v26, s16, 0
	v_mad_u64_u32 v[5:6], null, v2, s16, 0
	v_ashrrev_i32_e32 v1, 31, v0
	v_or_b32_e32 v28, 2, v26
	v_or_b32_e32 v29, 3, v26
	v_cndmask_b32_e32 v3, 0, v3, vcc_lo
	s_delay_alu instid0(VALU_DEP_4)
	v_lshlrev_b64 v[13:14], 1, v[0:1]
	v_mad_u64_u32 v[7:8], null, v26, s17, v[4:5]
	v_mov_b32_e32 v1, v6
	v_mad_u64_u32 v[15:16], null, v28, s16, 0
	v_mad_u64_u32 v[17:18], null, v29, s16, 0
	v_cmp_gt_i32_e64 s0, s7, v28
	v_cndmask_b32_e32 v4, 0, v7, vcc_lo
	v_mad_u64_u32 v[6:7], null, v2, s17, v[1:2]
	v_cmp_gt_i32_e32 vcc_lo, s7, v2
	v_mov_b32_e32 v1, v16
	v_dual_mov_b32 v7, v18 :: v_dual_cndmask_b32 v2, 0, v5
	v_lshlrev_b64 v[4:5], 1, v[3:4]
	v_cndmask_b32_e32 v3, 0, v6, vcc_lo
	s_delay_alu instid0(VALU_DEP_3) | instskip(NEXT) | instid1(VALU_DEP_3)
	v_mad_u64_u32 v[26:27], null, v28, s17, v[1:2]
	v_add_co_u32 v1, vcc_lo, s18, v4
	s_delay_alu instid0(VALU_DEP_4) | instskip(NEXT) | instid1(VALU_DEP_4)
	v_add_co_ci_u32_e32 v5, vcc_lo, s19, v5, vcc_lo
	v_lshlrev_b64 v[3:4], 1, v[2:3]
	s_delay_alu instid0(VALU_DEP_3) | instskip(NEXT) | instid1(VALU_DEP_3)
	v_add_co_u32 v1, vcc_lo, v1, v13
	v_add_co_ci_u32_e32 v2, vcc_lo, v5, v14, vcc_lo
	v_cndmask_b32_e64 v5, 0, v15, s0
	s_delay_alu instid0(VALU_DEP_4) | instskip(SKIP_3) | instid1(VALU_DEP_4)
	v_add_co_u32 v3, vcc_lo, s18, v3
	v_add_co_ci_u32_e32 v4, vcc_lo, s19, v4, vcc_lo
	v_mad_u64_u32 v[15:16], null, v29, s17, v[7:8]
	v_cndmask_b32_e64 v6, 0, v26, s0
	v_add_co_u32 v3, s0, v3, v13
	v_cmp_gt_i32_e32 vcc_lo, s7, v29
	v_add_co_ci_u32_e64 v4, s0, v4, v14, s0
	s_delay_alu instid0(VALU_DEP_4)
	v_lshlrev_b64 v[5:6], 1, v[5:6]
	s_mov_b32 s0, exec_lo
	v_cndmask_b32_e32 v8, 0, v15, vcc_lo
	s_clause 0x1
	flat_load_u16 v15, v[1:2]
	flat_load_u16 v16, v[3:4]
	s_waitcnt vmcnt(1) lgkmcnt(1)
	v_lshlrev_b32_e32 v15, 16, v15
	s_waitcnt vmcnt(0) lgkmcnt(0)
	v_lshlrev_b32_e32 v16, 16, v16
	s_delay_alu instid0(VALU_DEP_2) | instskip(SKIP_2) | instid1(VALU_DEP_3)
	v_dual_fmac_f32 v22, v12, v15 :: v_dual_cndmask_b32 v7, 0, v17
	v_add_co_u32 v5, vcc_lo, s18, v5
	v_add_co_ci_u32_e32 v6, vcc_lo, s19, v6, vcc_lo
	v_fmac_f32_e32 v22, v11, v16
	s_delay_alu instid0(VALU_DEP_4) | instskip(SKIP_1) | instid1(VALU_DEP_2)
	v_lshlrev_b64 v[7:8], 1, v[7:8]
	v_add_nc_u32_e32 v16, 64, v0
	v_add_co_u32 v17, vcc_lo, s18, v7
	s_delay_alu instid0(VALU_DEP_3) | instskip(SKIP_2) | instid1(VALU_DEP_4)
	v_add_co_ci_u32_e32 v18, vcc_lo, s19, v8, vcc_lo
	v_add_co_u32 v7, vcc_lo, v5, v13
	v_add_co_ci_u32_e32 v8, vcc_lo, v6, v14, vcc_lo
	v_add_co_u32 v5, vcc_lo, v17, v13
	s_delay_alu instid0(VALU_DEP_4)
	v_add_co_ci_u32_e32 v6, vcc_lo, v18, v14, vcc_lo
	s_clause 0x1
	flat_load_u16 v13, v[7:8]
	flat_load_u16 v14, v[5:6]
	s_waitcnt vmcnt(1) lgkmcnt(1)
	v_lshlrev_b32_e32 v15, 16, v13
	s_waitcnt vmcnt(0) lgkmcnt(0)
	s_delay_alu instid0(VALU_DEP_1)
	v_dual_fmac_f32 v22, v10, v15 :: v_dual_lshlrev_b32 v13, 16, v14
	v_cmpx_gt_i32_e64 s6, v16
	s_cbranch_execz .LBB587_48
; %bb.43:
	s_clause 0x3
	flat_load_u16 v14, v[1:2] offset:128
	flat_load_u16 v15, v[3:4] offset:128
	;; [unrolled: 1-line block ×4, first 2 shown]
	s_mov_b32 s2, exec_lo
	s_waitcnt vmcnt(2) lgkmcnt(2)
	v_lshlrev_b32_e32 v15, 16, v15
	v_lshlrev_b32_e32 v14, 16, v14
	s_waitcnt vmcnt(1) lgkmcnt(1)
	s_delay_alu instid0(VALU_DEP_1) | instskip(NEXT) | instid1(VALU_DEP_1)
	v_dual_fmac_f32 v23, v12, v14 :: v_dual_lshlrev_b32 v16, 16, v16
	v_fmac_f32_e32 v23, v11, v15
	v_add_nc_u32_e32 v15, 0x80, v0
	s_waitcnt vmcnt(0) lgkmcnt(0)
	s_delay_alu instid0(VALU_DEP_2) | instskip(NEXT) | instid1(VALU_DEP_2)
	v_dual_fmac_f32 v23, v10, v16 :: v_dual_lshlrev_b32 v14, 16, v17
	v_cmpx_gt_i32_e64 s6, v15
	s_cbranch_execz .LBB587_47
; %bb.44:
	s_clause 0x3
	flat_load_u16 v15, v[1:2] offset:256
	flat_load_u16 v16, v[3:4] offset:256
	;; [unrolled: 1-line block ×4, first 2 shown]
	s_mov_b32 s3, exec_lo
	s_waitcnt vmcnt(2) lgkmcnt(2)
	v_lshlrev_b32_e32 v16, 16, v16
	v_lshlrev_b32_e32 v15, 16, v15
	s_waitcnt vmcnt(1) lgkmcnt(1)
	s_delay_alu instid0(VALU_DEP_1) | instskip(NEXT) | instid1(VALU_DEP_1)
	v_dual_fmac_f32 v24, v12, v15 :: v_dual_lshlrev_b32 v15, 16, v17
	v_fmac_f32_e32 v24, v11, v16
	v_add_nc_u32_e32 v16, 0xc0, v0
	s_waitcnt vmcnt(0) lgkmcnt(0)
	v_lshlrev_b32_e32 v0, 16, v18
	s_delay_alu instid0(VALU_DEP_3) | instskip(NEXT) | instid1(VALU_DEP_3)
	v_fmac_f32_e32 v24, v10, v15
	v_cmpx_gt_i32_e64 s6, v16
	s_cbranch_execz .LBB587_46
; %bb.45:
	s_clause 0x3
	flat_load_u16 v1, v[1:2] offset:384
	flat_load_u16 v2, v[3:4] offset:384
	;; [unrolled: 1-line block ×4, first 2 shown]
	s_waitcnt vmcnt(3) lgkmcnt(3)
	v_lshlrev_b32_e32 v1, 16, v1
	s_waitcnt vmcnt(2) lgkmcnt(2)
	s_delay_alu instid0(VALU_DEP_1) | instskip(SKIP_2) | instid1(VALU_DEP_2)
	v_dual_fmac_f32 v25, v12, v1 :: v_dual_lshlrev_b32 v2, 16, v2
	s_waitcnt vmcnt(1) lgkmcnt(1)
	v_lshlrev_b32_e32 v1, 16, v3
	v_fmac_f32_e32 v25, v11, v2
	s_delay_alu instid0(VALU_DEP_1) | instskip(SKIP_2) | instid1(VALU_DEP_1)
	v_fmac_f32_e32 v25, v10, v1
	s_waitcnt vmcnt(0) lgkmcnt(0)
	v_lshlrev_b32_e32 v1, 16, v4
	v_fmac_f32_e32 v25, v9, v1
.LBB587_46:
	s_or_b32 exec_lo, exec_lo, s3
	s_delay_alu instid0(VALU_DEP_2)
	v_fmac_f32_e32 v24, v9, v0
.LBB587_47:
	s_or_b32 exec_lo, exec_lo, s2
	s_delay_alu instid0(VALU_DEP_2)
	v_fmac_f32_e32 v23, v9, v14
.LBB587_48:
	s_or_b32 exec_lo, exec_lo, s0
	s_delay_alu instid0(VALU_DEP_2)
	v_fmac_f32_e32 v22, v9, v13
.LBB587_49:
	s_or_b32 exec_lo, exec_lo, s1
.LBB587_50:
	v_lshlrev_b32_e32 v0, 8, v21
	s_mov_b32 s0, exec_lo
                                        ; implicit-def: $vgpr3
	s_delay_alu instid0(VALU_DEP_1)
	v_add_lshl_u32 v0, v0, v20, 2
	ds_store_2addr_stride64_b32 v0, v22, v23 offset1:1
	ds_store_2addr_stride64_b32 v0, v24, v25 offset0:2 offset1:3
	s_waitcnt lgkmcnt(0)
	s_barrier
	buffer_gl0_inv
                                        ; implicit-def: $vgpr0_vgpr1
	v_cmpx_gt_u32_e32 0x100, v19
	s_cbranch_execz .LBB587_71
; %bb.51:
	v_lshlrev_b32_e32 v5, 2, v19
	s_mov_b32 s2, s23
	s_mov_b32 s1, exec_lo
	ds_load_2addr_stride64_b32 v[0:1], v5 offset1:4
	ds_load_2addr_stride64_b32 v[2:3], v5 offset0:8 offset1:12
	s_waitcnt lgkmcnt(1)
	v_add_f32_e32 v0, v0, v1
	s_waitcnt lgkmcnt(0)
	s_delay_alu instid0(VALU_DEP_1) | instskip(SKIP_1) | instid1(VALU_DEP_2)
	v_add_f32_e32 v0, v2, v0
	v_or_b32_e32 v2, s28, v19
	v_add_f32_e32 v4, v3, v0
                                        ; implicit-def: $vgpr3
                                        ; implicit-def: $vgpr0_vgpr1
	ds_store_b32 v5, v4
	v_cmpx_gt_i32_e64 s6, v2
	s_cbranch_execz .LBB587_70
; %bb.52:
	v_cmp_eq_f32_e64 s2, s26, 0
	v_mul_f32_e32 v0, s27, v4
	s_delay_alu instid0(VALU_DEP_2)
	s_and_b32 vcc_lo, exec_lo, s2
	s_cbranch_vccz .LBB587_58
; %bb.53:
	s_delay_alu instid0(VALU_DEP_1) | instskip(SKIP_1) | instid1(VALU_DEP_1)
	v_and_b32_e32 v1, 0x7f800000, v0
	s_mov_b32 s2, exec_lo
                                        ; implicit-def: $vgpr3
	v_cmpx_ne_u32_e32 0x7f800000, v1
	s_xor_b32 s2, exec_lo, s2
; %bb.54:
	v_bfe_u32 v1, v0, 16, 1
	s_delay_alu instid0(VALU_DEP_1)
	v_add3_u32 v3, v0, v1, 0x7fff
; %bb.55:
	s_and_not1_saveexec_b32 s2, s2
; %bb.56:
	v_and_b32_e32 v1, 0xffff, v0
	v_or_b32_e32 v3, 0x10000, v0
	s_delay_alu instid0(VALU_DEP_2) | instskip(NEXT) | instid1(VALU_DEP_2)
	v_cmp_eq_u32_e32 vcc_lo, 0, v1
	v_cndmask_b32_e32 v3, v3, v0, vcc_lo
; %bb.57:
	s_or_b32 exec_lo, exec_lo, s2
	s_mov_b32 s2, 0
	s_branch .LBB587_59
.LBB587_58:
	s_mov_b32 s2, -1
                                        ; implicit-def: $vgpr3
.LBB587_59:
	v_ashrrev_i32_e32 v1, 31, v2
	v_mul_lo_u32 v4, v2, s13
	s_and_not1_b32 vcc_lo, exec_lo, s2
	s_delay_alu instid0(VALU_DEP_2)
	v_mul_lo_u32 v5, v1, s12
	s_cbranch_vccnz .LBB587_69
; %bb.60:
	v_mad_u64_u32 v[6:7], null, v2, s12, 0
	s_delay_alu instid0(VALU_DEP_1) | instskip(NEXT) | instid1(VALU_DEP_1)
	v_add3_u32 v7, v7, v4, v5
	v_lshlrev_b64 v[6:7], 1, v[6:7]
	s_delay_alu instid0(VALU_DEP_1) | instskip(NEXT) | instid1(VALU_DEP_2)
	v_add_co_u32 v6, vcc_lo, s5, v6
	v_add_co_ci_u32_e32 v7, vcc_lo, s22, v7, vcc_lo
	global_load_u16 v1, v[6:7], off
	s_waitcnt vmcnt(0)
	v_lshlrev_b32_e32 v1, 16, v1
	s_delay_alu instid0(VALU_DEP_1) | instskip(NEXT) | instid1(VALU_DEP_1)
	v_mul_f32_e32 v1, s26, v1
	v_and_b32_e32 v3, 0x7f800000, v1
	s_delay_alu instid0(VALU_DEP_1) | instskip(SKIP_1) | instid1(SALU_CYCLE_1)
	v_cmp_ne_u32_e32 vcc_lo, 0x7f800000, v3
                                        ; implicit-def: $vgpr3
	s_and_saveexec_b32 s2, vcc_lo
	s_xor_b32 s2, exec_lo, s2
; %bb.61:
	v_bfe_u32 v3, v1, 16, 1
	s_delay_alu instid0(VALU_DEP_1)
	v_add3_u32 v3, v1, v3, 0x7fff
                                        ; implicit-def: $vgpr1
; %bb.62:
	s_and_not1_saveexec_b32 s2, s2
; %bb.63:
	v_and_b32_e32 v3, 0xffff, v1
	v_or_b32_e32 v6, 0x10000, v1
	s_delay_alu instid0(VALU_DEP_2) | instskip(NEXT) | instid1(VALU_DEP_2)
	v_cmp_eq_u32_e32 vcc_lo, 0, v3
	v_cndmask_b32_e32 v3, v6, v1, vcc_lo
; %bb.64:
	s_or_b32 exec_lo, exec_lo, s2
	s_delay_alu instid0(VALU_DEP_1) | instskip(SKIP_1) | instid1(VALU_DEP_1)
	v_and_b32_e32 v1, 0xffff0000, v3
	s_mov_b32 s2, exec_lo
                                        ; implicit-def: $vgpr3
	v_add_f32_e32 v0, v0, v1
	s_delay_alu instid0(VALU_DEP_1) | instskip(NEXT) | instid1(VALU_DEP_1)
	v_and_b32_e32 v1, 0x7f800000, v0
	v_cmpx_ne_u32_e32 0x7f800000, v1
	s_xor_b32 s2, exec_lo, s2
; %bb.65:
	v_bfe_u32 v1, v0, 16, 1
	s_delay_alu instid0(VALU_DEP_1)
	v_add3_u32 v3, v0, v1, 0x7fff
                                        ; implicit-def: $vgpr0
; %bb.66:
	s_and_not1_saveexec_b32 s2, s2
; %bb.67:
	v_and_b32_e32 v1, 0xffff, v0
	v_or_b32_e32 v3, 0x10000, v0
	s_delay_alu instid0(VALU_DEP_2) | instskip(NEXT) | instid1(VALU_DEP_2)
	v_cmp_eq_u32_e32 vcc_lo, 0, v1
	v_cndmask_b32_e32 v3, v3, v0, vcc_lo
; %bb.68:
	s_or_b32 exec_lo, exec_lo, s2
.LBB587_69:
	v_mad_u64_u32 v[0:1], null, v2, s12, 0
	s_delay_alu instid0(VALU_DEP_2) | instskip(SKIP_1) | instid1(VALU_DEP_2)
	v_lshrrev_b32_e32 v3, 16, v3
	s_or_b32 s2, s23, exec_lo
	v_add3_u32 v1, v1, v4, v5
.LBB587_70:
	s_or_b32 exec_lo, exec_lo, s1
	s_delay_alu instid0(SALU_CYCLE_1) | instskip(SKIP_1) | instid1(SALU_CYCLE_1)
	s_and_not1_b32 s1, s23, exec_lo
	s_and_b32 s2, s2, exec_lo
	s_or_b32 s23, s1, s2
.LBB587_71:
	s_or_b32 exec_lo, exec_lo, s0
.LBB587_72:
	s_and_saveexec_b32 s0, s23
	s_cbranch_execz .LBB587_74
; %bb.73:
	v_lshlrev_b64 v[0:1], 1, v[0:1]
	s_delay_alu instid0(VALU_DEP_1) | instskip(NEXT) | instid1(VALU_DEP_2)
	v_add_co_u32 v0, vcc_lo, s5, v0
	v_add_co_ci_u32_e32 v1, vcc_lo, s22, v1, vcc_lo
	global_store_b16 v[0:1], v3, off
.LBB587_74:
	s_nop 0
	s_sendmsg sendmsg(MSG_DEALLOC_VGPRS)
	s_endpgm
	.section	.rodata,"a",@progbits
	.p2align	6, 0x0
	.amdhsa_kernel _ZL20rocblas_gemvn_kernelILi64ELi4ElPK16rocblas_bfloat16PKfKPS0_EviiT3_lPKT2_lT1_lSA_lSB_lS7_lPT4_lSB_li
		.amdhsa_group_segment_fixed_size 4096
		.amdhsa_private_segment_fixed_size 0
		.amdhsa_kernarg_size 400
		.amdhsa_user_sgpr_count 14
		.amdhsa_user_sgpr_dispatch_ptr 0
		.amdhsa_user_sgpr_queue_ptr 0
		.amdhsa_user_sgpr_kernarg_segment_ptr 1
		.amdhsa_user_sgpr_dispatch_id 0
		.amdhsa_user_sgpr_private_segment_size 0
		.amdhsa_wavefront_size32 1
		.amdhsa_uses_dynamic_stack 0
		.amdhsa_enable_private_segment 0
		.amdhsa_system_sgpr_workgroup_id_x 1
		.amdhsa_system_sgpr_workgroup_id_y 0
		.amdhsa_system_sgpr_workgroup_id_z 1
		.amdhsa_system_sgpr_workgroup_info 0
		.amdhsa_system_vgpr_workitem_id 1
		.amdhsa_next_free_vgpr 51
		.amdhsa_next_free_sgpr 35
		.amdhsa_reserve_vcc 1
		.amdhsa_float_round_mode_32 0
		.amdhsa_float_round_mode_16_64 0
		.amdhsa_float_denorm_mode_32 3
		.amdhsa_float_denorm_mode_16_64 3
		.amdhsa_dx10_clamp 1
		.amdhsa_ieee_mode 1
		.amdhsa_fp16_overflow 0
		.amdhsa_workgroup_processor_mode 1
		.amdhsa_memory_ordered 1
		.amdhsa_forward_progress 0
		.amdhsa_shared_vgpr_count 0
		.amdhsa_exception_fp_ieee_invalid_op 0
		.amdhsa_exception_fp_denorm_src 0
		.amdhsa_exception_fp_ieee_div_zero 0
		.amdhsa_exception_fp_ieee_overflow 0
		.amdhsa_exception_fp_ieee_underflow 0
		.amdhsa_exception_fp_ieee_inexact 0
		.amdhsa_exception_int_div_zero 0
	.end_amdhsa_kernel
	.section	.text._ZL20rocblas_gemvn_kernelILi64ELi4ElPK16rocblas_bfloat16PKfKPS0_EviiT3_lPKT2_lT1_lSA_lSB_lS7_lPT4_lSB_li,"axG",@progbits,_ZL20rocblas_gemvn_kernelILi64ELi4ElPK16rocblas_bfloat16PKfKPS0_EviiT3_lPKT2_lT1_lSA_lSB_lS7_lPT4_lSB_li,comdat
.Lfunc_end587:
	.size	_ZL20rocblas_gemvn_kernelILi64ELi4ElPK16rocblas_bfloat16PKfKPS0_EviiT3_lPKT2_lT1_lSA_lSB_lS7_lPT4_lSB_li, .Lfunc_end587-_ZL20rocblas_gemvn_kernelILi64ELi4ElPK16rocblas_bfloat16PKfKPS0_EviiT3_lPKT2_lT1_lSA_lSB_lS7_lPT4_lSB_li
                                        ; -- End function
	.section	.AMDGPU.csdata,"",@progbits
; Kernel info:
; codeLenInByte = 3908
; NumSgprs: 37
; NumVgprs: 51
; ScratchSize: 0
; MemoryBound: 0
; FloatMode: 240
; IeeeMode: 1
; LDSByteSize: 4096 bytes/workgroup (compile time only)
; SGPRBlocks: 4
; VGPRBlocks: 6
; NumSGPRsForWavesPerEU: 37
; NumVGPRsForWavesPerEU: 51
; Occupancy: 16
; WaveLimiterHint : 1
; COMPUTE_PGM_RSRC2:SCRATCH_EN: 0
; COMPUTE_PGM_RSRC2:USER_SGPR: 14
; COMPUTE_PGM_RSRC2:TRAP_HANDLER: 0
; COMPUTE_PGM_RSRC2:TGID_X_EN: 1
; COMPUTE_PGM_RSRC2:TGID_Y_EN: 0
; COMPUTE_PGM_RSRC2:TGID_Z_EN: 1
; COMPUTE_PGM_RSRC2:TIDIG_COMP_CNT: 1
	.section	.text._ZL20rocblas_gemvn_kernelILi64ELi4EiPK16rocblas_bfloat16fKPS0_EviiT3_lPKT2_lT1_lS8_lS9_lS5_lPT4_lS9_li,"axG",@progbits,_ZL20rocblas_gemvn_kernelILi64ELi4EiPK16rocblas_bfloat16fKPS0_EviiT3_lPKT2_lT1_lS8_lS9_lS5_lPT4_lS9_li,comdat
	.globl	_ZL20rocblas_gemvn_kernelILi64ELi4EiPK16rocblas_bfloat16fKPS0_EviiT3_lPKT2_lT1_lS8_lS9_lS5_lPT4_lS9_li ; -- Begin function _ZL20rocblas_gemvn_kernelILi64ELi4EiPK16rocblas_bfloat16fKPS0_EviiT3_lPKT2_lT1_lS8_lS9_lS5_lPT4_lS9_li
	.p2align	8
	.type	_ZL20rocblas_gemvn_kernelILi64ELi4EiPK16rocblas_bfloat16fKPS0_EviiT3_lPKT2_lT1_lS8_lS9_lS5_lPT4_lS9_li,@function
_ZL20rocblas_gemvn_kernelILi64ELi4EiPK16rocblas_bfloat16fKPS0_EviiT3_lPKT2_lT1_lS8_lS9_lS5_lPT4_lS9_li: ; @_ZL20rocblas_gemvn_kernelILi64ELi4EiPK16rocblas_bfloat16fKPS0_EviiT3_lPKT2_lT1_lS8_lS9_lS5_lPT4_lS9_li
; %bb.0:
	s_load_b64 s[4:5], s[0:1], 0x9c
	s_waitcnt lgkmcnt(0)
	s_lshr_b32 s3, s4, 16
	s_and_b32 s4, s4, 0xffff
	s_and_b32 s5, s5, 0xffff
	s_mul_i32 s3, s3, s4
	s_delay_alu instid0(SALU_CYCLE_1) | instskip(NEXT) | instid1(SALU_CYCLE_1)
	s_mul_i32 s3, s3, s5
	s_cmpk_lg_i32 s3, 0x100
	s_cbranch_scc1 .LBB588_77
; %bb.1:
	s_mov_b32 s2, s15
	s_clause 0x1
	s_load_b128 s[4:7], s[0:1], 0x0
	s_load_b32 s15, s[0:1], 0x58
	s_waitcnt lgkmcnt(0)
	v_cmp_eq_f32_e64 s12, s6, 0
	v_cmp_eq_f32_e64 s3, s15, 1.0
	s_delay_alu instid0(VALU_DEP_1) | instskip(NEXT) | instid1(SALU_CYCLE_1)
	s_and_b32 s3, s12, s3
	s_and_b32 vcc_lo, exec_lo, s3
	s_cbranch_vccnz .LBB588_77
; %bb.2:
	v_cmp_neq_f32_e64 s7, s6, 0
	s_delay_alu instid0(VALU_DEP_1)
	s_and_b32 vcc_lo, exec_lo, s7
	s_cbranch_vccnz .LBB588_4
; %bb.3:
	s_mov_b32 s3, 0
	s_mov_b64 s[8:9], 0
	s_cbranch_execz .LBB588_5
	s_branch .LBB588_6
.LBB588_4:
	s_mov_b32 s3, -1
                                        ; implicit-def: $sgpr8_sgpr9
.LBB588_5:
	s_load_b128 s[8:11], s[0:1], 0x18
	s_mov_b32 s3, 0
	s_delay_alu instid0(SALU_CYCLE_1)
	s_lshl_b64 s[16:17], s[2:3], 3
	s_waitcnt lgkmcnt(0)
	s_add_u32 s8, s8, s16
	s_addc_u32 s9, s9, s17
	s_lshl_b64 s[10:11], s[10:11], 1
	s_load_b64 s[8:9], s[8:9], 0x0
	s_waitcnt lgkmcnt(0)
	s_add_u32 s8, s8, s10
	s_addc_u32 s9, s9, s11
.LBB588_6:
	s_and_not1_b32 vcc_lo, exec_lo, s7
	s_cbranch_vccnz .LBB588_8
; %bb.7:
	s_load_b128 s[16:19], s[0:1], 0x38
	s_lshl_b64 s[10:11], s[2:3], 3
	s_waitcnt lgkmcnt(0)
	s_add_u32 s10, s16, s10
	s_addc_u32 s11, s17, s11
	s_lshl_b64 s[16:17], s[18:19], 1
	s_load_b64 s[10:11], s[10:11], 0x0
	s_waitcnt lgkmcnt(0)
	s_add_u32 s10, s10, s16
	s_addc_u32 s11, s11, s17
	s_branch .LBB588_9
.LBB588_8:
	s_mov_b64 s[10:11], 0
.LBB588_9:
	s_clause 0x1
	s_load_b128 s[20:23], s[0:1], 0x68
	s_load_b32 s17, s[0:1], 0x78
	s_lshl_b64 s[2:3], s[2:3], 3
	v_and_b32_e32 v1, 0x3ff, v0
	v_bfe_u32 v13, v0, 10, 10
	s_delay_alu instid0(VALU_DEP_1)
	v_lshl_add_u32 v0, v13, 6, v1
	s_waitcnt lgkmcnt(0)
	s_add_u32 s2, s20, s2
	s_addc_u32 s3, s21, s3
	s_lshl_b64 s[20:21], s[22:23], 1
	s_load_b64 s[18:19], s[2:3], 0x0
	v_cmp_gt_u32_e64 s2, 0x100, v0
	s_waitcnt lgkmcnt(0)
	s_add_u32 s7, s18, s20
	s_addc_u32 s13, s19, s21
	s_and_not1_b32 vcc_lo, exec_lo, s12
	s_cbranch_vccnz .LBB588_18
; %bb.10:
	s_mov_b32 s3, 0
	s_mov_b32 s16, 0
                                        ; implicit-def: $vgpr5
                                        ; implicit-def: $vgpr2_vgpr3
	s_and_saveexec_b32 s12, s2
	s_cbranch_execz .LBB588_19
; %bb.11:
	v_lshl_or_b32 v4, s14, 8, v0
	v_mov_b32_e32 v5, 0
	s_ashr_i32 s19, s4, 31
	s_mov_b32 s18, s4
                                        ; implicit-def: $vgpr2_vgpr3
	s_delay_alu instid0(VALU_DEP_1) | instid1(SALU_CYCLE_1)
	v_cmp_gt_i64_e32 vcc_lo, s[18:19], v[4:5]
                                        ; implicit-def: $vgpr5
	s_and_saveexec_b32 s2, vcc_lo
	s_cbranch_execz .LBB588_22
; %bb.12:
	v_mad_u64_u32 v[2:3], null, s17, v4, 0
	s_ashr_i32 s16, s17, 31
	s_delay_alu instid0(VALU_DEP_1) | instid1(SALU_CYCLE_1)
	v_mad_u64_u32 v[5:6], null, s16, v4, v[3:4]
	v_cmp_eq_f32_e64 s16, s15, 0
	s_delay_alu instid0(VALU_DEP_1) | instskip(NEXT) | instid1(VALU_DEP_2)
	s_and_b32 vcc_lo, exec_lo, s16
	v_mov_b32_e32 v3, v5
	s_cbranch_vccnz .LBB588_20
; %bb.13:
	s_delay_alu instid0(VALU_DEP_1) | instskip(NEXT) | instid1(VALU_DEP_1)
	v_lshlrev_b64 v[4:5], 1, v[2:3]
	v_add_co_u32 v4, vcc_lo, s7, v4
	s_delay_alu instid0(VALU_DEP_2) | instskip(SKIP_3) | instid1(VALU_DEP_1)
	v_add_co_ci_u32_e32 v5, vcc_lo, s13, v5, vcc_lo
	global_load_u16 v4, v[4:5], off
	s_waitcnt vmcnt(0)
	v_lshlrev_b32_e32 v4, 16, v4
	v_mul_f32_e32 v4, s15, v4
	s_delay_alu instid0(VALU_DEP_1) | instskip(NEXT) | instid1(VALU_DEP_1)
	v_and_b32_e32 v5, 0x7f800000, v4
	v_cmp_ne_u32_e32 vcc_lo, 0x7f800000, v5
                                        ; implicit-def: $vgpr5
	s_and_saveexec_b32 s16, vcc_lo
	s_delay_alu instid0(SALU_CYCLE_1)
	s_xor_b32 s16, exec_lo, s16
; %bb.14:
	v_bfe_u32 v5, v4, 16, 1
	s_delay_alu instid0(VALU_DEP_1)
	v_add3_u32 v5, v4, v5, 0x7fff
                                        ; implicit-def: $vgpr4
; %bb.15:
	s_and_not1_saveexec_b32 s16, s16
; %bb.16:
	v_and_b32_e32 v5, 0xffff, v4
	v_or_b32_e32 v6, 0x10000, v4
	s_delay_alu instid0(VALU_DEP_2) | instskip(NEXT) | instid1(VALU_DEP_2)
	v_cmp_eq_u32_e32 vcc_lo, 0, v5
	v_cndmask_b32_e32 v5, v6, v4, vcc_lo
; %bb.17:
	s_or_b32 exec_lo, exec_lo, s16
	s_delay_alu instid0(VALU_DEP_1)
	v_lshrrev_b32_e32 v5, 16, v5
	s_branch .LBB588_21
.LBB588_18:
	s_mov_b32 s16, 0
                                        ; implicit-def: $vgpr5
                                        ; implicit-def: $vgpr2_vgpr3
	s_cbranch_execnz .LBB588_23
	s_branch .LBB588_75
.LBB588_19:
	s_or_b32 exec_lo, exec_lo, s12
	s_delay_alu instid0(SALU_CYCLE_1)
	s_and_b32 vcc_lo, exec_lo, s3
	s_cbranch_vccnz .LBB588_23
	s_branch .LBB588_75
.LBB588_20:
	v_mov_b32_e32 v5, 0
.LBB588_21:
	s_mov_b32 s16, exec_lo
.LBB588_22:
	s_or_b32 exec_lo, exec_lo, s2
	s_delay_alu instid0(SALU_CYCLE_1) | instskip(SKIP_1) | instid1(SALU_CYCLE_1)
	s_and_b32 s16, s16, exec_lo
	s_or_b32 exec_lo, exec_lo, s12
	s_and_b32 vcc_lo, exec_lo, s3
	s_cbranch_vccz .LBB588_75
.LBB588_23:
	s_clause 0x1
	s_load_b32 s18, s[0:1], 0x28
	s_load_b32 s12, s[0:1], 0x48
	s_ashr_i32 s0, s5, 31
	s_lshl_b32 s14, s14, 8
	s_lshr_b32 s0, s0, 28
	v_dual_mov_b32 v14, 0 :: v_dual_lshlrev_b32 v19, 2, v13
	v_dual_mov_b32 v15, 0 :: v_dual_add_nc_u32 v18, s14, v1
	v_dual_mov_b32 v16, 0 :: v_dual_mov_b32 v17, 0
	s_add_i32 s0, s5, s0
	s_mov_b32 s20, exec_lo
	s_and_b32 s19, s0, -16
	s_delay_alu instid0(SALU_CYCLE_1)
	v_cmpx_gt_i32_e64 s19, v19
	s_cbranch_execz .LBB588_35
; %bb.24:
	s_waitcnt lgkmcnt(0)
	v_mul_lo_u32 v3, s18, v19
	v_dual_mov_b32 v15, 0 :: v_dual_add_nc_u32 v2, 64, v18
	v_add_nc_u32_e32 v6, 2, v19
	v_dual_mov_b32 v14, 0 :: v_dual_add_nc_u32 v5, 0xc0, v18
	s_delay_alu instid0(VALU_DEP_3)
	v_cmp_gt_i32_e64 s0, s4, v2
	v_dual_mov_b32 v17, 0 :: v_dual_add_nc_u32 v4, 0x80, v18
	v_add3_u32 v20, v3, s18, v1
	v_mad_u64_u32 v[2:3], null, s18, v6, v[1:2]
	v_cmp_gt_i32_e64 s2, s4, v5
	v_mul_lo_u32 v5, v13, s18
	v_dual_mov_b32 v16, 0 :: v_dual_add_nc_u32 v7, 3, v19
	v_mul_lo_u32 v8, v13, s12
	v_cmp_gt_i32_e64 s1, s4, v4
	v_mul_lo_u32 v22, s12, v6
	s_delay_alu instid0(VALU_DEP_4)
	v_mad_u64_u32 v[3:4], null, s18, v7, v[1:2]
	v_lshl_add_u32 v21, v5, 2, v1
	v_mad_u64_u32 v[4:5], null, s12, v19, s[12:13]
	v_mul_lo_u32 v23, s12, v7
	v_cmp_gt_i32_e32 vcc_lo, s4, v18
	v_lshlrev_b32_e32 v24, 2, v8
	s_lshl_b32 s21, s18, 4
	s_lshl_b32 s23, s12, 4
	s_mov_b32 s22, 0
	s_mov_b32 s24, 0
	s_branch .LBB588_29
.LBB588_25:                             ;   in Loop: Header=BB588_29 Depth=1
	s_or_b32 exec_lo, exec_lo, s27
	s_waitcnt vmcnt(2) lgkmcnt(2)
	v_lshlrev_b32_e32 v6, 16, v39
	v_lshlrev_b32_e32 v5, 16, v40
	s_waitcnt vmcnt(1) lgkmcnt(1)
	s_delay_alu instid0(VALU_DEP_1) | instskip(NEXT) | instid1(VALU_DEP_1)
	v_dual_fmac_f32 v16, v32, v5 :: v_dual_lshlrev_b32 v5, 16, v38
	v_fmac_f32_e32 v16, v30, v6
	s_delay_alu instid0(VALU_DEP_1) | instskip(SKIP_2) | instid1(VALU_DEP_1)
	v_fmac_f32_e32 v16, v28, v5
	s_waitcnt vmcnt(0) lgkmcnt(0)
	v_lshlrev_b32_e32 v5, 16, v37
	v_fmac_f32_e32 v16, v27, v5
.LBB588_26:                             ;   in Loop: Header=BB588_29 Depth=1
	s_or_b32 exec_lo, exec_lo, s26
	s_waitcnt vmcnt(3) lgkmcnt(3)
	v_lshlrev_b32_e32 v5, 16, v36
	s_waitcnt vmcnt(2) lgkmcnt(2)
	s_delay_alu instid0(VALU_DEP_1) | instskip(SKIP_2) | instid1(VALU_DEP_2)
	v_dual_fmac_f32 v15, v32, v5 :: v_dual_lshlrev_b32 v6, 16, v35
	s_waitcnt vmcnt(1) lgkmcnt(1)
	v_lshlrev_b32_e32 v5, 16, v34
	v_fmac_f32_e32 v15, v30, v6
	s_delay_alu instid0(VALU_DEP_1) | instskip(SKIP_2) | instid1(VALU_DEP_1)
	v_fmac_f32_e32 v15, v28, v5
	s_waitcnt vmcnt(0) lgkmcnt(0)
	v_lshlrev_b32_e32 v5, 16, v33
	v_fmac_f32_e32 v15, v27, v5
.LBB588_27:                             ;   in Loop: Header=BB588_29 Depth=1
	s_or_b32 exec_lo, exec_lo, s3
	s_waitcnt vmcnt(2) lgkmcnt(2)
	v_lshlrev_b32_e32 v6, 16, v29
	v_lshlrev_b32_e32 v5, 16, v31
	s_waitcnt vmcnt(1) lgkmcnt(1)
	s_delay_alu instid0(VALU_DEP_1) | instskip(NEXT) | instid1(VALU_DEP_1)
	v_dual_fmac_f32 v14, v32, v5 :: v_dual_lshlrev_b32 v5, 16, v26
	v_fmac_f32_e32 v14, v30, v6
	s_delay_alu instid0(VALU_DEP_1) | instskip(SKIP_2) | instid1(VALU_DEP_1)
	v_fmac_f32_e32 v14, v28, v5
	s_waitcnt vmcnt(0) lgkmcnt(0)
	v_lshlrev_b32_e32 v5, 16, v25
	v_fmac_f32_e32 v14, v27, v5
.LBB588_28:                             ;   in Loop: Header=BB588_29 Depth=1
	s_or_b32 exec_lo, exec_lo, s25
	v_add_nc_u32_e32 v19, 16, v19
	v_add_nc_u32_e32 v20, s21, v20
	;; [unrolled: 1-line block ×5, first 2 shown]
	v_cmp_le_i32_e64 s3, s19, v19
	s_add_i32 s24, s24, s23
	s_delay_alu instid0(VALU_DEP_1) | instskip(NEXT) | instid1(SALU_CYCLE_1)
	s_or_b32 s22, s3, s22
	s_and_not1_b32 exec_lo, exec_lo, s22
	s_cbranch_execz .LBB588_34
.LBB588_29:                             ; =>This Inner Loop Header: Depth=1
	s_and_saveexec_b32 s25, vcc_lo
	s_cbranch_execz .LBB588_28
; %bb.30:                               ;   in Loop: Header=BB588_29 Depth=1
	v_add_nc_u32_e32 v5, s24, v24
	v_add_nc_u32_e32 v7, s24, v4
	;; [unrolled: 1-line block ×5, first 2 shown]
	v_ashrrev_i32_e32 v6, 31, v5
	v_ashrrev_i32_e32 v8, 31, v7
	;; [unrolled: 1-line block ×4, first 2 shown]
	v_add_nc_u32_e32 v27, s14, v20
	v_lshlrev_b64 v[5:6], 1, v[5:6]
	v_lshlrev_b64 v[7:8], 1, v[7:8]
	;; [unrolled: 1-line block ×4, first 2 shown]
	v_ashrrev_i32_e32 v26, 31, v25
	v_ashrrev_i32_e32 v28, 31, v27
	v_add_co_u32 v5, s3, s10, v5
	s_delay_alu instid0(VALU_DEP_1) | instskip(SKIP_1) | instid1(VALU_DEP_1)
	v_add_co_ci_u32_e64 v6, s3, s11, v6, s3
	v_add_co_u32 v7, s3, s10, v7
	v_add_co_ci_u32_e64 v8, s3, s11, v8, s3
	v_add_co_u32 v9, s3, s10, v9
	s_delay_alu instid0(VALU_DEP_1)
	v_add_co_ci_u32_e64 v10, s3, s11, v10, s3
	v_add_co_u32 v11, s3, s10, v11
	v_add_nc_u32_e32 v29, s14, v2
	v_add_co_ci_u32_e64 v12, s3, s11, v12, s3
	v_lshlrev_b64 v[25:26], 1, v[25:26]
	s_clause 0x3
	flat_load_u16 v32, v[5:6]
	flat_load_u16 v33, v[7:8]
	;; [unrolled: 1-line block ×4, first 2 shown]
	v_add_nc_u32_e32 v11, s14, v3
	v_lshlrev_b64 v[5:6], 1, v[27:28]
	v_ashrrev_i32_e32 v30, 31, v29
	v_add_co_u32 v7, s3, s8, v25
	s_delay_alu instid0(VALU_DEP_4) | instskip(SKIP_1) | instid1(VALU_DEP_4)
	v_ashrrev_i32_e32 v12, 31, v11
	v_add_co_ci_u32_e64 v8, s3, s9, v26, s3
	v_lshlrev_b64 v[25:26], 1, v[29:30]
	v_add_co_u32 v9, s3, s8, v5
	s_delay_alu instid0(VALU_DEP_1) | instskip(SKIP_1) | instid1(VALU_DEP_4)
	v_add_co_ci_u32_e64 v10, s3, s9, v6, s3
	v_lshlrev_b64 v[5:6], 1, v[11:12]
	v_add_co_u32 v11, s3, s8, v25
	s_delay_alu instid0(VALU_DEP_1) | instskip(NEXT) | instid1(VALU_DEP_3)
	v_add_co_ci_u32_e64 v12, s3, s9, v26, s3
	v_add_co_u32 v5, s3, s8, v5
	s_delay_alu instid0(VALU_DEP_1)
	v_add_co_ci_u32_e64 v6, s3, s9, v6, s3
	s_clause 0x3
	flat_load_u16 v31, v[7:8]
	flat_load_u16 v29, v[9:10]
	;; [unrolled: 1-line block ×4, first 2 shown]
	s_waitcnt vmcnt(7) lgkmcnt(7)
	v_lshlrev_b32_e32 v32, 16, v32
	s_waitcnt vmcnt(6) lgkmcnt(6)
	v_lshlrev_b32_e32 v30, 16, v33
	;; [unrolled: 2-line block ×4, first 2 shown]
	s_and_saveexec_b32 s3, s0
	s_cbranch_execz .LBB588_27
; %bb.31:                               ;   in Loop: Header=BB588_29 Depth=1
	s_clause 0x3
	flat_load_u16 v36, v[7:8] offset:128
	flat_load_u16 v35, v[9:10] offset:128
	flat_load_u16 v34, v[11:12] offset:128
	flat_load_u16 v33, v[5:6] offset:128
	s_and_saveexec_b32 s26, s1
	s_cbranch_execz .LBB588_26
; %bb.32:                               ;   in Loop: Header=BB588_29 Depth=1
	s_clause 0x3
	flat_load_u16 v40, v[7:8] offset:256
	flat_load_u16 v39, v[9:10] offset:256
	flat_load_u16 v38, v[11:12] offset:256
	flat_load_u16 v37, v[5:6] offset:256
	;; [unrolled: 8-line block ×3, first 2 shown]
	s_waitcnt vmcnt(0) lgkmcnt(0)
	v_lshlrev_b32_e32 v5, 16, v5
	v_lshlrev_b32_e32 v6, 16, v7
	v_lshlrev_b32_e32 v7, 16, v8
	s_delay_alu instid0(VALU_DEP_2) | instskip(NEXT) | instid1(VALU_DEP_1)
	v_dual_fmac_f32 v17, v32, v6 :: v_dual_lshlrev_b32 v6, 16, v9
	v_fmac_f32_e32 v17, v30, v7
	s_delay_alu instid0(VALU_DEP_1) | instskip(NEXT) | instid1(VALU_DEP_1)
	v_fmac_f32_e32 v17, v28, v6
	v_fmac_f32_e32 v17, v27, v5
	s_branch .LBB588_25
.LBB588_34:
	s_or_b32 exec_lo, exec_lo, s22
.LBB588_35:
	s_delay_alu instid0(SALU_CYCLE_1) | instskip(SKIP_1) | instid1(SALU_CYCLE_1)
	s_or_b32 exec_lo, exec_lo, s20
	s_sub_i32 s0, s5, s19
	s_cmp_lt_i32 s0, 1
	s_cbranch_scc1 .LBB588_53
; %bb.36:
	v_cmp_gt_i32_e32 vcc_lo, s5, v19
	v_dual_mov_b32 v10, 0 :: v_dual_mov_b32 v11, 0
	v_or_b32_e32 v2, 1, v19
	v_mov_b32_e32 v12, 0
	v_mov_b32_e32 v20, 0
	s_and_saveexec_b32 s1, vcc_lo
	s_cbranch_execz .LBB588_44
; %bb.37:
	s_waitcnt lgkmcnt(0)
	v_mul_lo_u32 v3, v19, s12
	v_dual_mov_b32 v12, 0 :: v_dual_mov_b32 v11, 0
	v_mov_b32_e32 v10, 0
	s_mov_b32 s2, exec_lo
	s_delay_alu instid0(VALU_DEP_3) | instskip(NEXT) | instid1(VALU_DEP_1)
	v_ashrrev_i32_e32 v4, 31, v3
	v_lshlrev_b64 v[3:4], 1, v[3:4]
	s_delay_alu instid0(VALU_DEP_1) | instskip(NEXT) | instid1(VALU_DEP_1)
	v_add_co_u32 v3, s0, s10, v3
	v_add_co_ci_u32_e64 v4, s0, s11, v4, s0
	flat_load_u16 v3, v[3:4]
	v_cmpx_gt_i32_e64 s5, v2
	s_cbranch_execz .LBB588_43
; %bb.38:
	v_mul_lo_u32 v4, v2, s12
	v_dual_mov_b32 v11, 0 :: v_dual_mov_b32 v10, 0
	s_mov_b32 s3, exec_lo
	s_delay_alu instid0(VALU_DEP_2) | instskip(NEXT) | instid1(VALU_DEP_1)
	v_ashrrev_i32_e32 v5, 31, v4
	v_lshlrev_b64 v[4:5], 1, v[4:5]
	s_delay_alu instid0(VALU_DEP_1) | instskip(NEXT) | instid1(VALU_DEP_1)
	v_add_co_u32 v4, s0, s10, v4
	v_add_co_ci_u32_e64 v5, s0, s11, v5, s0
	flat_load_u16 v4, v[4:5]
	v_or_b32_e32 v5, 2, v19
	s_delay_alu instid0(VALU_DEP_1)
	v_cmpx_gt_i32_e64 s5, v5
	s_cbranch_execz .LBB588_42
; %bb.39:
	v_mul_lo_u32 v5, v5, s12
	v_mov_b32_e32 v10, 0
	s_mov_b32 s19, exec_lo
	s_delay_alu instid0(VALU_DEP_2) | instskip(NEXT) | instid1(VALU_DEP_1)
	v_ashrrev_i32_e32 v6, 31, v5
	v_lshlrev_b64 v[5:6], 1, v[5:6]
	s_delay_alu instid0(VALU_DEP_1) | instskip(NEXT) | instid1(VALU_DEP_1)
	v_add_co_u32 v5, s0, s10, v5
	v_add_co_ci_u32_e64 v6, s0, s11, v6, s0
	flat_load_u16 v5, v[5:6]
	v_or_b32_e32 v6, 3, v19
	s_delay_alu instid0(VALU_DEP_1)
	v_cmpx_gt_i32_e64 s5, v6
	s_cbranch_execz .LBB588_41
; %bb.40:
	v_mul_lo_u32 v6, v6, s12
	s_delay_alu instid0(VALU_DEP_1) | instskip(NEXT) | instid1(VALU_DEP_1)
	v_ashrrev_i32_e32 v7, 31, v6
	v_lshlrev_b64 v[6:7], 1, v[6:7]
	s_delay_alu instid0(VALU_DEP_1) | instskip(NEXT) | instid1(VALU_DEP_1)
	v_add_co_u32 v6, s0, s10, v6
	v_add_co_ci_u32_e64 v7, s0, s11, v7, s0
	flat_load_u16 v6, v[6:7]
	s_waitcnt vmcnt(0) lgkmcnt(0)
	v_lshlrev_b32_e32 v10, 16, v6
.LBB588_41:
	s_or_b32 exec_lo, exec_lo, s19
	s_waitcnt vmcnt(0) lgkmcnt(0)
	v_lshlrev_b32_e32 v11, 16, v5
.LBB588_42:
	s_or_b32 exec_lo, exec_lo, s3
	s_waitcnt vmcnt(0) lgkmcnt(0)
	v_lshlrev_b32_e32 v12, 16, v4
.LBB588_43:
	s_or_b32 exec_lo, exec_lo, s2
	s_waitcnt vmcnt(0) lgkmcnt(0)
	v_lshlrev_b32_e32 v20, 16, v3
.LBB588_44:
	s_or_b32 exec_lo, exec_lo, s1
	s_delay_alu instid0(SALU_CYCLE_1)
	s_mov_b32 s1, exec_lo
	v_cmpx_gt_i32_e64 s4, v18
	s_cbranch_execz .LBB588_52
; %bb.45:
	s_waitcnt lgkmcnt(0)
	v_mul_lo_u32 v3, v19, s18
	v_mul_lo_u32 v4, v2, s18
	v_or_b32_e32 v5, 2, v19
	v_or_b32_e32 v6, 3, v19
	s_mov_b32 s0, exec_lo
	s_delay_alu instid0(VALU_DEP_2)
	v_mul_lo_u32 v7, v5, s18
	v_cndmask_b32_e32 v3, 0, v3, vcc_lo
	v_cmp_gt_i32_e32 vcc_lo, s5, v2
	v_mul_lo_u32 v8, v6, s18
	v_cndmask_b32_e32 v4, 0, v4, vcc_lo
	v_cmp_gt_i32_e32 vcc_lo, s5, v5
	v_add_nc_u32_e32 v2, v3, v18
	s_delay_alu instid0(VALU_DEP_3) | instskip(NEXT) | instid1(VALU_DEP_2)
	v_dual_cndmask_b32 v7, 0, v7 :: v_dual_add_nc_u32 v4, v4, v18
	v_ashrrev_i32_e32 v3, 31, v2
	v_cmp_gt_i32_e32 vcc_lo, s5, v6
	s_delay_alu instid0(VALU_DEP_3) | instskip(NEXT) | instid1(VALU_DEP_4)
	v_ashrrev_i32_e32 v5, 31, v4
	v_add_nc_u32_e32 v6, v7, v18
	s_delay_alu instid0(VALU_DEP_4) | instskip(SKIP_1) | instid1(VALU_DEP_4)
	v_lshlrev_b64 v[2:3], 1, v[2:3]
	v_cndmask_b32_e32 v8, 0, v8, vcc_lo
	v_lshlrev_b64 v[21:22], 1, v[4:5]
	s_delay_alu instid0(VALU_DEP_4) | instskip(NEXT) | instid1(VALU_DEP_4)
	v_ashrrev_i32_e32 v7, 31, v6
	v_add_co_u32 v4, vcc_lo, s8, v2
	v_add_co_ci_u32_e32 v5, vcc_lo, s9, v3, vcc_lo
	s_delay_alu instid0(VALU_DEP_4)
	v_add_co_u32 v2, vcc_lo, s8, v21
	v_add_co_ci_u32_e32 v3, vcc_lo, s9, v22, vcc_lo
	s_clause 0x1
	flat_load_u16 v19, v[4:5]
	flat_load_u16 v23, v[2:3]
	v_lshlrev_b64 v[6:7], 1, v[6:7]
	s_waitcnt vmcnt(1) lgkmcnt(1)
	v_lshlrev_b32_e32 v19, 16, v19
	v_add_nc_u32_e32 v8, v8, v18
	s_delay_alu instid0(VALU_DEP_1) | instskip(NEXT) | instid1(VALU_DEP_1)
	v_ashrrev_i32_e32 v9, 31, v8
	v_lshlrev_b64 v[21:22], 1, v[8:9]
	v_add_co_u32 v8, vcc_lo, s8, v6
	v_add_co_ci_u32_e32 v9, vcc_lo, s9, v7, vcc_lo
	s_delay_alu instid0(VALU_DEP_3) | instskip(NEXT) | instid1(VALU_DEP_4)
	v_add_co_u32 v6, vcc_lo, s8, v21
	v_add_co_ci_u32_e32 v7, vcc_lo, s9, v22, vcc_lo
	s_clause 0x1
	flat_load_u16 v21, v[8:9]
	flat_load_u16 v22, v[6:7]
	s_waitcnt vmcnt(1) lgkmcnt(1)
	v_dual_fmac_f32 v14, v20, v19 :: v_dual_lshlrev_b32 v21, 16, v21
	v_lshlrev_b32_e32 v23, 16, v23
	s_waitcnt vmcnt(0) lgkmcnt(0)
	s_delay_alu instid0(VALU_DEP_1) | instskip(NEXT) | instid1(VALU_DEP_1)
	v_dual_fmac_f32 v14, v12, v23 :: v_dual_lshlrev_b32 v19, 16, v22
	v_dual_fmac_f32 v14, v11, v21 :: v_dual_add_nc_u32 v23, 64, v18
	s_delay_alu instid0(VALU_DEP_1)
	v_cmpx_gt_i32_e64 s4, v23
	s_cbranch_execz .LBB588_51
; %bb.46:
	s_clause 0x3
	flat_load_u16 v21, v[4:5] offset:128
	flat_load_u16 v22, v[2:3] offset:128
	;; [unrolled: 1-line block ×4, first 2 shown]
	s_mov_b32 s2, exec_lo
	s_waitcnt vmcnt(3) lgkmcnt(3)
	v_lshlrev_b32_e32 v21, 16, v21
	s_waitcnt vmcnt(2) lgkmcnt(2)
	v_lshlrev_b32_e32 v22, 16, v22
	;; [unrolled: 2-line block ×3, first 2 shown]
	v_fmac_f32_e32 v15, v20, v21
	s_waitcnt vmcnt(0) lgkmcnt(0)
	v_lshlrev_b32_e32 v21, 16, v24
	s_delay_alu instid0(VALU_DEP_2) | instskip(NEXT) | instid1(VALU_DEP_1)
	v_fmac_f32_e32 v15, v12, v22
	v_dual_fmac_f32 v15, v11, v23 :: v_dual_add_nc_u32 v22, 0x80, v18
	s_delay_alu instid0(VALU_DEP_1)
	v_cmpx_gt_i32_e64 s4, v22
	s_cbranch_execz .LBB588_50
; %bb.47:
	s_clause 0x3
	flat_load_u16 v22, v[4:5] offset:256
	flat_load_u16 v23, v[2:3] offset:256
	;; [unrolled: 1-line block ×4, first 2 shown]
	s_mov_b32 s3, exec_lo
	s_waitcnt vmcnt(3) lgkmcnt(3)
	v_lshlrev_b32_e32 v22, 16, v22
	s_waitcnt vmcnt(2) lgkmcnt(2)
	s_delay_alu instid0(VALU_DEP_1) | instskip(SKIP_2) | instid1(VALU_DEP_2)
	v_dual_fmac_f32 v16, v20, v22 :: v_dual_lshlrev_b32 v23, 16, v23
	s_waitcnt vmcnt(1) lgkmcnt(1)
	v_lshlrev_b32_e32 v22, 16, v24
	v_dual_fmac_f32 v16, v12, v23 :: v_dual_add_nc_u32 v23, 0xc0, v18
	s_waitcnt vmcnt(0) lgkmcnt(0)
	v_lshlrev_b32_e32 v18, 16, v25
	s_delay_alu instid0(VALU_DEP_2) | instskip(NEXT) | instid1(VALU_DEP_3)
	v_fmac_f32_e32 v16, v11, v22
	v_cmpx_gt_i32_e64 s4, v23
	s_cbranch_execz .LBB588_49
; %bb.48:
	s_clause 0x3
	flat_load_u16 v4, v[4:5] offset:384
	flat_load_u16 v2, v[2:3] offset:384
	;; [unrolled: 1-line block ×4, first 2 shown]
	s_waitcnt vmcnt(2) lgkmcnt(2)
	v_lshlrev_b32_e32 v2, 16, v2
	v_lshlrev_b32_e32 v4, 16, v4
	s_waitcnt vmcnt(1) lgkmcnt(1)
	v_lshlrev_b32_e32 v3, 16, v3
	s_delay_alu instid0(VALU_DEP_2) | instskip(SKIP_1) | instid1(VALU_DEP_1)
	v_fmac_f32_e32 v17, v20, v4
	s_waitcnt vmcnt(0) lgkmcnt(0)
	v_dual_fmac_f32 v17, v12, v2 :: v_dual_lshlrev_b32 v2, 16, v5
	s_delay_alu instid0(VALU_DEP_1) | instskip(NEXT) | instid1(VALU_DEP_1)
	v_fmac_f32_e32 v17, v11, v3
	v_fmac_f32_e32 v17, v10, v2
.LBB588_49:
	s_or_b32 exec_lo, exec_lo, s3
	s_delay_alu instid0(VALU_DEP_2)
	v_fmac_f32_e32 v16, v10, v18
.LBB588_50:
	s_or_b32 exec_lo, exec_lo, s2
	s_delay_alu instid0(VALU_DEP_2)
	v_fmac_f32_e32 v15, v10, v21
.LBB588_51:
	s_or_b32 exec_lo, exec_lo, s0
	s_delay_alu instid0(VALU_DEP_2)
	v_fmac_f32_e32 v14, v10, v19
.LBB588_52:
	s_or_b32 exec_lo, exec_lo, s1
.LBB588_53:
	v_lshlrev_b32_e32 v2, 8, v13
	s_mov_b32 s0, exec_lo
                                        ; implicit-def: $vgpr5
	s_delay_alu instid0(VALU_DEP_1)
	v_add_lshl_u32 v1, v2, v1, 2
                                        ; implicit-def: $vgpr2_vgpr3
	ds_store_2addr_stride64_b32 v1, v14, v15 offset1:1
	ds_store_2addr_stride64_b32 v1, v16, v17 offset0:2 offset1:3
	s_waitcnt lgkmcnt(0)
	s_barrier
	buffer_gl0_inv
	v_cmpx_gt_u32_e32 0x100, v0
	s_cbranch_execz .LBB588_74
; %bb.54:
	v_lshlrev_b32_e32 v3, 2, v0
	s_mov_b32 s2, s16
	s_mov_b32 s1, exec_lo
	ds_load_2addr_stride64_b32 v[1:2], v3 offset1:4
	ds_load_2addr_stride64_b32 v[4:5], v3 offset0:8 offset1:12
	s_waitcnt lgkmcnt(1)
	v_add_f32_e32 v1, v1, v2
	s_waitcnt lgkmcnt(0)
	s_delay_alu instid0(VALU_DEP_1) | instskip(SKIP_1) | instid1(VALU_DEP_2)
	v_add_f32_e32 v1, v4, v1
	v_or_b32_e32 v4, s14, v0
	v_add_f32_e32 v0, v5, v1
                                        ; implicit-def: $vgpr5
	ds_store_b32 v3, v0
                                        ; implicit-def: $vgpr2_vgpr3
	v_cmpx_gt_i32_e64 s4, v4
	s_cbranch_execz .LBB588_73
; %bb.55:
	v_cmp_eq_f32_e64 s2, s15, 0
	v_mul_f32_e32 v0, s6, v0
	s_delay_alu instid0(VALU_DEP_2)
	s_and_b32 vcc_lo, exec_lo, s2
	s_cbranch_vccz .LBB588_61
; %bb.56:
	s_delay_alu instid0(VALU_DEP_1) | instskip(NEXT) | instid1(VALU_DEP_1)
	v_and_b32_e32 v1, 0x7f800000, v0
	v_cmp_ne_u32_e32 vcc_lo, 0x7f800000, v1
                                        ; implicit-def: $vgpr1
	s_and_saveexec_b32 s2, vcc_lo
	s_delay_alu instid0(SALU_CYCLE_1)
	s_xor_b32 s2, exec_lo, s2
; %bb.57:
	v_bfe_u32 v1, v0, 16, 1
	s_delay_alu instid0(VALU_DEP_1)
	v_add3_u32 v1, v0, v1, 0x7fff
; %bb.58:
	s_and_not1_saveexec_b32 s2, s2
; %bb.59:
	v_and_b32_e32 v1, 0xffff, v0
	v_or_b32_e32 v2, 0x10000, v0
	s_delay_alu instid0(VALU_DEP_2) | instskip(NEXT) | instid1(VALU_DEP_2)
	v_cmp_eq_u32_e32 vcc_lo, 0, v1
	v_cndmask_b32_e32 v1, v2, v0, vcc_lo
; %bb.60:
	s_or_b32 exec_lo, exec_lo, s2
	s_mov_b32 s2, 0
	s_branch .LBB588_62
.LBB588_61:
	s_mov_b32 s2, -1
                                        ; implicit-def: $vgpr1
.LBB588_62:
	v_mul_lo_u32 v2, v4, s17
	s_and_not1_b32 vcc_lo, exec_lo, s2
	s_delay_alu instid0(VALU_DEP_1)
	v_ashrrev_i32_e32 v3, 31, v2
	s_cbranch_vccnz .LBB588_72
; %bb.63:
	s_delay_alu instid0(VALU_DEP_1) | instskip(NEXT) | instid1(VALU_DEP_1)
	v_lshlrev_b64 v[4:5], 1, v[2:3]
	v_add_co_u32 v4, vcc_lo, s7, v4
	s_delay_alu instid0(VALU_DEP_2) | instskip(SKIP_3) | instid1(VALU_DEP_1)
	v_add_co_ci_u32_e32 v5, vcc_lo, s13, v5, vcc_lo
	global_load_u16 v1, v[4:5], off
	s_waitcnt vmcnt(0)
	v_lshlrev_b32_e32 v1, 16, v1
	v_mul_f32_e32 v1, s15, v1
	s_delay_alu instid0(VALU_DEP_1) | instskip(NEXT) | instid1(VALU_DEP_1)
	v_and_b32_e32 v4, 0x7f800000, v1
	v_cmp_ne_u32_e32 vcc_lo, 0x7f800000, v4
                                        ; implicit-def: $vgpr4
	s_and_saveexec_b32 s2, vcc_lo
	s_delay_alu instid0(SALU_CYCLE_1)
	s_xor_b32 s2, exec_lo, s2
; %bb.64:
	v_bfe_u32 v4, v1, 16, 1
	s_delay_alu instid0(VALU_DEP_1)
	v_add3_u32 v4, v1, v4, 0x7fff
                                        ; implicit-def: $vgpr1
; %bb.65:
	s_and_not1_saveexec_b32 s2, s2
; %bb.66:
	v_and_b32_e32 v4, 0xffff, v1
	v_or_b32_e32 v5, 0x10000, v1
	s_delay_alu instid0(VALU_DEP_2) | instskip(NEXT) | instid1(VALU_DEP_2)
	v_cmp_eq_u32_e32 vcc_lo, 0, v4
	v_cndmask_b32_e32 v4, v5, v1, vcc_lo
; %bb.67:
	s_or_b32 exec_lo, exec_lo, s2
	s_delay_alu instid0(VALU_DEP_1) | instskip(NEXT) | instid1(VALU_DEP_1)
	v_and_b32_e32 v1, 0xffff0000, v4
	v_add_f32_e32 v0, v0, v1
	s_delay_alu instid0(VALU_DEP_1) | instskip(NEXT) | instid1(VALU_DEP_1)
	v_and_b32_e32 v1, 0x7f800000, v0
	v_cmp_ne_u32_e32 vcc_lo, 0x7f800000, v1
                                        ; implicit-def: $vgpr1
	s_and_saveexec_b32 s2, vcc_lo
	s_delay_alu instid0(SALU_CYCLE_1)
	s_xor_b32 s2, exec_lo, s2
; %bb.68:
	v_bfe_u32 v1, v0, 16, 1
	s_delay_alu instid0(VALU_DEP_1)
	v_add3_u32 v1, v0, v1, 0x7fff
                                        ; implicit-def: $vgpr0
; %bb.69:
	s_and_not1_saveexec_b32 s2, s2
; %bb.70:
	v_and_b32_e32 v1, 0xffff, v0
	v_or_b32_e32 v4, 0x10000, v0
	s_delay_alu instid0(VALU_DEP_2) | instskip(NEXT) | instid1(VALU_DEP_2)
	v_cmp_eq_u32_e32 vcc_lo, 0, v1
	v_cndmask_b32_e32 v1, v4, v0, vcc_lo
; %bb.71:
	s_or_b32 exec_lo, exec_lo, s2
.LBB588_72:
	s_delay_alu instid0(VALU_DEP_1)
	v_lshrrev_b32_e32 v5, 16, v1
	s_or_b32 s2, s16, exec_lo
.LBB588_73:
	s_or_b32 exec_lo, exec_lo, s1
	s_delay_alu instid0(SALU_CYCLE_1) | instskip(SKIP_1) | instid1(SALU_CYCLE_1)
	s_and_not1_b32 s1, s16, exec_lo
	s_and_b32 s2, s2, exec_lo
	s_or_b32 s16, s1, s2
.LBB588_74:
	s_or_b32 exec_lo, exec_lo, s0
.LBB588_75:
	s_and_saveexec_b32 s0, s16
	s_cbranch_execz .LBB588_77
; %bb.76:
	v_lshlrev_b64 v[0:1], 1, v[2:3]
	s_delay_alu instid0(VALU_DEP_1) | instskip(NEXT) | instid1(VALU_DEP_2)
	v_add_co_u32 v0, vcc_lo, s7, v0
	v_add_co_ci_u32_e32 v1, vcc_lo, s13, v1, vcc_lo
	global_store_b16 v[0:1], v5, off
.LBB588_77:
	s_nop 0
	s_sendmsg sendmsg(MSG_DEALLOC_VGPRS)
	s_endpgm
	.section	.rodata,"a",@progbits
	.p2align	6, 0x0
	.amdhsa_kernel _ZL20rocblas_gemvn_kernelILi64ELi4EiPK16rocblas_bfloat16fKPS0_EviiT3_lPKT2_lT1_lS8_lS9_lS5_lPT4_lS9_li
		.amdhsa_group_segment_fixed_size 4096
		.amdhsa_private_segment_fixed_size 0
		.amdhsa_kernarg_size 400
		.amdhsa_user_sgpr_count 14
		.amdhsa_user_sgpr_dispatch_ptr 0
		.amdhsa_user_sgpr_queue_ptr 0
		.amdhsa_user_sgpr_kernarg_segment_ptr 1
		.amdhsa_user_sgpr_dispatch_id 0
		.amdhsa_user_sgpr_private_segment_size 0
		.amdhsa_wavefront_size32 1
		.amdhsa_uses_dynamic_stack 0
		.amdhsa_enable_private_segment 0
		.amdhsa_system_sgpr_workgroup_id_x 1
		.amdhsa_system_sgpr_workgroup_id_y 0
		.amdhsa_system_sgpr_workgroup_id_z 1
		.amdhsa_system_sgpr_workgroup_info 0
		.amdhsa_system_vgpr_workitem_id 1
		.amdhsa_next_free_vgpr 41
		.amdhsa_next_free_sgpr 28
		.amdhsa_reserve_vcc 1
		.amdhsa_float_round_mode_32 0
		.amdhsa_float_round_mode_16_64 0
		.amdhsa_float_denorm_mode_32 3
		.amdhsa_float_denorm_mode_16_64 3
		.amdhsa_dx10_clamp 1
		.amdhsa_ieee_mode 1
		.amdhsa_fp16_overflow 0
		.amdhsa_workgroup_processor_mode 1
		.amdhsa_memory_ordered 1
		.amdhsa_forward_progress 0
		.amdhsa_shared_vgpr_count 0
		.amdhsa_exception_fp_ieee_invalid_op 0
		.amdhsa_exception_fp_denorm_src 0
		.amdhsa_exception_fp_ieee_div_zero 0
		.amdhsa_exception_fp_ieee_overflow 0
		.amdhsa_exception_fp_ieee_underflow 0
		.amdhsa_exception_fp_ieee_inexact 0
		.amdhsa_exception_int_div_zero 0
	.end_amdhsa_kernel
	.section	.text._ZL20rocblas_gemvn_kernelILi64ELi4EiPK16rocblas_bfloat16fKPS0_EviiT3_lPKT2_lT1_lS8_lS9_lS5_lPT4_lS9_li,"axG",@progbits,_ZL20rocblas_gemvn_kernelILi64ELi4EiPK16rocblas_bfloat16fKPS0_EviiT3_lPKT2_lT1_lS8_lS9_lS5_lPT4_lS9_li,comdat
.Lfunc_end588:
	.size	_ZL20rocblas_gemvn_kernelILi64ELi4EiPK16rocblas_bfloat16fKPS0_EviiT3_lPKT2_lT1_lS8_lS9_lS5_lPT4_lS9_li, .Lfunc_end588-_ZL20rocblas_gemvn_kernelILi64ELi4EiPK16rocblas_bfloat16fKPS0_EviiT3_lPKT2_lT1_lS8_lS9_lS5_lPT4_lS9_li
                                        ; -- End function
	.section	.AMDGPU.csdata,"",@progbits
; Kernel info:
; codeLenInByte = 3492
; NumSgprs: 30
; NumVgprs: 41
; ScratchSize: 0
; MemoryBound: 0
; FloatMode: 240
; IeeeMode: 1
; LDSByteSize: 4096 bytes/workgroup (compile time only)
; SGPRBlocks: 3
; VGPRBlocks: 5
; NumSGPRsForWavesPerEU: 30
; NumVGPRsForWavesPerEU: 41
; Occupancy: 16
; WaveLimiterHint : 1
; COMPUTE_PGM_RSRC2:SCRATCH_EN: 0
; COMPUTE_PGM_RSRC2:USER_SGPR: 14
; COMPUTE_PGM_RSRC2:TRAP_HANDLER: 0
; COMPUTE_PGM_RSRC2:TGID_X_EN: 1
; COMPUTE_PGM_RSRC2:TGID_Y_EN: 0
; COMPUTE_PGM_RSRC2:TGID_Z_EN: 1
; COMPUTE_PGM_RSRC2:TIDIG_COMP_CNT: 1
	.section	.text._ZL20rocblas_gemvn_kernelILi64ELi4ElPK16rocblas_bfloat16fKPS0_EviiT3_lPKT2_lT1_lS8_lS9_lS5_lPT4_lS9_li,"axG",@progbits,_ZL20rocblas_gemvn_kernelILi64ELi4ElPK16rocblas_bfloat16fKPS0_EviiT3_lPKT2_lT1_lS8_lS9_lS5_lPT4_lS9_li,comdat
	.globl	_ZL20rocblas_gemvn_kernelILi64ELi4ElPK16rocblas_bfloat16fKPS0_EviiT3_lPKT2_lT1_lS8_lS9_lS5_lPT4_lS9_li ; -- Begin function _ZL20rocblas_gemvn_kernelILi64ELi4ElPK16rocblas_bfloat16fKPS0_EviiT3_lPKT2_lT1_lS8_lS9_lS5_lPT4_lS9_li
	.p2align	8
	.type	_ZL20rocblas_gemvn_kernelILi64ELi4ElPK16rocblas_bfloat16fKPS0_EviiT3_lPKT2_lT1_lS8_lS9_lS5_lPT4_lS9_li,@function
_ZL20rocblas_gemvn_kernelILi64ELi4ElPK16rocblas_bfloat16fKPS0_EviiT3_lPKT2_lT1_lS8_lS9_lS5_lPT4_lS9_li: ; @_ZL20rocblas_gemvn_kernelILi64ELi4ElPK16rocblas_bfloat16fKPS0_EviiT3_lPKT2_lT1_lS8_lS9_lS5_lPT4_lS9_li
; %bb.0:
	s_load_b64 s[4:5], s[0:1], 0x9c
	s_waitcnt lgkmcnt(0)
	s_lshr_b32 s3, s4, 16
	s_and_b32 s4, s4, 0xffff
	s_and_b32 s5, s5, 0xffff
	s_mul_i32 s3, s3, s4
	s_delay_alu instid0(SALU_CYCLE_1) | instskip(NEXT) | instid1(SALU_CYCLE_1)
	s_mul_i32 s3, s3, s5
	s_cmpk_lg_i32 s3, 0x100
	s_cbranch_scc1 .LBB589_77
; %bb.1:
	s_clause 0x1
	s_load_b128 s[8:11], s[0:1], 0x0
	s_load_b32 s26, s[0:1], 0x58
	s_mov_b32 s2, s15
	s_waitcnt lgkmcnt(0)
	v_cmp_eq_f32_e64 s15, s10, 0
	v_cmp_eq_f32_e64 s3, s26, 1.0
	s_delay_alu instid0(VALU_DEP_1) | instskip(NEXT) | instid1(SALU_CYCLE_1)
	s_and_b32 s3, s15, s3
	s_and_b32 vcc_lo, exec_lo, s3
	s_cbranch_vccnz .LBB589_77
; %bb.2:
	s_clause 0x1
	s_load_b128 s[4:7], s[0:1], 0x18
	s_load_b64 s[12:13], s[0:1], 0x28
	v_cmp_neq_f32_e64 s11, s10, 0
	s_delay_alu instid0(VALU_DEP_1)
	s_and_b32 vcc_lo, exec_lo, s11
	s_cbranch_vccnz .LBB589_4
; %bb.3:
	s_mov_b32 s3, 0
	s_mov_b64 s[16:17], 0
	s_cbranch_execz .LBB589_5
	s_branch .LBB589_6
.LBB589_4:
	s_mov_b32 s3, -1
                                        ; implicit-def: $sgpr16_sgpr17
.LBB589_5:
	s_mov_b32 s3, 0
	s_delay_alu instid0(SALU_CYCLE_1)
	s_lshl_b64 s[16:17], s[2:3], 3
	s_waitcnt lgkmcnt(0)
	s_add_u32 s4, s4, s16
	s_addc_u32 s5, s5, s17
	s_lshl_b64 s[6:7], s[6:7], 1
	s_load_b64 s[4:5], s[4:5], 0x0
	s_waitcnt lgkmcnt(0)
	s_add_u32 s16, s4, s6
	s_addc_u32 s17, s5, s7
.LBB589_6:
	s_waitcnt lgkmcnt(0)
	s_clause 0x1
	s_load_b128 s[4:7], s[0:1], 0x38
	s_load_b64 s[18:19], s[0:1], 0x48
	s_and_not1_b32 vcc_lo, exec_lo, s11
	s_cbranch_vccnz .LBB589_8
; %bb.7:
	s_lshl_b64 s[20:21], s[2:3], 3
	s_waitcnt lgkmcnt(0)
	s_add_u32 s4, s4, s20
	s_addc_u32 s5, s5, s21
	s_lshl_b64 s[6:7], s[6:7], 1
	s_load_b64 s[4:5], s[4:5], 0x0
	s_waitcnt lgkmcnt(0)
	s_add_u32 s20, s4, s6
	s_addc_u32 s21, s5, s7
	s_branch .LBB589_9
.LBB589_8:
	s_mov_b64 s[20:21], 0
.LBB589_9:
	s_load_b128 s[28:31], s[0:1], 0x68
	s_waitcnt lgkmcnt(0)
	s_load_b64 s[6:7], s[0:1], 0x78
	s_lshl_b64 s[2:3], s[2:3], 3
	v_and_b32_e32 v20, 0x3ff, v0
	v_bfe_u32 v21, v0, 10, 10
	s_delay_alu instid0(VALU_DEP_1)
	v_lshl_add_u32 v19, v21, 6, v20
	s_add_u32 s0, s28, s2
	s_addc_u32 s1, s29, s3
	s_lshl_b64 s[22:23], s[30:31], 1
	s_load_b64 s[2:3], s[0:1], 0x0
	v_cmp_gt_u32_e64 s0, 0x100, v19
	s_waitcnt lgkmcnt(0)
	s_add_u32 s5, s2, s22
	s_addc_u32 s11, s3, s23
	s_and_not1_b32 vcc_lo, exec_lo, s15
	s_cbranch_vccnz .LBB589_18
; %bb.10:
	s_mov_b32 s1, 0
	s_mov_b32 s27, 0
                                        ; implicit-def: $vgpr3
                                        ; implicit-def: $vgpr0_vgpr1
	s_and_saveexec_b32 s2, s0
	s_cbranch_execz .LBB589_19
; %bb.11:
	v_lshl_or_b32 v2, s14, 8, v19
	v_mov_b32_e32 v3, 0
	s_ashr_i32 s23, s8, 31
	s_mov_b32 s22, s8
	s_mov_b32 s3, 0
                                        ; implicit-def: $vgpr0_vgpr1
	s_delay_alu instid0(VALU_DEP_1)
	v_cmp_gt_i64_e32 vcc_lo, s[22:23], v[2:3]
                                        ; implicit-def: $vgpr3
	s_and_saveexec_b32 s0, vcc_lo
	s_cbranch_execz .LBB589_22
; %bb.12:
	v_mad_u64_u32 v[0:1], null, v2, s6, 0
	v_cmp_eq_f32_e64 s3, s26, 0
	s_delay_alu instid0(VALU_DEP_1) | instskip(NEXT) | instid1(VALU_DEP_2)
	s_and_b32 vcc_lo, exec_lo, s3
	v_mad_u64_u32 v[3:4], null, v2, s7, v[1:2]
	s_delay_alu instid0(VALU_DEP_1)
	v_mov_b32_e32 v1, v3
	s_cbranch_vccnz .LBB589_20
; %bb.13:
	s_delay_alu instid0(VALU_DEP_1) | instskip(NEXT) | instid1(VALU_DEP_1)
	v_lshlrev_b64 v[2:3], 1, v[0:1]
	v_add_co_u32 v2, vcc_lo, s5, v2
	s_delay_alu instid0(VALU_DEP_2) | instskip(SKIP_3) | instid1(VALU_DEP_1)
	v_add_co_ci_u32_e32 v3, vcc_lo, s11, v3, vcc_lo
	global_load_u16 v2, v[2:3], off
	s_waitcnt vmcnt(0)
	v_lshlrev_b32_e32 v2, 16, v2
	v_mul_f32_e32 v2, s26, v2
	s_delay_alu instid0(VALU_DEP_1) | instskip(NEXT) | instid1(VALU_DEP_1)
	v_and_b32_e32 v3, 0x7f800000, v2
	v_cmp_ne_u32_e32 vcc_lo, 0x7f800000, v3
                                        ; implicit-def: $vgpr3
	s_and_saveexec_b32 s3, vcc_lo
	s_delay_alu instid0(SALU_CYCLE_1)
	s_xor_b32 s3, exec_lo, s3
; %bb.14:
	v_bfe_u32 v3, v2, 16, 1
	s_delay_alu instid0(VALU_DEP_1)
	v_add3_u32 v3, v2, v3, 0x7fff
                                        ; implicit-def: $vgpr2
; %bb.15:
	s_and_not1_saveexec_b32 s3, s3
; %bb.16:
	v_and_b32_e32 v3, 0xffff, v2
	v_or_b32_e32 v4, 0x10000, v2
	s_delay_alu instid0(VALU_DEP_2) | instskip(NEXT) | instid1(VALU_DEP_2)
	v_cmp_eq_u32_e32 vcc_lo, 0, v3
	v_cndmask_b32_e32 v3, v4, v2, vcc_lo
; %bb.17:
	s_or_b32 exec_lo, exec_lo, s3
	s_delay_alu instid0(VALU_DEP_1)
	v_lshrrev_b32_e32 v3, 16, v3
	s_branch .LBB589_21
.LBB589_18:
	s_mov_b32 s27, 0
                                        ; implicit-def: $vgpr3
                                        ; implicit-def: $vgpr0_vgpr1
	s_cbranch_execnz .LBB589_23
	s_branch .LBB589_75
.LBB589_19:
	s_or_b32 exec_lo, exec_lo, s2
	s_delay_alu instid0(SALU_CYCLE_1)
	s_and_b32 vcc_lo, exec_lo, s1
	s_cbranch_vccnz .LBB589_23
	s_branch .LBB589_75
.LBB589_20:
	v_mov_b32_e32 v3, 0
.LBB589_21:
	s_mov_b32 s3, exec_lo
.LBB589_22:
	s_or_b32 exec_lo, exec_lo, s0
	s_delay_alu instid0(SALU_CYCLE_1) | instskip(SKIP_1) | instid1(SALU_CYCLE_1)
	s_and_b32 s27, s3, exec_lo
	s_or_b32 exec_lo, exec_lo, s2
	s_and_b32 vcc_lo, exec_lo, s1
	s_cbranch_vccz .LBB589_75
.LBB589_23:
	s_ashr_i32 s0, s9, 31
	s_lshl_b32 s28, s14, 8
	s_lshr_b32 s0, s0, 28
	v_dual_mov_b32 v23, 0 :: v_dual_lshlrev_b32 v26, 2, v21
	v_dual_mov_b32 v22, 0 :: v_dual_mov_b32 v25, 0
	v_add_nc_u32_e32 v0, s28, v20
	v_mov_b32_e32 v24, 0
	s_add_i32 s0, s9, s0
	s_mov_b32 s30, exec_lo
	s_and_b32 s29, s0, -16
	s_delay_alu instid0(SALU_CYCLE_1)
	v_cmpx_gt_i32_e64 s29, v26
	s_cbranch_execz .LBB589_35
; %bb.24:
	v_lshlrev_b32_e32 v29, 2, v21
	v_mad_u64_u32 v[5:6], null, s18, v21, 0
	v_add_nc_u32_e32 v2, 64, v0
	v_mad_u64_u32 v[7:8], null, s12, v21, 0
	s_delay_alu instid0(VALU_DEP_4) | instskip(SKIP_1) | instid1(VALU_DEP_4)
	v_or_b32_e32 v25, 3, v29
	v_add_nc_u32_e32 v9, 0x80, v0
	v_cmp_gt_i32_e64 s0, s8, v2
	v_ashrrev_i32_e32 v1, 31, v0
	v_cmp_gt_i32_e32 vcc_lo, s8, v0
	v_mad_u64_u32 v[3:4], null, s12, v25, 0
	v_mad_u64_u32 v[16:17], null, s18, v25, 0
	v_add_nc_u32_e32 v10, 0xc0, v0
	s_lshl_b64 s[14:15], s[12:13], 5
	s_lshl_b64 s[22:23], s[18:19], 5
	s_mov_b32 s31, 0
	s_delay_alu instid0(VALU_DEP_3)
	v_mov_b32_e32 v2, v4
	v_mov_b32_e32 v4, v6
	v_cmp_gt_i32_e64 s1, s8, v9
	v_cmp_gt_i32_e64 s2, s8, v10
	v_mov_b32_e32 v6, v8
	v_mad_u64_u32 v[9:10], null, s13, v25, v[2:3]
	v_or_b32_e32 v31, 2, v29
	v_mad_u64_u32 v[10:11], null, s19, v21, v[4:5]
	s_delay_alu instid0(VALU_DEP_4) | instskip(SKIP_1) | instid1(VALU_DEP_4)
	v_mad_u64_u32 v[11:12], null, s13, v21, v[6:7]
	v_mad_u64_u32 v[12:13], null, s18, v29, s[18:19]
	;; [unrolled: 1-line block ×3, first 2 shown]
	v_mov_b32_e32 v4, v9
	v_mov_b32_e32 v6, v10
	v_lshlrev_b64 v[1:2], 1, v[0:1]
	s_mov_b64 s[24:25], s[20:21]
	s_delay_alu instid0(VALU_DEP_3) | instskip(NEXT) | instid1(VALU_DEP_3)
	v_lshlrev_b64 v[9:10], 1, v[3:4]
	v_lshlrev_b64 v[3:4], 3, v[5:6]
	v_dual_mov_b32 v5, v15 :: v_dual_mov_b32 v6, v13
	s_delay_alu instid0(VALU_DEP_3) | instskip(NEXT) | instid1(VALU_DEP_2)
	v_add_co_u32 v27, s3, s16, v9
	v_mad_u64_u32 v[22:23], null, s13, v31, v[5:6]
	v_mov_b32_e32 v5, v17
	v_add_co_ci_u32_e64 v28, s3, s17, v10, s3
	v_mad_u64_u32 v[9:10], null, s12, v29, s[12:13]
	s_delay_alu instid0(VALU_DEP_3) | instskip(SKIP_2) | instid1(VALU_DEP_4)
	v_mad_u64_u32 v[23:24], null, s19, v25, v[5:6]
	v_mad_u64_u32 v[24:25], null, s18, v31, 0
	v_dual_mov_b32 v8, v11 :: v_dual_mov_b32 v15, v22
	v_mov_b32_e32 v5, v10
	s_delay_alu instid0(VALU_DEP_2) | instskip(NEXT) | instid1(VALU_DEP_2)
	v_lshlrev_b64 v[14:15], 1, v[14:15]
	v_mad_u64_u32 v[10:11], null, s13, v29, v[5:6]
	v_mov_b32_e32 v5, v25
	v_lshlrev_b64 v[7:8], 3, v[7:8]
	s_delay_alu instid0(VALU_DEP_3) | instskip(NEXT) | instid1(VALU_DEP_2)
	v_lshlrev_b64 v[9:10], 1, v[9:10]
	v_mad_u64_u32 v[17:18], null, s19, v29, v[6:7]
	v_add_co_u32 v29, s3, s16, v7
	s_delay_alu instid0(VALU_DEP_1) | instskip(NEXT) | instid1(VALU_DEP_3)
	v_add_co_ci_u32_e64 v30, s3, s17, v8, s3
	v_mov_b32_e32 v13, v17
	v_mov_b32_e32 v17, v23
	v_mad_u64_u32 v[22:23], null, s19, v31, v[5:6]
	v_add_co_u32 v31, s3, s16, v14
	s_delay_alu instid0(VALU_DEP_1) | instskip(SKIP_1) | instid1(VALU_DEP_4)
	v_add_co_ci_u32_e64 v32, s3, s17, v15, s3
	v_add_co_u32 v33, s3, s16, v9
	v_dual_mov_b32 v25, v22 :: v_dual_mov_b32 v22, 0
	v_lshlrev_b64 v[5:6], 1, v[12:13]
	v_lshlrev_b64 v[7:8], 1, v[16:17]
	v_add_co_ci_u32_e64 v34, s3, s17, v10, s3
	s_delay_alu instid0(VALU_DEP_4)
	v_lshlrev_b64 v[9:10], 1, v[24:25]
	v_dual_mov_b32 v23, 0 :: v_dual_mov_b32 v24, 0
	v_mov_b32_e32 v25, 0
	s_branch .LBB589_29
.LBB589_25:                             ;   in Loop: Header=BB589_29 Depth=1
	s_or_b32 exec_lo, exec_lo, s34
	s_waitcnt vmcnt(2) lgkmcnt(2)
	v_lshlrev_b32_e32 v12, 16, v49
	v_lshlrev_b32_e32 v11, 16, v50
	s_waitcnt vmcnt(1) lgkmcnt(1)
	s_delay_alu instid0(VALU_DEP_1) | instskip(NEXT) | instid1(VALU_DEP_1)
	v_dual_fmac_f32 v24, v42, v11 :: v_dual_lshlrev_b32 v11, 16, v48
	v_fmac_f32_e32 v24, v40, v12
	s_delay_alu instid0(VALU_DEP_1) | instskip(SKIP_2) | instid1(VALU_DEP_1)
	v_fmac_f32_e32 v24, v38, v11
	s_waitcnt vmcnt(0) lgkmcnt(0)
	v_lshlrev_b32_e32 v11, 16, v47
	v_fmac_f32_e32 v24, v37, v11
.LBB589_26:                             ;   in Loop: Header=BB589_29 Depth=1
	s_or_b32 exec_lo, exec_lo, s33
	s_waitcnt vmcnt(3) lgkmcnt(3)
	v_lshlrev_b32_e32 v11, 16, v46
	s_waitcnt vmcnt(2) lgkmcnt(2)
	s_delay_alu instid0(VALU_DEP_1) | instskip(SKIP_2) | instid1(VALU_DEP_2)
	v_dual_fmac_f32 v23, v42, v11 :: v_dual_lshlrev_b32 v12, 16, v45
	s_waitcnt vmcnt(1) lgkmcnt(1)
	v_lshlrev_b32_e32 v11, 16, v44
	v_fmac_f32_e32 v23, v40, v12
	s_delay_alu instid0(VALU_DEP_1) | instskip(SKIP_2) | instid1(VALU_DEP_1)
	v_fmac_f32_e32 v23, v38, v11
	s_waitcnt vmcnt(0) lgkmcnt(0)
	v_lshlrev_b32_e32 v11, 16, v43
	v_fmac_f32_e32 v23, v37, v11
.LBB589_27:                             ;   in Loop: Header=BB589_29 Depth=1
	s_or_b32 exec_lo, exec_lo, s3
	s_waitcnt vmcnt(2) lgkmcnt(2)
	v_lshlrev_b32_e32 v12, 16, v39
	v_lshlrev_b32_e32 v11, 16, v41
	s_waitcnt vmcnt(1) lgkmcnt(1)
	s_delay_alu instid0(VALU_DEP_1) | instskip(NEXT) | instid1(VALU_DEP_1)
	v_dual_fmac_f32 v22, v42, v11 :: v_dual_lshlrev_b32 v11, 16, v36
	v_fmac_f32_e32 v22, v40, v12
	s_delay_alu instid0(VALU_DEP_1) | instskip(SKIP_2) | instid1(VALU_DEP_1)
	v_fmac_f32_e32 v22, v38, v11
	s_waitcnt vmcnt(0) lgkmcnt(0)
	v_lshlrev_b32_e32 v11, 16, v35
	v_fmac_f32_e32 v22, v37, v11
.LBB589_28:                             ;   in Loop: Header=BB589_29 Depth=1
	s_or_b32 exec_lo, exec_lo, s4
	v_add_co_u32 v27, s3, v27, s14
	s_delay_alu instid0(VALU_DEP_1) | instskip(SKIP_4) | instid1(VALU_DEP_1)
	v_add_co_ci_u32_e64 v28, s3, s15, v28, s3
	v_add_co_u32 v29, s3, v29, s14
	v_add_nc_u32_e32 v26, 16, v26
	v_add_co_ci_u32_e64 v30, s3, s15, v30, s3
	v_add_co_u32 v31, s3, v31, s14
	v_add_co_ci_u32_e64 v32, s3, s15, v32, s3
	s_delay_alu instid0(VALU_DEP_4) | instskip(SKIP_1) | instid1(VALU_DEP_1)
	v_cmp_le_i32_e64 s3, s29, v26
	v_add_co_u32 v33, s4, v33, s14
	v_add_co_ci_u32_e64 v34, s4, s15, v34, s4
	s_add_u32 s24, s24, s22
	s_addc_u32 s25, s25, s23
	s_or_b32 s31, s3, s31
	s_delay_alu instid0(SALU_CYCLE_1)
	s_and_not1_b32 exec_lo, exec_lo, s31
	s_cbranch_execz .LBB589_34
.LBB589_29:                             ; =>This Inner Loop Header: Depth=1
	s_and_saveexec_b32 s4, vcc_lo
	s_cbranch_execz .LBB589_28
; %bb.30:                               ;   in Loop: Header=BB589_29 Depth=1
	v_add_co_u32 v11, s3, s24, v3
	s_delay_alu instid0(VALU_DEP_1) | instskip(SKIP_1) | instid1(VALU_DEP_1)
	v_add_co_ci_u32_e64 v12, s3, s25, v4, s3
	v_add_co_u32 v13, s3, s24, v5
	v_add_co_ci_u32_e64 v14, s3, s25, v6, s3
	v_add_co_u32 v15, s3, s24, v9
	s_delay_alu instid0(VALU_DEP_1) | instskip(SKIP_1) | instid1(VALU_DEP_1)
	v_add_co_ci_u32_e64 v16, s3, s25, v10, s3
	v_add_co_u32 v17, s3, s24, v7
	v_add_co_ci_u32_e64 v18, s3, s25, v8, s3
	s_clause 0x3
	flat_load_u16 v37, v[11:12]
	flat_load_u16 v38, v[13:14]
	;; [unrolled: 1-line block ×4, first 2 shown]
	v_add_co_u32 v11, s3, v29, v1
	s_delay_alu instid0(VALU_DEP_1) | instskip(SKIP_1) | instid1(VALU_DEP_1)
	v_add_co_ci_u32_e64 v12, s3, v30, v2, s3
	v_add_co_u32 v13, s3, v33, v1
	v_add_co_ci_u32_e64 v14, s3, v34, v2, s3
	v_add_co_u32 v15, s3, v31, v1
	s_delay_alu instid0(VALU_DEP_1) | instskip(SKIP_1) | instid1(VALU_DEP_1)
	v_add_co_ci_u32_e64 v16, s3, v32, v2, s3
	v_add_co_u32 v17, s3, v27, v1
	v_add_co_ci_u32_e64 v18, s3, v28, v2, s3
	flat_load_u16 v41, v[11:12]
	flat_load_u16 v39, v[13:14]
	;; [unrolled: 1-line block ×4, first 2 shown]
	s_waitcnt vmcnt(7) lgkmcnt(7)
	v_lshlrev_b32_e32 v42, 16, v37
	s_waitcnt vmcnt(6) lgkmcnt(6)
	v_lshlrev_b32_e32 v40, 16, v38
	;; [unrolled: 2-line block ×4, first 2 shown]
	s_and_saveexec_b32 s3, s0
	s_cbranch_execz .LBB589_27
; %bb.31:                               ;   in Loop: Header=BB589_29 Depth=1
	flat_load_u16 v46, v[11:12] offset:128
	flat_load_u16 v45, v[13:14] offset:128
	flat_load_u16 v44, v[15:16] offset:128
	flat_load_u16 v43, v[17:18] offset:128
	s_and_saveexec_b32 s33, s1
	s_cbranch_execz .LBB589_26
; %bb.32:                               ;   in Loop: Header=BB589_29 Depth=1
	flat_load_u16 v50, v[11:12] offset:256
	flat_load_u16 v49, v[13:14] offset:256
	flat_load_u16 v48, v[15:16] offset:256
	flat_load_u16 v47, v[17:18] offset:256
	;; [unrolled: 7-line block ×3, first 2 shown]
	s_waitcnt vmcnt(3) lgkmcnt(3)
	v_lshlrev_b32_e32 v11, 16, v11
	s_waitcnt vmcnt(2) lgkmcnt(2)
	s_delay_alu instid0(VALU_DEP_1) | instskip(SKIP_2) | instid1(VALU_DEP_2)
	v_dual_fmac_f32 v25, v42, v11 :: v_dual_lshlrev_b32 v12, 16, v12
	s_waitcnt vmcnt(1) lgkmcnt(1)
	v_lshlrev_b32_e32 v11, 16, v13
	v_fmac_f32_e32 v25, v40, v12
	s_delay_alu instid0(VALU_DEP_1) | instskip(SKIP_2) | instid1(VALU_DEP_1)
	v_fmac_f32_e32 v25, v38, v11
	s_waitcnt vmcnt(0) lgkmcnt(0)
	v_lshlrev_b32_e32 v11, 16, v14
	v_fmac_f32_e32 v25, v37, v11
	s_branch .LBB589_25
.LBB589_34:
	s_or_b32 exec_lo, exec_lo, s31
.LBB589_35:
	s_delay_alu instid0(SALU_CYCLE_1) | instskip(SKIP_1) | instid1(SALU_CYCLE_1)
	s_or_b32 exec_lo, exec_lo, s30
	s_sub_i32 s0, s9, s29
	s_cmp_lt_i32 s0, 1
	s_cbranch_scc1 .LBB589_53
; %bb.36:
	v_cmp_gt_i32_e32 vcc_lo, s9, v26
	v_dual_mov_b32 v9, 0 :: v_dual_mov_b32 v10, 0
	v_or_b32_e32 v2, 1, v26
	v_dual_mov_b32 v11, 0 :: v_dual_mov_b32 v12, 0
	s_and_saveexec_b32 s1, vcc_lo
	s_cbranch_execz .LBB589_44
; %bb.37:
	v_mad_u64_u32 v[3:4], null, v26, s18, 0
	v_mov_b32_e32 v11, 0
	v_mov_b32_e32 v9, 0
	s_mov_b32 s2, exec_lo
	s_delay_alu instid0(VALU_DEP_3) | instskip(NEXT) | instid1(VALU_DEP_1)
	v_dual_mov_b32 v10, 0 :: v_dual_mov_b32 v1, v4
	v_mad_u64_u32 v[4:5], null, v26, s19, v[1:2]
	s_delay_alu instid0(VALU_DEP_1) | instskip(NEXT) | instid1(VALU_DEP_1)
	v_lshlrev_b64 v[3:4], 1, v[3:4]
	v_add_co_u32 v3, s0, s20, v3
	s_delay_alu instid0(VALU_DEP_1)
	v_add_co_ci_u32_e64 v4, s0, s21, v4, s0
	flat_load_u16 v1, v[3:4]
	v_cmpx_gt_i32_e64 s9, v2
	s_cbranch_execz .LBB589_43
; %bb.38:
	v_mad_u64_u32 v[3:4], null, v2, s18, 0
	v_mov_b32_e32 v10, 0
	s_mov_b32 s3, exec_lo
	v_mov_b32_e32 v9, 0
	s_delay_alu instid0(VALU_DEP_3) | instskip(NEXT) | instid1(VALU_DEP_1)
	v_mad_u64_u32 v[5:6], null, v2, s19, v[4:5]
	v_mov_b32_e32 v4, v5
	s_delay_alu instid0(VALU_DEP_1) | instskip(NEXT) | instid1(VALU_DEP_1)
	v_lshlrev_b64 v[3:4], 1, v[3:4]
	v_add_co_u32 v3, s0, s20, v3
	s_delay_alu instid0(VALU_DEP_1) | instskip(SKIP_2) | instid1(VALU_DEP_1)
	v_add_co_ci_u32_e64 v4, s0, s21, v4, s0
	flat_load_u16 v3, v[3:4]
	v_or_b32_e32 v4, 2, v26
	v_cmpx_gt_i32_e64 s9, v4
	s_cbranch_execz .LBB589_42
; %bb.39:
	v_mad_u64_u32 v[5:6], null, v4, s18, 0
	s_mov_b32 s4, exec_lo
	v_mov_b32_e32 v9, 0
	s_delay_alu instid0(VALU_DEP_2) | instskip(NEXT) | instid1(VALU_DEP_1)
	v_mad_u64_u32 v[7:8], null, v4, s19, v[6:7]
	v_mov_b32_e32 v6, v7
	s_delay_alu instid0(VALU_DEP_1) | instskip(NEXT) | instid1(VALU_DEP_1)
	v_lshlrev_b64 v[4:5], 1, v[5:6]
	v_add_co_u32 v4, s0, s20, v4
	s_delay_alu instid0(VALU_DEP_1) | instskip(SKIP_2) | instid1(VALU_DEP_1)
	v_add_co_ci_u32_e64 v5, s0, s21, v5, s0
	flat_load_u16 v4, v[4:5]
	v_or_b32_e32 v5, 3, v26
	v_cmpx_gt_i32_e64 s9, v5
	s_cbranch_execz .LBB589_41
; %bb.40:
	v_mad_u64_u32 v[6:7], null, v5, s18, 0
	s_delay_alu instid0(VALU_DEP_1) | instskip(NEXT) | instid1(VALU_DEP_1)
	v_mad_u64_u32 v[8:9], null, v5, s19, v[7:8]
	v_mov_b32_e32 v7, v8
	s_delay_alu instid0(VALU_DEP_1) | instskip(NEXT) | instid1(VALU_DEP_1)
	v_lshlrev_b64 v[5:6], 1, v[6:7]
	v_add_co_u32 v5, s0, s20, v5
	s_delay_alu instid0(VALU_DEP_1)
	v_add_co_ci_u32_e64 v6, s0, s21, v6, s0
	flat_load_u16 v5, v[5:6]
	s_waitcnt vmcnt(0) lgkmcnt(0)
	v_lshlrev_b32_e32 v9, 16, v5
.LBB589_41:
	s_or_b32 exec_lo, exec_lo, s4
	s_waitcnt vmcnt(0) lgkmcnt(0)
	v_lshlrev_b32_e32 v10, 16, v4
.LBB589_42:
	s_or_b32 exec_lo, exec_lo, s3
	s_waitcnt vmcnt(0) lgkmcnt(0)
	v_lshlrev_b32_e32 v11, 16, v3
.LBB589_43:
	s_or_b32 exec_lo, exec_lo, s2
	s_waitcnt vmcnt(0) lgkmcnt(0)
	v_lshlrev_b32_e32 v12, 16, v1
.LBB589_44:
	s_or_b32 exec_lo, exec_lo, s1
	s_delay_alu instid0(SALU_CYCLE_1)
	s_mov_b32 s1, exec_lo
	v_cmpx_gt_i32_e64 s8, v0
	s_cbranch_execz .LBB589_52
; %bb.45:
	v_mad_u64_u32 v[3:4], null, v26, s12, 0
	v_mad_u64_u32 v[5:6], null, v2, s12, 0
	v_ashrrev_i32_e32 v1, 31, v0
	v_or_b32_e32 v28, 2, v26
	v_or_b32_e32 v29, 3, v26
	v_cndmask_b32_e32 v3, 0, v3, vcc_lo
	s_delay_alu instid0(VALU_DEP_4)
	v_lshlrev_b64 v[13:14], 1, v[0:1]
	v_mad_u64_u32 v[7:8], null, v26, s13, v[4:5]
	v_mov_b32_e32 v1, v6
	v_mad_u64_u32 v[15:16], null, v28, s12, 0
	v_mad_u64_u32 v[17:18], null, v29, s12, 0
	v_cmp_gt_i32_e64 s0, s9, v28
	v_cndmask_b32_e32 v4, 0, v7, vcc_lo
	v_mad_u64_u32 v[6:7], null, v2, s13, v[1:2]
	v_cmp_gt_i32_e32 vcc_lo, s9, v2
	v_mov_b32_e32 v1, v16
	v_dual_mov_b32 v7, v18 :: v_dual_cndmask_b32 v2, 0, v5
	v_lshlrev_b64 v[4:5], 1, v[3:4]
	v_cndmask_b32_e32 v3, 0, v6, vcc_lo
	s_delay_alu instid0(VALU_DEP_3) | instskip(NEXT) | instid1(VALU_DEP_3)
	v_mad_u64_u32 v[26:27], null, v28, s13, v[1:2]
	v_add_co_u32 v1, vcc_lo, s16, v4
	s_delay_alu instid0(VALU_DEP_4) | instskip(NEXT) | instid1(VALU_DEP_4)
	v_add_co_ci_u32_e32 v5, vcc_lo, s17, v5, vcc_lo
	v_lshlrev_b64 v[3:4], 1, v[2:3]
	s_delay_alu instid0(VALU_DEP_3) | instskip(NEXT) | instid1(VALU_DEP_3)
	v_add_co_u32 v1, vcc_lo, v1, v13
	v_add_co_ci_u32_e32 v2, vcc_lo, v5, v14, vcc_lo
	v_cndmask_b32_e64 v5, 0, v15, s0
	s_delay_alu instid0(VALU_DEP_4) | instskip(SKIP_3) | instid1(VALU_DEP_4)
	v_add_co_u32 v3, vcc_lo, s16, v3
	v_add_co_ci_u32_e32 v4, vcc_lo, s17, v4, vcc_lo
	v_mad_u64_u32 v[15:16], null, v29, s13, v[7:8]
	v_cndmask_b32_e64 v6, 0, v26, s0
	v_add_co_u32 v3, s0, v3, v13
	v_cmp_gt_i32_e32 vcc_lo, s9, v29
	v_add_co_ci_u32_e64 v4, s0, v4, v14, s0
	s_delay_alu instid0(VALU_DEP_4)
	v_lshlrev_b64 v[5:6], 1, v[5:6]
	s_mov_b32 s0, exec_lo
	v_cndmask_b32_e32 v8, 0, v15, vcc_lo
	s_clause 0x1
	flat_load_u16 v15, v[1:2]
	flat_load_u16 v16, v[3:4]
	s_waitcnt vmcnt(1) lgkmcnt(1)
	v_lshlrev_b32_e32 v15, 16, v15
	s_waitcnt vmcnt(0) lgkmcnt(0)
	v_lshlrev_b32_e32 v16, 16, v16
	s_delay_alu instid0(VALU_DEP_2) | instskip(SKIP_2) | instid1(VALU_DEP_3)
	v_dual_fmac_f32 v22, v12, v15 :: v_dual_cndmask_b32 v7, 0, v17
	v_add_co_u32 v5, vcc_lo, s16, v5
	v_add_co_ci_u32_e32 v6, vcc_lo, s17, v6, vcc_lo
	v_fmac_f32_e32 v22, v11, v16
	s_delay_alu instid0(VALU_DEP_4) | instskip(SKIP_1) | instid1(VALU_DEP_2)
	v_lshlrev_b64 v[7:8], 1, v[7:8]
	v_add_nc_u32_e32 v16, 64, v0
	v_add_co_u32 v17, vcc_lo, s16, v7
	s_delay_alu instid0(VALU_DEP_3) | instskip(SKIP_2) | instid1(VALU_DEP_4)
	v_add_co_ci_u32_e32 v18, vcc_lo, s17, v8, vcc_lo
	v_add_co_u32 v7, vcc_lo, v5, v13
	v_add_co_ci_u32_e32 v8, vcc_lo, v6, v14, vcc_lo
	v_add_co_u32 v5, vcc_lo, v17, v13
	s_delay_alu instid0(VALU_DEP_4)
	v_add_co_ci_u32_e32 v6, vcc_lo, v18, v14, vcc_lo
	s_clause 0x1
	flat_load_u16 v13, v[7:8]
	flat_load_u16 v14, v[5:6]
	s_waitcnt vmcnt(1) lgkmcnt(1)
	v_lshlrev_b32_e32 v15, 16, v13
	s_waitcnt vmcnt(0) lgkmcnt(0)
	s_delay_alu instid0(VALU_DEP_1)
	v_dual_fmac_f32 v22, v10, v15 :: v_dual_lshlrev_b32 v13, 16, v14
	v_cmpx_gt_i32_e64 s8, v16
	s_cbranch_execz .LBB589_51
; %bb.46:
	s_clause 0x3
	flat_load_u16 v14, v[1:2] offset:128
	flat_load_u16 v15, v[3:4] offset:128
	flat_load_u16 v16, v[7:8] offset:128
	flat_load_u16 v17, v[5:6] offset:128
	s_mov_b32 s2, exec_lo
	s_waitcnt vmcnt(2) lgkmcnt(2)
	v_lshlrev_b32_e32 v15, 16, v15
	v_lshlrev_b32_e32 v14, 16, v14
	s_waitcnt vmcnt(1) lgkmcnt(1)
	s_delay_alu instid0(VALU_DEP_1) | instskip(NEXT) | instid1(VALU_DEP_1)
	v_dual_fmac_f32 v23, v12, v14 :: v_dual_lshlrev_b32 v16, 16, v16
	v_fmac_f32_e32 v23, v11, v15
	v_add_nc_u32_e32 v15, 0x80, v0
	s_waitcnt vmcnt(0) lgkmcnt(0)
	s_delay_alu instid0(VALU_DEP_2) | instskip(NEXT) | instid1(VALU_DEP_2)
	v_dual_fmac_f32 v23, v10, v16 :: v_dual_lshlrev_b32 v14, 16, v17
	v_cmpx_gt_i32_e64 s8, v15
	s_cbranch_execz .LBB589_50
; %bb.47:
	s_clause 0x3
	flat_load_u16 v15, v[1:2] offset:256
	flat_load_u16 v16, v[3:4] offset:256
	;; [unrolled: 1-line block ×4, first 2 shown]
	s_mov_b32 s3, exec_lo
	s_waitcnt vmcnt(2) lgkmcnt(2)
	v_lshlrev_b32_e32 v16, 16, v16
	v_lshlrev_b32_e32 v15, 16, v15
	s_waitcnt vmcnt(1) lgkmcnt(1)
	s_delay_alu instid0(VALU_DEP_1) | instskip(NEXT) | instid1(VALU_DEP_1)
	v_dual_fmac_f32 v24, v12, v15 :: v_dual_lshlrev_b32 v15, 16, v17
	v_fmac_f32_e32 v24, v11, v16
	v_add_nc_u32_e32 v16, 0xc0, v0
	s_waitcnt vmcnt(0) lgkmcnt(0)
	v_lshlrev_b32_e32 v0, 16, v18
	s_delay_alu instid0(VALU_DEP_3) | instskip(NEXT) | instid1(VALU_DEP_3)
	v_fmac_f32_e32 v24, v10, v15
	v_cmpx_gt_i32_e64 s8, v16
	s_cbranch_execz .LBB589_49
; %bb.48:
	s_clause 0x3
	flat_load_u16 v1, v[1:2] offset:384
	flat_load_u16 v2, v[3:4] offset:384
	;; [unrolled: 1-line block ×4, first 2 shown]
	s_waitcnt vmcnt(3) lgkmcnt(3)
	v_lshlrev_b32_e32 v1, 16, v1
	s_waitcnt vmcnt(2) lgkmcnt(2)
	s_delay_alu instid0(VALU_DEP_1) | instskip(SKIP_2) | instid1(VALU_DEP_2)
	v_dual_fmac_f32 v25, v12, v1 :: v_dual_lshlrev_b32 v2, 16, v2
	s_waitcnt vmcnt(1) lgkmcnt(1)
	v_lshlrev_b32_e32 v1, 16, v3
	v_fmac_f32_e32 v25, v11, v2
	s_delay_alu instid0(VALU_DEP_1) | instskip(SKIP_2) | instid1(VALU_DEP_1)
	v_fmac_f32_e32 v25, v10, v1
	s_waitcnt vmcnt(0) lgkmcnt(0)
	v_lshlrev_b32_e32 v1, 16, v4
	v_fmac_f32_e32 v25, v9, v1
.LBB589_49:
	s_or_b32 exec_lo, exec_lo, s3
	s_delay_alu instid0(VALU_DEP_2)
	v_fmac_f32_e32 v24, v9, v0
.LBB589_50:
	s_or_b32 exec_lo, exec_lo, s2
	s_delay_alu instid0(VALU_DEP_2)
	v_fmac_f32_e32 v23, v9, v14
.LBB589_51:
	s_or_b32 exec_lo, exec_lo, s0
	s_delay_alu instid0(VALU_DEP_2)
	v_fmac_f32_e32 v22, v9, v13
.LBB589_52:
	s_or_b32 exec_lo, exec_lo, s1
.LBB589_53:
	v_lshlrev_b32_e32 v0, 8, v21
	s_mov_b32 s0, exec_lo
                                        ; implicit-def: $vgpr3
	s_delay_alu instid0(VALU_DEP_1)
	v_add_lshl_u32 v0, v0, v20, 2
	ds_store_2addr_stride64_b32 v0, v22, v23 offset1:1
	ds_store_2addr_stride64_b32 v0, v24, v25 offset0:2 offset1:3
	s_waitcnt lgkmcnt(0)
	s_barrier
	buffer_gl0_inv
                                        ; implicit-def: $vgpr0_vgpr1
	v_cmpx_gt_u32_e32 0x100, v19
	s_cbranch_execz .LBB589_74
; %bb.54:
	v_lshlrev_b32_e32 v5, 2, v19
	s_mov_b32 s2, s27
	s_mov_b32 s1, exec_lo
	ds_load_2addr_stride64_b32 v[0:1], v5 offset1:4
	ds_load_2addr_stride64_b32 v[2:3], v5 offset0:8 offset1:12
	s_waitcnt lgkmcnt(1)
	v_add_f32_e32 v0, v0, v1
	s_waitcnt lgkmcnt(0)
	s_delay_alu instid0(VALU_DEP_1) | instskip(SKIP_1) | instid1(VALU_DEP_2)
	v_add_f32_e32 v0, v2, v0
	v_or_b32_e32 v2, s28, v19
	v_add_f32_e32 v4, v3, v0
                                        ; implicit-def: $vgpr3
                                        ; implicit-def: $vgpr0_vgpr1
	ds_store_b32 v5, v4
	v_cmpx_gt_i32_e64 s8, v2
	s_cbranch_execz .LBB589_73
; %bb.55:
	v_cmp_eq_f32_e64 s2, s26, 0
	v_mul_f32_e32 v0, s10, v4
	s_delay_alu instid0(VALU_DEP_2)
	s_and_b32 vcc_lo, exec_lo, s2
	s_cbranch_vccz .LBB589_61
; %bb.56:
	s_delay_alu instid0(VALU_DEP_1) | instskip(SKIP_1) | instid1(VALU_DEP_1)
	v_and_b32_e32 v1, 0x7f800000, v0
	s_mov_b32 s2, exec_lo
                                        ; implicit-def: $vgpr3
	v_cmpx_ne_u32_e32 0x7f800000, v1
	s_xor_b32 s2, exec_lo, s2
; %bb.57:
	v_bfe_u32 v1, v0, 16, 1
	s_delay_alu instid0(VALU_DEP_1)
	v_add3_u32 v3, v0, v1, 0x7fff
; %bb.58:
	s_and_not1_saveexec_b32 s2, s2
; %bb.59:
	v_and_b32_e32 v1, 0xffff, v0
	v_or_b32_e32 v3, 0x10000, v0
	s_delay_alu instid0(VALU_DEP_2) | instskip(NEXT) | instid1(VALU_DEP_2)
	v_cmp_eq_u32_e32 vcc_lo, 0, v1
	v_cndmask_b32_e32 v3, v3, v0, vcc_lo
; %bb.60:
	s_or_b32 exec_lo, exec_lo, s2
	s_mov_b32 s2, 0
	s_branch .LBB589_62
.LBB589_61:
	s_mov_b32 s2, -1
                                        ; implicit-def: $vgpr3
.LBB589_62:
	v_ashrrev_i32_e32 v1, 31, v2
	v_mul_lo_u32 v4, v2, s7
	s_and_not1_b32 vcc_lo, exec_lo, s2
	s_delay_alu instid0(VALU_DEP_2)
	v_mul_lo_u32 v5, v1, s6
	s_cbranch_vccnz .LBB589_72
; %bb.63:
	v_mad_u64_u32 v[6:7], null, v2, s6, 0
	s_delay_alu instid0(VALU_DEP_1) | instskip(NEXT) | instid1(VALU_DEP_1)
	v_add3_u32 v7, v7, v4, v5
	v_lshlrev_b64 v[6:7], 1, v[6:7]
	s_delay_alu instid0(VALU_DEP_1) | instskip(NEXT) | instid1(VALU_DEP_2)
	v_add_co_u32 v6, vcc_lo, s5, v6
	v_add_co_ci_u32_e32 v7, vcc_lo, s11, v7, vcc_lo
	global_load_u16 v1, v[6:7], off
	s_waitcnt vmcnt(0)
	v_lshlrev_b32_e32 v1, 16, v1
	s_delay_alu instid0(VALU_DEP_1) | instskip(NEXT) | instid1(VALU_DEP_1)
	v_mul_f32_e32 v1, s26, v1
	v_and_b32_e32 v3, 0x7f800000, v1
	s_delay_alu instid0(VALU_DEP_1) | instskip(SKIP_1) | instid1(SALU_CYCLE_1)
	v_cmp_ne_u32_e32 vcc_lo, 0x7f800000, v3
                                        ; implicit-def: $vgpr3
	s_and_saveexec_b32 s2, vcc_lo
	s_xor_b32 s2, exec_lo, s2
; %bb.64:
	v_bfe_u32 v3, v1, 16, 1
	s_delay_alu instid0(VALU_DEP_1)
	v_add3_u32 v3, v1, v3, 0x7fff
                                        ; implicit-def: $vgpr1
; %bb.65:
	s_and_not1_saveexec_b32 s2, s2
; %bb.66:
	v_and_b32_e32 v3, 0xffff, v1
	v_or_b32_e32 v6, 0x10000, v1
	s_delay_alu instid0(VALU_DEP_2) | instskip(NEXT) | instid1(VALU_DEP_2)
	v_cmp_eq_u32_e32 vcc_lo, 0, v3
	v_cndmask_b32_e32 v3, v6, v1, vcc_lo
; %bb.67:
	s_or_b32 exec_lo, exec_lo, s2
	s_delay_alu instid0(VALU_DEP_1) | instskip(SKIP_1) | instid1(VALU_DEP_1)
	v_and_b32_e32 v1, 0xffff0000, v3
	s_mov_b32 s2, exec_lo
                                        ; implicit-def: $vgpr3
	v_add_f32_e32 v0, v0, v1
	s_delay_alu instid0(VALU_DEP_1) | instskip(NEXT) | instid1(VALU_DEP_1)
	v_and_b32_e32 v1, 0x7f800000, v0
	v_cmpx_ne_u32_e32 0x7f800000, v1
	s_xor_b32 s2, exec_lo, s2
; %bb.68:
	v_bfe_u32 v1, v0, 16, 1
	s_delay_alu instid0(VALU_DEP_1)
	v_add3_u32 v3, v0, v1, 0x7fff
                                        ; implicit-def: $vgpr0
; %bb.69:
	s_and_not1_saveexec_b32 s2, s2
; %bb.70:
	v_and_b32_e32 v1, 0xffff, v0
	v_or_b32_e32 v3, 0x10000, v0
	s_delay_alu instid0(VALU_DEP_2) | instskip(NEXT) | instid1(VALU_DEP_2)
	v_cmp_eq_u32_e32 vcc_lo, 0, v1
	v_cndmask_b32_e32 v3, v3, v0, vcc_lo
; %bb.71:
	s_or_b32 exec_lo, exec_lo, s2
.LBB589_72:
	v_mad_u64_u32 v[0:1], null, v2, s6, 0
	s_delay_alu instid0(VALU_DEP_2) | instskip(SKIP_1) | instid1(VALU_DEP_2)
	v_lshrrev_b32_e32 v3, 16, v3
	s_or_b32 s2, s27, exec_lo
	v_add3_u32 v1, v1, v4, v5
.LBB589_73:
	s_or_b32 exec_lo, exec_lo, s1
	s_delay_alu instid0(SALU_CYCLE_1) | instskip(SKIP_1) | instid1(SALU_CYCLE_1)
	s_and_not1_b32 s1, s27, exec_lo
	s_and_b32 s2, s2, exec_lo
	s_or_b32 s27, s1, s2
.LBB589_74:
	s_or_b32 exec_lo, exec_lo, s0
.LBB589_75:
	s_and_saveexec_b32 s0, s27
	s_cbranch_execz .LBB589_77
; %bb.76:
	v_lshlrev_b64 v[0:1], 1, v[0:1]
	s_delay_alu instid0(VALU_DEP_1) | instskip(NEXT) | instid1(VALU_DEP_2)
	v_add_co_u32 v0, vcc_lo, s5, v0
	v_add_co_ci_u32_e32 v1, vcc_lo, s11, v1, vcc_lo
	global_store_b16 v[0:1], v3, off
.LBB589_77:
	s_nop 0
	s_sendmsg sendmsg(MSG_DEALLOC_VGPRS)
	s_endpgm
	.section	.rodata,"a",@progbits
	.p2align	6, 0x0
	.amdhsa_kernel _ZL20rocblas_gemvn_kernelILi64ELi4ElPK16rocblas_bfloat16fKPS0_EviiT3_lPKT2_lT1_lS8_lS9_lS5_lPT4_lS9_li
		.amdhsa_group_segment_fixed_size 4096
		.amdhsa_private_segment_fixed_size 0
		.amdhsa_kernarg_size 400
		.amdhsa_user_sgpr_count 14
		.amdhsa_user_sgpr_dispatch_ptr 0
		.amdhsa_user_sgpr_queue_ptr 0
		.amdhsa_user_sgpr_kernarg_segment_ptr 1
		.amdhsa_user_sgpr_dispatch_id 0
		.amdhsa_user_sgpr_private_segment_size 0
		.amdhsa_wavefront_size32 1
		.amdhsa_uses_dynamic_stack 0
		.amdhsa_enable_private_segment 0
		.amdhsa_system_sgpr_workgroup_id_x 1
		.amdhsa_system_sgpr_workgroup_id_y 0
		.amdhsa_system_sgpr_workgroup_id_z 1
		.amdhsa_system_sgpr_workgroup_info 0
		.amdhsa_system_vgpr_workitem_id 1
		.amdhsa_next_free_vgpr 51
		.amdhsa_next_free_sgpr 35
		.amdhsa_reserve_vcc 1
		.amdhsa_float_round_mode_32 0
		.amdhsa_float_round_mode_16_64 0
		.amdhsa_float_denorm_mode_32 3
		.amdhsa_float_denorm_mode_16_64 3
		.amdhsa_dx10_clamp 1
		.amdhsa_ieee_mode 1
		.amdhsa_fp16_overflow 0
		.amdhsa_workgroup_processor_mode 1
		.amdhsa_memory_ordered 1
		.amdhsa_forward_progress 0
		.amdhsa_shared_vgpr_count 0
		.amdhsa_exception_fp_ieee_invalid_op 0
		.amdhsa_exception_fp_denorm_src 0
		.amdhsa_exception_fp_ieee_div_zero 0
		.amdhsa_exception_fp_ieee_overflow 0
		.amdhsa_exception_fp_ieee_underflow 0
		.amdhsa_exception_fp_ieee_inexact 0
		.amdhsa_exception_int_div_zero 0
	.end_amdhsa_kernel
	.section	.text._ZL20rocblas_gemvn_kernelILi64ELi4ElPK16rocblas_bfloat16fKPS0_EviiT3_lPKT2_lT1_lS8_lS9_lS5_lPT4_lS9_li,"axG",@progbits,_ZL20rocblas_gemvn_kernelILi64ELi4ElPK16rocblas_bfloat16fKPS0_EviiT3_lPKT2_lT1_lS8_lS9_lS5_lPT4_lS9_li,comdat
.Lfunc_end589:
	.size	_ZL20rocblas_gemvn_kernelILi64ELi4ElPK16rocblas_bfloat16fKPS0_EviiT3_lPKT2_lT1_lS8_lS9_lS5_lPT4_lS9_li, .Lfunc_end589-_ZL20rocblas_gemvn_kernelILi64ELi4ElPK16rocblas_bfloat16fKPS0_EviiT3_lPKT2_lT1_lS8_lS9_lS5_lPT4_lS9_li
                                        ; -- End function
	.section	.AMDGPU.csdata,"",@progbits
; Kernel info:
; codeLenInByte = 3868
; NumSgprs: 37
; NumVgprs: 51
; ScratchSize: 0
; MemoryBound: 0
; FloatMode: 240
; IeeeMode: 1
; LDSByteSize: 4096 bytes/workgroup (compile time only)
; SGPRBlocks: 4
; VGPRBlocks: 6
; NumSGPRsForWavesPerEU: 37
; NumVGPRsForWavesPerEU: 51
; Occupancy: 16
; WaveLimiterHint : 1
; COMPUTE_PGM_RSRC2:SCRATCH_EN: 0
; COMPUTE_PGM_RSRC2:USER_SGPR: 14
; COMPUTE_PGM_RSRC2:TRAP_HANDLER: 0
; COMPUTE_PGM_RSRC2:TGID_X_EN: 1
; COMPUTE_PGM_RSRC2:TGID_Y_EN: 0
; COMPUTE_PGM_RSRC2:TGID_Z_EN: 1
; COMPUTE_PGM_RSRC2:TIDIG_COMP_CNT: 1
	.section	.text._ZL20rocblas_gemvn_kernelILi32ELi16EiPK16rocblas_bfloat16PKfKPS0_EviiT3_lPKT2_lT1_lSA_lSB_lS7_lPT4_lSB_li,"axG",@progbits,_ZL20rocblas_gemvn_kernelILi32ELi16EiPK16rocblas_bfloat16PKfKPS0_EviiT3_lPKT2_lT1_lSA_lSB_lS7_lPT4_lSB_li,comdat
	.globl	_ZL20rocblas_gemvn_kernelILi32ELi16EiPK16rocblas_bfloat16PKfKPS0_EviiT3_lPKT2_lT1_lSA_lSB_lS7_lPT4_lSB_li ; -- Begin function _ZL20rocblas_gemvn_kernelILi32ELi16EiPK16rocblas_bfloat16PKfKPS0_EviiT3_lPKT2_lT1_lSA_lSB_lS7_lPT4_lSB_li
	.p2align	8
	.type	_ZL20rocblas_gemvn_kernelILi32ELi16EiPK16rocblas_bfloat16PKfKPS0_EviiT3_lPKT2_lT1_lSA_lSB_lS7_lPT4_lSB_li,@function
_ZL20rocblas_gemvn_kernelILi32ELi16EiPK16rocblas_bfloat16PKfKPS0_EviiT3_lPKT2_lT1_lSA_lSB_lS7_lPT4_lSB_li: ; @_ZL20rocblas_gemvn_kernelILi32ELi16EiPK16rocblas_bfloat16PKfKPS0_EviiT3_lPKT2_lT1_lSA_lSB_lS7_lPT4_lSB_li
; %bb.0:
	s_load_b64 s[4:5], s[0:1], 0x9c
	s_waitcnt lgkmcnt(0)
	s_lshr_b32 s3, s4, 16
	s_and_b32 s4, s4, 0xffff
	s_and_b32 s5, s5, 0xffff
	s_mul_i32 s3, s3, s4
	s_delay_alu instid0(SALU_CYCLE_1) | instskip(NEXT) | instid1(SALU_CYCLE_1)
	s_mul_i32 s3, s3, s5
	s_cmpk_lg_i32 s3, 0x200
	s_cbranch_scc1 .LBB590_74
; %bb.1:
	s_clause 0x1
	s_load_b256 s[16:23], s[0:1], 0x8
	s_load_b256 s[4:11], s[0:1], 0x58
	s_mov_b32 s2, s15
	s_waitcnt lgkmcnt(0)
	s_mul_i32 s3, s15, s19
	s_mul_hi_u32 s13, s15, s18
	s_mul_i32 s12, s15, s18
	s_add_i32 s13, s13, s3
	s_mul_i32 s3, s15, s7
	s_lshl_b64 s[12:13], s[12:13], 2
	s_mul_hi_u32 s7, s15, s6
	s_add_u32 s12, s16, s12
	s_addc_u32 s13, s17, s13
	s_add_i32 s7, s7, s3
	s_mul_i32 s6, s15, s6
	s_delay_alu instid0(SALU_CYCLE_1) | instskip(NEXT) | instid1(SALU_CYCLE_1)
	s_lshl_b64 s[6:7], s[6:7], 2
	s_add_u32 s4, s4, s6
	s_addc_u32 s5, s5, s7
	s_load_b32 s16, s[12:13], 0x0
	s_load_b32 s15, s[4:5], 0x0
	s_waitcnt lgkmcnt(0)
	v_cmp_eq_f32_e64 s18, s16, 0
	v_cmp_eq_f32_e64 s3, s15, 1.0
	s_delay_alu instid0(VALU_DEP_1) | instskip(NEXT) | instid1(SALU_CYCLE_1)
	s_and_b32 s3, s18, s3
	s_and_b32 vcc_lo, exec_lo, s3
	s_mov_b32 s3, 0
	s_cbranch_vccnz .LBB590_74
; %bb.2:
	v_cmp_neq_f32_e64 s4, s16, 0
	s_mov_b64 s[12:13], 0
	s_and_b32 vcc_lo, exec_lo, s18
	s_mov_b64 s[6:7], 0
	s_cbranch_vccnz .LBB590_4
; %bb.3:
	s_lshl_b64 s[6:7], s[2:3], 3
	s_delay_alu instid0(SALU_CYCLE_1)
	s_add_u32 s6, s20, s6
	s_addc_u32 s7, s21, s7
	s_lshl_b64 s[20:21], s[22:23], 1
	s_load_b64 s[6:7], s[6:7], 0x0
	s_waitcnt lgkmcnt(0)
	s_add_u32 s6, s6, s20
	s_addc_u32 s7, s7, s21
.LBB590_4:
	s_and_not1_b32 vcc_lo, exec_lo, s4
	s_cbranch_vccnz .LBB590_6
; %bb.5:
	s_load_b128 s[20:23], s[0:1], 0x38
	s_lshl_b64 s[4:5], s[2:3], 3
	s_waitcnt lgkmcnt(0)
	s_add_u32 s4, s20, s4
	s_addc_u32 s5, s21, s5
	s_lshl_b64 s[12:13], s[22:23], 1
	s_load_b64 s[4:5], s[4:5], 0x0
	s_waitcnt lgkmcnt(0)
	s_add_u32 s12, s4, s12
	s_addc_u32 s13, s5, s13
.LBB590_6:
	s_lshl_b64 s[2:3], s[2:3], 3
	v_and_b32_e32 v1, 0x3ff, v0
	s_add_u32 s2, s8, s2
	s_addc_u32 s3, s9, s3
	v_bfe_u32 v13, v0, 10, 10
	s_load_b64 s[20:21], s[2:3], 0x0
	s_clause 0x1
	s_load_b64 s[4:5], s[0:1], 0x0
	s_load_b32 s17, s[0:1], 0x78
	s_lshl_b64 s[10:11], s[10:11], 1
	v_lshl_add_u32 v0, v13, 5, v1
	s_delay_alu instid0(VALU_DEP_1)
	v_cmp_gt_u32_e64 s2, 0x80, v0
	s_waitcnt lgkmcnt(0)
	s_add_u32 s9, s20, s10
	s_addc_u32 s10, s21, s11
	s_and_not1_b32 vcc_lo, exec_lo, s18
	s_cbranch_vccnz .LBB590_15
; %bb.7:
	s_mov_b32 s3, 0
	s_mov_b32 s11, 0
                                        ; implicit-def: $vgpr5
                                        ; implicit-def: $vgpr2_vgpr3
	s_and_saveexec_b32 s8, s2
	s_cbranch_execz .LBB590_16
; %bb.8:
	v_lshl_or_b32 v4, s14, 7, v0
	v_mov_b32_e32 v5, 0
	s_ashr_i32 s19, s4, 31
	s_mov_b32 s18, s4
                                        ; implicit-def: $vgpr2_vgpr3
	s_delay_alu instid0(VALU_DEP_1) | instid1(SALU_CYCLE_1)
	v_cmp_gt_i64_e32 vcc_lo, s[18:19], v[4:5]
                                        ; implicit-def: $vgpr5
	s_and_saveexec_b32 s2, vcc_lo
	s_cbranch_execz .LBB590_19
; %bb.9:
	v_mad_u64_u32 v[2:3], null, s17, v4, 0
	s_ashr_i32 s11, s17, 31
	s_delay_alu instid0(VALU_DEP_1) | instid1(SALU_CYCLE_1)
	v_mad_u64_u32 v[5:6], null, s11, v4, v[3:4]
	v_cmp_eq_f32_e64 s11, s15, 0
	s_delay_alu instid0(VALU_DEP_1) | instskip(NEXT) | instid1(VALU_DEP_2)
	s_and_b32 vcc_lo, exec_lo, s11
	v_mov_b32_e32 v3, v5
	s_cbranch_vccnz .LBB590_17
; %bb.10:
	s_delay_alu instid0(VALU_DEP_1) | instskip(NEXT) | instid1(VALU_DEP_1)
	v_lshlrev_b64 v[4:5], 1, v[2:3]
	v_add_co_u32 v4, vcc_lo, s9, v4
	s_delay_alu instid0(VALU_DEP_2) | instskip(SKIP_3) | instid1(VALU_DEP_1)
	v_add_co_ci_u32_e32 v5, vcc_lo, s10, v5, vcc_lo
	global_load_u16 v4, v[4:5], off
	s_waitcnt vmcnt(0)
	v_lshlrev_b32_e32 v4, 16, v4
	v_mul_f32_e32 v4, s15, v4
	s_delay_alu instid0(VALU_DEP_1) | instskip(NEXT) | instid1(VALU_DEP_1)
	v_and_b32_e32 v5, 0x7f800000, v4
	v_cmp_ne_u32_e32 vcc_lo, 0x7f800000, v5
                                        ; implicit-def: $vgpr5
	s_and_saveexec_b32 s11, vcc_lo
	s_delay_alu instid0(SALU_CYCLE_1)
	s_xor_b32 s11, exec_lo, s11
; %bb.11:
	v_bfe_u32 v5, v4, 16, 1
	s_delay_alu instid0(VALU_DEP_1)
	v_add3_u32 v5, v4, v5, 0x7fff
                                        ; implicit-def: $vgpr4
; %bb.12:
	s_and_not1_saveexec_b32 s11, s11
; %bb.13:
	v_and_b32_e32 v5, 0xffff, v4
	v_or_b32_e32 v6, 0x10000, v4
	s_delay_alu instid0(VALU_DEP_2) | instskip(NEXT) | instid1(VALU_DEP_2)
	v_cmp_eq_u32_e32 vcc_lo, 0, v5
	v_cndmask_b32_e32 v5, v6, v4, vcc_lo
; %bb.14:
	s_or_b32 exec_lo, exec_lo, s11
	s_delay_alu instid0(VALU_DEP_1)
	v_lshrrev_b32_e32 v5, 16, v5
	s_branch .LBB590_18
.LBB590_15:
	s_mov_b32 s11, 0
                                        ; implicit-def: $vgpr5
                                        ; implicit-def: $vgpr2_vgpr3
	s_cbranch_execnz .LBB590_20
	s_branch .LBB590_72
.LBB590_16:
	s_or_b32 exec_lo, exec_lo, s8
	s_delay_alu instid0(SALU_CYCLE_1)
	s_and_b32 vcc_lo, exec_lo, s3
	s_cbranch_vccnz .LBB590_20
	s_branch .LBB590_72
.LBB590_17:
	v_mov_b32_e32 v5, 0
.LBB590_18:
	s_mov_b32 s11, exec_lo
.LBB590_19:
	s_or_b32 exec_lo, exec_lo, s2
	s_delay_alu instid0(SALU_CYCLE_1) | instskip(SKIP_1) | instid1(SALU_CYCLE_1)
	s_and_b32 s11, s11, exec_lo
	s_or_b32 exec_lo, exec_lo, s8
	s_and_b32 vcc_lo, exec_lo, s3
	s_cbranch_vccz .LBB590_72
.LBB590_20:
	s_clause 0x1
	s_load_b32 s18, s[0:1], 0x28
	s_load_b32 s8, s[0:1], 0x48
	s_ashr_i32 s0, s5, 31
	s_lshl_b32 s14, s14, 7
	s_lshr_b32 s0, s0, 26
	v_dual_mov_b32 v14, 0 :: v_dual_lshlrev_b32 v19, 2, v13
	v_dual_mov_b32 v15, 0 :: v_dual_add_nc_u32 v18, s14, v1
	v_dual_mov_b32 v16, 0 :: v_dual_mov_b32 v17, 0
	s_add_i32 s19, s5, s0
	s_mov_b32 s20, exec_lo
	s_and_not1_b32 s19, s19, 63
	s_delay_alu instid0(SALU_CYCLE_1)
	v_cmpx_gt_i32_e64 s19, v19
	s_cbranch_execz .LBB590_32
; %bb.21:
	s_waitcnt lgkmcnt(0)
	v_mul_lo_u32 v3, s18, v19
	v_dual_mov_b32 v15, 0 :: v_dual_add_nc_u32 v2, 32, v18
	v_add_nc_u32_e32 v6, 2, v19
	v_dual_mov_b32 v14, 0 :: v_dual_add_nc_u32 v5, 0x60, v18
	s_delay_alu instid0(VALU_DEP_3)
	v_cmp_gt_i32_e64 s0, s4, v2
	v_dual_mov_b32 v17, 0 :: v_dual_add_nc_u32 v4, 64, v18
	v_add3_u32 v20, v3, s18, v1
	v_mad_u64_u32 v[2:3], null, s18, v6, v[1:2]
	v_cmp_gt_i32_e64 s2, s4, v5
	v_mul_lo_u32 v5, v13, s18
	v_dual_mov_b32 v16, 0 :: v_dual_add_nc_u32 v7, 3, v19
	v_mul_lo_u32 v8, v13, s8
	v_cmp_gt_i32_e64 s1, s4, v4
	v_mul_lo_u32 v22, s8, v6
	s_delay_alu instid0(VALU_DEP_4)
	v_mad_u64_u32 v[3:4], null, s18, v7, v[1:2]
	v_lshl_add_u32 v21, v5, 2, v1
	v_mad_u64_u32 v[4:5], null, s8, v19, s[8:9]
	v_mul_lo_u32 v23, s8, v7
	v_cmp_gt_i32_e32 vcc_lo, s4, v18
	v_lshlrev_b32_e32 v24, 2, v8
	s_lshl_b32 s21, s18, 6
	s_lshl_b32 s23, s8, 6
	s_mov_b32 s22, 0
	s_mov_b32 s24, 0
	s_branch .LBB590_26
.LBB590_22:                             ;   in Loop: Header=BB590_26 Depth=1
	s_or_b32 exec_lo, exec_lo, s27
	s_waitcnt vmcnt(2) lgkmcnt(2)
	v_lshlrev_b32_e32 v6, 16, v39
	v_lshlrev_b32_e32 v5, 16, v40
	s_waitcnt vmcnt(1) lgkmcnt(1)
	s_delay_alu instid0(VALU_DEP_1) | instskip(NEXT) | instid1(VALU_DEP_1)
	v_dual_fmac_f32 v16, v32, v5 :: v_dual_lshlrev_b32 v5, 16, v38
	v_fmac_f32_e32 v16, v30, v6
	s_delay_alu instid0(VALU_DEP_1) | instskip(SKIP_2) | instid1(VALU_DEP_1)
	v_fmac_f32_e32 v16, v28, v5
	s_waitcnt vmcnt(0) lgkmcnt(0)
	v_lshlrev_b32_e32 v5, 16, v37
	v_fmac_f32_e32 v16, v27, v5
.LBB590_23:                             ;   in Loop: Header=BB590_26 Depth=1
	s_or_b32 exec_lo, exec_lo, s26
	s_waitcnt vmcnt(3) lgkmcnt(3)
	v_lshlrev_b32_e32 v5, 16, v36
	s_waitcnt vmcnt(2) lgkmcnt(2)
	s_delay_alu instid0(VALU_DEP_1) | instskip(SKIP_2) | instid1(VALU_DEP_2)
	v_dual_fmac_f32 v15, v32, v5 :: v_dual_lshlrev_b32 v6, 16, v35
	s_waitcnt vmcnt(1) lgkmcnt(1)
	v_lshlrev_b32_e32 v5, 16, v34
	v_fmac_f32_e32 v15, v30, v6
	s_delay_alu instid0(VALU_DEP_1) | instskip(SKIP_2) | instid1(VALU_DEP_1)
	v_fmac_f32_e32 v15, v28, v5
	s_waitcnt vmcnt(0) lgkmcnt(0)
	v_lshlrev_b32_e32 v5, 16, v33
	v_fmac_f32_e32 v15, v27, v5
.LBB590_24:                             ;   in Loop: Header=BB590_26 Depth=1
	s_or_b32 exec_lo, exec_lo, s3
	s_waitcnt vmcnt(2) lgkmcnt(2)
	v_lshlrev_b32_e32 v6, 16, v29
	v_lshlrev_b32_e32 v5, 16, v31
	s_waitcnt vmcnt(1) lgkmcnt(1)
	s_delay_alu instid0(VALU_DEP_1) | instskip(NEXT) | instid1(VALU_DEP_1)
	v_dual_fmac_f32 v14, v32, v5 :: v_dual_lshlrev_b32 v5, 16, v26
	v_fmac_f32_e32 v14, v30, v6
	s_delay_alu instid0(VALU_DEP_1) | instskip(SKIP_2) | instid1(VALU_DEP_1)
	v_fmac_f32_e32 v14, v28, v5
	s_waitcnt vmcnt(0) lgkmcnt(0)
	v_lshlrev_b32_e32 v5, 16, v25
	v_fmac_f32_e32 v14, v27, v5
.LBB590_25:                             ;   in Loop: Header=BB590_26 Depth=1
	s_or_b32 exec_lo, exec_lo, s25
	v_add_nc_u32_e32 v19, 64, v19
	v_add_nc_u32_e32 v20, s21, v20
	;; [unrolled: 1-line block ×5, first 2 shown]
	v_cmp_le_i32_e64 s3, s19, v19
	s_add_i32 s24, s24, s23
	s_delay_alu instid0(VALU_DEP_1) | instskip(NEXT) | instid1(SALU_CYCLE_1)
	s_or_b32 s22, s3, s22
	s_and_not1_b32 exec_lo, exec_lo, s22
	s_cbranch_execz .LBB590_31
.LBB590_26:                             ; =>This Inner Loop Header: Depth=1
	s_and_saveexec_b32 s25, vcc_lo
	s_cbranch_execz .LBB590_25
; %bb.27:                               ;   in Loop: Header=BB590_26 Depth=1
	v_add_nc_u32_e32 v5, s24, v24
	v_add_nc_u32_e32 v7, s24, v4
	;; [unrolled: 1-line block ×5, first 2 shown]
	v_ashrrev_i32_e32 v6, 31, v5
	v_ashrrev_i32_e32 v8, 31, v7
	;; [unrolled: 1-line block ×4, first 2 shown]
	v_add_nc_u32_e32 v27, s14, v20
	v_lshlrev_b64 v[5:6], 1, v[5:6]
	v_lshlrev_b64 v[7:8], 1, v[7:8]
	;; [unrolled: 1-line block ×4, first 2 shown]
	v_ashrrev_i32_e32 v26, 31, v25
	v_ashrrev_i32_e32 v28, 31, v27
	v_add_co_u32 v5, s3, s12, v5
	s_delay_alu instid0(VALU_DEP_1) | instskip(SKIP_1) | instid1(VALU_DEP_1)
	v_add_co_ci_u32_e64 v6, s3, s13, v6, s3
	v_add_co_u32 v7, s3, s12, v7
	v_add_co_ci_u32_e64 v8, s3, s13, v8, s3
	v_add_co_u32 v9, s3, s12, v9
	s_delay_alu instid0(VALU_DEP_1)
	v_add_co_ci_u32_e64 v10, s3, s13, v10, s3
	v_add_co_u32 v11, s3, s12, v11
	v_add_nc_u32_e32 v29, s14, v2
	v_add_co_ci_u32_e64 v12, s3, s13, v12, s3
	v_lshlrev_b64 v[25:26], 1, v[25:26]
	s_clause 0x3
	flat_load_u16 v32, v[5:6]
	flat_load_u16 v33, v[7:8]
	;; [unrolled: 1-line block ×4, first 2 shown]
	v_add_nc_u32_e32 v11, s14, v3
	v_lshlrev_b64 v[5:6], 1, v[27:28]
	v_ashrrev_i32_e32 v30, 31, v29
	v_add_co_u32 v7, s3, s6, v25
	s_delay_alu instid0(VALU_DEP_4) | instskip(SKIP_1) | instid1(VALU_DEP_4)
	v_ashrrev_i32_e32 v12, 31, v11
	v_add_co_ci_u32_e64 v8, s3, s7, v26, s3
	v_lshlrev_b64 v[25:26], 1, v[29:30]
	v_add_co_u32 v9, s3, s6, v5
	s_delay_alu instid0(VALU_DEP_1) | instskip(SKIP_1) | instid1(VALU_DEP_4)
	v_add_co_ci_u32_e64 v10, s3, s7, v6, s3
	v_lshlrev_b64 v[5:6], 1, v[11:12]
	v_add_co_u32 v11, s3, s6, v25
	s_delay_alu instid0(VALU_DEP_1) | instskip(NEXT) | instid1(VALU_DEP_3)
	v_add_co_ci_u32_e64 v12, s3, s7, v26, s3
	v_add_co_u32 v5, s3, s6, v5
	s_delay_alu instid0(VALU_DEP_1)
	v_add_co_ci_u32_e64 v6, s3, s7, v6, s3
	s_clause 0x3
	flat_load_u16 v31, v[7:8]
	flat_load_u16 v29, v[9:10]
	;; [unrolled: 1-line block ×4, first 2 shown]
	s_waitcnt vmcnt(7) lgkmcnt(7)
	v_lshlrev_b32_e32 v32, 16, v32
	s_waitcnt vmcnt(6) lgkmcnt(6)
	v_lshlrev_b32_e32 v30, 16, v33
	;; [unrolled: 2-line block ×4, first 2 shown]
	s_and_saveexec_b32 s3, s0
	s_cbranch_execz .LBB590_24
; %bb.28:                               ;   in Loop: Header=BB590_26 Depth=1
	s_clause 0x3
	flat_load_u16 v36, v[7:8] offset:64
	flat_load_u16 v35, v[9:10] offset:64
	flat_load_u16 v34, v[11:12] offset:64
	flat_load_u16 v33, v[5:6] offset:64
	s_and_saveexec_b32 s26, s1
	s_cbranch_execz .LBB590_23
; %bb.29:                               ;   in Loop: Header=BB590_26 Depth=1
	s_clause 0x3
	flat_load_u16 v40, v[7:8] offset:128
	flat_load_u16 v39, v[9:10] offset:128
	flat_load_u16 v38, v[11:12] offset:128
	flat_load_u16 v37, v[5:6] offset:128
	;; [unrolled: 8-line block ×3, first 2 shown]
	s_waitcnt vmcnt(0) lgkmcnt(0)
	v_lshlrev_b32_e32 v5, 16, v5
	v_lshlrev_b32_e32 v6, 16, v7
	;; [unrolled: 1-line block ×3, first 2 shown]
	s_delay_alu instid0(VALU_DEP_2) | instskip(NEXT) | instid1(VALU_DEP_1)
	v_dual_fmac_f32 v17, v32, v6 :: v_dual_lshlrev_b32 v6, 16, v9
	v_fmac_f32_e32 v17, v30, v7
	s_delay_alu instid0(VALU_DEP_1) | instskip(NEXT) | instid1(VALU_DEP_1)
	v_fmac_f32_e32 v17, v28, v6
	v_fmac_f32_e32 v17, v27, v5
	s_branch .LBB590_22
.LBB590_31:
	s_or_b32 exec_lo, exec_lo, s22
.LBB590_32:
	s_delay_alu instid0(SALU_CYCLE_1) | instskip(SKIP_1) | instid1(SALU_CYCLE_1)
	s_or_b32 exec_lo, exec_lo, s20
	s_sub_i32 s0, s5, s19
	s_cmp_lt_i32 s0, 1
	s_cbranch_scc1 .LBB590_50
; %bb.33:
	v_cmp_gt_i32_e32 vcc_lo, s5, v19
	v_dual_mov_b32 v10, 0 :: v_dual_mov_b32 v11, 0
	v_or_b32_e32 v2, 1, v19
	v_mov_b32_e32 v12, 0
	v_mov_b32_e32 v20, 0
	s_and_saveexec_b32 s1, vcc_lo
	s_cbranch_execz .LBB590_41
; %bb.34:
	s_waitcnt lgkmcnt(0)
	v_mul_lo_u32 v3, v19, s8
	v_dual_mov_b32 v12, 0 :: v_dual_mov_b32 v11, 0
	v_mov_b32_e32 v10, 0
	s_mov_b32 s2, exec_lo
	s_delay_alu instid0(VALU_DEP_3) | instskip(NEXT) | instid1(VALU_DEP_1)
	v_ashrrev_i32_e32 v4, 31, v3
	v_lshlrev_b64 v[3:4], 1, v[3:4]
	s_delay_alu instid0(VALU_DEP_1) | instskip(NEXT) | instid1(VALU_DEP_1)
	v_add_co_u32 v3, s0, s12, v3
	v_add_co_ci_u32_e64 v4, s0, s13, v4, s0
	flat_load_u16 v3, v[3:4]
	v_cmpx_gt_i32_e64 s5, v2
	s_cbranch_execz .LBB590_40
; %bb.35:
	v_mul_lo_u32 v4, v2, s8
	v_dual_mov_b32 v11, 0 :: v_dual_mov_b32 v10, 0
	s_mov_b32 s3, exec_lo
	s_delay_alu instid0(VALU_DEP_2) | instskip(NEXT) | instid1(VALU_DEP_1)
	v_ashrrev_i32_e32 v5, 31, v4
	v_lshlrev_b64 v[4:5], 1, v[4:5]
	s_delay_alu instid0(VALU_DEP_1) | instskip(NEXT) | instid1(VALU_DEP_1)
	v_add_co_u32 v4, s0, s12, v4
	v_add_co_ci_u32_e64 v5, s0, s13, v5, s0
	flat_load_u16 v4, v[4:5]
	v_or_b32_e32 v5, 2, v19
	s_delay_alu instid0(VALU_DEP_1)
	v_cmpx_gt_i32_e64 s5, v5
	s_cbranch_execz .LBB590_39
; %bb.36:
	v_mul_lo_u32 v5, v5, s8
	v_mov_b32_e32 v10, 0
	s_mov_b32 s19, exec_lo
	s_delay_alu instid0(VALU_DEP_2) | instskip(NEXT) | instid1(VALU_DEP_1)
	v_ashrrev_i32_e32 v6, 31, v5
	v_lshlrev_b64 v[5:6], 1, v[5:6]
	s_delay_alu instid0(VALU_DEP_1) | instskip(NEXT) | instid1(VALU_DEP_1)
	v_add_co_u32 v5, s0, s12, v5
	v_add_co_ci_u32_e64 v6, s0, s13, v6, s0
	flat_load_u16 v5, v[5:6]
	v_or_b32_e32 v6, 3, v19
	s_delay_alu instid0(VALU_DEP_1)
	v_cmpx_gt_i32_e64 s5, v6
	s_cbranch_execz .LBB590_38
; %bb.37:
	v_mul_lo_u32 v6, v6, s8
	s_delay_alu instid0(VALU_DEP_1) | instskip(NEXT) | instid1(VALU_DEP_1)
	v_ashrrev_i32_e32 v7, 31, v6
	v_lshlrev_b64 v[6:7], 1, v[6:7]
	s_delay_alu instid0(VALU_DEP_1) | instskip(NEXT) | instid1(VALU_DEP_1)
	v_add_co_u32 v6, s0, s12, v6
	v_add_co_ci_u32_e64 v7, s0, s13, v7, s0
	flat_load_u16 v6, v[6:7]
	s_waitcnt vmcnt(0) lgkmcnt(0)
	v_lshlrev_b32_e32 v10, 16, v6
.LBB590_38:
	s_or_b32 exec_lo, exec_lo, s19
	s_waitcnt vmcnt(0) lgkmcnt(0)
	v_lshlrev_b32_e32 v11, 16, v5
.LBB590_39:
	s_or_b32 exec_lo, exec_lo, s3
	s_waitcnt vmcnt(0) lgkmcnt(0)
	v_lshlrev_b32_e32 v12, 16, v4
.LBB590_40:
	s_or_b32 exec_lo, exec_lo, s2
	s_waitcnt vmcnt(0) lgkmcnt(0)
	v_lshlrev_b32_e32 v20, 16, v3
.LBB590_41:
	s_or_b32 exec_lo, exec_lo, s1
	s_delay_alu instid0(SALU_CYCLE_1)
	s_mov_b32 s1, exec_lo
	v_cmpx_gt_i32_e64 s4, v18
	s_cbranch_execz .LBB590_49
; %bb.42:
	s_waitcnt lgkmcnt(0)
	v_mul_lo_u32 v3, v19, s18
	v_mul_lo_u32 v4, v2, s18
	v_or_b32_e32 v5, 2, v19
	v_or_b32_e32 v6, 3, v19
	s_mov_b32 s0, exec_lo
	s_delay_alu instid0(VALU_DEP_2)
	v_mul_lo_u32 v7, v5, s18
	v_cndmask_b32_e32 v3, 0, v3, vcc_lo
	v_cmp_gt_i32_e32 vcc_lo, s5, v2
	v_mul_lo_u32 v8, v6, s18
	v_cndmask_b32_e32 v4, 0, v4, vcc_lo
	v_cmp_gt_i32_e32 vcc_lo, s5, v5
	v_add_nc_u32_e32 v2, v3, v18
	s_delay_alu instid0(VALU_DEP_3) | instskip(NEXT) | instid1(VALU_DEP_2)
	v_dual_cndmask_b32 v7, 0, v7 :: v_dual_add_nc_u32 v4, v4, v18
	v_ashrrev_i32_e32 v3, 31, v2
	v_cmp_gt_i32_e32 vcc_lo, s5, v6
	s_delay_alu instid0(VALU_DEP_3) | instskip(NEXT) | instid1(VALU_DEP_4)
	v_ashrrev_i32_e32 v5, 31, v4
	v_add_nc_u32_e32 v6, v7, v18
	s_delay_alu instid0(VALU_DEP_4) | instskip(SKIP_1) | instid1(VALU_DEP_4)
	v_lshlrev_b64 v[2:3], 1, v[2:3]
	v_cndmask_b32_e32 v8, 0, v8, vcc_lo
	v_lshlrev_b64 v[21:22], 1, v[4:5]
	s_delay_alu instid0(VALU_DEP_4) | instskip(NEXT) | instid1(VALU_DEP_4)
	v_ashrrev_i32_e32 v7, 31, v6
	v_add_co_u32 v4, vcc_lo, s6, v2
	v_add_co_ci_u32_e32 v5, vcc_lo, s7, v3, vcc_lo
	s_delay_alu instid0(VALU_DEP_4)
	v_add_co_u32 v2, vcc_lo, s6, v21
	v_add_co_ci_u32_e32 v3, vcc_lo, s7, v22, vcc_lo
	s_clause 0x1
	flat_load_u16 v19, v[4:5]
	flat_load_u16 v23, v[2:3]
	v_lshlrev_b64 v[6:7], 1, v[6:7]
	s_waitcnt vmcnt(1) lgkmcnt(1)
	v_lshlrev_b32_e32 v19, 16, v19
	v_add_nc_u32_e32 v8, v8, v18
	s_delay_alu instid0(VALU_DEP_1) | instskip(NEXT) | instid1(VALU_DEP_1)
	v_ashrrev_i32_e32 v9, 31, v8
	v_lshlrev_b64 v[21:22], 1, v[8:9]
	v_add_co_u32 v8, vcc_lo, s6, v6
	v_add_co_ci_u32_e32 v9, vcc_lo, s7, v7, vcc_lo
	s_delay_alu instid0(VALU_DEP_3) | instskip(NEXT) | instid1(VALU_DEP_4)
	v_add_co_u32 v6, vcc_lo, s6, v21
	v_add_co_ci_u32_e32 v7, vcc_lo, s7, v22, vcc_lo
	s_clause 0x1
	flat_load_u16 v21, v[8:9]
	flat_load_u16 v22, v[6:7]
	s_waitcnt vmcnt(1) lgkmcnt(1)
	v_dual_fmac_f32 v14, v20, v19 :: v_dual_lshlrev_b32 v21, 16, v21
	v_lshlrev_b32_e32 v23, 16, v23
	s_waitcnt vmcnt(0) lgkmcnt(0)
	s_delay_alu instid0(VALU_DEP_1) | instskip(NEXT) | instid1(VALU_DEP_1)
	v_dual_fmac_f32 v14, v12, v23 :: v_dual_lshlrev_b32 v19, 16, v22
	v_dual_fmac_f32 v14, v11, v21 :: v_dual_add_nc_u32 v23, 32, v18
	s_delay_alu instid0(VALU_DEP_1)
	v_cmpx_gt_i32_e64 s4, v23
	s_cbranch_execz .LBB590_48
; %bb.43:
	s_clause 0x3
	flat_load_u16 v21, v[4:5] offset:64
	flat_load_u16 v22, v[2:3] offset:64
	;; [unrolled: 1-line block ×4, first 2 shown]
	s_mov_b32 s2, exec_lo
	s_waitcnt vmcnt(3) lgkmcnt(3)
	v_lshlrev_b32_e32 v21, 16, v21
	s_waitcnt vmcnt(2) lgkmcnt(2)
	v_lshlrev_b32_e32 v22, 16, v22
	;; [unrolled: 2-line block ×3, first 2 shown]
	v_fmac_f32_e32 v15, v20, v21
	s_waitcnt vmcnt(0) lgkmcnt(0)
	v_lshlrev_b32_e32 v21, 16, v24
	s_delay_alu instid0(VALU_DEP_2) | instskip(NEXT) | instid1(VALU_DEP_1)
	v_fmac_f32_e32 v15, v12, v22
	v_dual_fmac_f32 v15, v11, v23 :: v_dual_add_nc_u32 v22, 64, v18
	s_delay_alu instid0(VALU_DEP_1)
	v_cmpx_gt_i32_e64 s4, v22
	s_cbranch_execz .LBB590_47
; %bb.44:
	s_clause 0x3
	flat_load_u16 v22, v[4:5] offset:128
	flat_load_u16 v23, v[2:3] offset:128
	;; [unrolled: 1-line block ×4, first 2 shown]
	s_mov_b32 s3, exec_lo
	s_waitcnt vmcnt(3) lgkmcnt(3)
	v_lshlrev_b32_e32 v22, 16, v22
	s_waitcnt vmcnt(2) lgkmcnt(2)
	s_delay_alu instid0(VALU_DEP_1) | instskip(SKIP_2) | instid1(VALU_DEP_2)
	v_dual_fmac_f32 v16, v20, v22 :: v_dual_lshlrev_b32 v23, 16, v23
	s_waitcnt vmcnt(1) lgkmcnt(1)
	v_lshlrev_b32_e32 v22, 16, v24
	v_dual_fmac_f32 v16, v12, v23 :: v_dual_add_nc_u32 v23, 0x60, v18
	s_waitcnt vmcnt(0) lgkmcnt(0)
	v_lshlrev_b32_e32 v18, 16, v25
	s_delay_alu instid0(VALU_DEP_2) | instskip(NEXT) | instid1(VALU_DEP_3)
	v_fmac_f32_e32 v16, v11, v22
	v_cmpx_gt_i32_e64 s4, v23
	s_cbranch_execz .LBB590_46
; %bb.45:
	s_clause 0x3
	flat_load_u16 v4, v[4:5] offset:192
	flat_load_u16 v2, v[2:3] offset:192
	;; [unrolled: 1-line block ×4, first 2 shown]
	s_waitcnt vmcnt(2) lgkmcnt(2)
	v_lshlrev_b32_e32 v2, 16, v2
	v_lshlrev_b32_e32 v4, 16, v4
	s_waitcnt vmcnt(1) lgkmcnt(1)
	v_lshlrev_b32_e32 v3, 16, v3
	s_delay_alu instid0(VALU_DEP_2) | instskip(SKIP_1) | instid1(VALU_DEP_1)
	v_fmac_f32_e32 v17, v20, v4
	s_waitcnt vmcnt(0) lgkmcnt(0)
	v_dual_fmac_f32 v17, v12, v2 :: v_dual_lshlrev_b32 v2, 16, v5
	s_delay_alu instid0(VALU_DEP_1) | instskip(NEXT) | instid1(VALU_DEP_1)
	v_fmac_f32_e32 v17, v11, v3
	v_fmac_f32_e32 v17, v10, v2
.LBB590_46:
	s_or_b32 exec_lo, exec_lo, s3
	s_delay_alu instid0(VALU_DEP_2)
	v_fmac_f32_e32 v16, v10, v18
.LBB590_47:
	s_or_b32 exec_lo, exec_lo, s2
	s_delay_alu instid0(VALU_DEP_2)
	v_fmac_f32_e32 v15, v10, v21
.LBB590_48:
	s_or_b32 exec_lo, exec_lo, s0
	s_delay_alu instid0(VALU_DEP_2)
	v_fmac_f32_e32 v14, v10, v19
.LBB590_49:
	s_or_b32 exec_lo, exec_lo, s1
.LBB590_50:
	v_lshlrev_b32_e32 v2, 7, v13
	s_mov_b32 s0, exec_lo
                                        ; implicit-def: $vgpr5
	s_delay_alu instid0(VALU_DEP_1)
	v_add_lshl_u32 v1, v2, v1, 2
                                        ; implicit-def: $vgpr2_vgpr3
	ds_store_2addr_b32 v1, v14, v15 offset1:32
	ds_store_2addr_b32 v1, v16, v17 offset0:64 offset1:96
	s_waitcnt lgkmcnt(0)
	s_barrier
	buffer_gl0_inv
	v_cmpx_gt_u32_e32 0x80, v0
	s_cbranch_execz .LBB590_71
; %bb.51:
	v_lshlrev_b32_e32 v7, 2, v0
	s_mov_b32 s2, s11
	s_mov_b32 s1, exec_lo
	ds_load_2addr_stride64_b32 v[1:2], v7 offset1:2
	ds_load_2addr_stride64_b32 v[3:4], v7 offset0:4 offset1:6
	ds_load_2addr_stride64_b32 v[5:6], v7 offset0:8 offset1:10
	s_waitcnt lgkmcnt(2)
	v_add_f32_e32 v8, v1, v2
	ds_load_2addr_stride64_b32 v[1:2], v7 offset0:12 offset1:14
	s_waitcnt lgkmcnt(2)
	v_add_f32_e32 v3, v3, v8
	s_delay_alu instid0(VALU_DEP_1) | instskip(SKIP_3) | instid1(VALU_DEP_1)
	v_add_f32_e32 v8, v4, v3
	ds_load_2addr_stride64_b32 v[3:4], v7 offset0:16 offset1:18
	s_waitcnt lgkmcnt(2)
	v_add_f32_e32 v5, v5, v8
	v_add_f32_e32 v8, v6, v5
	ds_load_2addr_stride64_b32 v[5:6], v7 offset0:20 offset1:22
	s_waitcnt lgkmcnt(2)
	v_add_f32_e32 v1, v1, v8
	s_delay_alu instid0(VALU_DEP_1) | instskip(SKIP_1) | instid1(VALU_DEP_1)
	v_add_f32_e32 v1, v2, v1
	s_waitcnt lgkmcnt(1)
	v_add_f32_e32 v3, v3, v1
	ds_load_2addr_stride64_b32 v[1:2], v7 offset0:24 offset1:26
	v_add_f32_e32 v3, v4, v3
	s_waitcnt lgkmcnt(1)
	s_delay_alu instid0(VALU_DEP_1) | instskip(SKIP_3) | instid1(VALU_DEP_1)
	v_add_f32_e32 v3, v5, v3
	ds_load_2addr_stride64_b32 v[4:5], v7 offset0:28 offset1:30
	v_add_f32_e32 v3, v6, v3
	s_waitcnt lgkmcnt(1)
	v_add_f32_e32 v1, v1, v3
	s_delay_alu instid0(VALU_DEP_1) | instskip(SKIP_1) | instid1(VALU_DEP_1)
	v_add_f32_e32 v1, v2, v1
                                        ; implicit-def: $vgpr2_vgpr3
	s_waitcnt lgkmcnt(0)
	v_add_f32_e32 v1, v4, v1
	v_or_b32_e32 v4, s14, v0
	s_delay_alu instid0(VALU_DEP_2)
	v_add_f32_e32 v0, v5, v1
                                        ; implicit-def: $vgpr5
	ds_store_b32 v7, v0
	v_cmpx_gt_i32_e64 s4, v4
	s_cbranch_execz .LBB590_70
; %bb.52:
	v_cmp_eq_f32_e64 s2, s15, 0
	v_mul_f32_e32 v0, s16, v0
	s_delay_alu instid0(VALU_DEP_2)
	s_and_b32 vcc_lo, exec_lo, s2
	s_cbranch_vccz .LBB590_58
; %bb.53:
	s_delay_alu instid0(VALU_DEP_1) | instskip(NEXT) | instid1(VALU_DEP_1)
	v_and_b32_e32 v1, 0x7f800000, v0
	v_cmp_ne_u32_e32 vcc_lo, 0x7f800000, v1
                                        ; implicit-def: $vgpr1
	s_and_saveexec_b32 s2, vcc_lo
	s_delay_alu instid0(SALU_CYCLE_1)
	s_xor_b32 s2, exec_lo, s2
; %bb.54:
	v_bfe_u32 v1, v0, 16, 1
	s_delay_alu instid0(VALU_DEP_1)
	v_add3_u32 v1, v0, v1, 0x7fff
; %bb.55:
	s_and_not1_saveexec_b32 s2, s2
; %bb.56:
	v_and_b32_e32 v1, 0xffff, v0
	v_or_b32_e32 v2, 0x10000, v0
	s_delay_alu instid0(VALU_DEP_2) | instskip(NEXT) | instid1(VALU_DEP_2)
	v_cmp_eq_u32_e32 vcc_lo, 0, v1
	v_cndmask_b32_e32 v1, v2, v0, vcc_lo
; %bb.57:
	s_or_b32 exec_lo, exec_lo, s2
	s_mov_b32 s2, 0
	s_branch .LBB590_59
.LBB590_58:
	s_mov_b32 s2, -1
                                        ; implicit-def: $vgpr1
.LBB590_59:
	v_mul_lo_u32 v2, v4, s17
	s_and_not1_b32 vcc_lo, exec_lo, s2
	s_delay_alu instid0(VALU_DEP_1)
	v_ashrrev_i32_e32 v3, 31, v2
	s_cbranch_vccnz .LBB590_69
; %bb.60:
	s_delay_alu instid0(VALU_DEP_1) | instskip(NEXT) | instid1(VALU_DEP_1)
	v_lshlrev_b64 v[4:5], 1, v[2:3]
	v_add_co_u32 v4, vcc_lo, s9, v4
	s_delay_alu instid0(VALU_DEP_2) | instskip(SKIP_3) | instid1(VALU_DEP_1)
	v_add_co_ci_u32_e32 v5, vcc_lo, s10, v5, vcc_lo
	global_load_u16 v1, v[4:5], off
	s_waitcnt vmcnt(0)
	v_lshlrev_b32_e32 v1, 16, v1
	v_mul_f32_e32 v1, s15, v1
	s_delay_alu instid0(VALU_DEP_1) | instskip(NEXT) | instid1(VALU_DEP_1)
	v_and_b32_e32 v4, 0x7f800000, v1
	v_cmp_ne_u32_e32 vcc_lo, 0x7f800000, v4
                                        ; implicit-def: $vgpr4
	s_and_saveexec_b32 s2, vcc_lo
	s_delay_alu instid0(SALU_CYCLE_1)
	s_xor_b32 s2, exec_lo, s2
; %bb.61:
	v_bfe_u32 v4, v1, 16, 1
	s_delay_alu instid0(VALU_DEP_1)
	v_add3_u32 v4, v1, v4, 0x7fff
                                        ; implicit-def: $vgpr1
; %bb.62:
	s_and_not1_saveexec_b32 s2, s2
; %bb.63:
	v_and_b32_e32 v4, 0xffff, v1
	v_or_b32_e32 v5, 0x10000, v1
	s_delay_alu instid0(VALU_DEP_2) | instskip(NEXT) | instid1(VALU_DEP_2)
	v_cmp_eq_u32_e32 vcc_lo, 0, v4
	v_cndmask_b32_e32 v4, v5, v1, vcc_lo
; %bb.64:
	s_or_b32 exec_lo, exec_lo, s2
	s_delay_alu instid0(VALU_DEP_1) | instskip(NEXT) | instid1(VALU_DEP_1)
	v_and_b32_e32 v1, 0xffff0000, v4
	v_add_f32_e32 v0, v0, v1
	s_delay_alu instid0(VALU_DEP_1) | instskip(NEXT) | instid1(VALU_DEP_1)
	v_and_b32_e32 v1, 0x7f800000, v0
	v_cmp_ne_u32_e32 vcc_lo, 0x7f800000, v1
                                        ; implicit-def: $vgpr1
	s_and_saveexec_b32 s2, vcc_lo
	s_delay_alu instid0(SALU_CYCLE_1)
	s_xor_b32 s2, exec_lo, s2
; %bb.65:
	v_bfe_u32 v1, v0, 16, 1
	s_delay_alu instid0(VALU_DEP_1)
	v_add3_u32 v1, v0, v1, 0x7fff
                                        ; implicit-def: $vgpr0
; %bb.66:
	s_and_not1_saveexec_b32 s2, s2
; %bb.67:
	v_and_b32_e32 v1, 0xffff, v0
	v_or_b32_e32 v4, 0x10000, v0
	s_delay_alu instid0(VALU_DEP_2) | instskip(NEXT) | instid1(VALU_DEP_2)
	v_cmp_eq_u32_e32 vcc_lo, 0, v1
	v_cndmask_b32_e32 v1, v4, v0, vcc_lo
; %bb.68:
	s_or_b32 exec_lo, exec_lo, s2
.LBB590_69:
	s_delay_alu instid0(VALU_DEP_1)
	v_lshrrev_b32_e32 v5, 16, v1
	s_or_b32 s2, s11, exec_lo
.LBB590_70:
	s_or_b32 exec_lo, exec_lo, s1
	s_delay_alu instid0(SALU_CYCLE_1) | instskip(SKIP_1) | instid1(SALU_CYCLE_1)
	s_and_not1_b32 s1, s11, exec_lo
	s_and_b32 s2, s2, exec_lo
	s_or_b32 s11, s1, s2
.LBB590_71:
	s_or_b32 exec_lo, exec_lo, s0
.LBB590_72:
	s_and_saveexec_b32 s0, s11
	s_cbranch_execz .LBB590_74
; %bb.73:
	v_lshlrev_b64 v[0:1], 1, v[2:3]
	s_delay_alu instid0(VALU_DEP_1) | instskip(NEXT) | instid1(VALU_DEP_2)
	v_add_co_u32 v0, vcc_lo, s9, v0
	v_add_co_ci_u32_e32 v1, vcc_lo, s10, v1, vcc_lo
	global_store_b16 v[0:1], v5, off
.LBB590_74:
	s_nop 0
	s_sendmsg sendmsg(MSG_DEALLOC_VGPRS)
	s_endpgm
	.section	.rodata,"a",@progbits
	.p2align	6, 0x0
	.amdhsa_kernel _ZL20rocblas_gemvn_kernelILi32ELi16EiPK16rocblas_bfloat16PKfKPS0_EviiT3_lPKT2_lT1_lSA_lSB_lS7_lPT4_lSB_li
		.amdhsa_group_segment_fixed_size 8192
		.amdhsa_private_segment_fixed_size 0
		.amdhsa_kernarg_size 400
		.amdhsa_user_sgpr_count 14
		.amdhsa_user_sgpr_dispatch_ptr 0
		.amdhsa_user_sgpr_queue_ptr 0
		.amdhsa_user_sgpr_kernarg_segment_ptr 1
		.amdhsa_user_sgpr_dispatch_id 0
		.amdhsa_user_sgpr_private_segment_size 0
		.amdhsa_wavefront_size32 1
		.amdhsa_uses_dynamic_stack 0
		.amdhsa_enable_private_segment 0
		.amdhsa_system_sgpr_workgroup_id_x 1
		.amdhsa_system_sgpr_workgroup_id_y 0
		.amdhsa_system_sgpr_workgroup_id_z 1
		.amdhsa_system_sgpr_workgroup_info 0
		.amdhsa_system_vgpr_workitem_id 1
		.amdhsa_next_free_vgpr 41
		.amdhsa_next_free_sgpr 28
		.amdhsa_reserve_vcc 1
		.amdhsa_float_round_mode_32 0
		.amdhsa_float_round_mode_16_64 0
		.amdhsa_float_denorm_mode_32 3
		.amdhsa_float_denorm_mode_16_64 3
		.amdhsa_dx10_clamp 1
		.amdhsa_ieee_mode 1
		.amdhsa_fp16_overflow 0
		.amdhsa_workgroup_processor_mode 1
		.amdhsa_memory_ordered 1
		.amdhsa_forward_progress 0
		.amdhsa_shared_vgpr_count 0
		.amdhsa_exception_fp_ieee_invalid_op 0
		.amdhsa_exception_fp_denorm_src 0
		.amdhsa_exception_fp_ieee_div_zero 0
		.amdhsa_exception_fp_ieee_overflow 0
		.amdhsa_exception_fp_ieee_underflow 0
		.amdhsa_exception_fp_ieee_inexact 0
		.amdhsa_exception_int_div_zero 0
	.end_amdhsa_kernel
	.section	.text._ZL20rocblas_gemvn_kernelILi32ELi16EiPK16rocblas_bfloat16PKfKPS0_EviiT3_lPKT2_lT1_lSA_lSB_lS7_lPT4_lSB_li,"axG",@progbits,_ZL20rocblas_gemvn_kernelILi32ELi16EiPK16rocblas_bfloat16PKfKPS0_EviiT3_lPKT2_lT1_lSA_lSB_lS7_lPT4_lSB_li,comdat
.Lfunc_end590:
	.size	_ZL20rocblas_gemvn_kernelILi32ELi16EiPK16rocblas_bfloat16PKfKPS0_EviiT3_lPKT2_lT1_lSA_lSB_lS7_lPT4_lSB_li, .Lfunc_end590-_ZL20rocblas_gemvn_kernelILi32ELi16EiPK16rocblas_bfloat16PKfKPS0_EviiT3_lPKT2_lT1_lSA_lSB_lS7_lPT4_lSB_li
                                        ; -- End function
	.section	.AMDGPU.csdata,"",@progbits
; Kernel info:
; codeLenInByte = 3660
; NumSgprs: 30
; NumVgprs: 41
; ScratchSize: 0
; MemoryBound: 0
; FloatMode: 240
; IeeeMode: 1
; LDSByteSize: 8192 bytes/workgroup (compile time only)
; SGPRBlocks: 3
; VGPRBlocks: 5
; NumSGPRsForWavesPerEU: 30
; NumVGPRsForWavesPerEU: 41
; Occupancy: 16
; WaveLimiterHint : 1
; COMPUTE_PGM_RSRC2:SCRATCH_EN: 0
; COMPUTE_PGM_RSRC2:USER_SGPR: 14
; COMPUTE_PGM_RSRC2:TRAP_HANDLER: 0
; COMPUTE_PGM_RSRC2:TGID_X_EN: 1
; COMPUTE_PGM_RSRC2:TGID_Y_EN: 0
; COMPUTE_PGM_RSRC2:TGID_Z_EN: 1
; COMPUTE_PGM_RSRC2:TIDIG_COMP_CNT: 1
	.section	.text._ZL20rocblas_gemvn_kernelILi32ELi16ElPK16rocblas_bfloat16PKfKPS0_EviiT3_lPKT2_lT1_lSA_lSB_lS7_lPT4_lSB_li,"axG",@progbits,_ZL20rocblas_gemvn_kernelILi32ELi16ElPK16rocblas_bfloat16PKfKPS0_EviiT3_lPKT2_lT1_lSA_lSB_lS7_lPT4_lSB_li,comdat
	.globl	_ZL20rocblas_gemvn_kernelILi32ELi16ElPK16rocblas_bfloat16PKfKPS0_EviiT3_lPKT2_lT1_lSA_lSB_lS7_lPT4_lSB_li ; -- Begin function _ZL20rocblas_gemvn_kernelILi32ELi16ElPK16rocblas_bfloat16PKfKPS0_EviiT3_lPKT2_lT1_lSA_lSB_lS7_lPT4_lSB_li
	.p2align	8
	.type	_ZL20rocblas_gemvn_kernelILi32ELi16ElPK16rocblas_bfloat16PKfKPS0_EviiT3_lPKT2_lT1_lSA_lSB_lS7_lPT4_lSB_li,@function
_ZL20rocblas_gemvn_kernelILi32ELi16ElPK16rocblas_bfloat16PKfKPS0_EviiT3_lPKT2_lT1_lSA_lSB_lS7_lPT4_lSB_li: ; @_ZL20rocblas_gemvn_kernelILi32ELi16ElPK16rocblas_bfloat16PKfKPS0_EviiT3_lPKT2_lT1_lSA_lSB_lS7_lPT4_lSB_li
; %bb.0:
	s_load_b64 s[4:5], s[0:1], 0x9c
	s_waitcnt lgkmcnt(0)
	s_lshr_b32 s3, s4, 16
	s_and_b32 s4, s4, 0xffff
	s_and_b32 s5, s5, 0xffff
	s_mul_i32 s3, s3, s4
	s_delay_alu instid0(SALU_CYCLE_1) | instskip(NEXT) | instid1(SALU_CYCLE_1)
	s_mul_i32 s3, s3, s5
	s_cmpk_lg_i32 s3, 0x200
	s_cbranch_scc1 .LBB591_74
; %bb.1:
	s_clause 0x1
	s_load_b256 s[16:23], s[0:1], 0x8
	s_load_b256 s[4:11], s[0:1], 0x58
	s_mov_b32 s2, s15
	s_waitcnt lgkmcnt(0)
	s_mul_i32 s3, s15, s19
	s_mul_hi_u32 s13, s15, s18
	s_mul_i32 s12, s15, s18
	s_add_i32 s13, s13, s3
	s_mul_i32 s3, s15, s7
	s_lshl_b64 s[12:13], s[12:13], 2
	s_mul_hi_u32 s7, s15, s6
	s_add_u32 s12, s16, s12
	s_addc_u32 s13, s17, s13
	s_add_i32 s7, s7, s3
	s_mul_i32 s6, s15, s6
	s_delay_alu instid0(SALU_CYCLE_1) | instskip(NEXT) | instid1(SALU_CYCLE_1)
	s_lshl_b64 s[6:7], s[6:7], 2
	s_add_u32 s4, s4, s6
	s_addc_u32 s5, s5, s7
	s_load_b32 s27, s[12:13], 0x0
	s_load_b32 s26, s[4:5], 0x0
	s_waitcnt lgkmcnt(0)
	v_cmp_eq_f32_e64 s15, s27, 0
	v_cmp_eq_f32_e64 s3, s26, 1.0
	s_delay_alu instid0(VALU_DEP_1) | instskip(NEXT) | instid1(SALU_CYCLE_1)
	s_and_b32 s3, s15, s3
	s_and_b32 vcc_lo, exec_lo, s3
	s_mov_b32 s3, 0
	s_cbranch_vccnz .LBB591_74
; %bb.2:
	s_clause 0x1
	s_load_b64 s[16:17], s[0:1], 0x28
	s_load_b64 s[12:13], s[0:1], 0x78
	v_cmp_neq_f32_e64 s28, s27, 0
	s_mov_b64 s[24:25], 0
	s_and_b32 vcc_lo, exec_lo, s15
	s_mov_b64 s[18:19], 0
	s_cbranch_vccnz .LBB591_4
; %bb.3:
	s_lshl_b64 s[4:5], s[2:3], 3
	s_delay_alu instid0(SALU_CYCLE_1)
	s_add_u32 s4, s20, s4
	s_addc_u32 s5, s21, s5
	s_lshl_b64 s[6:7], s[22:23], 1
	s_load_b64 s[4:5], s[4:5], 0x0
	s_waitcnt lgkmcnt(0)
	s_add_u32 s18, s4, s6
	s_addc_u32 s19, s5, s7
.LBB591_4:
	s_clause 0x1
	s_load_b128 s[4:7], s[0:1], 0x38
	s_load_b64 s[20:21], s[0:1], 0x48
	s_and_not1_b32 vcc_lo, exec_lo, s28
	s_cbranch_vccnz .LBB591_6
; %bb.5:
	s_lshl_b64 s[22:23], s[2:3], 3
	s_waitcnt lgkmcnt(0)
	s_add_u32 s4, s4, s22
	s_addc_u32 s5, s5, s23
	s_lshl_b64 s[6:7], s[6:7], 1
	s_load_b64 s[4:5], s[4:5], 0x0
	s_waitcnt lgkmcnt(0)
	s_add_u32 s24, s4, s6
	s_addc_u32 s25, s5, s7
.LBB591_6:
	s_lshl_b64 s[2:3], s[2:3], 3
	v_and_b32_e32 v20, 0x3ff, v0
	s_add_u32 s2, s8, s2
	s_addc_u32 s3, s9, s3
	v_bfe_u32 v21, v0, 10, 10
	s_load_b64 s[2:3], s[2:3], 0x0
	s_waitcnt lgkmcnt(0)
	s_load_b64 s[6:7], s[0:1], 0x0
	s_lshl_b64 s[8:9], s[10:11], 1
	v_lshl_add_u32 v19, v21, 5, v20
	s_delay_alu instid0(VALU_DEP_1)
	v_cmp_gt_u32_e64 s0, 0x80, v19
	s_add_u32 s5, s2, s8
	s_addc_u32 s22, s3, s9
	s_and_not1_b32 vcc_lo, exec_lo, s15
	s_cbranch_vccnz .LBB591_15
; %bb.7:
	s_mov_b32 s1, 0
	s_mov_b32 s23, 0
                                        ; implicit-def: $vgpr3
                                        ; implicit-def: $vgpr0_vgpr1
	s_and_saveexec_b32 s2, s0
	s_cbranch_execz .LBB591_16
; %bb.8:
	v_lshl_or_b32 v2, s14, 7, v19
	v_mov_b32_e32 v3, 0
	s_waitcnt lgkmcnt(0)
	s_ashr_i32 s9, s6, 31
	s_mov_b32 s8, s6
	s_mov_b32 s3, 0
                                        ; implicit-def: $vgpr0_vgpr1
	v_cmp_gt_i64_e32 vcc_lo, s[8:9], v[2:3]
                                        ; implicit-def: $vgpr3
	s_and_saveexec_b32 s0, vcc_lo
	s_cbranch_execz .LBB591_19
; %bb.9:
	v_mad_u64_u32 v[0:1], null, v2, s12, 0
	v_cmp_eq_f32_e64 s3, s26, 0
	s_delay_alu instid0(VALU_DEP_1) | instskip(NEXT) | instid1(VALU_DEP_2)
	s_and_b32 vcc_lo, exec_lo, s3
	v_mad_u64_u32 v[3:4], null, v2, s13, v[1:2]
	s_delay_alu instid0(VALU_DEP_1)
	v_mov_b32_e32 v1, v3
	s_cbranch_vccnz .LBB591_17
; %bb.10:
	s_delay_alu instid0(VALU_DEP_1) | instskip(NEXT) | instid1(VALU_DEP_1)
	v_lshlrev_b64 v[2:3], 1, v[0:1]
	v_add_co_u32 v2, vcc_lo, s5, v2
	s_delay_alu instid0(VALU_DEP_2) | instskip(SKIP_3) | instid1(VALU_DEP_1)
	v_add_co_ci_u32_e32 v3, vcc_lo, s22, v3, vcc_lo
	global_load_u16 v2, v[2:3], off
	s_waitcnt vmcnt(0)
	v_lshlrev_b32_e32 v2, 16, v2
	v_mul_f32_e32 v2, s26, v2
	s_delay_alu instid0(VALU_DEP_1) | instskip(NEXT) | instid1(VALU_DEP_1)
	v_and_b32_e32 v3, 0x7f800000, v2
	v_cmp_ne_u32_e32 vcc_lo, 0x7f800000, v3
                                        ; implicit-def: $vgpr3
	s_and_saveexec_b32 s3, vcc_lo
	s_delay_alu instid0(SALU_CYCLE_1)
	s_xor_b32 s3, exec_lo, s3
; %bb.11:
	v_bfe_u32 v3, v2, 16, 1
	s_delay_alu instid0(VALU_DEP_1)
	v_add3_u32 v3, v2, v3, 0x7fff
                                        ; implicit-def: $vgpr2
; %bb.12:
	s_and_not1_saveexec_b32 s3, s3
; %bb.13:
	v_and_b32_e32 v3, 0xffff, v2
	v_or_b32_e32 v4, 0x10000, v2
	s_delay_alu instid0(VALU_DEP_2) | instskip(NEXT) | instid1(VALU_DEP_2)
	v_cmp_eq_u32_e32 vcc_lo, 0, v3
	v_cndmask_b32_e32 v3, v4, v2, vcc_lo
; %bb.14:
	s_or_b32 exec_lo, exec_lo, s3
	s_delay_alu instid0(VALU_DEP_1)
	v_lshrrev_b32_e32 v3, 16, v3
	s_branch .LBB591_18
.LBB591_15:
	s_mov_b32 s23, 0
                                        ; implicit-def: $vgpr3
                                        ; implicit-def: $vgpr0_vgpr1
	s_cbranch_execnz .LBB591_20
	s_branch .LBB591_72
.LBB591_16:
	s_or_b32 exec_lo, exec_lo, s2
	s_delay_alu instid0(SALU_CYCLE_1)
	s_and_b32 vcc_lo, exec_lo, s1
	s_cbranch_vccnz .LBB591_20
	s_branch .LBB591_72
.LBB591_17:
	v_mov_b32_e32 v3, 0
.LBB591_18:
	s_mov_b32 s3, exec_lo
.LBB591_19:
	s_or_b32 exec_lo, exec_lo, s0
	s_delay_alu instid0(SALU_CYCLE_1) | instskip(SKIP_1) | instid1(SALU_CYCLE_1)
	s_and_b32 s23, s3, exec_lo
	s_or_b32 exec_lo, exec_lo, s2
	s_and_b32 vcc_lo, exec_lo, s1
	s_cbranch_vccz .LBB591_72
.LBB591_20:
	s_waitcnt lgkmcnt(0)
	s_ashr_i32 s0, s7, 31
	s_lshl_b32 s28, s14, 7
	s_lshr_b32 s0, s0, 26
	v_dual_mov_b32 v23, 0 :: v_dual_lshlrev_b32 v26, 2, v21
	v_dual_mov_b32 v22, 0 :: v_dual_mov_b32 v25, 0
	v_add_nc_u32_e32 v0, s28, v20
	v_mov_b32_e32 v24, 0
	s_add_i32 s29, s7, s0
	s_mov_b32 s30, exec_lo
	s_and_not1_b32 s29, s29, 63
	s_delay_alu instid0(SALU_CYCLE_1)
	v_cmpx_gt_i32_e64 s29, v26
	s_cbranch_execz .LBB591_32
; %bb.21:
	v_lshlrev_b32_e32 v29, 2, v21
	v_mad_u64_u32 v[5:6], null, s20, v21, 0
	v_add_nc_u32_e32 v2, 32, v0
	v_mad_u64_u32 v[7:8], null, s16, v21, 0
	s_delay_alu instid0(VALU_DEP_4) | instskip(SKIP_1) | instid1(VALU_DEP_4)
	v_or_b32_e32 v25, 3, v29
	v_add_nc_u32_e32 v9, 64, v0
	v_cmp_gt_i32_e64 s0, s6, v2
	v_ashrrev_i32_e32 v1, 31, v0
	v_cmp_gt_i32_e32 vcc_lo, s6, v0
	v_mad_u64_u32 v[3:4], null, s16, v25, 0
	v_mad_u64_u32 v[16:17], null, s20, v25, 0
	v_add_nc_u32_e32 v10, 0x60, v0
	s_lshl_b64 s[8:9], s[16:17], 7
	s_lshl_b64 s[10:11], s[20:21], 7
	s_mov_b32 s31, 0
	s_delay_alu instid0(VALU_DEP_3)
	v_mov_b32_e32 v2, v4
	v_mov_b32_e32 v4, v6
	v_cmp_gt_i32_e64 s1, s6, v9
	v_cmp_gt_i32_e64 s2, s6, v10
	v_mov_b32_e32 v6, v8
	v_mad_u64_u32 v[9:10], null, s17, v25, v[2:3]
	v_or_b32_e32 v31, 2, v29
	v_mad_u64_u32 v[10:11], null, s21, v21, v[4:5]
	s_delay_alu instid0(VALU_DEP_4) | instskip(SKIP_1) | instid1(VALU_DEP_4)
	v_mad_u64_u32 v[11:12], null, s17, v21, v[6:7]
	v_mad_u64_u32 v[12:13], null, s20, v29, s[20:21]
	;; [unrolled: 1-line block ×3, first 2 shown]
	v_mov_b32_e32 v4, v9
	v_mov_b32_e32 v6, v10
	v_lshlrev_b64 v[1:2], 1, v[0:1]
	s_mov_b64 s[14:15], s[24:25]
	s_delay_alu instid0(VALU_DEP_3) | instskip(NEXT) | instid1(VALU_DEP_3)
	v_lshlrev_b64 v[9:10], 1, v[3:4]
	v_lshlrev_b64 v[3:4], 3, v[5:6]
	v_dual_mov_b32 v5, v15 :: v_dual_mov_b32 v6, v13
	s_delay_alu instid0(VALU_DEP_3) | instskip(NEXT) | instid1(VALU_DEP_2)
	v_add_co_u32 v27, s3, s18, v9
	v_mad_u64_u32 v[22:23], null, s17, v31, v[5:6]
	v_mov_b32_e32 v5, v17
	v_add_co_ci_u32_e64 v28, s3, s19, v10, s3
	v_mad_u64_u32 v[9:10], null, s16, v29, s[16:17]
	s_delay_alu instid0(VALU_DEP_3) | instskip(SKIP_2) | instid1(VALU_DEP_4)
	v_mad_u64_u32 v[23:24], null, s21, v25, v[5:6]
	v_mad_u64_u32 v[24:25], null, s20, v31, 0
	v_dual_mov_b32 v8, v11 :: v_dual_mov_b32 v15, v22
	v_mov_b32_e32 v5, v10
	s_delay_alu instid0(VALU_DEP_2) | instskip(NEXT) | instid1(VALU_DEP_2)
	v_lshlrev_b64 v[14:15], 1, v[14:15]
	v_mad_u64_u32 v[10:11], null, s17, v29, v[5:6]
	v_mov_b32_e32 v5, v25
	v_lshlrev_b64 v[7:8], 3, v[7:8]
	s_delay_alu instid0(VALU_DEP_3) | instskip(NEXT) | instid1(VALU_DEP_2)
	v_lshlrev_b64 v[9:10], 1, v[9:10]
	v_mad_u64_u32 v[17:18], null, s21, v29, v[6:7]
	v_add_co_u32 v29, s3, s18, v7
	s_delay_alu instid0(VALU_DEP_1) | instskip(NEXT) | instid1(VALU_DEP_3)
	v_add_co_ci_u32_e64 v30, s3, s19, v8, s3
	v_mov_b32_e32 v13, v17
	v_mov_b32_e32 v17, v23
	v_mad_u64_u32 v[22:23], null, s21, v31, v[5:6]
	v_add_co_u32 v31, s3, s18, v14
	s_delay_alu instid0(VALU_DEP_1) | instskip(SKIP_1) | instid1(VALU_DEP_4)
	v_add_co_ci_u32_e64 v32, s3, s19, v15, s3
	v_add_co_u32 v33, s3, s18, v9
	v_dual_mov_b32 v25, v22 :: v_dual_mov_b32 v22, 0
	v_lshlrev_b64 v[5:6], 1, v[12:13]
	v_lshlrev_b64 v[7:8], 1, v[16:17]
	v_add_co_ci_u32_e64 v34, s3, s19, v10, s3
	s_delay_alu instid0(VALU_DEP_4)
	v_lshlrev_b64 v[9:10], 1, v[24:25]
	v_dual_mov_b32 v23, 0 :: v_dual_mov_b32 v24, 0
	v_mov_b32_e32 v25, 0
	s_branch .LBB591_26
.LBB591_22:                             ;   in Loop: Header=BB591_26 Depth=1
	s_or_b32 exec_lo, exec_lo, s34
	s_waitcnt vmcnt(2) lgkmcnt(2)
	v_lshlrev_b32_e32 v12, 16, v49
	v_lshlrev_b32_e32 v11, 16, v50
	s_waitcnt vmcnt(1) lgkmcnt(1)
	s_delay_alu instid0(VALU_DEP_1) | instskip(NEXT) | instid1(VALU_DEP_1)
	v_dual_fmac_f32 v24, v42, v11 :: v_dual_lshlrev_b32 v11, 16, v48
	v_fmac_f32_e32 v24, v40, v12
	s_delay_alu instid0(VALU_DEP_1) | instskip(SKIP_2) | instid1(VALU_DEP_1)
	v_fmac_f32_e32 v24, v38, v11
	s_waitcnt vmcnt(0) lgkmcnt(0)
	v_lshlrev_b32_e32 v11, 16, v47
	v_fmac_f32_e32 v24, v37, v11
.LBB591_23:                             ;   in Loop: Header=BB591_26 Depth=1
	s_or_b32 exec_lo, exec_lo, s33
	s_waitcnt vmcnt(3) lgkmcnt(3)
	v_lshlrev_b32_e32 v11, 16, v46
	s_waitcnt vmcnt(2) lgkmcnt(2)
	s_delay_alu instid0(VALU_DEP_1) | instskip(SKIP_2) | instid1(VALU_DEP_2)
	v_dual_fmac_f32 v23, v42, v11 :: v_dual_lshlrev_b32 v12, 16, v45
	s_waitcnt vmcnt(1) lgkmcnt(1)
	v_lshlrev_b32_e32 v11, 16, v44
	v_fmac_f32_e32 v23, v40, v12
	s_delay_alu instid0(VALU_DEP_1) | instskip(SKIP_2) | instid1(VALU_DEP_1)
	v_fmac_f32_e32 v23, v38, v11
	s_waitcnt vmcnt(0) lgkmcnt(0)
	v_lshlrev_b32_e32 v11, 16, v43
	v_fmac_f32_e32 v23, v37, v11
.LBB591_24:                             ;   in Loop: Header=BB591_26 Depth=1
	s_or_b32 exec_lo, exec_lo, s3
	s_waitcnt vmcnt(2) lgkmcnt(2)
	v_lshlrev_b32_e32 v12, 16, v39
	v_lshlrev_b32_e32 v11, 16, v41
	s_waitcnt vmcnt(1) lgkmcnt(1)
	s_delay_alu instid0(VALU_DEP_1) | instskip(NEXT) | instid1(VALU_DEP_1)
	v_dual_fmac_f32 v22, v42, v11 :: v_dual_lshlrev_b32 v11, 16, v36
	v_fmac_f32_e32 v22, v40, v12
	s_delay_alu instid0(VALU_DEP_1) | instskip(SKIP_2) | instid1(VALU_DEP_1)
	v_fmac_f32_e32 v22, v38, v11
	s_waitcnt vmcnt(0) lgkmcnt(0)
	v_lshlrev_b32_e32 v11, 16, v35
	v_fmac_f32_e32 v22, v37, v11
.LBB591_25:                             ;   in Loop: Header=BB591_26 Depth=1
	s_or_b32 exec_lo, exec_lo, s4
	v_add_co_u32 v27, s3, v27, s8
	s_delay_alu instid0(VALU_DEP_1) | instskip(SKIP_4) | instid1(VALU_DEP_1)
	v_add_co_ci_u32_e64 v28, s3, s9, v28, s3
	v_add_co_u32 v29, s3, v29, s8
	v_add_nc_u32_e32 v26, 64, v26
	v_add_co_ci_u32_e64 v30, s3, s9, v30, s3
	v_add_co_u32 v31, s3, v31, s8
	v_add_co_ci_u32_e64 v32, s3, s9, v32, s3
	s_delay_alu instid0(VALU_DEP_4) | instskip(SKIP_1) | instid1(VALU_DEP_1)
	v_cmp_le_i32_e64 s3, s29, v26
	v_add_co_u32 v33, s4, v33, s8
	v_add_co_ci_u32_e64 v34, s4, s9, v34, s4
	s_add_u32 s14, s14, s10
	s_addc_u32 s15, s15, s11
	s_or_b32 s31, s3, s31
	s_delay_alu instid0(SALU_CYCLE_1)
	s_and_not1_b32 exec_lo, exec_lo, s31
	s_cbranch_execz .LBB591_31
.LBB591_26:                             ; =>This Inner Loop Header: Depth=1
	s_and_saveexec_b32 s4, vcc_lo
	s_cbranch_execz .LBB591_25
; %bb.27:                               ;   in Loop: Header=BB591_26 Depth=1
	v_add_co_u32 v11, s3, s14, v3
	s_delay_alu instid0(VALU_DEP_1) | instskip(SKIP_1) | instid1(VALU_DEP_1)
	v_add_co_ci_u32_e64 v12, s3, s15, v4, s3
	v_add_co_u32 v13, s3, s14, v5
	v_add_co_ci_u32_e64 v14, s3, s15, v6, s3
	v_add_co_u32 v15, s3, s14, v9
	s_delay_alu instid0(VALU_DEP_1) | instskip(SKIP_1) | instid1(VALU_DEP_1)
	v_add_co_ci_u32_e64 v16, s3, s15, v10, s3
	v_add_co_u32 v17, s3, s14, v7
	v_add_co_ci_u32_e64 v18, s3, s15, v8, s3
	s_clause 0x3
	flat_load_u16 v37, v[11:12]
	flat_load_u16 v38, v[13:14]
	;; [unrolled: 1-line block ×4, first 2 shown]
	v_add_co_u32 v11, s3, v29, v1
	s_delay_alu instid0(VALU_DEP_1) | instskip(SKIP_1) | instid1(VALU_DEP_1)
	v_add_co_ci_u32_e64 v12, s3, v30, v2, s3
	v_add_co_u32 v13, s3, v33, v1
	v_add_co_ci_u32_e64 v14, s3, v34, v2, s3
	v_add_co_u32 v15, s3, v31, v1
	s_delay_alu instid0(VALU_DEP_1) | instskip(SKIP_1) | instid1(VALU_DEP_1)
	v_add_co_ci_u32_e64 v16, s3, v32, v2, s3
	v_add_co_u32 v17, s3, v27, v1
	v_add_co_ci_u32_e64 v18, s3, v28, v2, s3
	flat_load_u16 v41, v[11:12]
	flat_load_u16 v39, v[13:14]
	;; [unrolled: 1-line block ×4, first 2 shown]
	s_waitcnt vmcnt(7) lgkmcnt(7)
	v_lshlrev_b32_e32 v42, 16, v37
	s_waitcnt vmcnt(6) lgkmcnt(6)
	v_lshlrev_b32_e32 v40, 16, v38
	s_waitcnt vmcnt(5) lgkmcnt(5)
	v_lshlrev_b32_e32 v38, 16, v43
	s_waitcnt vmcnt(4) lgkmcnt(4)
	v_lshlrev_b32_e32 v37, 16, v44
	s_and_saveexec_b32 s3, s0
	s_cbranch_execz .LBB591_24
; %bb.28:                               ;   in Loop: Header=BB591_26 Depth=1
	flat_load_u16 v46, v[11:12] offset:64
	flat_load_u16 v45, v[13:14] offset:64
	flat_load_u16 v44, v[15:16] offset:64
	flat_load_u16 v43, v[17:18] offset:64
	s_and_saveexec_b32 s33, s1
	s_cbranch_execz .LBB591_23
; %bb.29:                               ;   in Loop: Header=BB591_26 Depth=1
	flat_load_u16 v50, v[11:12] offset:128
	flat_load_u16 v49, v[13:14] offset:128
	flat_load_u16 v48, v[15:16] offset:128
	flat_load_u16 v47, v[17:18] offset:128
	;; [unrolled: 7-line block ×3, first 2 shown]
	s_waitcnt vmcnt(3) lgkmcnt(3)
	v_lshlrev_b32_e32 v11, 16, v11
	s_waitcnt vmcnt(2) lgkmcnt(2)
	s_delay_alu instid0(VALU_DEP_1) | instskip(SKIP_2) | instid1(VALU_DEP_2)
	v_dual_fmac_f32 v25, v42, v11 :: v_dual_lshlrev_b32 v12, 16, v12
	s_waitcnt vmcnt(1) lgkmcnt(1)
	v_lshlrev_b32_e32 v11, 16, v13
	v_fmac_f32_e32 v25, v40, v12
	s_delay_alu instid0(VALU_DEP_1) | instskip(SKIP_2) | instid1(VALU_DEP_1)
	v_fmac_f32_e32 v25, v38, v11
	s_waitcnt vmcnt(0) lgkmcnt(0)
	v_lshlrev_b32_e32 v11, 16, v14
	v_fmac_f32_e32 v25, v37, v11
	s_branch .LBB591_22
.LBB591_31:
	s_or_b32 exec_lo, exec_lo, s31
.LBB591_32:
	s_delay_alu instid0(SALU_CYCLE_1) | instskip(SKIP_1) | instid1(SALU_CYCLE_1)
	s_or_b32 exec_lo, exec_lo, s30
	s_sub_i32 s0, s7, s29
	s_cmp_lt_i32 s0, 1
	s_cbranch_scc1 .LBB591_50
; %bb.33:
	v_cmp_gt_i32_e32 vcc_lo, s7, v26
	v_dual_mov_b32 v9, 0 :: v_dual_mov_b32 v10, 0
	v_or_b32_e32 v2, 1, v26
	v_dual_mov_b32 v11, 0 :: v_dual_mov_b32 v12, 0
	s_and_saveexec_b32 s1, vcc_lo
	s_cbranch_execz .LBB591_41
; %bb.34:
	v_mad_u64_u32 v[3:4], null, v26, s20, 0
	v_mov_b32_e32 v11, 0
	v_mov_b32_e32 v9, 0
	s_mov_b32 s2, exec_lo
	s_delay_alu instid0(VALU_DEP_3) | instskip(NEXT) | instid1(VALU_DEP_1)
	v_dual_mov_b32 v10, 0 :: v_dual_mov_b32 v1, v4
	v_mad_u64_u32 v[4:5], null, v26, s21, v[1:2]
	s_delay_alu instid0(VALU_DEP_1) | instskip(NEXT) | instid1(VALU_DEP_1)
	v_lshlrev_b64 v[3:4], 1, v[3:4]
	v_add_co_u32 v3, s0, s24, v3
	s_delay_alu instid0(VALU_DEP_1)
	v_add_co_ci_u32_e64 v4, s0, s25, v4, s0
	flat_load_u16 v1, v[3:4]
	v_cmpx_gt_i32_e64 s7, v2
	s_cbranch_execz .LBB591_40
; %bb.35:
	v_mad_u64_u32 v[3:4], null, v2, s20, 0
	v_mov_b32_e32 v10, 0
	s_mov_b32 s3, exec_lo
	v_mov_b32_e32 v9, 0
	s_delay_alu instid0(VALU_DEP_3) | instskip(NEXT) | instid1(VALU_DEP_1)
	v_mad_u64_u32 v[5:6], null, v2, s21, v[4:5]
	v_mov_b32_e32 v4, v5
	s_delay_alu instid0(VALU_DEP_1) | instskip(NEXT) | instid1(VALU_DEP_1)
	v_lshlrev_b64 v[3:4], 1, v[3:4]
	v_add_co_u32 v3, s0, s24, v3
	s_delay_alu instid0(VALU_DEP_1) | instskip(SKIP_2) | instid1(VALU_DEP_1)
	v_add_co_ci_u32_e64 v4, s0, s25, v4, s0
	flat_load_u16 v3, v[3:4]
	v_or_b32_e32 v4, 2, v26
	v_cmpx_gt_i32_e64 s7, v4
	s_cbranch_execz .LBB591_39
; %bb.36:
	v_mad_u64_u32 v[5:6], null, v4, s20, 0
	s_mov_b32 s4, exec_lo
	v_mov_b32_e32 v9, 0
	s_delay_alu instid0(VALU_DEP_2) | instskip(NEXT) | instid1(VALU_DEP_1)
	v_mad_u64_u32 v[7:8], null, v4, s21, v[6:7]
	v_mov_b32_e32 v6, v7
	s_delay_alu instid0(VALU_DEP_1) | instskip(NEXT) | instid1(VALU_DEP_1)
	v_lshlrev_b64 v[4:5], 1, v[5:6]
	v_add_co_u32 v4, s0, s24, v4
	s_delay_alu instid0(VALU_DEP_1) | instskip(SKIP_2) | instid1(VALU_DEP_1)
	v_add_co_ci_u32_e64 v5, s0, s25, v5, s0
	flat_load_u16 v4, v[4:5]
	v_or_b32_e32 v5, 3, v26
	v_cmpx_gt_i32_e64 s7, v5
	s_cbranch_execz .LBB591_38
; %bb.37:
	v_mad_u64_u32 v[6:7], null, v5, s20, 0
	s_delay_alu instid0(VALU_DEP_1) | instskip(NEXT) | instid1(VALU_DEP_1)
	v_mad_u64_u32 v[8:9], null, v5, s21, v[7:8]
	v_mov_b32_e32 v7, v8
	s_delay_alu instid0(VALU_DEP_1) | instskip(NEXT) | instid1(VALU_DEP_1)
	v_lshlrev_b64 v[5:6], 1, v[6:7]
	v_add_co_u32 v5, s0, s24, v5
	s_delay_alu instid0(VALU_DEP_1)
	v_add_co_ci_u32_e64 v6, s0, s25, v6, s0
	flat_load_u16 v5, v[5:6]
	s_waitcnt vmcnt(0) lgkmcnt(0)
	v_lshlrev_b32_e32 v9, 16, v5
.LBB591_38:
	s_or_b32 exec_lo, exec_lo, s4
	s_waitcnt vmcnt(0) lgkmcnt(0)
	v_lshlrev_b32_e32 v10, 16, v4
.LBB591_39:
	s_or_b32 exec_lo, exec_lo, s3
	s_waitcnt vmcnt(0) lgkmcnt(0)
	v_lshlrev_b32_e32 v11, 16, v3
.LBB591_40:
	s_or_b32 exec_lo, exec_lo, s2
	s_waitcnt vmcnt(0) lgkmcnt(0)
	v_lshlrev_b32_e32 v12, 16, v1
.LBB591_41:
	s_or_b32 exec_lo, exec_lo, s1
	s_delay_alu instid0(SALU_CYCLE_1)
	s_mov_b32 s1, exec_lo
	v_cmpx_gt_i32_e64 s6, v0
	s_cbranch_execz .LBB591_49
; %bb.42:
	v_mad_u64_u32 v[3:4], null, v26, s16, 0
	v_mad_u64_u32 v[5:6], null, v2, s16, 0
	v_ashrrev_i32_e32 v1, 31, v0
	v_or_b32_e32 v28, 2, v26
	v_or_b32_e32 v29, 3, v26
	v_cndmask_b32_e32 v3, 0, v3, vcc_lo
	s_delay_alu instid0(VALU_DEP_4)
	v_lshlrev_b64 v[13:14], 1, v[0:1]
	v_mad_u64_u32 v[7:8], null, v26, s17, v[4:5]
	v_mov_b32_e32 v1, v6
	v_mad_u64_u32 v[15:16], null, v28, s16, 0
	v_mad_u64_u32 v[17:18], null, v29, s16, 0
	v_cmp_gt_i32_e64 s0, s7, v28
	v_cndmask_b32_e32 v4, 0, v7, vcc_lo
	v_mad_u64_u32 v[6:7], null, v2, s17, v[1:2]
	v_cmp_gt_i32_e32 vcc_lo, s7, v2
	v_mov_b32_e32 v1, v16
	v_dual_mov_b32 v7, v18 :: v_dual_cndmask_b32 v2, 0, v5
	v_lshlrev_b64 v[4:5], 1, v[3:4]
	v_cndmask_b32_e32 v3, 0, v6, vcc_lo
	s_delay_alu instid0(VALU_DEP_3) | instskip(NEXT) | instid1(VALU_DEP_3)
	v_mad_u64_u32 v[26:27], null, v28, s17, v[1:2]
	v_add_co_u32 v1, vcc_lo, s18, v4
	s_delay_alu instid0(VALU_DEP_4) | instskip(NEXT) | instid1(VALU_DEP_4)
	v_add_co_ci_u32_e32 v5, vcc_lo, s19, v5, vcc_lo
	v_lshlrev_b64 v[3:4], 1, v[2:3]
	s_delay_alu instid0(VALU_DEP_3) | instskip(NEXT) | instid1(VALU_DEP_3)
	v_add_co_u32 v1, vcc_lo, v1, v13
	v_add_co_ci_u32_e32 v2, vcc_lo, v5, v14, vcc_lo
	v_cndmask_b32_e64 v5, 0, v15, s0
	s_delay_alu instid0(VALU_DEP_4) | instskip(SKIP_3) | instid1(VALU_DEP_4)
	v_add_co_u32 v3, vcc_lo, s18, v3
	v_add_co_ci_u32_e32 v4, vcc_lo, s19, v4, vcc_lo
	v_mad_u64_u32 v[15:16], null, v29, s17, v[7:8]
	v_cndmask_b32_e64 v6, 0, v26, s0
	v_add_co_u32 v3, s0, v3, v13
	v_cmp_gt_i32_e32 vcc_lo, s7, v29
	v_add_co_ci_u32_e64 v4, s0, v4, v14, s0
	s_delay_alu instid0(VALU_DEP_4)
	v_lshlrev_b64 v[5:6], 1, v[5:6]
	s_mov_b32 s0, exec_lo
	v_cndmask_b32_e32 v8, 0, v15, vcc_lo
	s_clause 0x1
	flat_load_u16 v15, v[1:2]
	flat_load_u16 v16, v[3:4]
	s_waitcnt vmcnt(1) lgkmcnt(1)
	v_lshlrev_b32_e32 v15, 16, v15
	s_waitcnt vmcnt(0) lgkmcnt(0)
	v_lshlrev_b32_e32 v16, 16, v16
	s_delay_alu instid0(VALU_DEP_2) | instskip(SKIP_2) | instid1(VALU_DEP_3)
	v_dual_fmac_f32 v22, v12, v15 :: v_dual_cndmask_b32 v7, 0, v17
	v_add_co_u32 v5, vcc_lo, s18, v5
	v_add_co_ci_u32_e32 v6, vcc_lo, s19, v6, vcc_lo
	v_fmac_f32_e32 v22, v11, v16
	s_delay_alu instid0(VALU_DEP_4) | instskip(SKIP_1) | instid1(VALU_DEP_2)
	v_lshlrev_b64 v[7:8], 1, v[7:8]
	v_add_nc_u32_e32 v16, 32, v0
	v_add_co_u32 v17, vcc_lo, s18, v7
	s_delay_alu instid0(VALU_DEP_3) | instskip(SKIP_2) | instid1(VALU_DEP_4)
	v_add_co_ci_u32_e32 v18, vcc_lo, s19, v8, vcc_lo
	v_add_co_u32 v7, vcc_lo, v5, v13
	v_add_co_ci_u32_e32 v8, vcc_lo, v6, v14, vcc_lo
	v_add_co_u32 v5, vcc_lo, v17, v13
	s_delay_alu instid0(VALU_DEP_4)
	v_add_co_ci_u32_e32 v6, vcc_lo, v18, v14, vcc_lo
	s_clause 0x1
	flat_load_u16 v13, v[7:8]
	flat_load_u16 v14, v[5:6]
	s_waitcnt vmcnt(1) lgkmcnt(1)
	v_lshlrev_b32_e32 v15, 16, v13
	s_waitcnt vmcnt(0) lgkmcnt(0)
	s_delay_alu instid0(VALU_DEP_1)
	v_dual_fmac_f32 v22, v10, v15 :: v_dual_lshlrev_b32 v13, 16, v14
	v_cmpx_gt_i32_e64 s6, v16
	s_cbranch_execz .LBB591_48
; %bb.43:
	s_clause 0x3
	flat_load_u16 v14, v[1:2] offset:64
	flat_load_u16 v15, v[3:4] offset:64
	;; [unrolled: 1-line block ×4, first 2 shown]
	s_mov_b32 s2, exec_lo
	s_waitcnt vmcnt(2) lgkmcnt(2)
	v_lshlrev_b32_e32 v15, 16, v15
	v_lshlrev_b32_e32 v14, 16, v14
	s_waitcnt vmcnt(1) lgkmcnt(1)
	s_delay_alu instid0(VALU_DEP_1) | instskip(NEXT) | instid1(VALU_DEP_1)
	v_dual_fmac_f32 v23, v12, v14 :: v_dual_lshlrev_b32 v16, 16, v16
	v_fmac_f32_e32 v23, v11, v15
	v_add_nc_u32_e32 v15, 64, v0
	s_waitcnt vmcnt(0) lgkmcnt(0)
	s_delay_alu instid0(VALU_DEP_2) | instskip(NEXT) | instid1(VALU_DEP_2)
	v_dual_fmac_f32 v23, v10, v16 :: v_dual_lshlrev_b32 v14, 16, v17
	v_cmpx_gt_i32_e64 s6, v15
	s_cbranch_execz .LBB591_47
; %bb.44:
	s_clause 0x3
	flat_load_u16 v15, v[1:2] offset:128
	flat_load_u16 v16, v[3:4] offset:128
	;; [unrolled: 1-line block ×4, first 2 shown]
	s_mov_b32 s3, exec_lo
	s_waitcnt vmcnt(2) lgkmcnt(2)
	v_lshlrev_b32_e32 v16, 16, v16
	v_lshlrev_b32_e32 v15, 16, v15
	s_waitcnt vmcnt(1) lgkmcnt(1)
	s_delay_alu instid0(VALU_DEP_1) | instskip(NEXT) | instid1(VALU_DEP_1)
	v_dual_fmac_f32 v24, v12, v15 :: v_dual_lshlrev_b32 v15, 16, v17
	v_fmac_f32_e32 v24, v11, v16
	v_add_nc_u32_e32 v16, 0x60, v0
	s_waitcnt vmcnt(0) lgkmcnt(0)
	v_lshlrev_b32_e32 v0, 16, v18
	s_delay_alu instid0(VALU_DEP_3) | instskip(NEXT) | instid1(VALU_DEP_3)
	v_fmac_f32_e32 v24, v10, v15
	v_cmpx_gt_i32_e64 s6, v16
	s_cbranch_execz .LBB591_46
; %bb.45:
	s_clause 0x3
	flat_load_u16 v1, v[1:2] offset:192
	flat_load_u16 v2, v[3:4] offset:192
	;; [unrolled: 1-line block ×4, first 2 shown]
	s_waitcnt vmcnt(3) lgkmcnt(3)
	v_lshlrev_b32_e32 v1, 16, v1
	s_waitcnt vmcnt(2) lgkmcnt(2)
	s_delay_alu instid0(VALU_DEP_1) | instskip(SKIP_2) | instid1(VALU_DEP_2)
	v_dual_fmac_f32 v25, v12, v1 :: v_dual_lshlrev_b32 v2, 16, v2
	s_waitcnt vmcnt(1) lgkmcnt(1)
	v_lshlrev_b32_e32 v1, 16, v3
	v_fmac_f32_e32 v25, v11, v2
	s_delay_alu instid0(VALU_DEP_1) | instskip(SKIP_2) | instid1(VALU_DEP_1)
	v_fmac_f32_e32 v25, v10, v1
	s_waitcnt vmcnt(0) lgkmcnt(0)
	v_lshlrev_b32_e32 v1, 16, v4
	v_fmac_f32_e32 v25, v9, v1
.LBB591_46:
	s_or_b32 exec_lo, exec_lo, s3
	s_delay_alu instid0(VALU_DEP_2)
	v_fmac_f32_e32 v24, v9, v0
.LBB591_47:
	s_or_b32 exec_lo, exec_lo, s2
	s_delay_alu instid0(VALU_DEP_2)
	v_fmac_f32_e32 v23, v9, v14
.LBB591_48:
	s_or_b32 exec_lo, exec_lo, s0
	s_delay_alu instid0(VALU_DEP_2)
	v_fmac_f32_e32 v22, v9, v13
.LBB591_49:
	s_or_b32 exec_lo, exec_lo, s1
.LBB591_50:
	v_lshlrev_b32_e32 v0, 7, v21
	s_mov_b32 s0, exec_lo
                                        ; implicit-def: $vgpr3
	s_delay_alu instid0(VALU_DEP_1)
	v_add_lshl_u32 v0, v0, v20, 2
	ds_store_2addr_b32 v0, v22, v23 offset1:32
	ds_store_2addr_b32 v0, v24, v25 offset0:64 offset1:96
	s_waitcnt lgkmcnt(0)
	s_barrier
	buffer_gl0_inv
                                        ; implicit-def: $vgpr0_vgpr1
	v_cmpx_gt_u32_e32 0x80, v19
	s_cbranch_execz .LBB591_71
; %bb.51:
	v_lshlrev_b32_e32 v6, 2, v19
	s_mov_b32 s2, s23
	s_mov_b32 s1, exec_lo
	ds_load_2addr_stride64_b32 v[0:1], v6 offset1:2
	ds_load_2addr_stride64_b32 v[2:3], v6 offset0:4 offset1:6
	ds_load_2addr_stride64_b32 v[4:5], v6 offset0:8 offset1:10
	s_waitcnt lgkmcnt(2)
	v_add_f32_e32 v7, v0, v1
	ds_load_2addr_stride64_b32 v[0:1], v6 offset0:12 offset1:14
	s_waitcnt lgkmcnt(2)
	v_add_f32_e32 v2, v2, v7
	s_delay_alu instid0(VALU_DEP_1) | instskip(SKIP_3) | instid1(VALU_DEP_1)
	v_add_f32_e32 v7, v3, v2
	ds_load_2addr_stride64_b32 v[2:3], v6 offset0:16 offset1:18
	s_waitcnt lgkmcnt(2)
	v_add_f32_e32 v4, v4, v7
	v_add_f32_e32 v7, v5, v4
	ds_load_2addr_stride64_b32 v[4:5], v6 offset0:20 offset1:22
	s_waitcnt lgkmcnt(2)
	v_add_f32_e32 v0, v0, v7
	s_delay_alu instid0(VALU_DEP_1) | instskip(SKIP_1) | instid1(VALU_DEP_1)
	v_add_f32_e32 v0, v1, v0
	s_waitcnt lgkmcnt(1)
	v_add_f32_e32 v2, v2, v0
	ds_load_2addr_stride64_b32 v[0:1], v6 offset0:24 offset1:26
	v_add_f32_e32 v2, v3, v2
	s_waitcnt lgkmcnt(1)
	s_delay_alu instid0(VALU_DEP_1) | instskip(SKIP_3) | instid1(VALU_DEP_1)
	v_add_f32_e32 v4, v4, v2
	ds_load_2addr_stride64_b32 v[2:3], v6 offset0:28 offset1:30
	v_add_f32_e32 v4, v5, v4
	s_waitcnt lgkmcnt(1)
	v_add_f32_e32 v0, v0, v4
	s_delay_alu instid0(VALU_DEP_1) | instskip(SKIP_1) | instid1(VALU_DEP_1)
	v_add_f32_e32 v0, v1, v0
	s_waitcnt lgkmcnt(0)
	v_add_f32_e32 v0, v2, v0
	v_or_b32_e32 v2, s28, v19
	s_delay_alu instid0(VALU_DEP_2)
	v_add_f32_e32 v4, v3, v0
                                        ; implicit-def: $vgpr3
                                        ; implicit-def: $vgpr0_vgpr1
	ds_store_b32 v6, v4
	v_cmpx_gt_i32_e64 s6, v2
	s_cbranch_execz .LBB591_70
; %bb.52:
	v_cmp_eq_f32_e64 s2, s26, 0
	v_mul_f32_e32 v0, s27, v4
	s_delay_alu instid0(VALU_DEP_2)
	s_and_b32 vcc_lo, exec_lo, s2
	s_cbranch_vccz .LBB591_58
; %bb.53:
	s_delay_alu instid0(VALU_DEP_1) | instskip(SKIP_1) | instid1(VALU_DEP_1)
	v_and_b32_e32 v1, 0x7f800000, v0
	s_mov_b32 s2, exec_lo
                                        ; implicit-def: $vgpr3
	v_cmpx_ne_u32_e32 0x7f800000, v1
	s_xor_b32 s2, exec_lo, s2
; %bb.54:
	v_bfe_u32 v1, v0, 16, 1
	s_delay_alu instid0(VALU_DEP_1)
	v_add3_u32 v3, v0, v1, 0x7fff
; %bb.55:
	s_and_not1_saveexec_b32 s2, s2
; %bb.56:
	v_and_b32_e32 v1, 0xffff, v0
	v_or_b32_e32 v3, 0x10000, v0
	s_delay_alu instid0(VALU_DEP_2) | instskip(NEXT) | instid1(VALU_DEP_2)
	v_cmp_eq_u32_e32 vcc_lo, 0, v1
	v_cndmask_b32_e32 v3, v3, v0, vcc_lo
; %bb.57:
	s_or_b32 exec_lo, exec_lo, s2
	s_mov_b32 s2, 0
	s_branch .LBB591_59
.LBB591_58:
	s_mov_b32 s2, -1
                                        ; implicit-def: $vgpr3
.LBB591_59:
	v_ashrrev_i32_e32 v1, 31, v2
	v_mul_lo_u32 v4, v2, s13
	s_and_not1_b32 vcc_lo, exec_lo, s2
	s_delay_alu instid0(VALU_DEP_2)
	v_mul_lo_u32 v5, v1, s12
	s_cbranch_vccnz .LBB591_69
; %bb.60:
	v_mad_u64_u32 v[6:7], null, v2, s12, 0
	s_delay_alu instid0(VALU_DEP_1) | instskip(NEXT) | instid1(VALU_DEP_1)
	v_add3_u32 v7, v7, v4, v5
	v_lshlrev_b64 v[6:7], 1, v[6:7]
	s_delay_alu instid0(VALU_DEP_1) | instskip(NEXT) | instid1(VALU_DEP_2)
	v_add_co_u32 v6, vcc_lo, s5, v6
	v_add_co_ci_u32_e32 v7, vcc_lo, s22, v7, vcc_lo
	global_load_u16 v1, v[6:7], off
	s_waitcnt vmcnt(0)
	v_lshlrev_b32_e32 v1, 16, v1
	s_delay_alu instid0(VALU_DEP_1) | instskip(NEXT) | instid1(VALU_DEP_1)
	v_mul_f32_e32 v1, s26, v1
	v_and_b32_e32 v3, 0x7f800000, v1
	s_delay_alu instid0(VALU_DEP_1) | instskip(SKIP_1) | instid1(SALU_CYCLE_1)
	v_cmp_ne_u32_e32 vcc_lo, 0x7f800000, v3
                                        ; implicit-def: $vgpr3
	s_and_saveexec_b32 s2, vcc_lo
	s_xor_b32 s2, exec_lo, s2
; %bb.61:
	v_bfe_u32 v3, v1, 16, 1
	s_delay_alu instid0(VALU_DEP_1)
	v_add3_u32 v3, v1, v3, 0x7fff
                                        ; implicit-def: $vgpr1
; %bb.62:
	s_and_not1_saveexec_b32 s2, s2
; %bb.63:
	v_and_b32_e32 v3, 0xffff, v1
	v_or_b32_e32 v6, 0x10000, v1
	s_delay_alu instid0(VALU_DEP_2) | instskip(NEXT) | instid1(VALU_DEP_2)
	v_cmp_eq_u32_e32 vcc_lo, 0, v3
	v_cndmask_b32_e32 v3, v6, v1, vcc_lo
; %bb.64:
	s_or_b32 exec_lo, exec_lo, s2
	s_delay_alu instid0(VALU_DEP_1) | instskip(SKIP_1) | instid1(VALU_DEP_1)
	v_and_b32_e32 v1, 0xffff0000, v3
	s_mov_b32 s2, exec_lo
                                        ; implicit-def: $vgpr3
	v_add_f32_e32 v0, v0, v1
	s_delay_alu instid0(VALU_DEP_1) | instskip(NEXT) | instid1(VALU_DEP_1)
	v_and_b32_e32 v1, 0x7f800000, v0
	v_cmpx_ne_u32_e32 0x7f800000, v1
	s_xor_b32 s2, exec_lo, s2
; %bb.65:
	v_bfe_u32 v1, v0, 16, 1
	s_delay_alu instid0(VALU_DEP_1)
	v_add3_u32 v3, v0, v1, 0x7fff
                                        ; implicit-def: $vgpr0
; %bb.66:
	s_and_not1_saveexec_b32 s2, s2
; %bb.67:
	v_and_b32_e32 v1, 0xffff, v0
	v_or_b32_e32 v3, 0x10000, v0
	s_delay_alu instid0(VALU_DEP_2) | instskip(NEXT) | instid1(VALU_DEP_2)
	v_cmp_eq_u32_e32 vcc_lo, 0, v1
	v_cndmask_b32_e32 v3, v3, v0, vcc_lo
; %bb.68:
	s_or_b32 exec_lo, exec_lo, s2
.LBB591_69:
	v_mad_u64_u32 v[0:1], null, v2, s12, 0
	s_delay_alu instid0(VALU_DEP_2) | instskip(SKIP_1) | instid1(VALU_DEP_2)
	v_lshrrev_b32_e32 v3, 16, v3
	s_or_b32 s2, s23, exec_lo
	v_add3_u32 v1, v1, v4, v5
.LBB591_70:
	s_or_b32 exec_lo, exec_lo, s1
	s_delay_alu instid0(SALU_CYCLE_1) | instskip(SKIP_1) | instid1(SALU_CYCLE_1)
	s_and_not1_b32 s1, s23, exec_lo
	s_and_b32 s2, s2, exec_lo
	s_or_b32 s23, s1, s2
.LBB591_71:
	s_or_b32 exec_lo, exec_lo, s0
.LBB591_72:
	s_and_saveexec_b32 s0, s23
	s_cbranch_execz .LBB591_74
; %bb.73:
	v_lshlrev_b64 v[0:1], 1, v[0:1]
	s_delay_alu instid0(VALU_DEP_1) | instskip(NEXT) | instid1(VALU_DEP_2)
	v_add_co_u32 v0, vcc_lo, s5, v0
	v_add_co_ci_u32_e32 v1, vcc_lo, s22, v1, vcc_lo
	global_store_b16 v[0:1], v3, off
.LBB591_74:
	s_nop 0
	s_sendmsg sendmsg(MSG_DEALLOC_VGPRS)
	s_endpgm
	.section	.rodata,"a",@progbits
	.p2align	6, 0x0
	.amdhsa_kernel _ZL20rocblas_gemvn_kernelILi32ELi16ElPK16rocblas_bfloat16PKfKPS0_EviiT3_lPKT2_lT1_lSA_lSB_lS7_lPT4_lSB_li
		.amdhsa_group_segment_fixed_size 8192
		.amdhsa_private_segment_fixed_size 0
		.amdhsa_kernarg_size 400
		.amdhsa_user_sgpr_count 14
		.amdhsa_user_sgpr_dispatch_ptr 0
		.amdhsa_user_sgpr_queue_ptr 0
		.amdhsa_user_sgpr_kernarg_segment_ptr 1
		.amdhsa_user_sgpr_dispatch_id 0
		.amdhsa_user_sgpr_private_segment_size 0
		.amdhsa_wavefront_size32 1
		.amdhsa_uses_dynamic_stack 0
		.amdhsa_enable_private_segment 0
		.amdhsa_system_sgpr_workgroup_id_x 1
		.amdhsa_system_sgpr_workgroup_id_y 0
		.amdhsa_system_sgpr_workgroup_id_z 1
		.amdhsa_system_sgpr_workgroup_info 0
		.amdhsa_system_vgpr_workitem_id 1
		.amdhsa_next_free_vgpr 51
		.amdhsa_next_free_sgpr 35
		.amdhsa_reserve_vcc 1
		.amdhsa_float_round_mode_32 0
		.amdhsa_float_round_mode_16_64 0
		.amdhsa_float_denorm_mode_32 3
		.amdhsa_float_denorm_mode_16_64 3
		.amdhsa_dx10_clamp 1
		.amdhsa_ieee_mode 1
		.amdhsa_fp16_overflow 0
		.amdhsa_workgroup_processor_mode 1
		.amdhsa_memory_ordered 1
		.amdhsa_forward_progress 0
		.amdhsa_shared_vgpr_count 0
		.amdhsa_exception_fp_ieee_invalid_op 0
		.amdhsa_exception_fp_denorm_src 0
		.amdhsa_exception_fp_ieee_div_zero 0
		.amdhsa_exception_fp_ieee_overflow 0
		.amdhsa_exception_fp_ieee_underflow 0
		.amdhsa_exception_fp_ieee_inexact 0
		.amdhsa_exception_int_div_zero 0
	.end_amdhsa_kernel
	.section	.text._ZL20rocblas_gemvn_kernelILi32ELi16ElPK16rocblas_bfloat16PKfKPS0_EviiT3_lPKT2_lT1_lSA_lSB_lS7_lPT4_lSB_li,"axG",@progbits,_ZL20rocblas_gemvn_kernelILi32ELi16ElPK16rocblas_bfloat16PKfKPS0_EviiT3_lPKT2_lT1_lSA_lSB_lS7_lPT4_lSB_li,comdat
.Lfunc_end591:
	.size	_ZL20rocblas_gemvn_kernelILi32ELi16ElPK16rocblas_bfloat16PKfKPS0_EviiT3_lPKT2_lT1_lSA_lSB_lS7_lPT4_lSB_li, .Lfunc_end591-_ZL20rocblas_gemvn_kernelILi32ELi16ElPK16rocblas_bfloat16PKfKPS0_EviiT3_lPKT2_lT1_lSA_lSB_lS7_lPT4_lSB_li
                                        ; -- End function
	.section	.AMDGPU.csdata,"",@progbits
; Kernel info:
; codeLenInByte = 4036
; NumSgprs: 37
; NumVgprs: 51
; ScratchSize: 0
; MemoryBound: 0
; FloatMode: 240
; IeeeMode: 1
; LDSByteSize: 8192 bytes/workgroup (compile time only)
; SGPRBlocks: 4
; VGPRBlocks: 6
; NumSGPRsForWavesPerEU: 37
; NumVGPRsForWavesPerEU: 51
; Occupancy: 16
; WaveLimiterHint : 1
; COMPUTE_PGM_RSRC2:SCRATCH_EN: 0
; COMPUTE_PGM_RSRC2:USER_SGPR: 14
; COMPUTE_PGM_RSRC2:TRAP_HANDLER: 0
; COMPUTE_PGM_RSRC2:TGID_X_EN: 1
; COMPUTE_PGM_RSRC2:TGID_Y_EN: 0
; COMPUTE_PGM_RSRC2:TGID_Z_EN: 1
; COMPUTE_PGM_RSRC2:TIDIG_COMP_CNT: 1
	.section	.text._ZL20rocblas_gemvn_kernelILi32ELi16EiPK16rocblas_bfloat16fKPS0_EviiT3_lPKT2_lT1_lS8_lS9_lS5_lPT4_lS9_li,"axG",@progbits,_ZL20rocblas_gemvn_kernelILi32ELi16EiPK16rocblas_bfloat16fKPS0_EviiT3_lPKT2_lT1_lS8_lS9_lS5_lPT4_lS9_li,comdat
	.globl	_ZL20rocblas_gemvn_kernelILi32ELi16EiPK16rocblas_bfloat16fKPS0_EviiT3_lPKT2_lT1_lS8_lS9_lS5_lPT4_lS9_li ; -- Begin function _ZL20rocblas_gemvn_kernelILi32ELi16EiPK16rocblas_bfloat16fKPS0_EviiT3_lPKT2_lT1_lS8_lS9_lS5_lPT4_lS9_li
	.p2align	8
	.type	_ZL20rocblas_gemvn_kernelILi32ELi16EiPK16rocblas_bfloat16fKPS0_EviiT3_lPKT2_lT1_lS8_lS9_lS5_lPT4_lS9_li,@function
_ZL20rocblas_gemvn_kernelILi32ELi16EiPK16rocblas_bfloat16fKPS0_EviiT3_lPKT2_lT1_lS8_lS9_lS5_lPT4_lS9_li: ; @_ZL20rocblas_gemvn_kernelILi32ELi16EiPK16rocblas_bfloat16fKPS0_EviiT3_lPKT2_lT1_lS8_lS9_lS5_lPT4_lS9_li
; %bb.0:
	s_load_b64 s[4:5], s[0:1], 0x9c
	s_waitcnt lgkmcnt(0)
	s_lshr_b32 s3, s4, 16
	s_and_b32 s4, s4, 0xffff
	s_and_b32 s5, s5, 0xffff
	s_mul_i32 s3, s3, s4
	s_delay_alu instid0(SALU_CYCLE_1) | instskip(NEXT) | instid1(SALU_CYCLE_1)
	s_mul_i32 s3, s3, s5
	s_cmpk_lg_i32 s3, 0x200
	s_cbranch_scc1 .LBB592_77
; %bb.1:
	s_mov_b32 s2, s15
	s_clause 0x1
	s_load_b128 s[4:7], s[0:1], 0x0
	s_load_b32 s15, s[0:1], 0x58
	s_waitcnt lgkmcnt(0)
	v_cmp_eq_f32_e64 s12, s6, 0
	v_cmp_eq_f32_e64 s3, s15, 1.0
	s_delay_alu instid0(VALU_DEP_1) | instskip(NEXT) | instid1(SALU_CYCLE_1)
	s_and_b32 s3, s12, s3
	s_and_b32 vcc_lo, exec_lo, s3
	s_cbranch_vccnz .LBB592_77
; %bb.2:
	v_cmp_neq_f32_e64 s7, s6, 0
	s_delay_alu instid0(VALU_DEP_1)
	s_and_b32 vcc_lo, exec_lo, s7
	s_cbranch_vccnz .LBB592_4
; %bb.3:
	s_mov_b32 s3, 0
	s_mov_b64 s[8:9], 0
	s_cbranch_execz .LBB592_5
	s_branch .LBB592_6
.LBB592_4:
	s_mov_b32 s3, -1
                                        ; implicit-def: $sgpr8_sgpr9
.LBB592_5:
	s_load_b128 s[8:11], s[0:1], 0x18
	s_mov_b32 s3, 0
	s_delay_alu instid0(SALU_CYCLE_1)
	s_lshl_b64 s[16:17], s[2:3], 3
	s_waitcnt lgkmcnt(0)
	s_add_u32 s8, s8, s16
	s_addc_u32 s9, s9, s17
	s_lshl_b64 s[10:11], s[10:11], 1
	s_load_b64 s[8:9], s[8:9], 0x0
	s_waitcnt lgkmcnt(0)
	s_add_u32 s8, s8, s10
	s_addc_u32 s9, s9, s11
.LBB592_6:
	s_and_not1_b32 vcc_lo, exec_lo, s7
	s_cbranch_vccnz .LBB592_8
; %bb.7:
	s_load_b128 s[16:19], s[0:1], 0x38
	s_lshl_b64 s[10:11], s[2:3], 3
	s_waitcnt lgkmcnt(0)
	s_add_u32 s10, s16, s10
	s_addc_u32 s11, s17, s11
	s_lshl_b64 s[16:17], s[18:19], 1
	s_load_b64 s[10:11], s[10:11], 0x0
	s_waitcnt lgkmcnt(0)
	s_add_u32 s10, s10, s16
	s_addc_u32 s11, s11, s17
	s_branch .LBB592_9
.LBB592_8:
	s_mov_b64 s[10:11], 0
.LBB592_9:
	s_clause 0x1
	s_load_b128 s[20:23], s[0:1], 0x68
	s_load_b32 s17, s[0:1], 0x78
	s_lshl_b64 s[2:3], s[2:3], 3
	v_and_b32_e32 v1, 0x3ff, v0
	v_bfe_u32 v13, v0, 10, 10
	s_delay_alu instid0(VALU_DEP_1)
	v_lshl_add_u32 v0, v13, 5, v1
	s_waitcnt lgkmcnt(0)
	s_add_u32 s2, s20, s2
	s_addc_u32 s3, s21, s3
	s_lshl_b64 s[20:21], s[22:23], 1
	s_load_b64 s[18:19], s[2:3], 0x0
	v_cmp_gt_u32_e64 s2, 0x80, v0
	s_waitcnt lgkmcnt(0)
	s_add_u32 s7, s18, s20
	s_addc_u32 s13, s19, s21
	s_and_not1_b32 vcc_lo, exec_lo, s12
	s_cbranch_vccnz .LBB592_18
; %bb.10:
	s_mov_b32 s3, 0
	s_mov_b32 s16, 0
                                        ; implicit-def: $vgpr5
                                        ; implicit-def: $vgpr2_vgpr3
	s_and_saveexec_b32 s12, s2
	s_cbranch_execz .LBB592_19
; %bb.11:
	v_lshl_or_b32 v4, s14, 7, v0
	v_mov_b32_e32 v5, 0
	s_ashr_i32 s19, s4, 31
	s_mov_b32 s18, s4
                                        ; implicit-def: $vgpr2_vgpr3
	s_delay_alu instid0(VALU_DEP_1) | instid1(SALU_CYCLE_1)
	v_cmp_gt_i64_e32 vcc_lo, s[18:19], v[4:5]
                                        ; implicit-def: $vgpr5
	s_and_saveexec_b32 s2, vcc_lo
	s_cbranch_execz .LBB592_22
; %bb.12:
	v_mad_u64_u32 v[2:3], null, s17, v4, 0
	s_ashr_i32 s16, s17, 31
	s_delay_alu instid0(VALU_DEP_1) | instid1(SALU_CYCLE_1)
	v_mad_u64_u32 v[5:6], null, s16, v4, v[3:4]
	v_cmp_eq_f32_e64 s16, s15, 0
	s_delay_alu instid0(VALU_DEP_1) | instskip(NEXT) | instid1(VALU_DEP_2)
	s_and_b32 vcc_lo, exec_lo, s16
	v_mov_b32_e32 v3, v5
	s_cbranch_vccnz .LBB592_20
; %bb.13:
	s_delay_alu instid0(VALU_DEP_1) | instskip(NEXT) | instid1(VALU_DEP_1)
	v_lshlrev_b64 v[4:5], 1, v[2:3]
	v_add_co_u32 v4, vcc_lo, s7, v4
	s_delay_alu instid0(VALU_DEP_2) | instskip(SKIP_3) | instid1(VALU_DEP_1)
	v_add_co_ci_u32_e32 v5, vcc_lo, s13, v5, vcc_lo
	global_load_u16 v4, v[4:5], off
	s_waitcnt vmcnt(0)
	v_lshlrev_b32_e32 v4, 16, v4
	v_mul_f32_e32 v4, s15, v4
	s_delay_alu instid0(VALU_DEP_1) | instskip(NEXT) | instid1(VALU_DEP_1)
	v_and_b32_e32 v5, 0x7f800000, v4
	v_cmp_ne_u32_e32 vcc_lo, 0x7f800000, v5
                                        ; implicit-def: $vgpr5
	s_and_saveexec_b32 s16, vcc_lo
	s_delay_alu instid0(SALU_CYCLE_1)
	s_xor_b32 s16, exec_lo, s16
; %bb.14:
	v_bfe_u32 v5, v4, 16, 1
	s_delay_alu instid0(VALU_DEP_1)
	v_add3_u32 v5, v4, v5, 0x7fff
                                        ; implicit-def: $vgpr4
; %bb.15:
	s_and_not1_saveexec_b32 s16, s16
; %bb.16:
	v_and_b32_e32 v5, 0xffff, v4
	v_or_b32_e32 v6, 0x10000, v4
	s_delay_alu instid0(VALU_DEP_2) | instskip(NEXT) | instid1(VALU_DEP_2)
	v_cmp_eq_u32_e32 vcc_lo, 0, v5
	v_cndmask_b32_e32 v5, v6, v4, vcc_lo
; %bb.17:
	s_or_b32 exec_lo, exec_lo, s16
	s_delay_alu instid0(VALU_DEP_1)
	v_lshrrev_b32_e32 v5, 16, v5
	s_branch .LBB592_21
.LBB592_18:
	s_mov_b32 s16, 0
                                        ; implicit-def: $vgpr5
                                        ; implicit-def: $vgpr2_vgpr3
	s_cbranch_execnz .LBB592_23
	s_branch .LBB592_75
.LBB592_19:
	s_or_b32 exec_lo, exec_lo, s12
	s_delay_alu instid0(SALU_CYCLE_1)
	s_and_b32 vcc_lo, exec_lo, s3
	s_cbranch_vccnz .LBB592_23
	s_branch .LBB592_75
.LBB592_20:
	v_mov_b32_e32 v5, 0
.LBB592_21:
	s_mov_b32 s16, exec_lo
.LBB592_22:
	s_or_b32 exec_lo, exec_lo, s2
	s_delay_alu instid0(SALU_CYCLE_1) | instskip(SKIP_1) | instid1(SALU_CYCLE_1)
	s_and_b32 s16, s16, exec_lo
	s_or_b32 exec_lo, exec_lo, s12
	s_and_b32 vcc_lo, exec_lo, s3
	s_cbranch_vccz .LBB592_75
.LBB592_23:
	s_clause 0x1
	s_load_b32 s18, s[0:1], 0x28
	s_load_b32 s12, s[0:1], 0x48
	s_ashr_i32 s0, s5, 31
	s_lshl_b32 s14, s14, 7
	s_lshr_b32 s0, s0, 26
	v_dual_mov_b32 v14, 0 :: v_dual_lshlrev_b32 v19, 2, v13
	v_dual_mov_b32 v15, 0 :: v_dual_add_nc_u32 v18, s14, v1
	v_dual_mov_b32 v16, 0 :: v_dual_mov_b32 v17, 0
	s_add_i32 s19, s5, s0
	s_mov_b32 s20, exec_lo
	s_and_not1_b32 s19, s19, 63
	s_delay_alu instid0(SALU_CYCLE_1)
	v_cmpx_gt_i32_e64 s19, v19
	s_cbranch_execz .LBB592_35
; %bb.24:
	s_waitcnt lgkmcnt(0)
	v_mul_lo_u32 v3, s18, v19
	v_dual_mov_b32 v15, 0 :: v_dual_add_nc_u32 v2, 32, v18
	v_add_nc_u32_e32 v6, 2, v19
	v_dual_mov_b32 v14, 0 :: v_dual_add_nc_u32 v5, 0x60, v18
	s_delay_alu instid0(VALU_DEP_3)
	v_cmp_gt_i32_e64 s0, s4, v2
	v_dual_mov_b32 v17, 0 :: v_dual_add_nc_u32 v4, 64, v18
	v_add3_u32 v20, v3, s18, v1
	v_mad_u64_u32 v[2:3], null, s18, v6, v[1:2]
	v_cmp_gt_i32_e64 s2, s4, v5
	v_mul_lo_u32 v5, v13, s18
	v_dual_mov_b32 v16, 0 :: v_dual_add_nc_u32 v7, 3, v19
	v_mul_lo_u32 v8, v13, s12
	v_cmp_gt_i32_e64 s1, s4, v4
	v_mul_lo_u32 v22, s12, v6
	s_delay_alu instid0(VALU_DEP_4)
	v_mad_u64_u32 v[3:4], null, s18, v7, v[1:2]
	v_lshl_add_u32 v21, v5, 2, v1
	v_mad_u64_u32 v[4:5], null, s12, v19, s[12:13]
	v_mul_lo_u32 v23, s12, v7
	v_cmp_gt_i32_e32 vcc_lo, s4, v18
	v_lshlrev_b32_e32 v24, 2, v8
	s_lshl_b32 s21, s18, 6
	s_lshl_b32 s23, s12, 6
	s_mov_b32 s22, 0
	s_mov_b32 s24, 0
	s_branch .LBB592_29
.LBB592_25:                             ;   in Loop: Header=BB592_29 Depth=1
	s_or_b32 exec_lo, exec_lo, s27
	s_waitcnt vmcnt(2) lgkmcnt(2)
	v_lshlrev_b32_e32 v6, 16, v39
	v_lshlrev_b32_e32 v5, 16, v40
	s_waitcnt vmcnt(1) lgkmcnt(1)
	s_delay_alu instid0(VALU_DEP_1) | instskip(NEXT) | instid1(VALU_DEP_1)
	v_dual_fmac_f32 v16, v32, v5 :: v_dual_lshlrev_b32 v5, 16, v38
	v_fmac_f32_e32 v16, v30, v6
	s_delay_alu instid0(VALU_DEP_1) | instskip(SKIP_2) | instid1(VALU_DEP_1)
	v_fmac_f32_e32 v16, v28, v5
	s_waitcnt vmcnt(0) lgkmcnt(0)
	v_lshlrev_b32_e32 v5, 16, v37
	v_fmac_f32_e32 v16, v27, v5
.LBB592_26:                             ;   in Loop: Header=BB592_29 Depth=1
	s_or_b32 exec_lo, exec_lo, s26
	s_waitcnt vmcnt(3) lgkmcnt(3)
	v_lshlrev_b32_e32 v5, 16, v36
	s_waitcnt vmcnt(2) lgkmcnt(2)
	s_delay_alu instid0(VALU_DEP_1) | instskip(SKIP_2) | instid1(VALU_DEP_2)
	v_dual_fmac_f32 v15, v32, v5 :: v_dual_lshlrev_b32 v6, 16, v35
	s_waitcnt vmcnt(1) lgkmcnt(1)
	v_lshlrev_b32_e32 v5, 16, v34
	v_fmac_f32_e32 v15, v30, v6
	s_delay_alu instid0(VALU_DEP_1) | instskip(SKIP_2) | instid1(VALU_DEP_1)
	v_fmac_f32_e32 v15, v28, v5
	s_waitcnt vmcnt(0) lgkmcnt(0)
	v_lshlrev_b32_e32 v5, 16, v33
	v_fmac_f32_e32 v15, v27, v5
.LBB592_27:                             ;   in Loop: Header=BB592_29 Depth=1
	s_or_b32 exec_lo, exec_lo, s3
	s_waitcnt vmcnt(2) lgkmcnt(2)
	v_lshlrev_b32_e32 v6, 16, v29
	v_lshlrev_b32_e32 v5, 16, v31
	s_waitcnt vmcnt(1) lgkmcnt(1)
	s_delay_alu instid0(VALU_DEP_1) | instskip(NEXT) | instid1(VALU_DEP_1)
	v_dual_fmac_f32 v14, v32, v5 :: v_dual_lshlrev_b32 v5, 16, v26
	v_fmac_f32_e32 v14, v30, v6
	s_delay_alu instid0(VALU_DEP_1) | instskip(SKIP_2) | instid1(VALU_DEP_1)
	v_fmac_f32_e32 v14, v28, v5
	s_waitcnt vmcnt(0) lgkmcnt(0)
	v_lshlrev_b32_e32 v5, 16, v25
	v_fmac_f32_e32 v14, v27, v5
.LBB592_28:                             ;   in Loop: Header=BB592_29 Depth=1
	s_or_b32 exec_lo, exec_lo, s25
	v_add_nc_u32_e32 v19, 64, v19
	v_add_nc_u32_e32 v20, s21, v20
	;; [unrolled: 1-line block ×5, first 2 shown]
	v_cmp_le_i32_e64 s3, s19, v19
	s_add_i32 s24, s24, s23
	s_delay_alu instid0(VALU_DEP_1) | instskip(NEXT) | instid1(SALU_CYCLE_1)
	s_or_b32 s22, s3, s22
	s_and_not1_b32 exec_lo, exec_lo, s22
	s_cbranch_execz .LBB592_34
.LBB592_29:                             ; =>This Inner Loop Header: Depth=1
	s_and_saveexec_b32 s25, vcc_lo
	s_cbranch_execz .LBB592_28
; %bb.30:                               ;   in Loop: Header=BB592_29 Depth=1
	v_add_nc_u32_e32 v5, s24, v24
	v_add_nc_u32_e32 v7, s24, v4
	;; [unrolled: 1-line block ×5, first 2 shown]
	v_ashrrev_i32_e32 v6, 31, v5
	v_ashrrev_i32_e32 v8, 31, v7
	v_ashrrev_i32_e32 v10, 31, v9
	v_ashrrev_i32_e32 v12, 31, v11
	v_add_nc_u32_e32 v27, s14, v20
	v_lshlrev_b64 v[5:6], 1, v[5:6]
	v_lshlrev_b64 v[7:8], 1, v[7:8]
	v_lshlrev_b64 v[9:10], 1, v[9:10]
	v_lshlrev_b64 v[11:12], 1, v[11:12]
	v_ashrrev_i32_e32 v26, 31, v25
	v_ashrrev_i32_e32 v28, 31, v27
	v_add_co_u32 v5, s3, s10, v5
	s_delay_alu instid0(VALU_DEP_1) | instskip(SKIP_1) | instid1(VALU_DEP_1)
	v_add_co_ci_u32_e64 v6, s3, s11, v6, s3
	v_add_co_u32 v7, s3, s10, v7
	v_add_co_ci_u32_e64 v8, s3, s11, v8, s3
	v_add_co_u32 v9, s3, s10, v9
	s_delay_alu instid0(VALU_DEP_1)
	v_add_co_ci_u32_e64 v10, s3, s11, v10, s3
	v_add_co_u32 v11, s3, s10, v11
	v_add_nc_u32_e32 v29, s14, v2
	v_add_co_ci_u32_e64 v12, s3, s11, v12, s3
	v_lshlrev_b64 v[25:26], 1, v[25:26]
	s_clause 0x3
	flat_load_u16 v32, v[5:6]
	flat_load_u16 v33, v[7:8]
	;; [unrolled: 1-line block ×4, first 2 shown]
	v_add_nc_u32_e32 v11, s14, v3
	v_lshlrev_b64 v[5:6], 1, v[27:28]
	v_ashrrev_i32_e32 v30, 31, v29
	v_add_co_u32 v7, s3, s8, v25
	s_delay_alu instid0(VALU_DEP_4) | instskip(SKIP_1) | instid1(VALU_DEP_4)
	v_ashrrev_i32_e32 v12, 31, v11
	v_add_co_ci_u32_e64 v8, s3, s9, v26, s3
	v_lshlrev_b64 v[25:26], 1, v[29:30]
	v_add_co_u32 v9, s3, s8, v5
	s_delay_alu instid0(VALU_DEP_1) | instskip(SKIP_1) | instid1(VALU_DEP_4)
	v_add_co_ci_u32_e64 v10, s3, s9, v6, s3
	v_lshlrev_b64 v[5:6], 1, v[11:12]
	v_add_co_u32 v11, s3, s8, v25
	s_delay_alu instid0(VALU_DEP_1) | instskip(NEXT) | instid1(VALU_DEP_3)
	v_add_co_ci_u32_e64 v12, s3, s9, v26, s3
	v_add_co_u32 v5, s3, s8, v5
	s_delay_alu instid0(VALU_DEP_1)
	v_add_co_ci_u32_e64 v6, s3, s9, v6, s3
	s_clause 0x3
	flat_load_u16 v31, v[7:8]
	flat_load_u16 v29, v[9:10]
	;; [unrolled: 1-line block ×4, first 2 shown]
	s_waitcnt vmcnt(7) lgkmcnt(7)
	v_lshlrev_b32_e32 v32, 16, v32
	s_waitcnt vmcnt(6) lgkmcnt(6)
	v_lshlrev_b32_e32 v30, 16, v33
	;; [unrolled: 2-line block ×4, first 2 shown]
	s_and_saveexec_b32 s3, s0
	s_cbranch_execz .LBB592_27
; %bb.31:                               ;   in Loop: Header=BB592_29 Depth=1
	s_clause 0x3
	flat_load_u16 v36, v[7:8] offset:64
	flat_load_u16 v35, v[9:10] offset:64
	flat_load_u16 v34, v[11:12] offset:64
	flat_load_u16 v33, v[5:6] offset:64
	s_and_saveexec_b32 s26, s1
	s_cbranch_execz .LBB592_26
; %bb.32:                               ;   in Loop: Header=BB592_29 Depth=1
	s_clause 0x3
	flat_load_u16 v40, v[7:8] offset:128
	flat_load_u16 v39, v[9:10] offset:128
	flat_load_u16 v38, v[11:12] offset:128
	flat_load_u16 v37, v[5:6] offset:128
	;; [unrolled: 8-line block ×3, first 2 shown]
	s_waitcnt vmcnt(0) lgkmcnt(0)
	v_lshlrev_b32_e32 v5, 16, v5
	v_lshlrev_b32_e32 v6, 16, v7
	;; [unrolled: 1-line block ×3, first 2 shown]
	s_delay_alu instid0(VALU_DEP_2) | instskip(NEXT) | instid1(VALU_DEP_1)
	v_dual_fmac_f32 v17, v32, v6 :: v_dual_lshlrev_b32 v6, 16, v9
	v_fmac_f32_e32 v17, v30, v7
	s_delay_alu instid0(VALU_DEP_1) | instskip(NEXT) | instid1(VALU_DEP_1)
	v_fmac_f32_e32 v17, v28, v6
	v_fmac_f32_e32 v17, v27, v5
	s_branch .LBB592_25
.LBB592_34:
	s_or_b32 exec_lo, exec_lo, s22
.LBB592_35:
	s_delay_alu instid0(SALU_CYCLE_1) | instskip(SKIP_1) | instid1(SALU_CYCLE_1)
	s_or_b32 exec_lo, exec_lo, s20
	s_sub_i32 s0, s5, s19
	s_cmp_lt_i32 s0, 1
	s_cbranch_scc1 .LBB592_53
; %bb.36:
	v_cmp_gt_i32_e32 vcc_lo, s5, v19
	v_dual_mov_b32 v10, 0 :: v_dual_mov_b32 v11, 0
	v_or_b32_e32 v2, 1, v19
	v_mov_b32_e32 v12, 0
	v_mov_b32_e32 v20, 0
	s_and_saveexec_b32 s1, vcc_lo
	s_cbranch_execz .LBB592_44
; %bb.37:
	s_waitcnt lgkmcnt(0)
	v_mul_lo_u32 v3, v19, s12
	v_dual_mov_b32 v12, 0 :: v_dual_mov_b32 v11, 0
	v_mov_b32_e32 v10, 0
	s_mov_b32 s2, exec_lo
	s_delay_alu instid0(VALU_DEP_3) | instskip(NEXT) | instid1(VALU_DEP_1)
	v_ashrrev_i32_e32 v4, 31, v3
	v_lshlrev_b64 v[3:4], 1, v[3:4]
	s_delay_alu instid0(VALU_DEP_1) | instskip(NEXT) | instid1(VALU_DEP_1)
	v_add_co_u32 v3, s0, s10, v3
	v_add_co_ci_u32_e64 v4, s0, s11, v4, s0
	flat_load_u16 v3, v[3:4]
	v_cmpx_gt_i32_e64 s5, v2
	s_cbranch_execz .LBB592_43
; %bb.38:
	v_mul_lo_u32 v4, v2, s12
	v_dual_mov_b32 v11, 0 :: v_dual_mov_b32 v10, 0
	s_mov_b32 s3, exec_lo
	s_delay_alu instid0(VALU_DEP_2) | instskip(NEXT) | instid1(VALU_DEP_1)
	v_ashrrev_i32_e32 v5, 31, v4
	v_lshlrev_b64 v[4:5], 1, v[4:5]
	s_delay_alu instid0(VALU_DEP_1) | instskip(NEXT) | instid1(VALU_DEP_1)
	v_add_co_u32 v4, s0, s10, v4
	v_add_co_ci_u32_e64 v5, s0, s11, v5, s0
	flat_load_u16 v4, v[4:5]
	v_or_b32_e32 v5, 2, v19
	s_delay_alu instid0(VALU_DEP_1)
	v_cmpx_gt_i32_e64 s5, v5
	s_cbranch_execz .LBB592_42
; %bb.39:
	v_mul_lo_u32 v5, v5, s12
	v_mov_b32_e32 v10, 0
	s_mov_b32 s19, exec_lo
	s_delay_alu instid0(VALU_DEP_2) | instskip(NEXT) | instid1(VALU_DEP_1)
	v_ashrrev_i32_e32 v6, 31, v5
	v_lshlrev_b64 v[5:6], 1, v[5:6]
	s_delay_alu instid0(VALU_DEP_1) | instskip(NEXT) | instid1(VALU_DEP_1)
	v_add_co_u32 v5, s0, s10, v5
	v_add_co_ci_u32_e64 v6, s0, s11, v6, s0
	flat_load_u16 v5, v[5:6]
	v_or_b32_e32 v6, 3, v19
	s_delay_alu instid0(VALU_DEP_1)
	v_cmpx_gt_i32_e64 s5, v6
	s_cbranch_execz .LBB592_41
; %bb.40:
	v_mul_lo_u32 v6, v6, s12
	s_delay_alu instid0(VALU_DEP_1) | instskip(NEXT) | instid1(VALU_DEP_1)
	v_ashrrev_i32_e32 v7, 31, v6
	v_lshlrev_b64 v[6:7], 1, v[6:7]
	s_delay_alu instid0(VALU_DEP_1) | instskip(NEXT) | instid1(VALU_DEP_1)
	v_add_co_u32 v6, s0, s10, v6
	v_add_co_ci_u32_e64 v7, s0, s11, v7, s0
	flat_load_u16 v6, v[6:7]
	s_waitcnt vmcnt(0) lgkmcnt(0)
	v_lshlrev_b32_e32 v10, 16, v6
.LBB592_41:
	s_or_b32 exec_lo, exec_lo, s19
	s_waitcnt vmcnt(0) lgkmcnt(0)
	v_lshlrev_b32_e32 v11, 16, v5
.LBB592_42:
	s_or_b32 exec_lo, exec_lo, s3
	s_waitcnt vmcnt(0) lgkmcnt(0)
	v_lshlrev_b32_e32 v12, 16, v4
.LBB592_43:
	s_or_b32 exec_lo, exec_lo, s2
	s_waitcnt vmcnt(0) lgkmcnt(0)
	v_lshlrev_b32_e32 v20, 16, v3
.LBB592_44:
	s_or_b32 exec_lo, exec_lo, s1
	s_delay_alu instid0(SALU_CYCLE_1)
	s_mov_b32 s1, exec_lo
	v_cmpx_gt_i32_e64 s4, v18
	s_cbranch_execz .LBB592_52
; %bb.45:
	s_waitcnt lgkmcnt(0)
	v_mul_lo_u32 v3, v19, s18
	v_mul_lo_u32 v4, v2, s18
	v_or_b32_e32 v5, 2, v19
	v_or_b32_e32 v6, 3, v19
	s_mov_b32 s0, exec_lo
	s_delay_alu instid0(VALU_DEP_2)
	v_mul_lo_u32 v7, v5, s18
	v_cndmask_b32_e32 v3, 0, v3, vcc_lo
	v_cmp_gt_i32_e32 vcc_lo, s5, v2
	v_mul_lo_u32 v8, v6, s18
	v_cndmask_b32_e32 v4, 0, v4, vcc_lo
	v_cmp_gt_i32_e32 vcc_lo, s5, v5
	v_add_nc_u32_e32 v2, v3, v18
	s_delay_alu instid0(VALU_DEP_3) | instskip(NEXT) | instid1(VALU_DEP_2)
	v_dual_cndmask_b32 v7, 0, v7 :: v_dual_add_nc_u32 v4, v4, v18
	v_ashrrev_i32_e32 v3, 31, v2
	v_cmp_gt_i32_e32 vcc_lo, s5, v6
	s_delay_alu instid0(VALU_DEP_3) | instskip(NEXT) | instid1(VALU_DEP_4)
	v_ashrrev_i32_e32 v5, 31, v4
	v_add_nc_u32_e32 v6, v7, v18
	s_delay_alu instid0(VALU_DEP_4) | instskip(SKIP_1) | instid1(VALU_DEP_4)
	v_lshlrev_b64 v[2:3], 1, v[2:3]
	v_cndmask_b32_e32 v8, 0, v8, vcc_lo
	v_lshlrev_b64 v[21:22], 1, v[4:5]
	s_delay_alu instid0(VALU_DEP_4) | instskip(NEXT) | instid1(VALU_DEP_4)
	v_ashrrev_i32_e32 v7, 31, v6
	v_add_co_u32 v4, vcc_lo, s8, v2
	v_add_co_ci_u32_e32 v5, vcc_lo, s9, v3, vcc_lo
	s_delay_alu instid0(VALU_DEP_4)
	v_add_co_u32 v2, vcc_lo, s8, v21
	v_add_co_ci_u32_e32 v3, vcc_lo, s9, v22, vcc_lo
	s_clause 0x1
	flat_load_u16 v19, v[4:5]
	flat_load_u16 v23, v[2:3]
	v_lshlrev_b64 v[6:7], 1, v[6:7]
	s_waitcnt vmcnt(1) lgkmcnt(1)
	v_lshlrev_b32_e32 v19, 16, v19
	v_add_nc_u32_e32 v8, v8, v18
	s_delay_alu instid0(VALU_DEP_1) | instskip(NEXT) | instid1(VALU_DEP_1)
	v_ashrrev_i32_e32 v9, 31, v8
	v_lshlrev_b64 v[21:22], 1, v[8:9]
	v_add_co_u32 v8, vcc_lo, s8, v6
	v_add_co_ci_u32_e32 v9, vcc_lo, s9, v7, vcc_lo
	s_delay_alu instid0(VALU_DEP_3) | instskip(NEXT) | instid1(VALU_DEP_4)
	v_add_co_u32 v6, vcc_lo, s8, v21
	v_add_co_ci_u32_e32 v7, vcc_lo, s9, v22, vcc_lo
	s_clause 0x1
	flat_load_u16 v21, v[8:9]
	flat_load_u16 v22, v[6:7]
	s_waitcnt vmcnt(1) lgkmcnt(1)
	v_dual_fmac_f32 v14, v20, v19 :: v_dual_lshlrev_b32 v21, 16, v21
	v_lshlrev_b32_e32 v23, 16, v23
	s_waitcnt vmcnt(0) lgkmcnt(0)
	s_delay_alu instid0(VALU_DEP_1) | instskip(NEXT) | instid1(VALU_DEP_1)
	v_dual_fmac_f32 v14, v12, v23 :: v_dual_lshlrev_b32 v19, 16, v22
	v_dual_fmac_f32 v14, v11, v21 :: v_dual_add_nc_u32 v23, 32, v18
	s_delay_alu instid0(VALU_DEP_1)
	v_cmpx_gt_i32_e64 s4, v23
	s_cbranch_execz .LBB592_51
; %bb.46:
	s_clause 0x3
	flat_load_u16 v21, v[4:5] offset:64
	flat_load_u16 v22, v[2:3] offset:64
	;; [unrolled: 1-line block ×4, first 2 shown]
	s_mov_b32 s2, exec_lo
	s_waitcnt vmcnt(3) lgkmcnt(3)
	v_lshlrev_b32_e32 v21, 16, v21
	s_waitcnt vmcnt(2) lgkmcnt(2)
	v_lshlrev_b32_e32 v22, 16, v22
	;; [unrolled: 2-line block ×3, first 2 shown]
	v_fmac_f32_e32 v15, v20, v21
	s_waitcnt vmcnt(0) lgkmcnt(0)
	v_lshlrev_b32_e32 v21, 16, v24
	s_delay_alu instid0(VALU_DEP_2) | instskip(NEXT) | instid1(VALU_DEP_1)
	v_fmac_f32_e32 v15, v12, v22
	v_dual_fmac_f32 v15, v11, v23 :: v_dual_add_nc_u32 v22, 64, v18
	s_delay_alu instid0(VALU_DEP_1)
	v_cmpx_gt_i32_e64 s4, v22
	s_cbranch_execz .LBB592_50
; %bb.47:
	s_clause 0x3
	flat_load_u16 v22, v[4:5] offset:128
	flat_load_u16 v23, v[2:3] offset:128
	;; [unrolled: 1-line block ×4, first 2 shown]
	s_mov_b32 s3, exec_lo
	s_waitcnt vmcnt(3) lgkmcnt(3)
	v_lshlrev_b32_e32 v22, 16, v22
	s_waitcnt vmcnt(2) lgkmcnt(2)
	s_delay_alu instid0(VALU_DEP_1) | instskip(SKIP_2) | instid1(VALU_DEP_2)
	v_dual_fmac_f32 v16, v20, v22 :: v_dual_lshlrev_b32 v23, 16, v23
	s_waitcnt vmcnt(1) lgkmcnt(1)
	v_lshlrev_b32_e32 v22, 16, v24
	v_dual_fmac_f32 v16, v12, v23 :: v_dual_add_nc_u32 v23, 0x60, v18
	s_waitcnt vmcnt(0) lgkmcnt(0)
	v_lshlrev_b32_e32 v18, 16, v25
	s_delay_alu instid0(VALU_DEP_2) | instskip(NEXT) | instid1(VALU_DEP_3)
	v_fmac_f32_e32 v16, v11, v22
	v_cmpx_gt_i32_e64 s4, v23
	s_cbranch_execz .LBB592_49
; %bb.48:
	s_clause 0x3
	flat_load_u16 v4, v[4:5] offset:192
	flat_load_u16 v2, v[2:3] offset:192
	;; [unrolled: 1-line block ×4, first 2 shown]
	s_waitcnt vmcnt(2) lgkmcnt(2)
	v_lshlrev_b32_e32 v2, 16, v2
	v_lshlrev_b32_e32 v4, 16, v4
	s_waitcnt vmcnt(1) lgkmcnt(1)
	v_lshlrev_b32_e32 v3, 16, v3
	s_delay_alu instid0(VALU_DEP_2) | instskip(SKIP_1) | instid1(VALU_DEP_1)
	v_fmac_f32_e32 v17, v20, v4
	s_waitcnt vmcnt(0) lgkmcnt(0)
	v_dual_fmac_f32 v17, v12, v2 :: v_dual_lshlrev_b32 v2, 16, v5
	s_delay_alu instid0(VALU_DEP_1) | instskip(NEXT) | instid1(VALU_DEP_1)
	v_fmac_f32_e32 v17, v11, v3
	v_fmac_f32_e32 v17, v10, v2
.LBB592_49:
	s_or_b32 exec_lo, exec_lo, s3
	s_delay_alu instid0(VALU_DEP_2)
	v_fmac_f32_e32 v16, v10, v18
.LBB592_50:
	s_or_b32 exec_lo, exec_lo, s2
	s_delay_alu instid0(VALU_DEP_2)
	v_fmac_f32_e32 v15, v10, v21
.LBB592_51:
	s_or_b32 exec_lo, exec_lo, s0
	s_delay_alu instid0(VALU_DEP_2)
	v_fmac_f32_e32 v14, v10, v19
.LBB592_52:
	s_or_b32 exec_lo, exec_lo, s1
.LBB592_53:
	v_lshlrev_b32_e32 v2, 7, v13
	s_mov_b32 s0, exec_lo
                                        ; implicit-def: $vgpr5
	s_delay_alu instid0(VALU_DEP_1)
	v_add_lshl_u32 v1, v2, v1, 2
                                        ; implicit-def: $vgpr2_vgpr3
	ds_store_2addr_b32 v1, v14, v15 offset1:32
	ds_store_2addr_b32 v1, v16, v17 offset0:64 offset1:96
	s_waitcnt lgkmcnt(0)
	s_barrier
	buffer_gl0_inv
	v_cmpx_gt_u32_e32 0x80, v0
	s_cbranch_execz .LBB592_74
; %bb.54:
	v_lshlrev_b32_e32 v7, 2, v0
	s_mov_b32 s2, s16
	s_mov_b32 s1, exec_lo
	ds_load_2addr_stride64_b32 v[1:2], v7 offset1:2
	ds_load_2addr_stride64_b32 v[3:4], v7 offset0:4 offset1:6
	ds_load_2addr_stride64_b32 v[5:6], v7 offset0:8 offset1:10
	s_waitcnt lgkmcnt(2)
	v_add_f32_e32 v8, v1, v2
	ds_load_2addr_stride64_b32 v[1:2], v7 offset0:12 offset1:14
	s_waitcnt lgkmcnt(2)
	v_add_f32_e32 v3, v3, v8
	s_delay_alu instid0(VALU_DEP_1) | instskip(SKIP_3) | instid1(VALU_DEP_1)
	v_add_f32_e32 v8, v4, v3
	ds_load_2addr_stride64_b32 v[3:4], v7 offset0:16 offset1:18
	s_waitcnt lgkmcnt(2)
	v_add_f32_e32 v5, v5, v8
	v_add_f32_e32 v8, v6, v5
	ds_load_2addr_stride64_b32 v[5:6], v7 offset0:20 offset1:22
	s_waitcnt lgkmcnt(2)
	v_add_f32_e32 v1, v1, v8
	s_delay_alu instid0(VALU_DEP_1) | instskip(SKIP_1) | instid1(VALU_DEP_1)
	v_add_f32_e32 v1, v2, v1
	s_waitcnt lgkmcnt(1)
	v_add_f32_e32 v3, v3, v1
	ds_load_2addr_stride64_b32 v[1:2], v7 offset0:24 offset1:26
	v_add_f32_e32 v3, v4, v3
	s_waitcnt lgkmcnt(1)
	s_delay_alu instid0(VALU_DEP_1) | instskip(SKIP_3) | instid1(VALU_DEP_1)
	v_add_f32_e32 v3, v5, v3
	ds_load_2addr_stride64_b32 v[4:5], v7 offset0:28 offset1:30
	v_add_f32_e32 v3, v6, v3
	s_waitcnt lgkmcnt(1)
	v_add_f32_e32 v1, v1, v3
	s_delay_alu instid0(VALU_DEP_1) | instskip(SKIP_1) | instid1(VALU_DEP_1)
	v_add_f32_e32 v1, v2, v1
                                        ; implicit-def: $vgpr2_vgpr3
	s_waitcnt lgkmcnt(0)
	v_add_f32_e32 v1, v4, v1
	v_or_b32_e32 v4, s14, v0
	s_delay_alu instid0(VALU_DEP_2)
	v_add_f32_e32 v0, v5, v1
                                        ; implicit-def: $vgpr5
	ds_store_b32 v7, v0
	v_cmpx_gt_i32_e64 s4, v4
	s_cbranch_execz .LBB592_73
; %bb.55:
	v_cmp_eq_f32_e64 s2, s15, 0
	v_mul_f32_e32 v0, s6, v0
	s_delay_alu instid0(VALU_DEP_2)
	s_and_b32 vcc_lo, exec_lo, s2
	s_cbranch_vccz .LBB592_61
; %bb.56:
	s_delay_alu instid0(VALU_DEP_1) | instskip(NEXT) | instid1(VALU_DEP_1)
	v_and_b32_e32 v1, 0x7f800000, v0
	v_cmp_ne_u32_e32 vcc_lo, 0x7f800000, v1
                                        ; implicit-def: $vgpr1
	s_and_saveexec_b32 s2, vcc_lo
	s_delay_alu instid0(SALU_CYCLE_1)
	s_xor_b32 s2, exec_lo, s2
; %bb.57:
	v_bfe_u32 v1, v0, 16, 1
	s_delay_alu instid0(VALU_DEP_1)
	v_add3_u32 v1, v0, v1, 0x7fff
; %bb.58:
	s_and_not1_saveexec_b32 s2, s2
; %bb.59:
	v_and_b32_e32 v1, 0xffff, v0
	v_or_b32_e32 v2, 0x10000, v0
	s_delay_alu instid0(VALU_DEP_2) | instskip(NEXT) | instid1(VALU_DEP_2)
	v_cmp_eq_u32_e32 vcc_lo, 0, v1
	v_cndmask_b32_e32 v1, v2, v0, vcc_lo
; %bb.60:
	s_or_b32 exec_lo, exec_lo, s2
	s_mov_b32 s2, 0
	s_branch .LBB592_62
.LBB592_61:
	s_mov_b32 s2, -1
                                        ; implicit-def: $vgpr1
.LBB592_62:
	v_mul_lo_u32 v2, v4, s17
	s_and_not1_b32 vcc_lo, exec_lo, s2
	s_delay_alu instid0(VALU_DEP_1)
	v_ashrrev_i32_e32 v3, 31, v2
	s_cbranch_vccnz .LBB592_72
; %bb.63:
	s_delay_alu instid0(VALU_DEP_1) | instskip(NEXT) | instid1(VALU_DEP_1)
	v_lshlrev_b64 v[4:5], 1, v[2:3]
	v_add_co_u32 v4, vcc_lo, s7, v4
	s_delay_alu instid0(VALU_DEP_2) | instskip(SKIP_3) | instid1(VALU_DEP_1)
	v_add_co_ci_u32_e32 v5, vcc_lo, s13, v5, vcc_lo
	global_load_u16 v1, v[4:5], off
	s_waitcnt vmcnt(0)
	v_lshlrev_b32_e32 v1, 16, v1
	v_mul_f32_e32 v1, s15, v1
	s_delay_alu instid0(VALU_DEP_1) | instskip(NEXT) | instid1(VALU_DEP_1)
	v_and_b32_e32 v4, 0x7f800000, v1
	v_cmp_ne_u32_e32 vcc_lo, 0x7f800000, v4
                                        ; implicit-def: $vgpr4
	s_and_saveexec_b32 s2, vcc_lo
	s_delay_alu instid0(SALU_CYCLE_1)
	s_xor_b32 s2, exec_lo, s2
; %bb.64:
	v_bfe_u32 v4, v1, 16, 1
	s_delay_alu instid0(VALU_DEP_1)
	v_add3_u32 v4, v1, v4, 0x7fff
                                        ; implicit-def: $vgpr1
; %bb.65:
	s_and_not1_saveexec_b32 s2, s2
; %bb.66:
	v_and_b32_e32 v4, 0xffff, v1
	v_or_b32_e32 v5, 0x10000, v1
	s_delay_alu instid0(VALU_DEP_2) | instskip(NEXT) | instid1(VALU_DEP_2)
	v_cmp_eq_u32_e32 vcc_lo, 0, v4
	v_cndmask_b32_e32 v4, v5, v1, vcc_lo
; %bb.67:
	s_or_b32 exec_lo, exec_lo, s2
	s_delay_alu instid0(VALU_DEP_1) | instskip(NEXT) | instid1(VALU_DEP_1)
	v_and_b32_e32 v1, 0xffff0000, v4
	v_add_f32_e32 v0, v0, v1
	s_delay_alu instid0(VALU_DEP_1) | instskip(NEXT) | instid1(VALU_DEP_1)
	v_and_b32_e32 v1, 0x7f800000, v0
	v_cmp_ne_u32_e32 vcc_lo, 0x7f800000, v1
                                        ; implicit-def: $vgpr1
	s_and_saveexec_b32 s2, vcc_lo
	s_delay_alu instid0(SALU_CYCLE_1)
	s_xor_b32 s2, exec_lo, s2
; %bb.68:
	v_bfe_u32 v1, v0, 16, 1
	s_delay_alu instid0(VALU_DEP_1)
	v_add3_u32 v1, v0, v1, 0x7fff
                                        ; implicit-def: $vgpr0
; %bb.69:
	s_and_not1_saveexec_b32 s2, s2
; %bb.70:
	v_and_b32_e32 v1, 0xffff, v0
	v_or_b32_e32 v4, 0x10000, v0
	s_delay_alu instid0(VALU_DEP_2) | instskip(NEXT) | instid1(VALU_DEP_2)
	v_cmp_eq_u32_e32 vcc_lo, 0, v1
	v_cndmask_b32_e32 v1, v4, v0, vcc_lo
; %bb.71:
	s_or_b32 exec_lo, exec_lo, s2
.LBB592_72:
	s_delay_alu instid0(VALU_DEP_1)
	v_lshrrev_b32_e32 v5, 16, v1
	s_or_b32 s2, s16, exec_lo
.LBB592_73:
	s_or_b32 exec_lo, exec_lo, s1
	s_delay_alu instid0(SALU_CYCLE_1) | instskip(SKIP_1) | instid1(SALU_CYCLE_1)
	s_and_not1_b32 s1, s16, exec_lo
	s_and_b32 s2, s2, exec_lo
	s_or_b32 s16, s1, s2
.LBB592_74:
	s_or_b32 exec_lo, exec_lo, s0
.LBB592_75:
	s_and_saveexec_b32 s0, s16
	s_cbranch_execz .LBB592_77
; %bb.76:
	v_lshlrev_b64 v[0:1], 1, v[2:3]
	s_delay_alu instid0(VALU_DEP_1) | instskip(NEXT) | instid1(VALU_DEP_2)
	v_add_co_u32 v0, vcc_lo, s7, v0
	v_add_co_ci_u32_e32 v1, vcc_lo, s13, v1, vcc_lo
	global_store_b16 v[0:1], v5, off
.LBB592_77:
	s_nop 0
	s_sendmsg sendmsg(MSG_DEALLOC_VGPRS)
	s_endpgm
	.section	.rodata,"a",@progbits
	.p2align	6, 0x0
	.amdhsa_kernel _ZL20rocblas_gemvn_kernelILi32ELi16EiPK16rocblas_bfloat16fKPS0_EviiT3_lPKT2_lT1_lS8_lS9_lS5_lPT4_lS9_li
		.amdhsa_group_segment_fixed_size 8192
		.amdhsa_private_segment_fixed_size 0
		.amdhsa_kernarg_size 400
		.amdhsa_user_sgpr_count 14
		.amdhsa_user_sgpr_dispatch_ptr 0
		.amdhsa_user_sgpr_queue_ptr 0
		.amdhsa_user_sgpr_kernarg_segment_ptr 1
		.amdhsa_user_sgpr_dispatch_id 0
		.amdhsa_user_sgpr_private_segment_size 0
		.amdhsa_wavefront_size32 1
		.amdhsa_uses_dynamic_stack 0
		.amdhsa_enable_private_segment 0
		.amdhsa_system_sgpr_workgroup_id_x 1
		.amdhsa_system_sgpr_workgroup_id_y 0
		.amdhsa_system_sgpr_workgroup_id_z 1
		.amdhsa_system_sgpr_workgroup_info 0
		.amdhsa_system_vgpr_workitem_id 1
		.amdhsa_next_free_vgpr 41
		.amdhsa_next_free_sgpr 28
		.amdhsa_reserve_vcc 1
		.amdhsa_float_round_mode_32 0
		.amdhsa_float_round_mode_16_64 0
		.amdhsa_float_denorm_mode_32 3
		.amdhsa_float_denorm_mode_16_64 3
		.amdhsa_dx10_clamp 1
		.amdhsa_ieee_mode 1
		.amdhsa_fp16_overflow 0
		.amdhsa_workgroup_processor_mode 1
		.amdhsa_memory_ordered 1
		.amdhsa_forward_progress 0
		.amdhsa_shared_vgpr_count 0
		.amdhsa_exception_fp_ieee_invalid_op 0
		.amdhsa_exception_fp_denorm_src 0
		.amdhsa_exception_fp_ieee_div_zero 0
		.amdhsa_exception_fp_ieee_overflow 0
		.amdhsa_exception_fp_ieee_underflow 0
		.amdhsa_exception_fp_ieee_inexact 0
		.amdhsa_exception_int_div_zero 0
	.end_amdhsa_kernel
	.section	.text._ZL20rocblas_gemvn_kernelILi32ELi16EiPK16rocblas_bfloat16fKPS0_EviiT3_lPKT2_lT1_lS8_lS9_lS5_lPT4_lS9_li,"axG",@progbits,_ZL20rocblas_gemvn_kernelILi32ELi16EiPK16rocblas_bfloat16fKPS0_EviiT3_lPKT2_lT1_lS8_lS9_lS5_lPT4_lS9_li,comdat
.Lfunc_end592:
	.size	_ZL20rocblas_gemvn_kernelILi32ELi16EiPK16rocblas_bfloat16fKPS0_EviiT3_lPKT2_lT1_lS8_lS9_lS5_lPT4_lS9_li, .Lfunc_end592-_ZL20rocblas_gemvn_kernelILi32ELi16EiPK16rocblas_bfloat16fKPS0_EviiT3_lPKT2_lT1_lS8_lS9_lS5_lPT4_lS9_li
                                        ; -- End function
	.section	.AMDGPU.csdata,"",@progbits
; Kernel info:
; codeLenInByte = 3620
; NumSgprs: 30
; NumVgprs: 41
; ScratchSize: 0
; MemoryBound: 0
; FloatMode: 240
; IeeeMode: 1
; LDSByteSize: 8192 bytes/workgroup (compile time only)
; SGPRBlocks: 3
; VGPRBlocks: 5
; NumSGPRsForWavesPerEU: 30
; NumVGPRsForWavesPerEU: 41
; Occupancy: 16
; WaveLimiterHint : 1
; COMPUTE_PGM_RSRC2:SCRATCH_EN: 0
; COMPUTE_PGM_RSRC2:USER_SGPR: 14
; COMPUTE_PGM_RSRC2:TRAP_HANDLER: 0
; COMPUTE_PGM_RSRC2:TGID_X_EN: 1
; COMPUTE_PGM_RSRC2:TGID_Y_EN: 0
; COMPUTE_PGM_RSRC2:TGID_Z_EN: 1
; COMPUTE_PGM_RSRC2:TIDIG_COMP_CNT: 1
	.section	.text._ZL20rocblas_gemvn_kernelILi32ELi16ElPK16rocblas_bfloat16fKPS0_EviiT3_lPKT2_lT1_lS8_lS9_lS5_lPT4_lS9_li,"axG",@progbits,_ZL20rocblas_gemvn_kernelILi32ELi16ElPK16rocblas_bfloat16fKPS0_EviiT3_lPKT2_lT1_lS8_lS9_lS5_lPT4_lS9_li,comdat
	.globl	_ZL20rocblas_gemvn_kernelILi32ELi16ElPK16rocblas_bfloat16fKPS0_EviiT3_lPKT2_lT1_lS8_lS9_lS5_lPT4_lS9_li ; -- Begin function _ZL20rocblas_gemvn_kernelILi32ELi16ElPK16rocblas_bfloat16fKPS0_EviiT3_lPKT2_lT1_lS8_lS9_lS5_lPT4_lS9_li
	.p2align	8
	.type	_ZL20rocblas_gemvn_kernelILi32ELi16ElPK16rocblas_bfloat16fKPS0_EviiT3_lPKT2_lT1_lS8_lS9_lS5_lPT4_lS9_li,@function
_ZL20rocblas_gemvn_kernelILi32ELi16ElPK16rocblas_bfloat16fKPS0_EviiT3_lPKT2_lT1_lS8_lS9_lS5_lPT4_lS9_li: ; @_ZL20rocblas_gemvn_kernelILi32ELi16ElPK16rocblas_bfloat16fKPS0_EviiT3_lPKT2_lT1_lS8_lS9_lS5_lPT4_lS9_li
; %bb.0:
	s_load_b64 s[4:5], s[0:1], 0x9c
	s_waitcnt lgkmcnt(0)
	s_lshr_b32 s3, s4, 16
	s_and_b32 s4, s4, 0xffff
	s_and_b32 s5, s5, 0xffff
	s_mul_i32 s3, s3, s4
	s_delay_alu instid0(SALU_CYCLE_1) | instskip(NEXT) | instid1(SALU_CYCLE_1)
	s_mul_i32 s3, s3, s5
	s_cmpk_lg_i32 s3, 0x200
	s_cbranch_scc1 .LBB593_77
; %bb.1:
	s_clause 0x1
	s_load_b128 s[8:11], s[0:1], 0x0
	s_load_b32 s26, s[0:1], 0x58
	s_mov_b32 s2, s15
	s_waitcnt lgkmcnt(0)
	v_cmp_eq_f32_e64 s15, s10, 0
	v_cmp_eq_f32_e64 s3, s26, 1.0
	s_delay_alu instid0(VALU_DEP_1) | instskip(NEXT) | instid1(SALU_CYCLE_1)
	s_and_b32 s3, s15, s3
	s_and_b32 vcc_lo, exec_lo, s3
	s_cbranch_vccnz .LBB593_77
; %bb.2:
	s_clause 0x1
	s_load_b128 s[4:7], s[0:1], 0x18
	s_load_b64 s[12:13], s[0:1], 0x28
	v_cmp_neq_f32_e64 s11, s10, 0
	s_delay_alu instid0(VALU_DEP_1)
	s_and_b32 vcc_lo, exec_lo, s11
	s_cbranch_vccnz .LBB593_4
; %bb.3:
	s_mov_b32 s3, 0
	s_mov_b64 s[16:17], 0
	s_cbranch_execz .LBB593_5
	s_branch .LBB593_6
.LBB593_4:
	s_mov_b32 s3, -1
                                        ; implicit-def: $sgpr16_sgpr17
.LBB593_5:
	s_mov_b32 s3, 0
	s_delay_alu instid0(SALU_CYCLE_1)
	s_lshl_b64 s[16:17], s[2:3], 3
	s_waitcnt lgkmcnt(0)
	s_add_u32 s4, s4, s16
	s_addc_u32 s5, s5, s17
	s_lshl_b64 s[6:7], s[6:7], 1
	s_load_b64 s[4:5], s[4:5], 0x0
	s_waitcnt lgkmcnt(0)
	s_add_u32 s16, s4, s6
	s_addc_u32 s17, s5, s7
.LBB593_6:
	s_waitcnt lgkmcnt(0)
	s_clause 0x1
	s_load_b128 s[4:7], s[0:1], 0x38
	s_load_b64 s[18:19], s[0:1], 0x48
	s_and_not1_b32 vcc_lo, exec_lo, s11
	s_cbranch_vccnz .LBB593_8
; %bb.7:
	s_lshl_b64 s[20:21], s[2:3], 3
	s_waitcnt lgkmcnt(0)
	s_add_u32 s4, s4, s20
	s_addc_u32 s5, s5, s21
	s_lshl_b64 s[6:7], s[6:7], 1
	s_load_b64 s[4:5], s[4:5], 0x0
	s_waitcnt lgkmcnt(0)
	s_add_u32 s20, s4, s6
	s_addc_u32 s21, s5, s7
	s_branch .LBB593_9
.LBB593_8:
	s_mov_b64 s[20:21], 0
.LBB593_9:
	s_load_b128 s[28:31], s[0:1], 0x68
	s_waitcnt lgkmcnt(0)
	s_load_b64 s[6:7], s[0:1], 0x78
	s_lshl_b64 s[2:3], s[2:3], 3
	v_and_b32_e32 v20, 0x3ff, v0
	v_bfe_u32 v21, v0, 10, 10
	s_delay_alu instid0(VALU_DEP_1)
	v_lshl_add_u32 v19, v21, 5, v20
	s_add_u32 s0, s28, s2
	s_addc_u32 s1, s29, s3
	s_lshl_b64 s[22:23], s[30:31], 1
	s_load_b64 s[2:3], s[0:1], 0x0
	v_cmp_gt_u32_e64 s0, 0x80, v19
	s_waitcnt lgkmcnt(0)
	s_add_u32 s5, s2, s22
	s_addc_u32 s11, s3, s23
	s_and_not1_b32 vcc_lo, exec_lo, s15
	s_cbranch_vccnz .LBB593_18
; %bb.10:
	s_mov_b32 s1, 0
	s_mov_b32 s27, 0
                                        ; implicit-def: $vgpr3
                                        ; implicit-def: $vgpr0_vgpr1
	s_and_saveexec_b32 s2, s0
	s_cbranch_execz .LBB593_19
; %bb.11:
	v_lshl_or_b32 v2, s14, 7, v19
	v_mov_b32_e32 v3, 0
	s_ashr_i32 s23, s8, 31
	s_mov_b32 s22, s8
	s_mov_b32 s3, 0
                                        ; implicit-def: $vgpr0_vgpr1
	s_delay_alu instid0(VALU_DEP_1)
	v_cmp_gt_i64_e32 vcc_lo, s[22:23], v[2:3]
                                        ; implicit-def: $vgpr3
	s_and_saveexec_b32 s0, vcc_lo
	s_cbranch_execz .LBB593_22
; %bb.12:
	v_mad_u64_u32 v[0:1], null, v2, s6, 0
	v_cmp_eq_f32_e64 s3, s26, 0
	s_delay_alu instid0(VALU_DEP_1) | instskip(NEXT) | instid1(VALU_DEP_2)
	s_and_b32 vcc_lo, exec_lo, s3
	v_mad_u64_u32 v[3:4], null, v2, s7, v[1:2]
	s_delay_alu instid0(VALU_DEP_1)
	v_mov_b32_e32 v1, v3
	s_cbranch_vccnz .LBB593_20
; %bb.13:
	s_delay_alu instid0(VALU_DEP_1) | instskip(NEXT) | instid1(VALU_DEP_1)
	v_lshlrev_b64 v[2:3], 1, v[0:1]
	v_add_co_u32 v2, vcc_lo, s5, v2
	s_delay_alu instid0(VALU_DEP_2) | instskip(SKIP_3) | instid1(VALU_DEP_1)
	v_add_co_ci_u32_e32 v3, vcc_lo, s11, v3, vcc_lo
	global_load_u16 v2, v[2:3], off
	s_waitcnt vmcnt(0)
	v_lshlrev_b32_e32 v2, 16, v2
	v_mul_f32_e32 v2, s26, v2
	s_delay_alu instid0(VALU_DEP_1) | instskip(NEXT) | instid1(VALU_DEP_1)
	v_and_b32_e32 v3, 0x7f800000, v2
	v_cmp_ne_u32_e32 vcc_lo, 0x7f800000, v3
                                        ; implicit-def: $vgpr3
	s_and_saveexec_b32 s3, vcc_lo
	s_delay_alu instid0(SALU_CYCLE_1)
	s_xor_b32 s3, exec_lo, s3
; %bb.14:
	v_bfe_u32 v3, v2, 16, 1
	s_delay_alu instid0(VALU_DEP_1)
	v_add3_u32 v3, v2, v3, 0x7fff
                                        ; implicit-def: $vgpr2
; %bb.15:
	s_and_not1_saveexec_b32 s3, s3
; %bb.16:
	v_and_b32_e32 v3, 0xffff, v2
	v_or_b32_e32 v4, 0x10000, v2
	s_delay_alu instid0(VALU_DEP_2) | instskip(NEXT) | instid1(VALU_DEP_2)
	v_cmp_eq_u32_e32 vcc_lo, 0, v3
	v_cndmask_b32_e32 v3, v4, v2, vcc_lo
; %bb.17:
	s_or_b32 exec_lo, exec_lo, s3
	s_delay_alu instid0(VALU_DEP_1)
	v_lshrrev_b32_e32 v3, 16, v3
	s_branch .LBB593_21
.LBB593_18:
	s_mov_b32 s27, 0
                                        ; implicit-def: $vgpr3
                                        ; implicit-def: $vgpr0_vgpr1
	s_cbranch_execnz .LBB593_23
	s_branch .LBB593_75
.LBB593_19:
	s_or_b32 exec_lo, exec_lo, s2
	s_delay_alu instid0(SALU_CYCLE_1)
	s_and_b32 vcc_lo, exec_lo, s1
	s_cbranch_vccnz .LBB593_23
	s_branch .LBB593_75
.LBB593_20:
	v_mov_b32_e32 v3, 0
.LBB593_21:
	s_mov_b32 s3, exec_lo
.LBB593_22:
	s_or_b32 exec_lo, exec_lo, s0
	s_delay_alu instid0(SALU_CYCLE_1) | instskip(SKIP_1) | instid1(SALU_CYCLE_1)
	s_and_b32 s27, s3, exec_lo
	s_or_b32 exec_lo, exec_lo, s2
	s_and_b32 vcc_lo, exec_lo, s1
	s_cbranch_vccz .LBB593_75
.LBB593_23:
	s_ashr_i32 s0, s9, 31
	s_lshl_b32 s28, s14, 7
	s_lshr_b32 s0, s0, 26
	v_dual_mov_b32 v23, 0 :: v_dual_lshlrev_b32 v26, 2, v21
	v_dual_mov_b32 v22, 0 :: v_dual_mov_b32 v25, 0
	v_add_nc_u32_e32 v0, s28, v20
	v_mov_b32_e32 v24, 0
	s_add_i32 s29, s9, s0
	s_mov_b32 s30, exec_lo
	s_and_not1_b32 s29, s29, 63
	s_delay_alu instid0(SALU_CYCLE_1)
	v_cmpx_gt_i32_e64 s29, v26
	s_cbranch_execz .LBB593_35
; %bb.24:
	v_lshlrev_b32_e32 v29, 2, v21
	v_mad_u64_u32 v[5:6], null, s18, v21, 0
	v_add_nc_u32_e32 v2, 32, v0
	v_mad_u64_u32 v[7:8], null, s12, v21, 0
	s_delay_alu instid0(VALU_DEP_4) | instskip(SKIP_1) | instid1(VALU_DEP_4)
	v_or_b32_e32 v25, 3, v29
	v_add_nc_u32_e32 v9, 64, v0
	v_cmp_gt_i32_e64 s0, s8, v2
	v_ashrrev_i32_e32 v1, 31, v0
	v_cmp_gt_i32_e32 vcc_lo, s8, v0
	v_mad_u64_u32 v[3:4], null, s12, v25, 0
	v_mad_u64_u32 v[16:17], null, s18, v25, 0
	v_add_nc_u32_e32 v10, 0x60, v0
	s_lshl_b64 s[14:15], s[12:13], 7
	s_lshl_b64 s[22:23], s[18:19], 7
	s_mov_b32 s31, 0
	s_delay_alu instid0(VALU_DEP_3)
	v_mov_b32_e32 v2, v4
	v_mov_b32_e32 v4, v6
	v_cmp_gt_i32_e64 s1, s8, v9
	v_cmp_gt_i32_e64 s2, s8, v10
	v_mov_b32_e32 v6, v8
	v_mad_u64_u32 v[9:10], null, s13, v25, v[2:3]
	v_or_b32_e32 v31, 2, v29
	v_mad_u64_u32 v[10:11], null, s19, v21, v[4:5]
	s_delay_alu instid0(VALU_DEP_4) | instskip(SKIP_1) | instid1(VALU_DEP_4)
	v_mad_u64_u32 v[11:12], null, s13, v21, v[6:7]
	v_mad_u64_u32 v[12:13], null, s18, v29, s[18:19]
	;; [unrolled: 1-line block ×3, first 2 shown]
	v_mov_b32_e32 v4, v9
	v_mov_b32_e32 v6, v10
	v_lshlrev_b64 v[1:2], 1, v[0:1]
	s_mov_b64 s[24:25], s[20:21]
	s_delay_alu instid0(VALU_DEP_3) | instskip(NEXT) | instid1(VALU_DEP_3)
	v_lshlrev_b64 v[9:10], 1, v[3:4]
	v_lshlrev_b64 v[3:4], 3, v[5:6]
	v_dual_mov_b32 v5, v15 :: v_dual_mov_b32 v6, v13
	s_delay_alu instid0(VALU_DEP_3) | instskip(NEXT) | instid1(VALU_DEP_2)
	v_add_co_u32 v27, s3, s16, v9
	v_mad_u64_u32 v[22:23], null, s13, v31, v[5:6]
	v_mov_b32_e32 v5, v17
	v_add_co_ci_u32_e64 v28, s3, s17, v10, s3
	v_mad_u64_u32 v[9:10], null, s12, v29, s[12:13]
	s_delay_alu instid0(VALU_DEP_3) | instskip(SKIP_2) | instid1(VALU_DEP_4)
	v_mad_u64_u32 v[23:24], null, s19, v25, v[5:6]
	v_mad_u64_u32 v[24:25], null, s18, v31, 0
	v_dual_mov_b32 v8, v11 :: v_dual_mov_b32 v15, v22
	v_mov_b32_e32 v5, v10
	s_delay_alu instid0(VALU_DEP_2) | instskip(NEXT) | instid1(VALU_DEP_2)
	v_lshlrev_b64 v[14:15], 1, v[14:15]
	v_mad_u64_u32 v[10:11], null, s13, v29, v[5:6]
	v_mov_b32_e32 v5, v25
	v_lshlrev_b64 v[7:8], 3, v[7:8]
	s_delay_alu instid0(VALU_DEP_3) | instskip(NEXT) | instid1(VALU_DEP_2)
	v_lshlrev_b64 v[9:10], 1, v[9:10]
	v_mad_u64_u32 v[17:18], null, s19, v29, v[6:7]
	v_add_co_u32 v29, s3, s16, v7
	s_delay_alu instid0(VALU_DEP_1) | instskip(NEXT) | instid1(VALU_DEP_3)
	v_add_co_ci_u32_e64 v30, s3, s17, v8, s3
	v_mov_b32_e32 v13, v17
	v_mov_b32_e32 v17, v23
	v_mad_u64_u32 v[22:23], null, s19, v31, v[5:6]
	v_add_co_u32 v31, s3, s16, v14
	s_delay_alu instid0(VALU_DEP_1) | instskip(SKIP_1) | instid1(VALU_DEP_4)
	v_add_co_ci_u32_e64 v32, s3, s17, v15, s3
	v_add_co_u32 v33, s3, s16, v9
	v_dual_mov_b32 v25, v22 :: v_dual_mov_b32 v22, 0
	v_lshlrev_b64 v[5:6], 1, v[12:13]
	v_lshlrev_b64 v[7:8], 1, v[16:17]
	v_add_co_ci_u32_e64 v34, s3, s17, v10, s3
	s_delay_alu instid0(VALU_DEP_4)
	v_lshlrev_b64 v[9:10], 1, v[24:25]
	v_dual_mov_b32 v23, 0 :: v_dual_mov_b32 v24, 0
	v_mov_b32_e32 v25, 0
	s_branch .LBB593_29
.LBB593_25:                             ;   in Loop: Header=BB593_29 Depth=1
	s_or_b32 exec_lo, exec_lo, s34
	s_waitcnt vmcnt(2) lgkmcnt(2)
	v_lshlrev_b32_e32 v12, 16, v49
	v_lshlrev_b32_e32 v11, 16, v50
	s_waitcnt vmcnt(1) lgkmcnt(1)
	s_delay_alu instid0(VALU_DEP_1) | instskip(NEXT) | instid1(VALU_DEP_1)
	v_dual_fmac_f32 v24, v42, v11 :: v_dual_lshlrev_b32 v11, 16, v48
	v_fmac_f32_e32 v24, v40, v12
	s_delay_alu instid0(VALU_DEP_1) | instskip(SKIP_2) | instid1(VALU_DEP_1)
	v_fmac_f32_e32 v24, v38, v11
	s_waitcnt vmcnt(0) lgkmcnt(0)
	v_lshlrev_b32_e32 v11, 16, v47
	v_fmac_f32_e32 v24, v37, v11
.LBB593_26:                             ;   in Loop: Header=BB593_29 Depth=1
	s_or_b32 exec_lo, exec_lo, s33
	s_waitcnt vmcnt(3) lgkmcnt(3)
	v_lshlrev_b32_e32 v11, 16, v46
	s_waitcnt vmcnt(2) lgkmcnt(2)
	s_delay_alu instid0(VALU_DEP_1) | instskip(SKIP_2) | instid1(VALU_DEP_2)
	v_dual_fmac_f32 v23, v42, v11 :: v_dual_lshlrev_b32 v12, 16, v45
	s_waitcnt vmcnt(1) lgkmcnt(1)
	v_lshlrev_b32_e32 v11, 16, v44
	v_fmac_f32_e32 v23, v40, v12
	s_delay_alu instid0(VALU_DEP_1) | instskip(SKIP_2) | instid1(VALU_DEP_1)
	v_fmac_f32_e32 v23, v38, v11
	s_waitcnt vmcnt(0) lgkmcnt(0)
	v_lshlrev_b32_e32 v11, 16, v43
	v_fmac_f32_e32 v23, v37, v11
.LBB593_27:                             ;   in Loop: Header=BB593_29 Depth=1
	s_or_b32 exec_lo, exec_lo, s3
	s_waitcnt vmcnt(2) lgkmcnt(2)
	v_lshlrev_b32_e32 v12, 16, v39
	v_lshlrev_b32_e32 v11, 16, v41
	s_waitcnt vmcnt(1) lgkmcnt(1)
	s_delay_alu instid0(VALU_DEP_1) | instskip(NEXT) | instid1(VALU_DEP_1)
	v_dual_fmac_f32 v22, v42, v11 :: v_dual_lshlrev_b32 v11, 16, v36
	v_fmac_f32_e32 v22, v40, v12
	s_delay_alu instid0(VALU_DEP_1) | instskip(SKIP_2) | instid1(VALU_DEP_1)
	v_fmac_f32_e32 v22, v38, v11
	s_waitcnt vmcnt(0) lgkmcnt(0)
	v_lshlrev_b32_e32 v11, 16, v35
	v_fmac_f32_e32 v22, v37, v11
.LBB593_28:                             ;   in Loop: Header=BB593_29 Depth=1
	s_or_b32 exec_lo, exec_lo, s4
	v_add_co_u32 v27, s3, v27, s14
	s_delay_alu instid0(VALU_DEP_1) | instskip(SKIP_4) | instid1(VALU_DEP_1)
	v_add_co_ci_u32_e64 v28, s3, s15, v28, s3
	v_add_co_u32 v29, s3, v29, s14
	v_add_nc_u32_e32 v26, 64, v26
	v_add_co_ci_u32_e64 v30, s3, s15, v30, s3
	v_add_co_u32 v31, s3, v31, s14
	v_add_co_ci_u32_e64 v32, s3, s15, v32, s3
	s_delay_alu instid0(VALU_DEP_4) | instskip(SKIP_1) | instid1(VALU_DEP_1)
	v_cmp_le_i32_e64 s3, s29, v26
	v_add_co_u32 v33, s4, v33, s14
	v_add_co_ci_u32_e64 v34, s4, s15, v34, s4
	s_add_u32 s24, s24, s22
	s_addc_u32 s25, s25, s23
	s_or_b32 s31, s3, s31
	s_delay_alu instid0(SALU_CYCLE_1)
	s_and_not1_b32 exec_lo, exec_lo, s31
	s_cbranch_execz .LBB593_34
.LBB593_29:                             ; =>This Inner Loop Header: Depth=1
	s_and_saveexec_b32 s4, vcc_lo
	s_cbranch_execz .LBB593_28
; %bb.30:                               ;   in Loop: Header=BB593_29 Depth=1
	v_add_co_u32 v11, s3, s24, v3
	s_delay_alu instid0(VALU_DEP_1) | instskip(SKIP_1) | instid1(VALU_DEP_1)
	v_add_co_ci_u32_e64 v12, s3, s25, v4, s3
	v_add_co_u32 v13, s3, s24, v5
	v_add_co_ci_u32_e64 v14, s3, s25, v6, s3
	v_add_co_u32 v15, s3, s24, v9
	s_delay_alu instid0(VALU_DEP_1) | instskip(SKIP_1) | instid1(VALU_DEP_1)
	v_add_co_ci_u32_e64 v16, s3, s25, v10, s3
	v_add_co_u32 v17, s3, s24, v7
	v_add_co_ci_u32_e64 v18, s3, s25, v8, s3
	s_clause 0x3
	flat_load_u16 v37, v[11:12]
	flat_load_u16 v38, v[13:14]
	;; [unrolled: 1-line block ×4, first 2 shown]
	v_add_co_u32 v11, s3, v29, v1
	s_delay_alu instid0(VALU_DEP_1) | instskip(SKIP_1) | instid1(VALU_DEP_1)
	v_add_co_ci_u32_e64 v12, s3, v30, v2, s3
	v_add_co_u32 v13, s3, v33, v1
	v_add_co_ci_u32_e64 v14, s3, v34, v2, s3
	v_add_co_u32 v15, s3, v31, v1
	s_delay_alu instid0(VALU_DEP_1) | instskip(SKIP_1) | instid1(VALU_DEP_1)
	v_add_co_ci_u32_e64 v16, s3, v32, v2, s3
	v_add_co_u32 v17, s3, v27, v1
	v_add_co_ci_u32_e64 v18, s3, v28, v2, s3
	flat_load_u16 v41, v[11:12]
	flat_load_u16 v39, v[13:14]
	;; [unrolled: 1-line block ×4, first 2 shown]
	s_waitcnt vmcnt(7) lgkmcnt(7)
	v_lshlrev_b32_e32 v42, 16, v37
	s_waitcnt vmcnt(6) lgkmcnt(6)
	v_lshlrev_b32_e32 v40, 16, v38
	;; [unrolled: 2-line block ×4, first 2 shown]
	s_and_saveexec_b32 s3, s0
	s_cbranch_execz .LBB593_27
; %bb.31:                               ;   in Loop: Header=BB593_29 Depth=1
	flat_load_u16 v46, v[11:12] offset:64
	flat_load_u16 v45, v[13:14] offset:64
	flat_load_u16 v44, v[15:16] offset:64
	flat_load_u16 v43, v[17:18] offset:64
	s_and_saveexec_b32 s33, s1
	s_cbranch_execz .LBB593_26
; %bb.32:                               ;   in Loop: Header=BB593_29 Depth=1
	flat_load_u16 v50, v[11:12] offset:128
	flat_load_u16 v49, v[13:14] offset:128
	flat_load_u16 v48, v[15:16] offset:128
	flat_load_u16 v47, v[17:18] offset:128
	;; [unrolled: 7-line block ×3, first 2 shown]
	s_waitcnt vmcnt(3) lgkmcnt(3)
	v_lshlrev_b32_e32 v11, 16, v11
	s_waitcnt vmcnt(2) lgkmcnt(2)
	s_delay_alu instid0(VALU_DEP_1) | instskip(SKIP_2) | instid1(VALU_DEP_2)
	v_dual_fmac_f32 v25, v42, v11 :: v_dual_lshlrev_b32 v12, 16, v12
	s_waitcnt vmcnt(1) lgkmcnt(1)
	v_lshlrev_b32_e32 v11, 16, v13
	v_fmac_f32_e32 v25, v40, v12
	s_delay_alu instid0(VALU_DEP_1) | instskip(SKIP_2) | instid1(VALU_DEP_1)
	v_fmac_f32_e32 v25, v38, v11
	s_waitcnt vmcnt(0) lgkmcnt(0)
	v_lshlrev_b32_e32 v11, 16, v14
	v_fmac_f32_e32 v25, v37, v11
	s_branch .LBB593_25
.LBB593_34:
	s_or_b32 exec_lo, exec_lo, s31
.LBB593_35:
	s_delay_alu instid0(SALU_CYCLE_1) | instskip(SKIP_1) | instid1(SALU_CYCLE_1)
	s_or_b32 exec_lo, exec_lo, s30
	s_sub_i32 s0, s9, s29
	s_cmp_lt_i32 s0, 1
	s_cbranch_scc1 .LBB593_53
; %bb.36:
	v_cmp_gt_i32_e32 vcc_lo, s9, v26
	v_dual_mov_b32 v9, 0 :: v_dual_mov_b32 v10, 0
	v_or_b32_e32 v2, 1, v26
	v_dual_mov_b32 v11, 0 :: v_dual_mov_b32 v12, 0
	s_and_saveexec_b32 s1, vcc_lo
	s_cbranch_execz .LBB593_44
; %bb.37:
	v_mad_u64_u32 v[3:4], null, v26, s18, 0
	v_mov_b32_e32 v11, 0
	v_mov_b32_e32 v9, 0
	s_mov_b32 s2, exec_lo
	s_delay_alu instid0(VALU_DEP_3) | instskip(NEXT) | instid1(VALU_DEP_1)
	v_dual_mov_b32 v10, 0 :: v_dual_mov_b32 v1, v4
	v_mad_u64_u32 v[4:5], null, v26, s19, v[1:2]
	s_delay_alu instid0(VALU_DEP_1) | instskip(NEXT) | instid1(VALU_DEP_1)
	v_lshlrev_b64 v[3:4], 1, v[3:4]
	v_add_co_u32 v3, s0, s20, v3
	s_delay_alu instid0(VALU_DEP_1)
	v_add_co_ci_u32_e64 v4, s0, s21, v4, s0
	flat_load_u16 v1, v[3:4]
	v_cmpx_gt_i32_e64 s9, v2
	s_cbranch_execz .LBB593_43
; %bb.38:
	v_mad_u64_u32 v[3:4], null, v2, s18, 0
	v_mov_b32_e32 v10, 0
	s_mov_b32 s3, exec_lo
	v_mov_b32_e32 v9, 0
	s_delay_alu instid0(VALU_DEP_3) | instskip(NEXT) | instid1(VALU_DEP_1)
	v_mad_u64_u32 v[5:6], null, v2, s19, v[4:5]
	v_mov_b32_e32 v4, v5
	s_delay_alu instid0(VALU_DEP_1) | instskip(NEXT) | instid1(VALU_DEP_1)
	v_lshlrev_b64 v[3:4], 1, v[3:4]
	v_add_co_u32 v3, s0, s20, v3
	s_delay_alu instid0(VALU_DEP_1) | instskip(SKIP_2) | instid1(VALU_DEP_1)
	v_add_co_ci_u32_e64 v4, s0, s21, v4, s0
	flat_load_u16 v3, v[3:4]
	v_or_b32_e32 v4, 2, v26
	v_cmpx_gt_i32_e64 s9, v4
	s_cbranch_execz .LBB593_42
; %bb.39:
	v_mad_u64_u32 v[5:6], null, v4, s18, 0
	s_mov_b32 s4, exec_lo
	v_mov_b32_e32 v9, 0
	s_delay_alu instid0(VALU_DEP_2) | instskip(NEXT) | instid1(VALU_DEP_1)
	v_mad_u64_u32 v[7:8], null, v4, s19, v[6:7]
	v_mov_b32_e32 v6, v7
	s_delay_alu instid0(VALU_DEP_1) | instskip(NEXT) | instid1(VALU_DEP_1)
	v_lshlrev_b64 v[4:5], 1, v[5:6]
	v_add_co_u32 v4, s0, s20, v4
	s_delay_alu instid0(VALU_DEP_1) | instskip(SKIP_2) | instid1(VALU_DEP_1)
	v_add_co_ci_u32_e64 v5, s0, s21, v5, s0
	flat_load_u16 v4, v[4:5]
	v_or_b32_e32 v5, 3, v26
	v_cmpx_gt_i32_e64 s9, v5
	s_cbranch_execz .LBB593_41
; %bb.40:
	v_mad_u64_u32 v[6:7], null, v5, s18, 0
	s_delay_alu instid0(VALU_DEP_1) | instskip(NEXT) | instid1(VALU_DEP_1)
	v_mad_u64_u32 v[8:9], null, v5, s19, v[7:8]
	v_mov_b32_e32 v7, v8
	s_delay_alu instid0(VALU_DEP_1) | instskip(NEXT) | instid1(VALU_DEP_1)
	v_lshlrev_b64 v[5:6], 1, v[6:7]
	v_add_co_u32 v5, s0, s20, v5
	s_delay_alu instid0(VALU_DEP_1)
	v_add_co_ci_u32_e64 v6, s0, s21, v6, s0
	flat_load_u16 v5, v[5:6]
	s_waitcnt vmcnt(0) lgkmcnt(0)
	v_lshlrev_b32_e32 v9, 16, v5
.LBB593_41:
	s_or_b32 exec_lo, exec_lo, s4
	s_waitcnt vmcnt(0) lgkmcnt(0)
	v_lshlrev_b32_e32 v10, 16, v4
.LBB593_42:
	s_or_b32 exec_lo, exec_lo, s3
	s_waitcnt vmcnt(0) lgkmcnt(0)
	v_lshlrev_b32_e32 v11, 16, v3
.LBB593_43:
	s_or_b32 exec_lo, exec_lo, s2
	s_waitcnt vmcnt(0) lgkmcnt(0)
	v_lshlrev_b32_e32 v12, 16, v1
.LBB593_44:
	s_or_b32 exec_lo, exec_lo, s1
	s_delay_alu instid0(SALU_CYCLE_1)
	s_mov_b32 s1, exec_lo
	v_cmpx_gt_i32_e64 s8, v0
	s_cbranch_execz .LBB593_52
; %bb.45:
	v_mad_u64_u32 v[3:4], null, v26, s12, 0
	v_mad_u64_u32 v[5:6], null, v2, s12, 0
	v_ashrrev_i32_e32 v1, 31, v0
	v_or_b32_e32 v28, 2, v26
	v_or_b32_e32 v29, 3, v26
	v_cndmask_b32_e32 v3, 0, v3, vcc_lo
	s_delay_alu instid0(VALU_DEP_4)
	v_lshlrev_b64 v[13:14], 1, v[0:1]
	v_mad_u64_u32 v[7:8], null, v26, s13, v[4:5]
	v_mov_b32_e32 v1, v6
	v_mad_u64_u32 v[15:16], null, v28, s12, 0
	v_mad_u64_u32 v[17:18], null, v29, s12, 0
	v_cmp_gt_i32_e64 s0, s9, v28
	v_cndmask_b32_e32 v4, 0, v7, vcc_lo
	v_mad_u64_u32 v[6:7], null, v2, s13, v[1:2]
	v_cmp_gt_i32_e32 vcc_lo, s9, v2
	v_mov_b32_e32 v1, v16
	v_dual_mov_b32 v7, v18 :: v_dual_cndmask_b32 v2, 0, v5
	v_lshlrev_b64 v[4:5], 1, v[3:4]
	v_cndmask_b32_e32 v3, 0, v6, vcc_lo
	s_delay_alu instid0(VALU_DEP_3) | instskip(NEXT) | instid1(VALU_DEP_3)
	v_mad_u64_u32 v[26:27], null, v28, s13, v[1:2]
	v_add_co_u32 v1, vcc_lo, s16, v4
	s_delay_alu instid0(VALU_DEP_4) | instskip(NEXT) | instid1(VALU_DEP_4)
	v_add_co_ci_u32_e32 v5, vcc_lo, s17, v5, vcc_lo
	v_lshlrev_b64 v[3:4], 1, v[2:3]
	s_delay_alu instid0(VALU_DEP_3) | instskip(NEXT) | instid1(VALU_DEP_3)
	v_add_co_u32 v1, vcc_lo, v1, v13
	v_add_co_ci_u32_e32 v2, vcc_lo, v5, v14, vcc_lo
	v_cndmask_b32_e64 v5, 0, v15, s0
	s_delay_alu instid0(VALU_DEP_4) | instskip(SKIP_3) | instid1(VALU_DEP_4)
	v_add_co_u32 v3, vcc_lo, s16, v3
	v_add_co_ci_u32_e32 v4, vcc_lo, s17, v4, vcc_lo
	v_mad_u64_u32 v[15:16], null, v29, s13, v[7:8]
	v_cndmask_b32_e64 v6, 0, v26, s0
	v_add_co_u32 v3, s0, v3, v13
	v_cmp_gt_i32_e32 vcc_lo, s9, v29
	v_add_co_ci_u32_e64 v4, s0, v4, v14, s0
	s_delay_alu instid0(VALU_DEP_4)
	v_lshlrev_b64 v[5:6], 1, v[5:6]
	s_mov_b32 s0, exec_lo
	v_cndmask_b32_e32 v8, 0, v15, vcc_lo
	s_clause 0x1
	flat_load_u16 v15, v[1:2]
	flat_load_u16 v16, v[3:4]
	s_waitcnt vmcnt(1) lgkmcnt(1)
	v_lshlrev_b32_e32 v15, 16, v15
	s_waitcnt vmcnt(0) lgkmcnt(0)
	v_lshlrev_b32_e32 v16, 16, v16
	s_delay_alu instid0(VALU_DEP_2) | instskip(SKIP_2) | instid1(VALU_DEP_3)
	v_dual_fmac_f32 v22, v12, v15 :: v_dual_cndmask_b32 v7, 0, v17
	v_add_co_u32 v5, vcc_lo, s16, v5
	v_add_co_ci_u32_e32 v6, vcc_lo, s17, v6, vcc_lo
	v_fmac_f32_e32 v22, v11, v16
	s_delay_alu instid0(VALU_DEP_4) | instskip(SKIP_1) | instid1(VALU_DEP_2)
	v_lshlrev_b64 v[7:8], 1, v[7:8]
	v_add_nc_u32_e32 v16, 32, v0
	v_add_co_u32 v17, vcc_lo, s16, v7
	s_delay_alu instid0(VALU_DEP_3) | instskip(SKIP_2) | instid1(VALU_DEP_4)
	v_add_co_ci_u32_e32 v18, vcc_lo, s17, v8, vcc_lo
	v_add_co_u32 v7, vcc_lo, v5, v13
	v_add_co_ci_u32_e32 v8, vcc_lo, v6, v14, vcc_lo
	v_add_co_u32 v5, vcc_lo, v17, v13
	s_delay_alu instid0(VALU_DEP_4)
	v_add_co_ci_u32_e32 v6, vcc_lo, v18, v14, vcc_lo
	s_clause 0x1
	flat_load_u16 v13, v[7:8]
	flat_load_u16 v14, v[5:6]
	s_waitcnt vmcnt(1) lgkmcnt(1)
	v_lshlrev_b32_e32 v15, 16, v13
	s_waitcnt vmcnt(0) lgkmcnt(0)
	s_delay_alu instid0(VALU_DEP_1)
	v_dual_fmac_f32 v22, v10, v15 :: v_dual_lshlrev_b32 v13, 16, v14
	v_cmpx_gt_i32_e64 s8, v16
	s_cbranch_execz .LBB593_51
; %bb.46:
	s_clause 0x3
	flat_load_u16 v14, v[1:2] offset:64
	flat_load_u16 v15, v[3:4] offset:64
	;; [unrolled: 1-line block ×4, first 2 shown]
	s_mov_b32 s2, exec_lo
	s_waitcnt vmcnt(2) lgkmcnt(2)
	v_lshlrev_b32_e32 v15, 16, v15
	v_lshlrev_b32_e32 v14, 16, v14
	s_waitcnt vmcnt(1) lgkmcnt(1)
	s_delay_alu instid0(VALU_DEP_1) | instskip(NEXT) | instid1(VALU_DEP_1)
	v_dual_fmac_f32 v23, v12, v14 :: v_dual_lshlrev_b32 v16, 16, v16
	v_fmac_f32_e32 v23, v11, v15
	v_add_nc_u32_e32 v15, 64, v0
	s_waitcnt vmcnt(0) lgkmcnt(0)
	s_delay_alu instid0(VALU_DEP_2) | instskip(NEXT) | instid1(VALU_DEP_2)
	v_dual_fmac_f32 v23, v10, v16 :: v_dual_lshlrev_b32 v14, 16, v17
	v_cmpx_gt_i32_e64 s8, v15
	s_cbranch_execz .LBB593_50
; %bb.47:
	s_clause 0x3
	flat_load_u16 v15, v[1:2] offset:128
	flat_load_u16 v16, v[3:4] offset:128
	;; [unrolled: 1-line block ×4, first 2 shown]
	s_mov_b32 s3, exec_lo
	s_waitcnt vmcnt(2) lgkmcnt(2)
	v_lshlrev_b32_e32 v16, 16, v16
	v_lshlrev_b32_e32 v15, 16, v15
	s_waitcnt vmcnt(1) lgkmcnt(1)
	s_delay_alu instid0(VALU_DEP_1) | instskip(NEXT) | instid1(VALU_DEP_1)
	v_dual_fmac_f32 v24, v12, v15 :: v_dual_lshlrev_b32 v15, 16, v17
	v_fmac_f32_e32 v24, v11, v16
	v_add_nc_u32_e32 v16, 0x60, v0
	s_waitcnt vmcnt(0) lgkmcnt(0)
	v_lshlrev_b32_e32 v0, 16, v18
	s_delay_alu instid0(VALU_DEP_3) | instskip(NEXT) | instid1(VALU_DEP_3)
	v_fmac_f32_e32 v24, v10, v15
	v_cmpx_gt_i32_e64 s8, v16
	s_cbranch_execz .LBB593_49
; %bb.48:
	s_clause 0x3
	flat_load_u16 v1, v[1:2] offset:192
	flat_load_u16 v2, v[3:4] offset:192
	;; [unrolled: 1-line block ×4, first 2 shown]
	s_waitcnt vmcnt(3) lgkmcnt(3)
	v_lshlrev_b32_e32 v1, 16, v1
	s_waitcnt vmcnt(2) lgkmcnt(2)
	s_delay_alu instid0(VALU_DEP_1) | instskip(SKIP_2) | instid1(VALU_DEP_2)
	v_dual_fmac_f32 v25, v12, v1 :: v_dual_lshlrev_b32 v2, 16, v2
	s_waitcnt vmcnt(1) lgkmcnt(1)
	v_lshlrev_b32_e32 v1, 16, v3
	v_fmac_f32_e32 v25, v11, v2
	s_delay_alu instid0(VALU_DEP_1) | instskip(SKIP_2) | instid1(VALU_DEP_1)
	v_fmac_f32_e32 v25, v10, v1
	s_waitcnt vmcnt(0) lgkmcnt(0)
	v_lshlrev_b32_e32 v1, 16, v4
	v_fmac_f32_e32 v25, v9, v1
.LBB593_49:
	s_or_b32 exec_lo, exec_lo, s3
	s_delay_alu instid0(VALU_DEP_2)
	v_fmac_f32_e32 v24, v9, v0
.LBB593_50:
	s_or_b32 exec_lo, exec_lo, s2
	s_delay_alu instid0(VALU_DEP_2)
	v_fmac_f32_e32 v23, v9, v14
.LBB593_51:
	s_or_b32 exec_lo, exec_lo, s0
	s_delay_alu instid0(VALU_DEP_2)
	v_fmac_f32_e32 v22, v9, v13
.LBB593_52:
	s_or_b32 exec_lo, exec_lo, s1
.LBB593_53:
	v_lshlrev_b32_e32 v0, 7, v21
	s_mov_b32 s0, exec_lo
                                        ; implicit-def: $vgpr3
	s_delay_alu instid0(VALU_DEP_1)
	v_add_lshl_u32 v0, v0, v20, 2
	ds_store_2addr_b32 v0, v22, v23 offset1:32
	ds_store_2addr_b32 v0, v24, v25 offset0:64 offset1:96
	s_waitcnt lgkmcnt(0)
	s_barrier
	buffer_gl0_inv
                                        ; implicit-def: $vgpr0_vgpr1
	v_cmpx_gt_u32_e32 0x80, v19
	s_cbranch_execz .LBB593_74
; %bb.54:
	v_lshlrev_b32_e32 v6, 2, v19
	s_mov_b32 s2, s27
	s_mov_b32 s1, exec_lo
	ds_load_2addr_stride64_b32 v[0:1], v6 offset1:2
	ds_load_2addr_stride64_b32 v[2:3], v6 offset0:4 offset1:6
	ds_load_2addr_stride64_b32 v[4:5], v6 offset0:8 offset1:10
	s_waitcnt lgkmcnt(2)
	v_add_f32_e32 v7, v0, v1
	ds_load_2addr_stride64_b32 v[0:1], v6 offset0:12 offset1:14
	s_waitcnt lgkmcnt(2)
	v_add_f32_e32 v2, v2, v7
	s_delay_alu instid0(VALU_DEP_1) | instskip(SKIP_3) | instid1(VALU_DEP_1)
	v_add_f32_e32 v7, v3, v2
	ds_load_2addr_stride64_b32 v[2:3], v6 offset0:16 offset1:18
	s_waitcnt lgkmcnt(2)
	v_add_f32_e32 v4, v4, v7
	v_add_f32_e32 v7, v5, v4
	ds_load_2addr_stride64_b32 v[4:5], v6 offset0:20 offset1:22
	s_waitcnt lgkmcnt(2)
	v_add_f32_e32 v0, v0, v7
	s_delay_alu instid0(VALU_DEP_1) | instskip(SKIP_1) | instid1(VALU_DEP_1)
	v_add_f32_e32 v0, v1, v0
	s_waitcnt lgkmcnt(1)
	v_add_f32_e32 v2, v2, v0
	ds_load_2addr_stride64_b32 v[0:1], v6 offset0:24 offset1:26
	v_add_f32_e32 v2, v3, v2
	s_waitcnt lgkmcnt(1)
	s_delay_alu instid0(VALU_DEP_1) | instskip(SKIP_3) | instid1(VALU_DEP_1)
	v_add_f32_e32 v4, v4, v2
	ds_load_2addr_stride64_b32 v[2:3], v6 offset0:28 offset1:30
	v_add_f32_e32 v4, v5, v4
	s_waitcnt lgkmcnt(1)
	v_add_f32_e32 v0, v0, v4
	s_delay_alu instid0(VALU_DEP_1) | instskip(SKIP_1) | instid1(VALU_DEP_1)
	v_add_f32_e32 v0, v1, v0
	s_waitcnt lgkmcnt(0)
	v_add_f32_e32 v0, v2, v0
	v_or_b32_e32 v2, s28, v19
	s_delay_alu instid0(VALU_DEP_2)
	v_add_f32_e32 v4, v3, v0
                                        ; implicit-def: $vgpr3
                                        ; implicit-def: $vgpr0_vgpr1
	ds_store_b32 v6, v4
	v_cmpx_gt_i32_e64 s8, v2
	s_cbranch_execz .LBB593_73
; %bb.55:
	v_cmp_eq_f32_e64 s2, s26, 0
	v_mul_f32_e32 v0, s10, v4
	s_delay_alu instid0(VALU_DEP_2)
	s_and_b32 vcc_lo, exec_lo, s2
	s_cbranch_vccz .LBB593_61
; %bb.56:
	s_delay_alu instid0(VALU_DEP_1) | instskip(SKIP_1) | instid1(VALU_DEP_1)
	v_and_b32_e32 v1, 0x7f800000, v0
	s_mov_b32 s2, exec_lo
                                        ; implicit-def: $vgpr3
	v_cmpx_ne_u32_e32 0x7f800000, v1
	s_xor_b32 s2, exec_lo, s2
; %bb.57:
	v_bfe_u32 v1, v0, 16, 1
	s_delay_alu instid0(VALU_DEP_1)
	v_add3_u32 v3, v0, v1, 0x7fff
; %bb.58:
	s_and_not1_saveexec_b32 s2, s2
; %bb.59:
	v_and_b32_e32 v1, 0xffff, v0
	v_or_b32_e32 v3, 0x10000, v0
	s_delay_alu instid0(VALU_DEP_2) | instskip(NEXT) | instid1(VALU_DEP_2)
	v_cmp_eq_u32_e32 vcc_lo, 0, v1
	v_cndmask_b32_e32 v3, v3, v0, vcc_lo
; %bb.60:
	s_or_b32 exec_lo, exec_lo, s2
	s_mov_b32 s2, 0
	s_branch .LBB593_62
.LBB593_61:
	s_mov_b32 s2, -1
                                        ; implicit-def: $vgpr3
.LBB593_62:
	v_ashrrev_i32_e32 v1, 31, v2
	v_mul_lo_u32 v4, v2, s7
	s_and_not1_b32 vcc_lo, exec_lo, s2
	s_delay_alu instid0(VALU_DEP_2)
	v_mul_lo_u32 v5, v1, s6
	s_cbranch_vccnz .LBB593_72
; %bb.63:
	v_mad_u64_u32 v[6:7], null, v2, s6, 0
	s_delay_alu instid0(VALU_DEP_1) | instskip(NEXT) | instid1(VALU_DEP_1)
	v_add3_u32 v7, v7, v4, v5
	v_lshlrev_b64 v[6:7], 1, v[6:7]
	s_delay_alu instid0(VALU_DEP_1) | instskip(NEXT) | instid1(VALU_DEP_2)
	v_add_co_u32 v6, vcc_lo, s5, v6
	v_add_co_ci_u32_e32 v7, vcc_lo, s11, v7, vcc_lo
	global_load_u16 v1, v[6:7], off
	s_waitcnt vmcnt(0)
	v_lshlrev_b32_e32 v1, 16, v1
	s_delay_alu instid0(VALU_DEP_1) | instskip(NEXT) | instid1(VALU_DEP_1)
	v_mul_f32_e32 v1, s26, v1
	v_and_b32_e32 v3, 0x7f800000, v1
	s_delay_alu instid0(VALU_DEP_1) | instskip(SKIP_1) | instid1(SALU_CYCLE_1)
	v_cmp_ne_u32_e32 vcc_lo, 0x7f800000, v3
                                        ; implicit-def: $vgpr3
	s_and_saveexec_b32 s2, vcc_lo
	s_xor_b32 s2, exec_lo, s2
; %bb.64:
	v_bfe_u32 v3, v1, 16, 1
	s_delay_alu instid0(VALU_DEP_1)
	v_add3_u32 v3, v1, v3, 0x7fff
                                        ; implicit-def: $vgpr1
; %bb.65:
	s_and_not1_saveexec_b32 s2, s2
; %bb.66:
	v_and_b32_e32 v3, 0xffff, v1
	v_or_b32_e32 v6, 0x10000, v1
	s_delay_alu instid0(VALU_DEP_2) | instskip(NEXT) | instid1(VALU_DEP_2)
	v_cmp_eq_u32_e32 vcc_lo, 0, v3
	v_cndmask_b32_e32 v3, v6, v1, vcc_lo
; %bb.67:
	s_or_b32 exec_lo, exec_lo, s2
	s_delay_alu instid0(VALU_DEP_1) | instskip(SKIP_1) | instid1(VALU_DEP_1)
	v_and_b32_e32 v1, 0xffff0000, v3
	s_mov_b32 s2, exec_lo
                                        ; implicit-def: $vgpr3
	v_add_f32_e32 v0, v0, v1
	s_delay_alu instid0(VALU_DEP_1) | instskip(NEXT) | instid1(VALU_DEP_1)
	v_and_b32_e32 v1, 0x7f800000, v0
	v_cmpx_ne_u32_e32 0x7f800000, v1
	s_xor_b32 s2, exec_lo, s2
; %bb.68:
	v_bfe_u32 v1, v0, 16, 1
	s_delay_alu instid0(VALU_DEP_1)
	v_add3_u32 v3, v0, v1, 0x7fff
                                        ; implicit-def: $vgpr0
; %bb.69:
	s_and_not1_saveexec_b32 s2, s2
; %bb.70:
	v_and_b32_e32 v1, 0xffff, v0
	v_or_b32_e32 v3, 0x10000, v0
	s_delay_alu instid0(VALU_DEP_2) | instskip(NEXT) | instid1(VALU_DEP_2)
	v_cmp_eq_u32_e32 vcc_lo, 0, v1
	v_cndmask_b32_e32 v3, v3, v0, vcc_lo
; %bb.71:
	s_or_b32 exec_lo, exec_lo, s2
.LBB593_72:
	v_mad_u64_u32 v[0:1], null, v2, s6, 0
	s_delay_alu instid0(VALU_DEP_2) | instskip(SKIP_1) | instid1(VALU_DEP_2)
	v_lshrrev_b32_e32 v3, 16, v3
	s_or_b32 s2, s27, exec_lo
	v_add3_u32 v1, v1, v4, v5
.LBB593_73:
	s_or_b32 exec_lo, exec_lo, s1
	s_delay_alu instid0(SALU_CYCLE_1) | instskip(SKIP_1) | instid1(SALU_CYCLE_1)
	s_and_not1_b32 s1, s27, exec_lo
	s_and_b32 s2, s2, exec_lo
	s_or_b32 s27, s1, s2
.LBB593_74:
	s_or_b32 exec_lo, exec_lo, s0
.LBB593_75:
	s_and_saveexec_b32 s0, s27
	s_cbranch_execz .LBB593_77
; %bb.76:
	v_lshlrev_b64 v[0:1], 1, v[0:1]
	s_delay_alu instid0(VALU_DEP_1) | instskip(NEXT) | instid1(VALU_DEP_2)
	v_add_co_u32 v0, vcc_lo, s5, v0
	v_add_co_ci_u32_e32 v1, vcc_lo, s11, v1, vcc_lo
	global_store_b16 v[0:1], v3, off
.LBB593_77:
	s_nop 0
	s_sendmsg sendmsg(MSG_DEALLOC_VGPRS)
	s_endpgm
	.section	.rodata,"a",@progbits
	.p2align	6, 0x0
	.amdhsa_kernel _ZL20rocblas_gemvn_kernelILi32ELi16ElPK16rocblas_bfloat16fKPS0_EviiT3_lPKT2_lT1_lS8_lS9_lS5_lPT4_lS9_li
		.amdhsa_group_segment_fixed_size 8192
		.amdhsa_private_segment_fixed_size 0
		.amdhsa_kernarg_size 400
		.amdhsa_user_sgpr_count 14
		.amdhsa_user_sgpr_dispatch_ptr 0
		.amdhsa_user_sgpr_queue_ptr 0
		.amdhsa_user_sgpr_kernarg_segment_ptr 1
		.amdhsa_user_sgpr_dispatch_id 0
		.amdhsa_user_sgpr_private_segment_size 0
		.amdhsa_wavefront_size32 1
		.amdhsa_uses_dynamic_stack 0
		.amdhsa_enable_private_segment 0
		.amdhsa_system_sgpr_workgroup_id_x 1
		.amdhsa_system_sgpr_workgroup_id_y 0
		.amdhsa_system_sgpr_workgroup_id_z 1
		.amdhsa_system_sgpr_workgroup_info 0
		.amdhsa_system_vgpr_workitem_id 1
		.amdhsa_next_free_vgpr 51
		.amdhsa_next_free_sgpr 35
		.amdhsa_reserve_vcc 1
		.amdhsa_float_round_mode_32 0
		.amdhsa_float_round_mode_16_64 0
		.amdhsa_float_denorm_mode_32 3
		.amdhsa_float_denorm_mode_16_64 3
		.amdhsa_dx10_clamp 1
		.amdhsa_ieee_mode 1
		.amdhsa_fp16_overflow 0
		.amdhsa_workgroup_processor_mode 1
		.amdhsa_memory_ordered 1
		.amdhsa_forward_progress 0
		.amdhsa_shared_vgpr_count 0
		.amdhsa_exception_fp_ieee_invalid_op 0
		.amdhsa_exception_fp_denorm_src 0
		.amdhsa_exception_fp_ieee_div_zero 0
		.amdhsa_exception_fp_ieee_overflow 0
		.amdhsa_exception_fp_ieee_underflow 0
		.amdhsa_exception_fp_ieee_inexact 0
		.amdhsa_exception_int_div_zero 0
	.end_amdhsa_kernel
	.section	.text._ZL20rocblas_gemvn_kernelILi32ELi16ElPK16rocblas_bfloat16fKPS0_EviiT3_lPKT2_lT1_lS8_lS9_lS5_lPT4_lS9_li,"axG",@progbits,_ZL20rocblas_gemvn_kernelILi32ELi16ElPK16rocblas_bfloat16fKPS0_EviiT3_lPKT2_lT1_lS8_lS9_lS5_lPT4_lS9_li,comdat
.Lfunc_end593:
	.size	_ZL20rocblas_gemvn_kernelILi32ELi16ElPK16rocblas_bfloat16fKPS0_EviiT3_lPKT2_lT1_lS8_lS9_lS5_lPT4_lS9_li, .Lfunc_end593-_ZL20rocblas_gemvn_kernelILi32ELi16ElPK16rocblas_bfloat16fKPS0_EviiT3_lPKT2_lT1_lS8_lS9_lS5_lPT4_lS9_li
                                        ; -- End function
	.section	.AMDGPU.csdata,"",@progbits
; Kernel info:
; codeLenInByte = 3996
; NumSgprs: 37
; NumVgprs: 51
; ScratchSize: 0
; MemoryBound: 0
; FloatMode: 240
; IeeeMode: 1
; LDSByteSize: 8192 bytes/workgroup (compile time only)
; SGPRBlocks: 4
; VGPRBlocks: 6
; NumSGPRsForWavesPerEU: 37
; NumVGPRsForWavesPerEU: 51
; Occupancy: 16
; WaveLimiterHint : 1
; COMPUTE_PGM_RSRC2:SCRATCH_EN: 0
; COMPUTE_PGM_RSRC2:USER_SGPR: 14
; COMPUTE_PGM_RSRC2:TRAP_HANDLER: 0
; COMPUTE_PGM_RSRC2:TGID_X_EN: 1
; COMPUTE_PGM_RSRC2:TGID_Y_EN: 0
; COMPUTE_PGM_RSRC2:TGID_Z_EN: 1
; COMPUTE_PGM_RSRC2:TIDIG_COMP_CNT: 1
	.section	.text._ZL20rocblas_gemvn_kernelILi64ELi16EiPK16rocblas_bfloat16PKfKPS0_EviiT3_lPKT2_lT1_lSA_lSB_lS7_lPT4_lSB_li,"axG",@progbits,_ZL20rocblas_gemvn_kernelILi64ELi16EiPK16rocblas_bfloat16PKfKPS0_EviiT3_lPKT2_lT1_lSA_lSB_lS7_lPT4_lSB_li,comdat
	.globl	_ZL20rocblas_gemvn_kernelILi64ELi16EiPK16rocblas_bfloat16PKfKPS0_EviiT3_lPKT2_lT1_lSA_lSB_lS7_lPT4_lSB_li ; -- Begin function _ZL20rocblas_gemvn_kernelILi64ELi16EiPK16rocblas_bfloat16PKfKPS0_EviiT3_lPKT2_lT1_lSA_lSB_lS7_lPT4_lSB_li
	.p2align	8
	.type	_ZL20rocblas_gemvn_kernelILi64ELi16EiPK16rocblas_bfloat16PKfKPS0_EviiT3_lPKT2_lT1_lSA_lSB_lS7_lPT4_lSB_li,@function
_ZL20rocblas_gemvn_kernelILi64ELi16EiPK16rocblas_bfloat16PKfKPS0_EviiT3_lPKT2_lT1_lSA_lSB_lS7_lPT4_lSB_li: ; @_ZL20rocblas_gemvn_kernelILi64ELi16EiPK16rocblas_bfloat16PKfKPS0_EviiT3_lPKT2_lT1_lSA_lSB_lS7_lPT4_lSB_li
; %bb.0:
	s_load_b64 s[4:5], s[0:1], 0x9c
	s_waitcnt lgkmcnt(0)
	s_lshr_b32 s3, s4, 16
	s_and_b32 s4, s4, 0xffff
	s_and_b32 s5, s5, 0xffff
	s_mul_i32 s3, s3, s4
	s_delay_alu instid0(SALU_CYCLE_1) | instskip(NEXT) | instid1(SALU_CYCLE_1)
	s_mul_i32 s3, s3, s5
	s_cmpk_lg_i32 s3, 0x400
	s_cbranch_scc1 .LBB594_74
; %bb.1:
	s_clause 0x1
	s_load_b256 s[16:23], s[0:1], 0x8
	s_load_b256 s[4:11], s[0:1], 0x58
	s_mov_b32 s2, s15
	s_waitcnt lgkmcnt(0)
	s_mul_i32 s3, s15, s19
	s_mul_hi_u32 s13, s15, s18
	s_mul_i32 s12, s15, s18
	s_add_i32 s13, s13, s3
	s_mul_i32 s3, s15, s7
	s_lshl_b64 s[12:13], s[12:13], 2
	s_mul_hi_u32 s7, s15, s6
	s_add_u32 s12, s16, s12
	s_addc_u32 s13, s17, s13
	s_add_i32 s7, s7, s3
	s_mul_i32 s6, s15, s6
	s_delay_alu instid0(SALU_CYCLE_1) | instskip(NEXT) | instid1(SALU_CYCLE_1)
	s_lshl_b64 s[6:7], s[6:7], 2
	s_add_u32 s4, s4, s6
	s_addc_u32 s5, s5, s7
	s_load_b32 s16, s[12:13], 0x0
	s_load_b32 s15, s[4:5], 0x0
	s_waitcnt lgkmcnt(0)
	v_cmp_eq_f32_e64 s18, s16, 0
	v_cmp_eq_f32_e64 s3, s15, 1.0
	s_delay_alu instid0(VALU_DEP_1) | instskip(NEXT) | instid1(SALU_CYCLE_1)
	s_and_b32 s3, s18, s3
	s_and_b32 vcc_lo, exec_lo, s3
	s_mov_b32 s3, 0
	s_cbranch_vccnz .LBB594_74
; %bb.2:
	v_cmp_neq_f32_e64 s4, s16, 0
	s_mov_b64 s[12:13], 0
	s_and_b32 vcc_lo, exec_lo, s18
	s_mov_b64 s[6:7], 0
	s_cbranch_vccnz .LBB594_4
; %bb.3:
	s_lshl_b64 s[6:7], s[2:3], 3
	s_delay_alu instid0(SALU_CYCLE_1)
	s_add_u32 s6, s20, s6
	s_addc_u32 s7, s21, s7
	s_lshl_b64 s[20:21], s[22:23], 1
	s_load_b64 s[6:7], s[6:7], 0x0
	s_waitcnt lgkmcnt(0)
	s_add_u32 s6, s6, s20
	s_addc_u32 s7, s7, s21
.LBB594_4:
	s_and_not1_b32 vcc_lo, exec_lo, s4
	s_cbranch_vccnz .LBB594_6
; %bb.5:
	s_load_b128 s[20:23], s[0:1], 0x38
	s_lshl_b64 s[4:5], s[2:3], 3
	s_waitcnt lgkmcnt(0)
	s_add_u32 s4, s20, s4
	s_addc_u32 s5, s21, s5
	s_lshl_b64 s[12:13], s[22:23], 1
	s_load_b64 s[4:5], s[4:5], 0x0
	s_waitcnt lgkmcnt(0)
	s_add_u32 s12, s4, s12
	s_addc_u32 s13, s5, s13
.LBB594_6:
	s_lshl_b64 s[2:3], s[2:3], 3
	v_and_b32_e32 v1, 0x3ff, v0
	s_add_u32 s2, s8, s2
	s_addc_u32 s3, s9, s3
	v_bfe_u32 v13, v0, 10, 10
	s_load_b64 s[20:21], s[2:3], 0x0
	s_clause 0x1
	s_load_b64 s[4:5], s[0:1], 0x0
	s_load_b32 s17, s[0:1], 0x78
	s_lshl_b64 s[10:11], s[10:11], 1
	v_lshl_add_u32 v0, v13, 6, v1
	s_delay_alu instid0(VALU_DEP_1)
	v_cmp_gt_u32_e64 s2, 0x100, v0
	s_waitcnt lgkmcnt(0)
	s_add_u32 s9, s20, s10
	s_addc_u32 s10, s21, s11
	s_and_not1_b32 vcc_lo, exec_lo, s18
	s_cbranch_vccnz .LBB594_15
; %bb.7:
	s_mov_b32 s3, 0
	s_mov_b32 s11, 0
                                        ; implicit-def: $vgpr5
                                        ; implicit-def: $vgpr2_vgpr3
	s_and_saveexec_b32 s8, s2
	s_cbranch_execz .LBB594_16
; %bb.8:
	v_lshl_or_b32 v4, s14, 8, v0
	v_mov_b32_e32 v5, 0
	s_ashr_i32 s19, s4, 31
	s_mov_b32 s18, s4
                                        ; implicit-def: $vgpr2_vgpr3
	s_delay_alu instid0(VALU_DEP_1) | instid1(SALU_CYCLE_1)
	v_cmp_gt_i64_e32 vcc_lo, s[18:19], v[4:5]
                                        ; implicit-def: $vgpr5
	s_and_saveexec_b32 s2, vcc_lo
	s_cbranch_execz .LBB594_19
; %bb.9:
	v_mad_u64_u32 v[2:3], null, s17, v4, 0
	s_ashr_i32 s11, s17, 31
	s_delay_alu instid0(VALU_DEP_1) | instid1(SALU_CYCLE_1)
	v_mad_u64_u32 v[5:6], null, s11, v4, v[3:4]
	v_cmp_eq_f32_e64 s11, s15, 0
	s_delay_alu instid0(VALU_DEP_1) | instskip(NEXT) | instid1(VALU_DEP_2)
	s_and_b32 vcc_lo, exec_lo, s11
	v_mov_b32_e32 v3, v5
	s_cbranch_vccnz .LBB594_17
; %bb.10:
	s_delay_alu instid0(VALU_DEP_1) | instskip(NEXT) | instid1(VALU_DEP_1)
	v_lshlrev_b64 v[4:5], 1, v[2:3]
	v_add_co_u32 v4, vcc_lo, s9, v4
	s_delay_alu instid0(VALU_DEP_2) | instskip(SKIP_3) | instid1(VALU_DEP_1)
	v_add_co_ci_u32_e32 v5, vcc_lo, s10, v5, vcc_lo
	global_load_u16 v4, v[4:5], off
	s_waitcnt vmcnt(0)
	v_lshlrev_b32_e32 v4, 16, v4
	v_mul_f32_e32 v4, s15, v4
	s_delay_alu instid0(VALU_DEP_1) | instskip(NEXT) | instid1(VALU_DEP_1)
	v_and_b32_e32 v5, 0x7f800000, v4
	v_cmp_ne_u32_e32 vcc_lo, 0x7f800000, v5
                                        ; implicit-def: $vgpr5
	s_and_saveexec_b32 s11, vcc_lo
	s_delay_alu instid0(SALU_CYCLE_1)
	s_xor_b32 s11, exec_lo, s11
; %bb.11:
	v_bfe_u32 v5, v4, 16, 1
	s_delay_alu instid0(VALU_DEP_1)
	v_add3_u32 v5, v4, v5, 0x7fff
                                        ; implicit-def: $vgpr4
; %bb.12:
	s_and_not1_saveexec_b32 s11, s11
; %bb.13:
	v_and_b32_e32 v5, 0xffff, v4
	v_or_b32_e32 v6, 0x10000, v4
	s_delay_alu instid0(VALU_DEP_2) | instskip(NEXT) | instid1(VALU_DEP_2)
	v_cmp_eq_u32_e32 vcc_lo, 0, v5
	v_cndmask_b32_e32 v5, v6, v4, vcc_lo
; %bb.14:
	s_or_b32 exec_lo, exec_lo, s11
	s_delay_alu instid0(VALU_DEP_1)
	v_lshrrev_b32_e32 v5, 16, v5
	s_branch .LBB594_18
.LBB594_15:
	s_mov_b32 s11, 0
                                        ; implicit-def: $vgpr5
                                        ; implicit-def: $vgpr2_vgpr3
	s_cbranch_execnz .LBB594_20
	s_branch .LBB594_72
.LBB594_16:
	s_or_b32 exec_lo, exec_lo, s8
	s_delay_alu instid0(SALU_CYCLE_1)
	s_and_b32 vcc_lo, exec_lo, s3
	s_cbranch_vccnz .LBB594_20
	s_branch .LBB594_72
.LBB594_17:
	v_mov_b32_e32 v5, 0
.LBB594_18:
	s_mov_b32 s11, exec_lo
.LBB594_19:
	s_or_b32 exec_lo, exec_lo, s2
	s_delay_alu instid0(SALU_CYCLE_1) | instskip(SKIP_1) | instid1(SALU_CYCLE_1)
	s_and_b32 s11, s11, exec_lo
	s_or_b32 exec_lo, exec_lo, s8
	s_and_b32 vcc_lo, exec_lo, s3
	s_cbranch_vccz .LBB594_72
.LBB594_20:
	s_clause 0x1
	s_load_b32 s18, s[0:1], 0x28
	s_load_b32 s8, s[0:1], 0x48
	s_ashr_i32 s0, s5, 31
	s_lshl_b32 s14, s14, 8
	s_lshr_b32 s0, s0, 26
	v_dual_mov_b32 v14, 0 :: v_dual_lshlrev_b32 v19, 2, v13
	v_dual_mov_b32 v15, 0 :: v_dual_add_nc_u32 v18, s14, v1
	v_dual_mov_b32 v16, 0 :: v_dual_mov_b32 v17, 0
	s_add_i32 s19, s5, s0
	s_mov_b32 s20, exec_lo
	s_and_not1_b32 s19, s19, 63
	s_delay_alu instid0(SALU_CYCLE_1)
	v_cmpx_gt_i32_e64 s19, v19
	s_cbranch_execz .LBB594_32
; %bb.21:
	s_waitcnt lgkmcnt(0)
	v_mul_lo_u32 v3, s18, v19
	v_dual_mov_b32 v15, 0 :: v_dual_add_nc_u32 v2, 64, v18
	v_add_nc_u32_e32 v6, 2, v19
	v_dual_mov_b32 v14, 0 :: v_dual_add_nc_u32 v5, 0xc0, v18
	s_delay_alu instid0(VALU_DEP_3)
	v_cmp_gt_i32_e64 s0, s4, v2
	v_dual_mov_b32 v17, 0 :: v_dual_add_nc_u32 v4, 0x80, v18
	v_add3_u32 v20, v3, s18, v1
	v_mad_u64_u32 v[2:3], null, s18, v6, v[1:2]
	v_cmp_gt_i32_e64 s2, s4, v5
	v_mul_lo_u32 v5, v13, s18
	v_dual_mov_b32 v16, 0 :: v_dual_add_nc_u32 v7, 3, v19
	v_mul_lo_u32 v8, v13, s8
	v_cmp_gt_i32_e64 s1, s4, v4
	v_mul_lo_u32 v22, s8, v6
	s_delay_alu instid0(VALU_DEP_4)
	v_mad_u64_u32 v[3:4], null, s18, v7, v[1:2]
	v_lshl_add_u32 v21, v5, 2, v1
	v_mad_u64_u32 v[4:5], null, s8, v19, s[8:9]
	v_mul_lo_u32 v23, s8, v7
	v_cmp_gt_i32_e32 vcc_lo, s4, v18
	v_lshlrev_b32_e32 v24, 2, v8
	s_lshl_b32 s21, s18, 6
	s_lshl_b32 s23, s8, 6
	s_mov_b32 s22, 0
	s_mov_b32 s24, 0
	s_branch .LBB594_26
.LBB594_22:                             ;   in Loop: Header=BB594_26 Depth=1
	s_or_b32 exec_lo, exec_lo, s27
	s_waitcnt vmcnt(2) lgkmcnt(2)
	v_lshlrev_b32_e32 v6, 16, v39
	v_lshlrev_b32_e32 v5, 16, v40
	s_waitcnt vmcnt(1) lgkmcnt(1)
	s_delay_alu instid0(VALU_DEP_1) | instskip(NEXT) | instid1(VALU_DEP_1)
	v_dual_fmac_f32 v16, v32, v5 :: v_dual_lshlrev_b32 v5, 16, v38
	v_fmac_f32_e32 v16, v30, v6
	s_delay_alu instid0(VALU_DEP_1) | instskip(SKIP_2) | instid1(VALU_DEP_1)
	v_fmac_f32_e32 v16, v28, v5
	s_waitcnt vmcnt(0) lgkmcnt(0)
	v_lshlrev_b32_e32 v5, 16, v37
	v_fmac_f32_e32 v16, v27, v5
.LBB594_23:                             ;   in Loop: Header=BB594_26 Depth=1
	s_or_b32 exec_lo, exec_lo, s26
	s_waitcnt vmcnt(3) lgkmcnt(3)
	v_lshlrev_b32_e32 v5, 16, v36
	s_waitcnt vmcnt(2) lgkmcnt(2)
	s_delay_alu instid0(VALU_DEP_1) | instskip(SKIP_2) | instid1(VALU_DEP_2)
	v_dual_fmac_f32 v15, v32, v5 :: v_dual_lshlrev_b32 v6, 16, v35
	s_waitcnt vmcnt(1) lgkmcnt(1)
	v_lshlrev_b32_e32 v5, 16, v34
	v_fmac_f32_e32 v15, v30, v6
	s_delay_alu instid0(VALU_DEP_1) | instskip(SKIP_2) | instid1(VALU_DEP_1)
	v_fmac_f32_e32 v15, v28, v5
	s_waitcnt vmcnt(0) lgkmcnt(0)
	v_lshlrev_b32_e32 v5, 16, v33
	v_fmac_f32_e32 v15, v27, v5
.LBB594_24:                             ;   in Loop: Header=BB594_26 Depth=1
	s_or_b32 exec_lo, exec_lo, s3
	s_waitcnt vmcnt(2) lgkmcnt(2)
	v_lshlrev_b32_e32 v6, 16, v29
	v_lshlrev_b32_e32 v5, 16, v31
	s_waitcnt vmcnt(1) lgkmcnt(1)
	s_delay_alu instid0(VALU_DEP_1) | instskip(NEXT) | instid1(VALU_DEP_1)
	v_dual_fmac_f32 v14, v32, v5 :: v_dual_lshlrev_b32 v5, 16, v26
	v_fmac_f32_e32 v14, v30, v6
	s_delay_alu instid0(VALU_DEP_1) | instskip(SKIP_2) | instid1(VALU_DEP_1)
	v_fmac_f32_e32 v14, v28, v5
	s_waitcnt vmcnt(0) lgkmcnt(0)
	v_lshlrev_b32_e32 v5, 16, v25
	v_fmac_f32_e32 v14, v27, v5
.LBB594_25:                             ;   in Loop: Header=BB594_26 Depth=1
	s_or_b32 exec_lo, exec_lo, s25
	v_add_nc_u32_e32 v19, 64, v19
	v_add_nc_u32_e32 v20, s21, v20
	;; [unrolled: 1-line block ×5, first 2 shown]
	v_cmp_le_i32_e64 s3, s19, v19
	s_add_i32 s24, s24, s23
	s_delay_alu instid0(VALU_DEP_1) | instskip(NEXT) | instid1(SALU_CYCLE_1)
	s_or_b32 s22, s3, s22
	s_and_not1_b32 exec_lo, exec_lo, s22
	s_cbranch_execz .LBB594_31
.LBB594_26:                             ; =>This Inner Loop Header: Depth=1
	s_and_saveexec_b32 s25, vcc_lo
	s_cbranch_execz .LBB594_25
; %bb.27:                               ;   in Loop: Header=BB594_26 Depth=1
	v_add_nc_u32_e32 v5, s24, v24
	v_add_nc_u32_e32 v7, s24, v4
	;; [unrolled: 1-line block ×5, first 2 shown]
	v_ashrrev_i32_e32 v6, 31, v5
	v_ashrrev_i32_e32 v8, 31, v7
	;; [unrolled: 1-line block ×4, first 2 shown]
	v_add_nc_u32_e32 v27, s14, v20
	v_lshlrev_b64 v[5:6], 1, v[5:6]
	v_lshlrev_b64 v[7:8], 1, v[7:8]
	;; [unrolled: 1-line block ×4, first 2 shown]
	v_ashrrev_i32_e32 v26, 31, v25
	v_ashrrev_i32_e32 v28, 31, v27
	v_add_co_u32 v5, s3, s12, v5
	s_delay_alu instid0(VALU_DEP_1) | instskip(SKIP_1) | instid1(VALU_DEP_1)
	v_add_co_ci_u32_e64 v6, s3, s13, v6, s3
	v_add_co_u32 v7, s3, s12, v7
	v_add_co_ci_u32_e64 v8, s3, s13, v8, s3
	v_add_co_u32 v9, s3, s12, v9
	s_delay_alu instid0(VALU_DEP_1)
	v_add_co_ci_u32_e64 v10, s3, s13, v10, s3
	v_add_co_u32 v11, s3, s12, v11
	v_add_nc_u32_e32 v29, s14, v2
	v_add_co_ci_u32_e64 v12, s3, s13, v12, s3
	v_lshlrev_b64 v[25:26], 1, v[25:26]
	s_clause 0x3
	flat_load_u16 v32, v[5:6]
	flat_load_u16 v33, v[7:8]
	flat_load_u16 v34, v[9:10]
	flat_load_u16 v35, v[11:12]
	v_add_nc_u32_e32 v11, s14, v3
	v_lshlrev_b64 v[5:6], 1, v[27:28]
	v_ashrrev_i32_e32 v30, 31, v29
	v_add_co_u32 v7, s3, s6, v25
	s_delay_alu instid0(VALU_DEP_4) | instskip(SKIP_1) | instid1(VALU_DEP_4)
	v_ashrrev_i32_e32 v12, 31, v11
	v_add_co_ci_u32_e64 v8, s3, s7, v26, s3
	v_lshlrev_b64 v[25:26], 1, v[29:30]
	v_add_co_u32 v9, s3, s6, v5
	s_delay_alu instid0(VALU_DEP_1) | instskip(SKIP_1) | instid1(VALU_DEP_4)
	v_add_co_ci_u32_e64 v10, s3, s7, v6, s3
	v_lshlrev_b64 v[5:6], 1, v[11:12]
	v_add_co_u32 v11, s3, s6, v25
	s_delay_alu instid0(VALU_DEP_1) | instskip(NEXT) | instid1(VALU_DEP_3)
	v_add_co_ci_u32_e64 v12, s3, s7, v26, s3
	v_add_co_u32 v5, s3, s6, v5
	s_delay_alu instid0(VALU_DEP_1)
	v_add_co_ci_u32_e64 v6, s3, s7, v6, s3
	s_clause 0x3
	flat_load_u16 v31, v[7:8]
	flat_load_u16 v29, v[9:10]
	;; [unrolled: 1-line block ×4, first 2 shown]
	s_waitcnt vmcnt(7) lgkmcnt(7)
	v_lshlrev_b32_e32 v32, 16, v32
	s_waitcnt vmcnt(6) lgkmcnt(6)
	v_lshlrev_b32_e32 v30, 16, v33
	;; [unrolled: 2-line block ×4, first 2 shown]
	s_and_saveexec_b32 s3, s0
	s_cbranch_execz .LBB594_24
; %bb.28:                               ;   in Loop: Header=BB594_26 Depth=1
	s_clause 0x3
	flat_load_u16 v36, v[7:8] offset:128
	flat_load_u16 v35, v[9:10] offset:128
	flat_load_u16 v34, v[11:12] offset:128
	flat_load_u16 v33, v[5:6] offset:128
	s_and_saveexec_b32 s26, s1
	s_cbranch_execz .LBB594_23
; %bb.29:                               ;   in Loop: Header=BB594_26 Depth=1
	s_clause 0x3
	flat_load_u16 v40, v[7:8] offset:256
	flat_load_u16 v39, v[9:10] offset:256
	flat_load_u16 v38, v[11:12] offset:256
	flat_load_u16 v37, v[5:6] offset:256
	;; [unrolled: 8-line block ×3, first 2 shown]
	s_waitcnt vmcnt(0) lgkmcnt(0)
	v_lshlrev_b32_e32 v5, 16, v5
	v_lshlrev_b32_e32 v6, 16, v7
	;; [unrolled: 1-line block ×3, first 2 shown]
	s_delay_alu instid0(VALU_DEP_2) | instskip(NEXT) | instid1(VALU_DEP_1)
	v_dual_fmac_f32 v17, v32, v6 :: v_dual_lshlrev_b32 v6, 16, v9
	v_fmac_f32_e32 v17, v30, v7
	s_delay_alu instid0(VALU_DEP_1) | instskip(NEXT) | instid1(VALU_DEP_1)
	v_fmac_f32_e32 v17, v28, v6
	v_fmac_f32_e32 v17, v27, v5
	s_branch .LBB594_22
.LBB594_31:
	s_or_b32 exec_lo, exec_lo, s22
.LBB594_32:
	s_delay_alu instid0(SALU_CYCLE_1) | instskip(SKIP_1) | instid1(SALU_CYCLE_1)
	s_or_b32 exec_lo, exec_lo, s20
	s_sub_i32 s0, s5, s19
	s_cmp_lt_i32 s0, 1
	s_cbranch_scc1 .LBB594_50
; %bb.33:
	v_cmp_gt_i32_e32 vcc_lo, s5, v19
	v_dual_mov_b32 v10, 0 :: v_dual_mov_b32 v11, 0
	v_or_b32_e32 v2, 1, v19
	v_mov_b32_e32 v12, 0
	v_mov_b32_e32 v20, 0
	s_and_saveexec_b32 s1, vcc_lo
	s_cbranch_execz .LBB594_41
; %bb.34:
	s_waitcnt lgkmcnt(0)
	v_mul_lo_u32 v3, v19, s8
	v_dual_mov_b32 v12, 0 :: v_dual_mov_b32 v11, 0
	v_mov_b32_e32 v10, 0
	s_mov_b32 s2, exec_lo
	s_delay_alu instid0(VALU_DEP_3) | instskip(NEXT) | instid1(VALU_DEP_1)
	v_ashrrev_i32_e32 v4, 31, v3
	v_lshlrev_b64 v[3:4], 1, v[3:4]
	s_delay_alu instid0(VALU_DEP_1) | instskip(NEXT) | instid1(VALU_DEP_1)
	v_add_co_u32 v3, s0, s12, v3
	v_add_co_ci_u32_e64 v4, s0, s13, v4, s0
	flat_load_u16 v3, v[3:4]
	v_cmpx_gt_i32_e64 s5, v2
	s_cbranch_execz .LBB594_40
; %bb.35:
	v_mul_lo_u32 v4, v2, s8
	v_dual_mov_b32 v11, 0 :: v_dual_mov_b32 v10, 0
	s_mov_b32 s3, exec_lo
	s_delay_alu instid0(VALU_DEP_2) | instskip(NEXT) | instid1(VALU_DEP_1)
	v_ashrrev_i32_e32 v5, 31, v4
	v_lshlrev_b64 v[4:5], 1, v[4:5]
	s_delay_alu instid0(VALU_DEP_1) | instskip(NEXT) | instid1(VALU_DEP_1)
	v_add_co_u32 v4, s0, s12, v4
	v_add_co_ci_u32_e64 v5, s0, s13, v5, s0
	flat_load_u16 v4, v[4:5]
	v_or_b32_e32 v5, 2, v19
	s_delay_alu instid0(VALU_DEP_1)
	v_cmpx_gt_i32_e64 s5, v5
	s_cbranch_execz .LBB594_39
; %bb.36:
	v_mul_lo_u32 v5, v5, s8
	v_mov_b32_e32 v10, 0
	s_mov_b32 s19, exec_lo
	s_delay_alu instid0(VALU_DEP_2) | instskip(NEXT) | instid1(VALU_DEP_1)
	v_ashrrev_i32_e32 v6, 31, v5
	v_lshlrev_b64 v[5:6], 1, v[5:6]
	s_delay_alu instid0(VALU_DEP_1) | instskip(NEXT) | instid1(VALU_DEP_1)
	v_add_co_u32 v5, s0, s12, v5
	v_add_co_ci_u32_e64 v6, s0, s13, v6, s0
	flat_load_u16 v5, v[5:6]
	v_or_b32_e32 v6, 3, v19
	s_delay_alu instid0(VALU_DEP_1)
	v_cmpx_gt_i32_e64 s5, v6
	s_cbranch_execz .LBB594_38
; %bb.37:
	v_mul_lo_u32 v6, v6, s8
	s_delay_alu instid0(VALU_DEP_1) | instskip(NEXT) | instid1(VALU_DEP_1)
	v_ashrrev_i32_e32 v7, 31, v6
	v_lshlrev_b64 v[6:7], 1, v[6:7]
	s_delay_alu instid0(VALU_DEP_1) | instskip(NEXT) | instid1(VALU_DEP_1)
	v_add_co_u32 v6, s0, s12, v6
	v_add_co_ci_u32_e64 v7, s0, s13, v7, s0
	flat_load_u16 v6, v[6:7]
	s_waitcnt vmcnt(0) lgkmcnt(0)
	v_lshlrev_b32_e32 v10, 16, v6
.LBB594_38:
	s_or_b32 exec_lo, exec_lo, s19
	s_waitcnt vmcnt(0) lgkmcnt(0)
	v_lshlrev_b32_e32 v11, 16, v5
.LBB594_39:
	s_or_b32 exec_lo, exec_lo, s3
	s_waitcnt vmcnt(0) lgkmcnt(0)
	v_lshlrev_b32_e32 v12, 16, v4
.LBB594_40:
	s_or_b32 exec_lo, exec_lo, s2
	s_waitcnt vmcnt(0) lgkmcnt(0)
	v_lshlrev_b32_e32 v20, 16, v3
.LBB594_41:
	s_or_b32 exec_lo, exec_lo, s1
	s_delay_alu instid0(SALU_CYCLE_1)
	s_mov_b32 s1, exec_lo
	v_cmpx_gt_i32_e64 s4, v18
	s_cbranch_execz .LBB594_49
; %bb.42:
	s_waitcnt lgkmcnt(0)
	v_mul_lo_u32 v3, v19, s18
	v_mul_lo_u32 v4, v2, s18
	v_or_b32_e32 v5, 2, v19
	v_or_b32_e32 v6, 3, v19
	s_mov_b32 s0, exec_lo
	s_delay_alu instid0(VALU_DEP_2)
	v_mul_lo_u32 v7, v5, s18
	v_cndmask_b32_e32 v3, 0, v3, vcc_lo
	v_cmp_gt_i32_e32 vcc_lo, s5, v2
	v_mul_lo_u32 v8, v6, s18
	v_cndmask_b32_e32 v4, 0, v4, vcc_lo
	v_cmp_gt_i32_e32 vcc_lo, s5, v5
	v_add_nc_u32_e32 v2, v3, v18
	s_delay_alu instid0(VALU_DEP_3) | instskip(NEXT) | instid1(VALU_DEP_2)
	v_dual_cndmask_b32 v7, 0, v7 :: v_dual_add_nc_u32 v4, v4, v18
	v_ashrrev_i32_e32 v3, 31, v2
	v_cmp_gt_i32_e32 vcc_lo, s5, v6
	s_delay_alu instid0(VALU_DEP_3) | instskip(NEXT) | instid1(VALU_DEP_4)
	v_ashrrev_i32_e32 v5, 31, v4
	v_add_nc_u32_e32 v6, v7, v18
	s_delay_alu instid0(VALU_DEP_4) | instskip(SKIP_1) | instid1(VALU_DEP_4)
	v_lshlrev_b64 v[2:3], 1, v[2:3]
	v_cndmask_b32_e32 v8, 0, v8, vcc_lo
	v_lshlrev_b64 v[21:22], 1, v[4:5]
	s_delay_alu instid0(VALU_DEP_4) | instskip(NEXT) | instid1(VALU_DEP_4)
	v_ashrrev_i32_e32 v7, 31, v6
	v_add_co_u32 v4, vcc_lo, s6, v2
	v_add_co_ci_u32_e32 v5, vcc_lo, s7, v3, vcc_lo
	s_delay_alu instid0(VALU_DEP_4)
	v_add_co_u32 v2, vcc_lo, s6, v21
	v_add_co_ci_u32_e32 v3, vcc_lo, s7, v22, vcc_lo
	s_clause 0x1
	flat_load_u16 v19, v[4:5]
	flat_load_u16 v23, v[2:3]
	v_lshlrev_b64 v[6:7], 1, v[6:7]
	s_waitcnt vmcnt(1) lgkmcnt(1)
	v_lshlrev_b32_e32 v19, 16, v19
	v_add_nc_u32_e32 v8, v8, v18
	s_delay_alu instid0(VALU_DEP_1) | instskip(NEXT) | instid1(VALU_DEP_1)
	v_ashrrev_i32_e32 v9, 31, v8
	v_lshlrev_b64 v[21:22], 1, v[8:9]
	v_add_co_u32 v8, vcc_lo, s6, v6
	v_add_co_ci_u32_e32 v9, vcc_lo, s7, v7, vcc_lo
	s_delay_alu instid0(VALU_DEP_3) | instskip(NEXT) | instid1(VALU_DEP_4)
	v_add_co_u32 v6, vcc_lo, s6, v21
	v_add_co_ci_u32_e32 v7, vcc_lo, s7, v22, vcc_lo
	s_clause 0x1
	flat_load_u16 v21, v[8:9]
	flat_load_u16 v22, v[6:7]
	s_waitcnt vmcnt(1) lgkmcnt(1)
	v_dual_fmac_f32 v14, v20, v19 :: v_dual_lshlrev_b32 v21, 16, v21
	v_lshlrev_b32_e32 v23, 16, v23
	s_waitcnt vmcnt(0) lgkmcnt(0)
	s_delay_alu instid0(VALU_DEP_1) | instskip(NEXT) | instid1(VALU_DEP_1)
	v_dual_fmac_f32 v14, v12, v23 :: v_dual_lshlrev_b32 v19, 16, v22
	v_dual_fmac_f32 v14, v11, v21 :: v_dual_add_nc_u32 v23, 64, v18
	s_delay_alu instid0(VALU_DEP_1)
	v_cmpx_gt_i32_e64 s4, v23
	s_cbranch_execz .LBB594_48
; %bb.43:
	s_clause 0x3
	flat_load_u16 v21, v[4:5] offset:128
	flat_load_u16 v22, v[2:3] offset:128
	;; [unrolled: 1-line block ×4, first 2 shown]
	s_mov_b32 s2, exec_lo
	s_waitcnt vmcnt(3) lgkmcnt(3)
	v_lshlrev_b32_e32 v21, 16, v21
	s_waitcnt vmcnt(2) lgkmcnt(2)
	v_lshlrev_b32_e32 v22, 16, v22
	;; [unrolled: 2-line block ×3, first 2 shown]
	v_fmac_f32_e32 v15, v20, v21
	s_waitcnt vmcnt(0) lgkmcnt(0)
	v_lshlrev_b32_e32 v21, 16, v24
	s_delay_alu instid0(VALU_DEP_2) | instskip(NEXT) | instid1(VALU_DEP_1)
	v_fmac_f32_e32 v15, v12, v22
	v_dual_fmac_f32 v15, v11, v23 :: v_dual_add_nc_u32 v22, 0x80, v18
	s_delay_alu instid0(VALU_DEP_1)
	v_cmpx_gt_i32_e64 s4, v22
	s_cbranch_execz .LBB594_47
; %bb.44:
	s_clause 0x3
	flat_load_u16 v22, v[4:5] offset:256
	flat_load_u16 v23, v[2:3] offset:256
	;; [unrolled: 1-line block ×4, first 2 shown]
	s_mov_b32 s3, exec_lo
	s_waitcnt vmcnt(3) lgkmcnt(3)
	v_lshlrev_b32_e32 v22, 16, v22
	s_waitcnt vmcnt(2) lgkmcnt(2)
	s_delay_alu instid0(VALU_DEP_1) | instskip(SKIP_2) | instid1(VALU_DEP_2)
	v_dual_fmac_f32 v16, v20, v22 :: v_dual_lshlrev_b32 v23, 16, v23
	s_waitcnt vmcnt(1) lgkmcnt(1)
	v_lshlrev_b32_e32 v22, 16, v24
	v_dual_fmac_f32 v16, v12, v23 :: v_dual_add_nc_u32 v23, 0xc0, v18
	s_waitcnt vmcnt(0) lgkmcnt(0)
	v_lshlrev_b32_e32 v18, 16, v25
	s_delay_alu instid0(VALU_DEP_2) | instskip(NEXT) | instid1(VALU_DEP_3)
	v_fmac_f32_e32 v16, v11, v22
	v_cmpx_gt_i32_e64 s4, v23
	s_cbranch_execz .LBB594_46
; %bb.45:
	s_clause 0x3
	flat_load_u16 v4, v[4:5] offset:384
	flat_load_u16 v2, v[2:3] offset:384
	;; [unrolled: 1-line block ×4, first 2 shown]
	s_waitcnt vmcnt(2) lgkmcnt(2)
	v_lshlrev_b32_e32 v2, 16, v2
	v_lshlrev_b32_e32 v4, 16, v4
	s_waitcnt vmcnt(1) lgkmcnt(1)
	v_lshlrev_b32_e32 v3, 16, v3
	s_delay_alu instid0(VALU_DEP_2) | instskip(SKIP_1) | instid1(VALU_DEP_1)
	v_fmac_f32_e32 v17, v20, v4
	s_waitcnt vmcnt(0) lgkmcnt(0)
	v_dual_fmac_f32 v17, v12, v2 :: v_dual_lshlrev_b32 v2, 16, v5
	s_delay_alu instid0(VALU_DEP_1) | instskip(NEXT) | instid1(VALU_DEP_1)
	v_fmac_f32_e32 v17, v11, v3
	v_fmac_f32_e32 v17, v10, v2
.LBB594_46:
	s_or_b32 exec_lo, exec_lo, s3
	s_delay_alu instid0(VALU_DEP_2)
	v_fmac_f32_e32 v16, v10, v18
.LBB594_47:
	s_or_b32 exec_lo, exec_lo, s2
	s_delay_alu instid0(VALU_DEP_2)
	v_fmac_f32_e32 v15, v10, v21
.LBB594_48:
	s_or_b32 exec_lo, exec_lo, s0
	s_delay_alu instid0(VALU_DEP_2)
	v_fmac_f32_e32 v14, v10, v19
.LBB594_49:
	s_or_b32 exec_lo, exec_lo, s1
.LBB594_50:
	v_lshlrev_b32_e32 v2, 8, v13
	s_mov_b32 s0, exec_lo
                                        ; implicit-def: $vgpr5
	s_delay_alu instid0(VALU_DEP_1)
	v_add_lshl_u32 v1, v2, v1, 2
                                        ; implicit-def: $vgpr2_vgpr3
	ds_store_2addr_stride64_b32 v1, v14, v15 offset1:1
	ds_store_2addr_stride64_b32 v1, v16, v17 offset0:2 offset1:3
	s_waitcnt lgkmcnt(0)
	s_barrier
	buffer_gl0_inv
	v_cmpx_gt_u32_e32 0x100, v0
	s_cbranch_execz .LBB594_71
; %bb.51:
	v_lshlrev_b32_e32 v7, 2, v0
	s_mov_b32 s2, s11
	s_mov_b32 s1, exec_lo
	ds_load_2addr_stride64_b32 v[1:2], v7 offset1:4
	ds_load_2addr_stride64_b32 v[3:4], v7 offset0:8 offset1:12
	ds_load_2addr_stride64_b32 v[5:6], v7 offset0:16 offset1:20
	s_waitcnt lgkmcnt(2)
	v_add_f32_e32 v8, v1, v2
	ds_load_2addr_stride64_b32 v[1:2], v7 offset0:24 offset1:28
	s_waitcnt lgkmcnt(2)
	v_add_f32_e32 v3, v3, v8
	s_delay_alu instid0(VALU_DEP_1) | instskip(SKIP_3) | instid1(VALU_DEP_1)
	v_add_f32_e32 v8, v4, v3
	ds_load_2addr_stride64_b32 v[3:4], v7 offset0:32 offset1:36
	s_waitcnt lgkmcnt(2)
	v_add_f32_e32 v5, v5, v8
	v_add_f32_e32 v8, v6, v5
	ds_load_2addr_stride64_b32 v[5:6], v7 offset0:40 offset1:44
	s_waitcnt lgkmcnt(2)
	v_add_f32_e32 v1, v1, v8
	s_delay_alu instid0(VALU_DEP_1) | instskip(SKIP_1) | instid1(VALU_DEP_1)
	v_add_f32_e32 v1, v2, v1
	s_waitcnt lgkmcnt(1)
	v_add_f32_e32 v3, v3, v1
	ds_load_2addr_stride64_b32 v[1:2], v7 offset0:48 offset1:52
	v_add_f32_e32 v3, v4, v3
	s_waitcnt lgkmcnt(1)
	s_delay_alu instid0(VALU_DEP_1) | instskip(SKIP_3) | instid1(VALU_DEP_1)
	v_add_f32_e32 v3, v5, v3
	ds_load_2addr_stride64_b32 v[4:5], v7 offset0:56 offset1:60
	v_add_f32_e32 v3, v6, v3
	s_waitcnt lgkmcnt(1)
	v_add_f32_e32 v1, v1, v3
	s_delay_alu instid0(VALU_DEP_1) | instskip(SKIP_1) | instid1(VALU_DEP_1)
	v_add_f32_e32 v1, v2, v1
                                        ; implicit-def: $vgpr2_vgpr3
	s_waitcnt lgkmcnt(0)
	v_add_f32_e32 v1, v4, v1
	v_or_b32_e32 v4, s14, v0
	s_delay_alu instid0(VALU_DEP_2)
	v_add_f32_e32 v0, v5, v1
                                        ; implicit-def: $vgpr5
	ds_store_b32 v7, v0
	v_cmpx_gt_i32_e64 s4, v4
	s_cbranch_execz .LBB594_70
; %bb.52:
	v_cmp_eq_f32_e64 s2, s15, 0
	v_mul_f32_e32 v0, s16, v0
	s_delay_alu instid0(VALU_DEP_2)
	s_and_b32 vcc_lo, exec_lo, s2
	s_cbranch_vccz .LBB594_58
; %bb.53:
	s_delay_alu instid0(VALU_DEP_1) | instskip(NEXT) | instid1(VALU_DEP_1)
	v_and_b32_e32 v1, 0x7f800000, v0
	v_cmp_ne_u32_e32 vcc_lo, 0x7f800000, v1
                                        ; implicit-def: $vgpr1
	s_and_saveexec_b32 s2, vcc_lo
	s_delay_alu instid0(SALU_CYCLE_1)
	s_xor_b32 s2, exec_lo, s2
; %bb.54:
	v_bfe_u32 v1, v0, 16, 1
	s_delay_alu instid0(VALU_DEP_1)
	v_add3_u32 v1, v0, v1, 0x7fff
; %bb.55:
	s_and_not1_saveexec_b32 s2, s2
; %bb.56:
	v_and_b32_e32 v1, 0xffff, v0
	v_or_b32_e32 v2, 0x10000, v0
	s_delay_alu instid0(VALU_DEP_2) | instskip(NEXT) | instid1(VALU_DEP_2)
	v_cmp_eq_u32_e32 vcc_lo, 0, v1
	v_cndmask_b32_e32 v1, v2, v0, vcc_lo
; %bb.57:
	s_or_b32 exec_lo, exec_lo, s2
	s_mov_b32 s2, 0
	s_branch .LBB594_59
.LBB594_58:
	s_mov_b32 s2, -1
                                        ; implicit-def: $vgpr1
.LBB594_59:
	v_mul_lo_u32 v2, v4, s17
	s_and_not1_b32 vcc_lo, exec_lo, s2
	s_delay_alu instid0(VALU_DEP_1)
	v_ashrrev_i32_e32 v3, 31, v2
	s_cbranch_vccnz .LBB594_69
; %bb.60:
	s_delay_alu instid0(VALU_DEP_1) | instskip(NEXT) | instid1(VALU_DEP_1)
	v_lshlrev_b64 v[4:5], 1, v[2:3]
	v_add_co_u32 v4, vcc_lo, s9, v4
	s_delay_alu instid0(VALU_DEP_2) | instskip(SKIP_3) | instid1(VALU_DEP_1)
	v_add_co_ci_u32_e32 v5, vcc_lo, s10, v5, vcc_lo
	global_load_u16 v1, v[4:5], off
	s_waitcnt vmcnt(0)
	v_lshlrev_b32_e32 v1, 16, v1
	v_mul_f32_e32 v1, s15, v1
	s_delay_alu instid0(VALU_DEP_1) | instskip(NEXT) | instid1(VALU_DEP_1)
	v_and_b32_e32 v4, 0x7f800000, v1
	v_cmp_ne_u32_e32 vcc_lo, 0x7f800000, v4
                                        ; implicit-def: $vgpr4
	s_and_saveexec_b32 s2, vcc_lo
	s_delay_alu instid0(SALU_CYCLE_1)
	s_xor_b32 s2, exec_lo, s2
; %bb.61:
	v_bfe_u32 v4, v1, 16, 1
	s_delay_alu instid0(VALU_DEP_1)
	v_add3_u32 v4, v1, v4, 0x7fff
                                        ; implicit-def: $vgpr1
; %bb.62:
	s_and_not1_saveexec_b32 s2, s2
; %bb.63:
	v_and_b32_e32 v4, 0xffff, v1
	v_or_b32_e32 v5, 0x10000, v1
	s_delay_alu instid0(VALU_DEP_2) | instskip(NEXT) | instid1(VALU_DEP_2)
	v_cmp_eq_u32_e32 vcc_lo, 0, v4
	v_cndmask_b32_e32 v4, v5, v1, vcc_lo
; %bb.64:
	s_or_b32 exec_lo, exec_lo, s2
	s_delay_alu instid0(VALU_DEP_1) | instskip(NEXT) | instid1(VALU_DEP_1)
	v_and_b32_e32 v1, 0xffff0000, v4
	v_add_f32_e32 v0, v0, v1
	s_delay_alu instid0(VALU_DEP_1) | instskip(NEXT) | instid1(VALU_DEP_1)
	v_and_b32_e32 v1, 0x7f800000, v0
	v_cmp_ne_u32_e32 vcc_lo, 0x7f800000, v1
                                        ; implicit-def: $vgpr1
	s_and_saveexec_b32 s2, vcc_lo
	s_delay_alu instid0(SALU_CYCLE_1)
	s_xor_b32 s2, exec_lo, s2
; %bb.65:
	v_bfe_u32 v1, v0, 16, 1
	s_delay_alu instid0(VALU_DEP_1)
	v_add3_u32 v1, v0, v1, 0x7fff
                                        ; implicit-def: $vgpr0
; %bb.66:
	s_and_not1_saveexec_b32 s2, s2
; %bb.67:
	v_and_b32_e32 v1, 0xffff, v0
	v_or_b32_e32 v4, 0x10000, v0
	s_delay_alu instid0(VALU_DEP_2) | instskip(NEXT) | instid1(VALU_DEP_2)
	v_cmp_eq_u32_e32 vcc_lo, 0, v1
	v_cndmask_b32_e32 v1, v4, v0, vcc_lo
; %bb.68:
	s_or_b32 exec_lo, exec_lo, s2
.LBB594_69:
	s_delay_alu instid0(VALU_DEP_1)
	v_lshrrev_b32_e32 v5, 16, v1
	s_or_b32 s2, s11, exec_lo
.LBB594_70:
	s_or_b32 exec_lo, exec_lo, s1
	s_delay_alu instid0(SALU_CYCLE_1) | instskip(SKIP_1) | instid1(SALU_CYCLE_1)
	s_and_not1_b32 s1, s11, exec_lo
	s_and_b32 s2, s2, exec_lo
	s_or_b32 s11, s1, s2
.LBB594_71:
	s_or_b32 exec_lo, exec_lo, s0
.LBB594_72:
	s_and_saveexec_b32 s0, s11
	s_cbranch_execz .LBB594_74
; %bb.73:
	v_lshlrev_b64 v[0:1], 1, v[2:3]
	s_delay_alu instid0(VALU_DEP_1) | instskip(NEXT) | instid1(VALU_DEP_2)
	v_add_co_u32 v0, vcc_lo, s9, v0
	v_add_co_ci_u32_e32 v1, vcc_lo, s10, v1, vcc_lo
	global_store_b16 v[0:1], v5, off
.LBB594_74:
	s_nop 0
	s_sendmsg sendmsg(MSG_DEALLOC_VGPRS)
	s_endpgm
	.section	.rodata,"a",@progbits
	.p2align	6, 0x0
	.amdhsa_kernel _ZL20rocblas_gemvn_kernelILi64ELi16EiPK16rocblas_bfloat16PKfKPS0_EviiT3_lPKT2_lT1_lSA_lSB_lS7_lPT4_lSB_li
		.amdhsa_group_segment_fixed_size 16384
		.amdhsa_private_segment_fixed_size 0
		.amdhsa_kernarg_size 400
		.amdhsa_user_sgpr_count 14
		.amdhsa_user_sgpr_dispatch_ptr 0
		.amdhsa_user_sgpr_queue_ptr 0
		.amdhsa_user_sgpr_kernarg_segment_ptr 1
		.amdhsa_user_sgpr_dispatch_id 0
		.amdhsa_user_sgpr_private_segment_size 0
		.amdhsa_wavefront_size32 1
		.amdhsa_uses_dynamic_stack 0
		.amdhsa_enable_private_segment 0
		.amdhsa_system_sgpr_workgroup_id_x 1
		.amdhsa_system_sgpr_workgroup_id_y 0
		.amdhsa_system_sgpr_workgroup_id_z 1
		.amdhsa_system_sgpr_workgroup_info 0
		.amdhsa_system_vgpr_workitem_id 1
		.amdhsa_next_free_vgpr 41
		.amdhsa_next_free_sgpr 28
		.amdhsa_reserve_vcc 1
		.amdhsa_float_round_mode_32 0
		.amdhsa_float_round_mode_16_64 0
		.amdhsa_float_denorm_mode_32 3
		.amdhsa_float_denorm_mode_16_64 3
		.amdhsa_dx10_clamp 1
		.amdhsa_ieee_mode 1
		.amdhsa_fp16_overflow 0
		.amdhsa_workgroup_processor_mode 1
		.amdhsa_memory_ordered 1
		.amdhsa_forward_progress 0
		.amdhsa_shared_vgpr_count 0
		.amdhsa_exception_fp_ieee_invalid_op 0
		.amdhsa_exception_fp_denorm_src 0
		.amdhsa_exception_fp_ieee_div_zero 0
		.amdhsa_exception_fp_ieee_overflow 0
		.amdhsa_exception_fp_ieee_underflow 0
		.amdhsa_exception_fp_ieee_inexact 0
		.amdhsa_exception_int_div_zero 0
	.end_amdhsa_kernel
	.section	.text._ZL20rocblas_gemvn_kernelILi64ELi16EiPK16rocblas_bfloat16PKfKPS0_EviiT3_lPKT2_lT1_lSA_lSB_lS7_lPT4_lSB_li,"axG",@progbits,_ZL20rocblas_gemvn_kernelILi64ELi16EiPK16rocblas_bfloat16PKfKPS0_EviiT3_lPKT2_lT1_lSA_lSB_lS7_lPT4_lSB_li,comdat
.Lfunc_end594:
	.size	_ZL20rocblas_gemvn_kernelILi64ELi16EiPK16rocblas_bfloat16PKfKPS0_EviiT3_lPKT2_lT1_lSA_lSB_lS7_lPT4_lSB_li, .Lfunc_end594-_ZL20rocblas_gemvn_kernelILi64ELi16EiPK16rocblas_bfloat16PKfKPS0_EviiT3_lPKT2_lT1_lSA_lSB_lS7_lPT4_lSB_li
                                        ; -- End function
	.section	.AMDGPU.csdata,"",@progbits
; Kernel info:
; codeLenInByte = 3668
; NumSgprs: 30
; NumVgprs: 41
; ScratchSize: 0
; MemoryBound: 0
; FloatMode: 240
; IeeeMode: 1
; LDSByteSize: 16384 bytes/workgroup (compile time only)
; SGPRBlocks: 3
; VGPRBlocks: 5
; NumSGPRsForWavesPerEU: 30
; NumVGPRsForWavesPerEU: 41
; Occupancy: 16
; WaveLimiterHint : 1
; COMPUTE_PGM_RSRC2:SCRATCH_EN: 0
; COMPUTE_PGM_RSRC2:USER_SGPR: 14
; COMPUTE_PGM_RSRC2:TRAP_HANDLER: 0
; COMPUTE_PGM_RSRC2:TGID_X_EN: 1
; COMPUTE_PGM_RSRC2:TGID_Y_EN: 0
; COMPUTE_PGM_RSRC2:TGID_Z_EN: 1
; COMPUTE_PGM_RSRC2:TIDIG_COMP_CNT: 1
	.section	.text._ZL20rocblas_gemvn_kernelILi64ELi16ElPK16rocblas_bfloat16PKfKPS0_EviiT3_lPKT2_lT1_lSA_lSB_lS7_lPT4_lSB_li,"axG",@progbits,_ZL20rocblas_gemvn_kernelILi64ELi16ElPK16rocblas_bfloat16PKfKPS0_EviiT3_lPKT2_lT1_lSA_lSB_lS7_lPT4_lSB_li,comdat
	.globl	_ZL20rocblas_gemvn_kernelILi64ELi16ElPK16rocblas_bfloat16PKfKPS0_EviiT3_lPKT2_lT1_lSA_lSB_lS7_lPT4_lSB_li ; -- Begin function _ZL20rocblas_gemvn_kernelILi64ELi16ElPK16rocblas_bfloat16PKfKPS0_EviiT3_lPKT2_lT1_lSA_lSB_lS7_lPT4_lSB_li
	.p2align	8
	.type	_ZL20rocblas_gemvn_kernelILi64ELi16ElPK16rocblas_bfloat16PKfKPS0_EviiT3_lPKT2_lT1_lSA_lSB_lS7_lPT4_lSB_li,@function
_ZL20rocblas_gemvn_kernelILi64ELi16ElPK16rocblas_bfloat16PKfKPS0_EviiT3_lPKT2_lT1_lSA_lSB_lS7_lPT4_lSB_li: ; @_ZL20rocblas_gemvn_kernelILi64ELi16ElPK16rocblas_bfloat16PKfKPS0_EviiT3_lPKT2_lT1_lSA_lSB_lS7_lPT4_lSB_li
; %bb.0:
	s_load_b64 s[4:5], s[0:1], 0x9c
	s_waitcnt lgkmcnt(0)
	s_lshr_b32 s3, s4, 16
	s_and_b32 s4, s4, 0xffff
	s_and_b32 s5, s5, 0xffff
	s_mul_i32 s3, s3, s4
	s_delay_alu instid0(SALU_CYCLE_1) | instskip(NEXT) | instid1(SALU_CYCLE_1)
	s_mul_i32 s3, s3, s5
	s_cmpk_lg_i32 s3, 0x400
	s_cbranch_scc1 .LBB595_74
; %bb.1:
	s_clause 0x1
	s_load_b256 s[16:23], s[0:1], 0x8
	s_load_b256 s[4:11], s[0:1], 0x58
	s_mov_b32 s2, s15
	s_waitcnt lgkmcnt(0)
	s_mul_i32 s3, s15, s19
	s_mul_hi_u32 s13, s15, s18
	s_mul_i32 s12, s15, s18
	s_add_i32 s13, s13, s3
	s_mul_i32 s3, s15, s7
	s_lshl_b64 s[12:13], s[12:13], 2
	s_mul_hi_u32 s7, s15, s6
	s_add_u32 s12, s16, s12
	s_addc_u32 s13, s17, s13
	s_add_i32 s7, s7, s3
	s_mul_i32 s6, s15, s6
	s_delay_alu instid0(SALU_CYCLE_1) | instskip(NEXT) | instid1(SALU_CYCLE_1)
	s_lshl_b64 s[6:7], s[6:7], 2
	s_add_u32 s4, s4, s6
	s_addc_u32 s5, s5, s7
	s_load_b32 s27, s[12:13], 0x0
	s_load_b32 s26, s[4:5], 0x0
	s_waitcnt lgkmcnt(0)
	v_cmp_eq_f32_e64 s15, s27, 0
	v_cmp_eq_f32_e64 s3, s26, 1.0
	s_delay_alu instid0(VALU_DEP_1) | instskip(NEXT) | instid1(SALU_CYCLE_1)
	s_and_b32 s3, s15, s3
	s_and_b32 vcc_lo, exec_lo, s3
	s_mov_b32 s3, 0
	s_cbranch_vccnz .LBB595_74
; %bb.2:
	s_clause 0x1
	s_load_b64 s[16:17], s[0:1], 0x28
	s_load_b64 s[12:13], s[0:1], 0x78
	v_cmp_neq_f32_e64 s28, s27, 0
	s_mov_b64 s[24:25], 0
	s_and_b32 vcc_lo, exec_lo, s15
	s_mov_b64 s[18:19], 0
	s_cbranch_vccnz .LBB595_4
; %bb.3:
	s_lshl_b64 s[4:5], s[2:3], 3
	s_delay_alu instid0(SALU_CYCLE_1)
	s_add_u32 s4, s20, s4
	s_addc_u32 s5, s21, s5
	s_lshl_b64 s[6:7], s[22:23], 1
	s_load_b64 s[4:5], s[4:5], 0x0
	s_waitcnt lgkmcnt(0)
	s_add_u32 s18, s4, s6
	s_addc_u32 s19, s5, s7
.LBB595_4:
	s_clause 0x1
	s_load_b128 s[4:7], s[0:1], 0x38
	s_load_b64 s[20:21], s[0:1], 0x48
	s_and_not1_b32 vcc_lo, exec_lo, s28
	s_cbranch_vccnz .LBB595_6
; %bb.5:
	s_lshl_b64 s[22:23], s[2:3], 3
	s_waitcnt lgkmcnt(0)
	s_add_u32 s4, s4, s22
	s_addc_u32 s5, s5, s23
	s_lshl_b64 s[6:7], s[6:7], 1
	s_load_b64 s[4:5], s[4:5], 0x0
	s_waitcnt lgkmcnt(0)
	s_add_u32 s24, s4, s6
	s_addc_u32 s25, s5, s7
.LBB595_6:
	s_lshl_b64 s[2:3], s[2:3], 3
	v_and_b32_e32 v20, 0x3ff, v0
	s_add_u32 s2, s8, s2
	s_addc_u32 s3, s9, s3
	v_bfe_u32 v21, v0, 10, 10
	s_load_b64 s[2:3], s[2:3], 0x0
	s_waitcnt lgkmcnt(0)
	s_load_b64 s[6:7], s[0:1], 0x0
	s_lshl_b64 s[8:9], s[10:11], 1
	v_lshl_add_u32 v19, v21, 6, v20
	s_delay_alu instid0(VALU_DEP_1)
	v_cmp_gt_u32_e64 s0, 0x100, v19
	s_add_u32 s5, s2, s8
	s_addc_u32 s22, s3, s9
	s_and_not1_b32 vcc_lo, exec_lo, s15
	s_cbranch_vccnz .LBB595_15
; %bb.7:
	s_mov_b32 s1, 0
	s_mov_b32 s23, 0
                                        ; implicit-def: $vgpr3
                                        ; implicit-def: $vgpr0_vgpr1
	s_and_saveexec_b32 s2, s0
	s_cbranch_execz .LBB595_16
; %bb.8:
	v_lshl_or_b32 v2, s14, 8, v19
	v_mov_b32_e32 v3, 0
	s_waitcnt lgkmcnt(0)
	s_ashr_i32 s9, s6, 31
	s_mov_b32 s8, s6
	s_mov_b32 s3, 0
                                        ; implicit-def: $vgpr0_vgpr1
	v_cmp_gt_i64_e32 vcc_lo, s[8:9], v[2:3]
                                        ; implicit-def: $vgpr3
	s_and_saveexec_b32 s0, vcc_lo
	s_cbranch_execz .LBB595_19
; %bb.9:
	v_mad_u64_u32 v[0:1], null, v2, s12, 0
	v_cmp_eq_f32_e64 s3, s26, 0
	s_delay_alu instid0(VALU_DEP_1) | instskip(NEXT) | instid1(VALU_DEP_2)
	s_and_b32 vcc_lo, exec_lo, s3
	v_mad_u64_u32 v[3:4], null, v2, s13, v[1:2]
	s_delay_alu instid0(VALU_DEP_1)
	v_mov_b32_e32 v1, v3
	s_cbranch_vccnz .LBB595_17
; %bb.10:
	s_delay_alu instid0(VALU_DEP_1) | instskip(NEXT) | instid1(VALU_DEP_1)
	v_lshlrev_b64 v[2:3], 1, v[0:1]
	v_add_co_u32 v2, vcc_lo, s5, v2
	s_delay_alu instid0(VALU_DEP_2) | instskip(SKIP_3) | instid1(VALU_DEP_1)
	v_add_co_ci_u32_e32 v3, vcc_lo, s22, v3, vcc_lo
	global_load_u16 v2, v[2:3], off
	s_waitcnt vmcnt(0)
	v_lshlrev_b32_e32 v2, 16, v2
	v_mul_f32_e32 v2, s26, v2
	s_delay_alu instid0(VALU_DEP_1) | instskip(NEXT) | instid1(VALU_DEP_1)
	v_and_b32_e32 v3, 0x7f800000, v2
	v_cmp_ne_u32_e32 vcc_lo, 0x7f800000, v3
                                        ; implicit-def: $vgpr3
	s_and_saveexec_b32 s3, vcc_lo
	s_delay_alu instid0(SALU_CYCLE_1)
	s_xor_b32 s3, exec_lo, s3
; %bb.11:
	v_bfe_u32 v3, v2, 16, 1
	s_delay_alu instid0(VALU_DEP_1)
	v_add3_u32 v3, v2, v3, 0x7fff
                                        ; implicit-def: $vgpr2
; %bb.12:
	s_and_not1_saveexec_b32 s3, s3
; %bb.13:
	v_and_b32_e32 v3, 0xffff, v2
	v_or_b32_e32 v4, 0x10000, v2
	s_delay_alu instid0(VALU_DEP_2) | instskip(NEXT) | instid1(VALU_DEP_2)
	v_cmp_eq_u32_e32 vcc_lo, 0, v3
	v_cndmask_b32_e32 v3, v4, v2, vcc_lo
; %bb.14:
	s_or_b32 exec_lo, exec_lo, s3
	s_delay_alu instid0(VALU_DEP_1)
	v_lshrrev_b32_e32 v3, 16, v3
	s_branch .LBB595_18
.LBB595_15:
	s_mov_b32 s23, 0
                                        ; implicit-def: $vgpr3
                                        ; implicit-def: $vgpr0_vgpr1
	s_cbranch_execnz .LBB595_20
	s_branch .LBB595_72
.LBB595_16:
	s_or_b32 exec_lo, exec_lo, s2
	s_delay_alu instid0(SALU_CYCLE_1)
	s_and_b32 vcc_lo, exec_lo, s1
	s_cbranch_vccnz .LBB595_20
	s_branch .LBB595_72
.LBB595_17:
	v_mov_b32_e32 v3, 0
.LBB595_18:
	s_mov_b32 s3, exec_lo
.LBB595_19:
	s_or_b32 exec_lo, exec_lo, s0
	s_delay_alu instid0(SALU_CYCLE_1) | instskip(SKIP_1) | instid1(SALU_CYCLE_1)
	s_and_b32 s23, s3, exec_lo
	s_or_b32 exec_lo, exec_lo, s2
	s_and_b32 vcc_lo, exec_lo, s1
	s_cbranch_vccz .LBB595_72
.LBB595_20:
	s_waitcnt lgkmcnt(0)
	s_ashr_i32 s0, s7, 31
	s_lshl_b32 s28, s14, 8
	s_lshr_b32 s0, s0, 26
	v_dual_mov_b32 v23, 0 :: v_dual_lshlrev_b32 v26, 2, v21
	v_dual_mov_b32 v22, 0 :: v_dual_mov_b32 v25, 0
	v_add_nc_u32_e32 v0, s28, v20
	v_mov_b32_e32 v24, 0
	s_add_i32 s29, s7, s0
	s_mov_b32 s30, exec_lo
	s_and_not1_b32 s29, s29, 63
	s_delay_alu instid0(SALU_CYCLE_1)
	v_cmpx_gt_i32_e64 s29, v26
	s_cbranch_execz .LBB595_32
; %bb.21:
	v_lshlrev_b32_e32 v29, 2, v21
	v_mad_u64_u32 v[5:6], null, s20, v21, 0
	v_add_nc_u32_e32 v2, 64, v0
	v_mad_u64_u32 v[7:8], null, s16, v21, 0
	s_delay_alu instid0(VALU_DEP_4) | instskip(SKIP_1) | instid1(VALU_DEP_4)
	v_or_b32_e32 v25, 3, v29
	v_add_nc_u32_e32 v9, 0x80, v0
	v_cmp_gt_i32_e64 s0, s6, v2
	v_ashrrev_i32_e32 v1, 31, v0
	v_cmp_gt_i32_e32 vcc_lo, s6, v0
	v_mad_u64_u32 v[3:4], null, s16, v25, 0
	v_mad_u64_u32 v[16:17], null, s20, v25, 0
	v_add_nc_u32_e32 v10, 0xc0, v0
	s_lshl_b64 s[8:9], s[16:17], 7
	s_lshl_b64 s[10:11], s[20:21], 7
	s_mov_b32 s31, 0
	s_delay_alu instid0(VALU_DEP_3)
	v_mov_b32_e32 v2, v4
	v_mov_b32_e32 v4, v6
	v_cmp_gt_i32_e64 s1, s6, v9
	v_cmp_gt_i32_e64 s2, s6, v10
	v_mov_b32_e32 v6, v8
	v_mad_u64_u32 v[9:10], null, s17, v25, v[2:3]
	v_or_b32_e32 v31, 2, v29
	v_mad_u64_u32 v[10:11], null, s21, v21, v[4:5]
	s_delay_alu instid0(VALU_DEP_4) | instskip(SKIP_1) | instid1(VALU_DEP_4)
	v_mad_u64_u32 v[11:12], null, s17, v21, v[6:7]
	v_mad_u64_u32 v[12:13], null, s20, v29, s[20:21]
	;; [unrolled: 1-line block ×3, first 2 shown]
	v_mov_b32_e32 v4, v9
	v_mov_b32_e32 v6, v10
	v_lshlrev_b64 v[1:2], 1, v[0:1]
	s_mov_b64 s[14:15], s[24:25]
	s_delay_alu instid0(VALU_DEP_3) | instskip(NEXT) | instid1(VALU_DEP_3)
	v_lshlrev_b64 v[9:10], 1, v[3:4]
	v_lshlrev_b64 v[3:4], 3, v[5:6]
	v_dual_mov_b32 v5, v15 :: v_dual_mov_b32 v6, v13
	s_delay_alu instid0(VALU_DEP_3) | instskip(NEXT) | instid1(VALU_DEP_2)
	v_add_co_u32 v27, s3, s18, v9
	v_mad_u64_u32 v[22:23], null, s17, v31, v[5:6]
	v_mov_b32_e32 v5, v17
	v_add_co_ci_u32_e64 v28, s3, s19, v10, s3
	v_mad_u64_u32 v[9:10], null, s16, v29, s[16:17]
	s_delay_alu instid0(VALU_DEP_3) | instskip(SKIP_2) | instid1(VALU_DEP_4)
	v_mad_u64_u32 v[23:24], null, s21, v25, v[5:6]
	v_mad_u64_u32 v[24:25], null, s20, v31, 0
	v_dual_mov_b32 v8, v11 :: v_dual_mov_b32 v15, v22
	v_mov_b32_e32 v5, v10
	s_delay_alu instid0(VALU_DEP_2) | instskip(NEXT) | instid1(VALU_DEP_2)
	v_lshlrev_b64 v[14:15], 1, v[14:15]
	v_mad_u64_u32 v[10:11], null, s17, v29, v[5:6]
	v_mov_b32_e32 v5, v25
	v_lshlrev_b64 v[7:8], 3, v[7:8]
	s_delay_alu instid0(VALU_DEP_3) | instskip(NEXT) | instid1(VALU_DEP_2)
	v_lshlrev_b64 v[9:10], 1, v[9:10]
	v_mad_u64_u32 v[17:18], null, s21, v29, v[6:7]
	v_add_co_u32 v29, s3, s18, v7
	s_delay_alu instid0(VALU_DEP_1) | instskip(NEXT) | instid1(VALU_DEP_3)
	v_add_co_ci_u32_e64 v30, s3, s19, v8, s3
	v_mov_b32_e32 v13, v17
	v_mov_b32_e32 v17, v23
	v_mad_u64_u32 v[22:23], null, s21, v31, v[5:6]
	v_add_co_u32 v31, s3, s18, v14
	s_delay_alu instid0(VALU_DEP_1) | instskip(SKIP_1) | instid1(VALU_DEP_4)
	v_add_co_ci_u32_e64 v32, s3, s19, v15, s3
	v_add_co_u32 v33, s3, s18, v9
	v_dual_mov_b32 v25, v22 :: v_dual_mov_b32 v22, 0
	v_lshlrev_b64 v[5:6], 1, v[12:13]
	v_lshlrev_b64 v[7:8], 1, v[16:17]
	v_add_co_ci_u32_e64 v34, s3, s19, v10, s3
	s_delay_alu instid0(VALU_DEP_4)
	v_lshlrev_b64 v[9:10], 1, v[24:25]
	v_dual_mov_b32 v23, 0 :: v_dual_mov_b32 v24, 0
	v_mov_b32_e32 v25, 0
	s_branch .LBB595_26
.LBB595_22:                             ;   in Loop: Header=BB595_26 Depth=1
	s_or_b32 exec_lo, exec_lo, s34
	s_waitcnt vmcnt(2) lgkmcnt(2)
	v_lshlrev_b32_e32 v12, 16, v49
	v_lshlrev_b32_e32 v11, 16, v50
	s_waitcnt vmcnt(1) lgkmcnt(1)
	s_delay_alu instid0(VALU_DEP_1) | instskip(NEXT) | instid1(VALU_DEP_1)
	v_dual_fmac_f32 v24, v42, v11 :: v_dual_lshlrev_b32 v11, 16, v48
	v_fmac_f32_e32 v24, v40, v12
	s_delay_alu instid0(VALU_DEP_1) | instskip(SKIP_2) | instid1(VALU_DEP_1)
	v_fmac_f32_e32 v24, v38, v11
	s_waitcnt vmcnt(0) lgkmcnt(0)
	v_lshlrev_b32_e32 v11, 16, v47
	v_fmac_f32_e32 v24, v37, v11
.LBB595_23:                             ;   in Loop: Header=BB595_26 Depth=1
	s_or_b32 exec_lo, exec_lo, s33
	s_waitcnt vmcnt(3) lgkmcnt(3)
	v_lshlrev_b32_e32 v11, 16, v46
	s_waitcnt vmcnt(2) lgkmcnt(2)
	s_delay_alu instid0(VALU_DEP_1) | instskip(SKIP_2) | instid1(VALU_DEP_2)
	v_dual_fmac_f32 v23, v42, v11 :: v_dual_lshlrev_b32 v12, 16, v45
	s_waitcnt vmcnt(1) lgkmcnt(1)
	v_lshlrev_b32_e32 v11, 16, v44
	v_fmac_f32_e32 v23, v40, v12
	s_delay_alu instid0(VALU_DEP_1) | instskip(SKIP_2) | instid1(VALU_DEP_1)
	v_fmac_f32_e32 v23, v38, v11
	s_waitcnt vmcnt(0) lgkmcnt(0)
	v_lshlrev_b32_e32 v11, 16, v43
	v_fmac_f32_e32 v23, v37, v11
.LBB595_24:                             ;   in Loop: Header=BB595_26 Depth=1
	s_or_b32 exec_lo, exec_lo, s3
	s_waitcnt vmcnt(2) lgkmcnt(2)
	v_lshlrev_b32_e32 v12, 16, v39
	v_lshlrev_b32_e32 v11, 16, v41
	s_waitcnt vmcnt(1) lgkmcnt(1)
	s_delay_alu instid0(VALU_DEP_1) | instskip(NEXT) | instid1(VALU_DEP_1)
	v_dual_fmac_f32 v22, v42, v11 :: v_dual_lshlrev_b32 v11, 16, v36
	v_fmac_f32_e32 v22, v40, v12
	s_delay_alu instid0(VALU_DEP_1) | instskip(SKIP_2) | instid1(VALU_DEP_1)
	v_fmac_f32_e32 v22, v38, v11
	s_waitcnt vmcnt(0) lgkmcnt(0)
	v_lshlrev_b32_e32 v11, 16, v35
	v_fmac_f32_e32 v22, v37, v11
.LBB595_25:                             ;   in Loop: Header=BB595_26 Depth=1
	s_or_b32 exec_lo, exec_lo, s4
	v_add_co_u32 v27, s3, v27, s8
	s_delay_alu instid0(VALU_DEP_1) | instskip(SKIP_4) | instid1(VALU_DEP_1)
	v_add_co_ci_u32_e64 v28, s3, s9, v28, s3
	v_add_co_u32 v29, s3, v29, s8
	v_add_nc_u32_e32 v26, 64, v26
	v_add_co_ci_u32_e64 v30, s3, s9, v30, s3
	v_add_co_u32 v31, s3, v31, s8
	v_add_co_ci_u32_e64 v32, s3, s9, v32, s3
	s_delay_alu instid0(VALU_DEP_4) | instskip(SKIP_1) | instid1(VALU_DEP_1)
	v_cmp_le_i32_e64 s3, s29, v26
	v_add_co_u32 v33, s4, v33, s8
	v_add_co_ci_u32_e64 v34, s4, s9, v34, s4
	s_add_u32 s14, s14, s10
	s_addc_u32 s15, s15, s11
	s_or_b32 s31, s3, s31
	s_delay_alu instid0(SALU_CYCLE_1)
	s_and_not1_b32 exec_lo, exec_lo, s31
	s_cbranch_execz .LBB595_31
.LBB595_26:                             ; =>This Inner Loop Header: Depth=1
	s_and_saveexec_b32 s4, vcc_lo
	s_cbranch_execz .LBB595_25
; %bb.27:                               ;   in Loop: Header=BB595_26 Depth=1
	v_add_co_u32 v11, s3, s14, v3
	s_delay_alu instid0(VALU_DEP_1) | instskip(SKIP_1) | instid1(VALU_DEP_1)
	v_add_co_ci_u32_e64 v12, s3, s15, v4, s3
	v_add_co_u32 v13, s3, s14, v5
	v_add_co_ci_u32_e64 v14, s3, s15, v6, s3
	v_add_co_u32 v15, s3, s14, v9
	s_delay_alu instid0(VALU_DEP_1) | instskip(SKIP_1) | instid1(VALU_DEP_1)
	v_add_co_ci_u32_e64 v16, s3, s15, v10, s3
	v_add_co_u32 v17, s3, s14, v7
	v_add_co_ci_u32_e64 v18, s3, s15, v8, s3
	s_clause 0x3
	flat_load_u16 v37, v[11:12]
	flat_load_u16 v38, v[13:14]
	;; [unrolled: 1-line block ×4, first 2 shown]
	v_add_co_u32 v11, s3, v29, v1
	s_delay_alu instid0(VALU_DEP_1) | instskip(SKIP_1) | instid1(VALU_DEP_1)
	v_add_co_ci_u32_e64 v12, s3, v30, v2, s3
	v_add_co_u32 v13, s3, v33, v1
	v_add_co_ci_u32_e64 v14, s3, v34, v2, s3
	v_add_co_u32 v15, s3, v31, v1
	s_delay_alu instid0(VALU_DEP_1) | instskip(SKIP_1) | instid1(VALU_DEP_1)
	v_add_co_ci_u32_e64 v16, s3, v32, v2, s3
	v_add_co_u32 v17, s3, v27, v1
	v_add_co_ci_u32_e64 v18, s3, v28, v2, s3
	flat_load_u16 v41, v[11:12]
	flat_load_u16 v39, v[13:14]
	;; [unrolled: 1-line block ×4, first 2 shown]
	s_waitcnt vmcnt(7) lgkmcnt(7)
	v_lshlrev_b32_e32 v42, 16, v37
	s_waitcnt vmcnt(6) lgkmcnt(6)
	v_lshlrev_b32_e32 v40, 16, v38
	;; [unrolled: 2-line block ×4, first 2 shown]
	s_and_saveexec_b32 s3, s0
	s_cbranch_execz .LBB595_24
; %bb.28:                               ;   in Loop: Header=BB595_26 Depth=1
	flat_load_u16 v46, v[11:12] offset:128
	flat_load_u16 v45, v[13:14] offset:128
	flat_load_u16 v44, v[15:16] offset:128
	flat_load_u16 v43, v[17:18] offset:128
	s_and_saveexec_b32 s33, s1
	s_cbranch_execz .LBB595_23
; %bb.29:                               ;   in Loop: Header=BB595_26 Depth=1
	flat_load_u16 v50, v[11:12] offset:256
	flat_load_u16 v49, v[13:14] offset:256
	flat_load_u16 v48, v[15:16] offset:256
	flat_load_u16 v47, v[17:18] offset:256
	;; [unrolled: 7-line block ×3, first 2 shown]
	s_waitcnt vmcnt(3) lgkmcnt(3)
	v_lshlrev_b32_e32 v11, 16, v11
	s_waitcnt vmcnt(2) lgkmcnt(2)
	s_delay_alu instid0(VALU_DEP_1) | instskip(SKIP_2) | instid1(VALU_DEP_2)
	v_dual_fmac_f32 v25, v42, v11 :: v_dual_lshlrev_b32 v12, 16, v12
	s_waitcnt vmcnt(1) lgkmcnt(1)
	v_lshlrev_b32_e32 v11, 16, v13
	v_fmac_f32_e32 v25, v40, v12
	s_delay_alu instid0(VALU_DEP_1) | instskip(SKIP_2) | instid1(VALU_DEP_1)
	v_fmac_f32_e32 v25, v38, v11
	s_waitcnt vmcnt(0) lgkmcnt(0)
	v_lshlrev_b32_e32 v11, 16, v14
	v_fmac_f32_e32 v25, v37, v11
	s_branch .LBB595_22
.LBB595_31:
	s_or_b32 exec_lo, exec_lo, s31
.LBB595_32:
	s_delay_alu instid0(SALU_CYCLE_1) | instskip(SKIP_1) | instid1(SALU_CYCLE_1)
	s_or_b32 exec_lo, exec_lo, s30
	s_sub_i32 s0, s7, s29
	s_cmp_lt_i32 s0, 1
	s_cbranch_scc1 .LBB595_50
; %bb.33:
	v_cmp_gt_i32_e32 vcc_lo, s7, v26
	v_dual_mov_b32 v9, 0 :: v_dual_mov_b32 v10, 0
	v_or_b32_e32 v2, 1, v26
	v_dual_mov_b32 v11, 0 :: v_dual_mov_b32 v12, 0
	s_and_saveexec_b32 s1, vcc_lo
	s_cbranch_execz .LBB595_41
; %bb.34:
	v_mad_u64_u32 v[3:4], null, v26, s20, 0
	v_mov_b32_e32 v11, 0
	v_mov_b32_e32 v9, 0
	s_mov_b32 s2, exec_lo
	s_delay_alu instid0(VALU_DEP_3) | instskip(NEXT) | instid1(VALU_DEP_1)
	v_dual_mov_b32 v10, 0 :: v_dual_mov_b32 v1, v4
	v_mad_u64_u32 v[4:5], null, v26, s21, v[1:2]
	s_delay_alu instid0(VALU_DEP_1) | instskip(NEXT) | instid1(VALU_DEP_1)
	v_lshlrev_b64 v[3:4], 1, v[3:4]
	v_add_co_u32 v3, s0, s24, v3
	s_delay_alu instid0(VALU_DEP_1)
	v_add_co_ci_u32_e64 v4, s0, s25, v4, s0
	flat_load_u16 v1, v[3:4]
	v_cmpx_gt_i32_e64 s7, v2
	s_cbranch_execz .LBB595_40
; %bb.35:
	v_mad_u64_u32 v[3:4], null, v2, s20, 0
	v_mov_b32_e32 v10, 0
	s_mov_b32 s3, exec_lo
	v_mov_b32_e32 v9, 0
	s_delay_alu instid0(VALU_DEP_3) | instskip(NEXT) | instid1(VALU_DEP_1)
	v_mad_u64_u32 v[5:6], null, v2, s21, v[4:5]
	v_mov_b32_e32 v4, v5
	s_delay_alu instid0(VALU_DEP_1) | instskip(NEXT) | instid1(VALU_DEP_1)
	v_lshlrev_b64 v[3:4], 1, v[3:4]
	v_add_co_u32 v3, s0, s24, v3
	s_delay_alu instid0(VALU_DEP_1) | instskip(SKIP_2) | instid1(VALU_DEP_1)
	v_add_co_ci_u32_e64 v4, s0, s25, v4, s0
	flat_load_u16 v3, v[3:4]
	v_or_b32_e32 v4, 2, v26
	v_cmpx_gt_i32_e64 s7, v4
	s_cbranch_execz .LBB595_39
; %bb.36:
	v_mad_u64_u32 v[5:6], null, v4, s20, 0
	s_mov_b32 s4, exec_lo
	v_mov_b32_e32 v9, 0
	s_delay_alu instid0(VALU_DEP_2) | instskip(NEXT) | instid1(VALU_DEP_1)
	v_mad_u64_u32 v[7:8], null, v4, s21, v[6:7]
	v_mov_b32_e32 v6, v7
	s_delay_alu instid0(VALU_DEP_1) | instskip(NEXT) | instid1(VALU_DEP_1)
	v_lshlrev_b64 v[4:5], 1, v[5:6]
	v_add_co_u32 v4, s0, s24, v4
	s_delay_alu instid0(VALU_DEP_1) | instskip(SKIP_2) | instid1(VALU_DEP_1)
	v_add_co_ci_u32_e64 v5, s0, s25, v5, s0
	flat_load_u16 v4, v[4:5]
	v_or_b32_e32 v5, 3, v26
	v_cmpx_gt_i32_e64 s7, v5
	s_cbranch_execz .LBB595_38
; %bb.37:
	v_mad_u64_u32 v[6:7], null, v5, s20, 0
	s_delay_alu instid0(VALU_DEP_1) | instskip(NEXT) | instid1(VALU_DEP_1)
	v_mad_u64_u32 v[8:9], null, v5, s21, v[7:8]
	v_mov_b32_e32 v7, v8
	s_delay_alu instid0(VALU_DEP_1) | instskip(NEXT) | instid1(VALU_DEP_1)
	v_lshlrev_b64 v[5:6], 1, v[6:7]
	v_add_co_u32 v5, s0, s24, v5
	s_delay_alu instid0(VALU_DEP_1)
	v_add_co_ci_u32_e64 v6, s0, s25, v6, s0
	flat_load_u16 v5, v[5:6]
	s_waitcnt vmcnt(0) lgkmcnt(0)
	v_lshlrev_b32_e32 v9, 16, v5
.LBB595_38:
	s_or_b32 exec_lo, exec_lo, s4
	s_waitcnt vmcnt(0) lgkmcnt(0)
	v_lshlrev_b32_e32 v10, 16, v4
.LBB595_39:
	s_or_b32 exec_lo, exec_lo, s3
	s_waitcnt vmcnt(0) lgkmcnt(0)
	v_lshlrev_b32_e32 v11, 16, v3
.LBB595_40:
	s_or_b32 exec_lo, exec_lo, s2
	s_waitcnt vmcnt(0) lgkmcnt(0)
	v_lshlrev_b32_e32 v12, 16, v1
.LBB595_41:
	s_or_b32 exec_lo, exec_lo, s1
	s_delay_alu instid0(SALU_CYCLE_1)
	s_mov_b32 s1, exec_lo
	v_cmpx_gt_i32_e64 s6, v0
	s_cbranch_execz .LBB595_49
; %bb.42:
	v_mad_u64_u32 v[3:4], null, v26, s16, 0
	v_mad_u64_u32 v[5:6], null, v2, s16, 0
	v_ashrrev_i32_e32 v1, 31, v0
	v_or_b32_e32 v28, 2, v26
	v_or_b32_e32 v29, 3, v26
	v_cndmask_b32_e32 v3, 0, v3, vcc_lo
	s_delay_alu instid0(VALU_DEP_4)
	v_lshlrev_b64 v[13:14], 1, v[0:1]
	v_mad_u64_u32 v[7:8], null, v26, s17, v[4:5]
	v_mov_b32_e32 v1, v6
	v_mad_u64_u32 v[15:16], null, v28, s16, 0
	v_mad_u64_u32 v[17:18], null, v29, s16, 0
	v_cmp_gt_i32_e64 s0, s7, v28
	v_cndmask_b32_e32 v4, 0, v7, vcc_lo
	v_mad_u64_u32 v[6:7], null, v2, s17, v[1:2]
	v_cmp_gt_i32_e32 vcc_lo, s7, v2
	v_mov_b32_e32 v1, v16
	v_dual_mov_b32 v7, v18 :: v_dual_cndmask_b32 v2, 0, v5
	v_lshlrev_b64 v[4:5], 1, v[3:4]
	v_cndmask_b32_e32 v3, 0, v6, vcc_lo
	s_delay_alu instid0(VALU_DEP_3) | instskip(NEXT) | instid1(VALU_DEP_3)
	v_mad_u64_u32 v[26:27], null, v28, s17, v[1:2]
	v_add_co_u32 v1, vcc_lo, s18, v4
	s_delay_alu instid0(VALU_DEP_4) | instskip(NEXT) | instid1(VALU_DEP_4)
	v_add_co_ci_u32_e32 v5, vcc_lo, s19, v5, vcc_lo
	v_lshlrev_b64 v[3:4], 1, v[2:3]
	s_delay_alu instid0(VALU_DEP_3) | instskip(NEXT) | instid1(VALU_DEP_3)
	v_add_co_u32 v1, vcc_lo, v1, v13
	v_add_co_ci_u32_e32 v2, vcc_lo, v5, v14, vcc_lo
	v_cndmask_b32_e64 v5, 0, v15, s0
	s_delay_alu instid0(VALU_DEP_4) | instskip(SKIP_3) | instid1(VALU_DEP_4)
	v_add_co_u32 v3, vcc_lo, s18, v3
	v_add_co_ci_u32_e32 v4, vcc_lo, s19, v4, vcc_lo
	v_mad_u64_u32 v[15:16], null, v29, s17, v[7:8]
	v_cndmask_b32_e64 v6, 0, v26, s0
	v_add_co_u32 v3, s0, v3, v13
	v_cmp_gt_i32_e32 vcc_lo, s7, v29
	v_add_co_ci_u32_e64 v4, s0, v4, v14, s0
	s_delay_alu instid0(VALU_DEP_4)
	v_lshlrev_b64 v[5:6], 1, v[5:6]
	s_mov_b32 s0, exec_lo
	v_cndmask_b32_e32 v8, 0, v15, vcc_lo
	s_clause 0x1
	flat_load_u16 v15, v[1:2]
	flat_load_u16 v16, v[3:4]
	s_waitcnt vmcnt(1) lgkmcnt(1)
	v_lshlrev_b32_e32 v15, 16, v15
	s_waitcnt vmcnt(0) lgkmcnt(0)
	v_lshlrev_b32_e32 v16, 16, v16
	s_delay_alu instid0(VALU_DEP_2) | instskip(SKIP_2) | instid1(VALU_DEP_3)
	v_dual_fmac_f32 v22, v12, v15 :: v_dual_cndmask_b32 v7, 0, v17
	v_add_co_u32 v5, vcc_lo, s18, v5
	v_add_co_ci_u32_e32 v6, vcc_lo, s19, v6, vcc_lo
	v_fmac_f32_e32 v22, v11, v16
	s_delay_alu instid0(VALU_DEP_4) | instskip(SKIP_1) | instid1(VALU_DEP_2)
	v_lshlrev_b64 v[7:8], 1, v[7:8]
	v_add_nc_u32_e32 v16, 64, v0
	v_add_co_u32 v17, vcc_lo, s18, v7
	s_delay_alu instid0(VALU_DEP_3) | instskip(SKIP_2) | instid1(VALU_DEP_4)
	v_add_co_ci_u32_e32 v18, vcc_lo, s19, v8, vcc_lo
	v_add_co_u32 v7, vcc_lo, v5, v13
	v_add_co_ci_u32_e32 v8, vcc_lo, v6, v14, vcc_lo
	v_add_co_u32 v5, vcc_lo, v17, v13
	s_delay_alu instid0(VALU_DEP_4)
	v_add_co_ci_u32_e32 v6, vcc_lo, v18, v14, vcc_lo
	s_clause 0x1
	flat_load_u16 v13, v[7:8]
	flat_load_u16 v14, v[5:6]
	s_waitcnt vmcnt(1) lgkmcnt(1)
	v_lshlrev_b32_e32 v15, 16, v13
	s_waitcnt vmcnt(0) lgkmcnt(0)
	s_delay_alu instid0(VALU_DEP_1)
	v_dual_fmac_f32 v22, v10, v15 :: v_dual_lshlrev_b32 v13, 16, v14
	v_cmpx_gt_i32_e64 s6, v16
	s_cbranch_execz .LBB595_48
; %bb.43:
	s_clause 0x3
	flat_load_u16 v14, v[1:2] offset:128
	flat_load_u16 v15, v[3:4] offset:128
	;; [unrolled: 1-line block ×4, first 2 shown]
	s_mov_b32 s2, exec_lo
	s_waitcnt vmcnt(2) lgkmcnt(2)
	v_lshlrev_b32_e32 v15, 16, v15
	v_lshlrev_b32_e32 v14, 16, v14
	s_waitcnt vmcnt(1) lgkmcnt(1)
	s_delay_alu instid0(VALU_DEP_1) | instskip(NEXT) | instid1(VALU_DEP_1)
	v_dual_fmac_f32 v23, v12, v14 :: v_dual_lshlrev_b32 v16, 16, v16
	v_fmac_f32_e32 v23, v11, v15
	v_add_nc_u32_e32 v15, 0x80, v0
	s_waitcnt vmcnt(0) lgkmcnt(0)
	s_delay_alu instid0(VALU_DEP_2) | instskip(NEXT) | instid1(VALU_DEP_2)
	v_dual_fmac_f32 v23, v10, v16 :: v_dual_lshlrev_b32 v14, 16, v17
	v_cmpx_gt_i32_e64 s6, v15
	s_cbranch_execz .LBB595_47
; %bb.44:
	s_clause 0x3
	flat_load_u16 v15, v[1:2] offset:256
	flat_load_u16 v16, v[3:4] offset:256
	;; [unrolled: 1-line block ×4, first 2 shown]
	s_mov_b32 s3, exec_lo
	s_waitcnt vmcnt(2) lgkmcnt(2)
	v_lshlrev_b32_e32 v16, 16, v16
	v_lshlrev_b32_e32 v15, 16, v15
	s_waitcnt vmcnt(1) lgkmcnt(1)
	s_delay_alu instid0(VALU_DEP_1) | instskip(NEXT) | instid1(VALU_DEP_1)
	v_dual_fmac_f32 v24, v12, v15 :: v_dual_lshlrev_b32 v15, 16, v17
	v_fmac_f32_e32 v24, v11, v16
	v_add_nc_u32_e32 v16, 0xc0, v0
	s_waitcnt vmcnt(0) lgkmcnt(0)
	v_lshlrev_b32_e32 v0, 16, v18
	s_delay_alu instid0(VALU_DEP_3) | instskip(NEXT) | instid1(VALU_DEP_3)
	v_fmac_f32_e32 v24, v10, v15
	v_cmpx_gt_i32_e64 s6, v16
	s_cbranch_execz .LBB595_46
; %bb.45:
	s_clause 0x3
	flat_load_u16 v1, v[1:2] offset:384
	flat_load_u16 v2, v[3:4] offset:384
	;; [unrolled: 1-line block ×4, first 2 shown]
	s_waitcnt vmcnt(3) lgkmcnt(3)
	v_lshlrev_b32_e32 v1, 16, v1
	s_waitcnt vmcnt(2) lgkmcnt(2)
	s_delay_alu instid0(VALU_DEP_1) | instskip(SKIP_2) | instid1(VALU_DEP_2)
	v_dual_fmac_f32 v25, v12, v1 :: v_dual_lshlrev_b32 v2, 16, v2
	s_waitcnt vmcnt(1) lgkmcnt(1)
	v_lshlrev_b32_e32 v1, 16, v3
	v_fmac_f32_e32 v25, v11, v2
	s_delay_alu instid0(VALU_DEP_1) | instskip(SKIP_2) | instid1(VALU_DEP_1)
	v_fmac_f32_e32 v25, v10, v1
	s_waitcnt vmcnt(0) lgkmcnt(0)
	v_lshlrev_b32_e32 v1, 16, v4
	v_fmac_f32_e32 v25, v9, v1
.LBB595_46:
	s_or_b32 exec_lo, exec_lo, s3
	s_delay_alu instid0(VALU_DEP_2)
	v_fmac_f32_e32 v24, v9, v0
.LBB595_47:
	s_or_b32 exec_lo, exec_lo, s2
	s_delay_alu instid0(VALU_DEP_2)
	v_fmac_f32_e32 v23, v9, v14
.LBB595_48:
	s_or_b32 exec_lo, exec_lo, s0
	s_delay_alu instid0(VALU_DEP_2)
	v_fmac_f32_e32 v22, v9, v13
.LBB595_49:
	s_or_b32 exec_lo, exec_lo, s1
.LBB595_50:
	v_lshlrev_b32_e32 v0, 8, v21
	s_mov_b32 s0, exec_lo
                                        ; implicit-def: $vgpr3
	s_delay_alu instid0(VALU_DEP_1)
	v_add_lshl_u32 v0, v0, v20, 2
	ds_store_2addr_stride64_b32 v0, v22, v23 offset1:1
	ds_store_2addr_stride64_b32 v0, v24, v25 offset0:2 offset1:3
	s_waitcnt lgkmcnt(0)
	s_barrier
	buffer_gl0_inv
                                        ; implicit-def: $vgpr0_vgpr1
	v_cmpx_gt_u32_e32 0x100, v19
	s_cbranch_execz .LBB595_71
; %bb.51:
	v_lshlrev_b32_e32 v6, 2, v19
	s_mov_b32 s2, s23
	s_mov_b32 s1, exec_lo
	ds_load_2addr_stride64_b32 v[0:1], v6 offset1:4
	ds_load_2addr_stride64_b32 v[2:3], v6 offset0:8 offset1:12
	ds_load_2addr_stride64_b32 v[4:5], v6 offset0:16 offset1:20
	s_waitcnt lgkmcnt(2)
	v_add_f32_e32 v7, v0, v1
	ds_load_2addr_stride64_b32 v[0:1], v6 offset0:24 offset1:28
	s_waitcnt lgkmcnt(2)
	v_add_f32_e32 v2, v2, v7
	s_delay_alu instid0(VALU_DEP_1) | instskip(SKIP_3) | instid1(VALU_DEP_1)
	v_add_f32_e32 v7, v3, v2
	ds_load_2addr_stride64_b32 v[2:3], v6 offset0:32 offset1:36
	s_waitcnt lgkmcnt(2)
	v_add_f32_e32 v4, v4, v7
	v_add_f32_e32 v7, v5, v4
	ds_load_2addr_stride64_b32 v[4:5], v6 offset0:40 offset1:44
	s_waitcnt lgkmcnt(2)
	v_add_f32_e32 v0, v0, v7
	s_delay_alu instid0(VALU_DEP_1) | instskip(SKIP_1) | instid1(VALU_DEP_1)
	v_add_f32_e32 v0, v1, v0
	s_waitcnt lgkmcnt(1)
	v_add_f32_e32 v2, v2, v0
	ds_load_2addr_stride64_b32 v[0:1], v6 offset0:48 offset1:52
	v_add_f32_e32 v2, v3, v2
	s_waitcnt lgkmcnt(1)
	s_delay_alu instid0(VALU_DEP_1) | instskip(SKIP_3) | instid1(VALU_DEP_1)
	v_add_f32_e32 v4, v4, v2
	ds_load_2addr_stride64_b32 v[2:3], v6 offset0:56 offset1:60
	v_add_f32_e32 v4, v5, v4
	s_waitcnt lgkmcnt(1)
	v_add_f32_e32 v0, v0, v4
	s_delay_alu instid0(VALU_DEP_1) | instskip(SKIP_1) | instid1(VALU_DEP_1)
	v_add_f32_e32 v0, v1, v0
	s_waitcnt lgkmcnt(0)
	v_add_f32_e32 v0, v2, v0
	v_or_b32_e32 v2, s28, v19
	s_delay_alu instid0(VALU_DEP_2)
	v_add_f32_e32 v4, v3, v0
                                        ; implicit-def: $vgpr3
                                        ; implicit-def: $vgpr0_vgpr1
	ds_store_b32 v6, v4
	v_cmpx_gt_i32_e64 s6, v2
	s_cbranch_execz .LBB595_70
; %bb.52:
	v_cmp_eq_f32_e64 s2, s26, 0
	v_mul_f32_e32 v0, s27, v4
	s_delay_alu instid0(VALU_DEP_2)
	s_and_b32 vcc_lo, exec_lo, s2
	s_cbranch_vccz .LBB595_58
; %bb.53:
	s_delay_alu instid0(VALU_DEP_1) | instskip(SKIP_1) | instid1(VALU_DEP_1)
	v_and_b32_e32 v1, 0x7f800000, v0
	s_mov_b32 s2, exec_lo
                                        ; implicit-def: $vgpr3
	v_cmpx_ne_u32_e32 0x7f800000, v1
	s_xor_b32 s2, exec_lo, s2
; %bb.54:
	v_bfe_u32 v1, v0, 16, 1
	s_delay_alu instid0(VALU_DEP_1)
	v_add3_u32 v3, v0, v1, 0x7fff
; %bb.55:
	s_and_not1_saveexec_b32 s2, s2
; %bb.56:
	v_and_b32_e32 v1, 0xffff, v0
	v_or_b32_e32 v3, 0x10000, v0
	s_delay_alu instid0(VALU_DEP_2) | instskip(NEXT) | instid1(VALU_DEP_2)
	v_cmp_eq_u32_e32 vcc_lo, 0, v1
	v_cndmask_b32_e32 v3, v3, v0, vcc_lo
; %bb.57:
	s_or_b32 exec_lo, exec_lo, s2
	s_mov_b32 s2, 0
	s_branch .LBB595_59
.LBB595_58:
	s_mov_b32 s2, -1
                                        ; implicit-def: $vgpr3
.LBB595_59:
	v_ashrrev_i32_e32 v1, 31, v2
	v_mul_lo_u32 v4, v2, s13
	s_and_not1_b32 vcc_lo, exec_lo, s2
	s_delay_alu instid0(VALU_DEP_2)
	v_mul_lo_u32 v5, v1, s12
	s_cbranch_vccnz .LBB595_69
; %bb.60:
	v_mad_u64_u32 v[6:7], null, v2, s12, 0
	s_delay_alu instid0(VALU_DEP_1) | instskip(NEXT) | instid1(VALU_DEP_1)
	v_add3_u32 v7, v7, v4, v5
	v_lshlrev_b64 v[6:7], 1, v[6:7]
	s_delay_alu instid0(VALU_DEP_1) | instskip(NEXT) | instid1(VALU_DEP_2)
	v_add_co_u32 v6, vcc_lo, s5, v6
	v_add_co_ci_u32_e32 v7, vcc_lo, s22, v7, vcc_lo
	global_load_u16 v1, v[6:7], off
	s_waitcnt vmcnt(0)
	v_lshlrev_b32_e32 v1, 16, v1
	s_delay_alu instid0(VALU_DEP_1) | instskip(NEXT) | instid1(VALU_DEP_1)
	v_mul_f32_e32 v1, s26, v1
	v_and_b32_e32 v3, 0x7f800000, v1
	s_delay_alu instid0(VALU_DEP_1) | instskip(SKIP_1) | instid1(SALU_CYCLE_1)
	v_cmp_ne_u32_e32 vcc_lo, 0x7f800000, v3
                                        ; implicit-def: $vgpr3
	s_and_saveexec_b32 s2, vcc_lo
	s_xor_b32 s2, exec_lo, s2
; %bb.61:
	v_bfe_u32 v3, v1, 16, 1
	s_delay_alu instid0(VALU_DEP_1)
	v_add3_u32 v3, v1, v3, 0x7fff
                                        ; implicit-def: $vgpr1
; %bb.62:
	s_and_not1_saveexec_b32 s2, s2
; %bb.63:
	v_and_b32_e32 v3, 0xffff, v1
	v_or_b32_e32 v6, 0x10000, v1
	s_delay_alu instid0(VALU_DEP_2) | instskip(NEXT) | instid1(VALU_DEP_2)
	v_cmp_eq_u32_e32 vcc_lo, 0, v3
	v_cndmask_b32_e32 v3, v6, v1, vcc_lo
; %bb.64:
	s_or_b32 exec_lo, exec_lo, s2
	s_delay_alu instid0(VALU_DEP_1) | instskip(SKIP_1) | instid1(VALU_DEP_1)
	v_and_b32_e32 v1, 0xffff0000, v3
	s_mov_b32 s2, exec_lo
                                        ; implicit-def: $vgpr3
	v_add_f32_e32 v0, v0, v1
	s_delay_alu instid0(VALU_DEP_1) | instskip(NEXT) | instid1(VALU_DEP_1)
	v_and_b32_e32 v1, 0x7f800000, v0
	v_cmpx_ne_u32_e32 0x7f800000, v1
	s_xor_b32 s2, exec_lo, s2
; %bb.65:
	v_bfe_u32 v1, v0, 16, 1
	s_delay_alu instid0(VALU_DEP_1)
	v_add3_u32 v3, v0, v1, 0x7fff
                                        ; implicit-def: $vgpr0
; %bb.66:
	s_and_not1_saveexec_b32 s2, s2
; %bb.67:
	v_and_b32_e32 v1, 0xffff, v0
	v_or_b32_e32 v3, 0x10000, v0
	s_delay_alu instid0(VALU_DEP_2) | instskip(NEXT) | instid1(VALU_DEP_2)
	v_cmp_eq_u32_e32 vcc_lo, 0, v1
	v_cndmask_b32_e32 v3, v3, v0, vcc_lo
; %bb.68:
	s_or_b32 exec_lo, exec_lo, s2
.LBB595_69:
	v_mad_u64_u32 v[0:1], null, v2, s12, 0
	s_delay_alu instid0(VALU_DEP_2) | instskip(SKIP_1) | instid1(VALU_DEP_2)
	v_lshrrev_b32_e32 v3, 16, v3
	s_or_b32 s2, s23, exec_lo
	v_add3_u32 v1, v1, v4, v5
.LBB595_70:
	s_or_b32 exec_lo, exec_lo, s1
	s_delay_alu instid0(SALU_CYCLE_1) | instskip(SKIP_1) | instid1(SALU_CYCLE_1)
	s_and_not1_b32 s1, s23, exec_lo
	s_and_b32 s2, s2, exec_lo
	s_or_b32 s23, s1, s2
.LBB595_71:
	s_or_b32 exec_lo, exec_lo, s0
.LBB595_72:
	s_and_saveexec_b32 s0, s23
	s_cbranch_execz .LBB595_74
; %bb.73:
	v_lshlrev_b64 v[0:1], 1, v[0:1]
	s_delay_alu instid0(VALU_DEP_1) | instskip(NEXT) | instid1(VALU_DEP_2)
	v_add_co_u32 v0, vcc_lo, s5, v0
	v_add_co_ci_u32_e32 v1, vcc_lo, s22, v1, vcc_lo
	global_store_b16 v[0:1], v3, off
.LBB595_74:
	s_nop 0
	s_sendmsg sendmsg(MSG_DEALLOC_VGPRS)
	s_endpgm
	.section	.rodata,"a",@progbits
	.p2align	6, 0x0
	.amdhsa_kernel _ZL20rocblas_gemvn_kernelILi64ELi16ElPK16rocblas_bfloat16PKfKPS0_EviiT3_lPKT2_lT1_lSA_lSB_lS7_lPT4_lSB_li
		.amdhsa_group_segment_fixed_size 16384
		.amdhsa_private_segment_fixed_size 0
		.amdhsa_kernarg_size 400
		.amdhsa_user_sgpr_count 14
		.amdhsa_user_sgpr_dispatch_ptr 0
		.amdhsa_user_sgpr_queue_ptr 0
		.amdhsa_user_sgpr_kernarg_segment_ptr 1
		.amdhsa_user_sgpr_dispatch_id 0
		.amdhsa_user_sgpr_private_segment_size 0
		.amdhsa_wavefront_size32 1
		.amdhsa_uses_dynamic_stack 0
		.amdhsa_enable_private_segment 0
		.amdhsa_system_sgpr_workgroup_id_x 1
		.amdhsa_system_sgpr_workgroup_id_y 0
		.amdhsa_system_sgpr_workgroup_id_z 1
		.amdhsa_system_sgpr_workgroup_info 0
		.amdhsa_system_vgpr_workitem_id 1
		.amdhsa_next_free_vgpr 51
		.amdhsa_next_free_sgpr 35
		.amdhsa_reserve_vcc 1
		.amdhsa_float_round_mode_32 0
		.amdhsa_float_round_mode_16_64 0
		.amdhsa_float_denorm_mode_32 3
		.amdhsa_float_denorm_mode_16_64 3
		.amdhsa_dx10_clamp 1
		.amdhsa_ieee_mode 1
		.amdhsa_fp16_overflow 0
		.amdhsa_workgroup_processor_mode 1
		.amdhsa_memory_ordered 1
		.amdhsa_forward_progress 0
		.amdhsa_shared_vgpr_count 0
		.amdhsa_exception_fp_ieee_invalid_op 0
		.amdhsa_exception_fp_denorm_src 0
		.amdhsa_exception_fp_ieee_div_zero 0
		.amdhsa_exception_fp_ieee_overflow 0
		.amdhsa_exception_fp_ieee_underflow 0
		.amdhsa_exception_fp_ieee_inexact 0
		.amdhsa_exception_int_div_zero 0
	.end_amdhsa_kernel
	.section	.text._ZL20rocblas_gemvn_kernelILi64ELi16ElPK16rocblas_bfloat16PKfKPS0_EviiT3_lPKT2_lT1_lSA_lSB_lS7_lPT4_lSB_li,"axG",@progbits,_ZL20rocblas_gemvn_kernelILi64ELi16ElPK16rocblas_bfloat16PKfKPS0_EviiT3_lPKT2_lT1_lSA_lSB_lS7_lPT4_lSB_li,comdat
.Lfunc_end595:
	.size	_ZL20rocblas_gemvn_kernelILi64ELi16ElPK16rocblas_bfloat16PKfKPS0_EviiT3_lPKT2_lT1_lSA_lSB_lS7_lPT4_lSB_li, .Lfunc_end595-_ZL20rocblas_gemvn_kernelILi64ELi16ElPK16rocblas_bfloat16PKfKPS0_EviiT3_lPKT2_lT1_lSA_lSB_lS7_lPT4_lSB_li
                                        ; -- End function
	.section	.AMDGPU.csdata,"",@progbits
; Kernel info:
; codeLenInByte = 4044
; NumSgprs: 37
; NumVgprs: 51
; ScratchSize: 0
; MemoryBound: 0
; FloatMode: 240
; IeeeMode: 1
; LDSByteSize: 16384 bytes/workgroup (compile time only)
; SGPRBlocks: 4
; VGPRBlocks: 6
; NumSGPRsForWavesPerEU: 37
; NumVGPRsForWavesPerEU: 51
; Occupancy: 16
; WaveLimiterHint : 1
; COMPUTE_PGM_RSRC2:SCRATCH_EN: 0
; COMPUTE_PGM_RSRC2:USER_SGPR: 14
; COMPUTE_PGM_RSRC2:TRAP_HANDLER: 0
; COMPUTE_PGM_RSRC2:TGID_X_EN: 1
; COMPUTE_PGM_RSRC2:TGID_Y_EN: 0
; COMPUTE_PGM_RSRC2:TGID_Z_EN: 1
; COMPUTE_PGM_RSRC2:TIDIG_COMP_CNT: 1
	.section	.text._ZL20rocblas_gemvn_kernelILi64ELi16EiPK16rocblas_bfloat16fKPS0_EviiT3_lPKT2_lT1_lS8_lS9_lS5_lPT4_lS9_li,"axG",@progbits,_ZL20rocblas_gemvn_kernelILi64ELi16EiPK16rocblas_bfloat16fKPS0_EviiT3_lPKT2_lT1_lS8_lS9_lS5_lPT4_lS9_li,comdat
	.globl	_ZL20rocblas_gemvn_kernelILi64ELi16EiPK16rocblas_bfloat16fKPS0_EviiT3_lPKT2_lT1_lS8_lS9_lS5_lPT4_lS9_li ; -- Begin function _ZL20rocblas_gemvn_kernelILi64ELi16EiPK16rocblas_bfloat16fKPS0_EviiT3_lPKT2_lT1_lS8_lS9_lS5_lPT4_lS9_li
	.p2align	8
	.type	_ZL20rocblas_gemvn_kernelILi64ELi16EiPK16rocblas_bfloat16fKPS0_EviiT3_lPKT2_lT1_lS8_lS9_lS5_lPT4_lS9_li,@function
_ZL20rocblas_gemvn_kernelILi64ELi16EiPK16rocblas_bfloat16fKPS0_EviiT3_lPKT2_lT1_lS8_lS9_lS5_lPT4_lS9_li: ; @_ZL20rocblas_gemvn_kernelILi64ELi16EiPK16rocblas_bfloat16fKPS0_EviiT3_lPKT2_lT1_lS8_lS9_lS5_lPT4_lS9_li
; %bb.0:
	s_load_b64 s[4:5], s[0:1], 0x9c
	s_waitcnt lgkmcnt(0)
	s_lshr_b32 s3, s4, 16
	s_and_b32 s4, s4, 0xffff
	s_and_b32 s5, s5, 0xffff
	s_mul_i32 s3, s3, s4
	s_delay_alu instid0(SALU_CYCLE_1) | instskip(NEXT) | instid1(SALU_CYCLE_1)
	s_mul_i32 s3, s3, s5
	s_cmpk_lg_i32 s3, 0x400
	s_cbranch_scc1 .LBB596_77
; %bb.1:
	s_mov_b32 s2, s15
	s_clause 0x1
	s_load_b128 s[4:7], s[0:1], 0x0
	s_load_b32 s15, s[0:1], 0x58
	s_waitcnt lgkmcnt(0)
	v_cmp_eq_f32_e64 s12, s6, 0
	v_cmp_eq_f32_e64 s3, s15, 1.0
	s_delay_alu instid0(VALU_DEP_1) | instskip(NEXT) | instid1(SALU_CYCLE_1)
	s_and_b32 s3, s12, s3
	s_and_b32 vcc_lo, exec_lo, s3
	s_cbranch_vccnz .LBB596_77
; %bb.2:
	v_cmp_neq_f32_e64 s7, s6, 0
	s_delay_alu instid0(VALU_DEP_1)
	s_and_b32 vcc_lo, exec_lo, s7
	s_cbranch_vccnz .LBB596_4
; %bb.3:
	s_mov_b32 s3, 0
	s_mov_b64 s[8:9], 0
	s_cbranch_execz .LBB596_5
	s_branch .LBB596_6
.LBB596_4:
	s_mov_b32 s3, -1
                                        ; implicit-def: $sgpr8_sgpr9
.LBB596_5:
	s_load_b128 s[8:11], s[0:1], 0x18
	s_mov_b32 s3, 0
	s_delay_alu instid0(SALU_CYCLE_1)
	s_lshl_b64 s[16:17], s[2:3], 3
	s_waitcnt lgkmcnt(0)
	s_add_u32 s8, s8, s16
	s_addc_u32 s9, s9, s17
	s_lshl_b64 s[10:11], s[10:11], 1
	s_load_b64 s[8:9], s[8:9], 0x0
	s_waitcnt lgkmcnt(0)
	s_add_u32 s8, s8, s10
	s_addc_u32 s9, s9, s11
.LBB596_6:
	s_and_not1_b32 vcc_lo, exec_lo, s7
	s_cbranch_vccnz .LBB596_8
; %bb.7:
	s_load_b128 s[16:19], s[0:1], 0x38
	s_lshl_b64 s[10:11], s[2:3], 3
	s_waitcnt lgkmcnt(0)
	s_add_u32 s10, s16, s10
	s_addc_u32 s11, s17, s11
	s_lshl_b64 s[16:17], s[18:19], 1
	s_load_b64 s[10:11], s[10:11], 0x0
	s_waitcnt lgkmcnt(0)
	s_add_u32 s10, s10, s16
	s_addc_u32 s11, s11, s17
	s_branch .LBB596_9
.LBB596_8:
	s_mov_b64 s[10:11], 0
.LBB596_9:
	s_clause 0x1
	s_load_b128 s[20:23], s[0:1], 0x68
	s_load_b32 s17, s[0:1], 0x78
	s_lshl_b64 s[2:3], s[2:3], 3
	v_and_b32_e32 v1, 0x3ff, v0
	v_bfe_u32 v13, v0, 10, 10
	s_delay_alu instid0(VALU_DEP_1)
	v_lshl_add_u32 v0, v13, 6, v1
	s_waitcnt lgkmcnt(0)
	s_add_u32 s2, s20, s2
	s_addc_u32 s3, s21, s3
	s_lshl_b64 s[20:21], s[22:23], 1
	s_load_b64 s[18:19], s[2:3], 0x0
	v_cmp_gt_u32_e64 s2, 0x100, v0
	s_waitcnt lgkmcnt(0)
	s_add_u32 s7, s18, s20
	s_addc_u32 s13, s19, s21
	s_and_not1_b32 vcc_lo, exec_lo, s12
	s_cbranch_vccnz .LBB596_18
; %bb.10:
	s_mov_b32 s3, 0
	s_mov_b32 s16, 0
                                        ; implicit-def: $vgpr5
                                        ; implicit-def: $vgpr2_vgpr3
	s_and_saveexec_b32 s12, s2
	s_cbranch_execz .LBB596_19
; %bb.11:
	v_lshl_or_b32 v4, s14, 8, v0
	v_mov_b32_e32 v5, 0
	s_ashr_i32 s19, s4, 31
	s_mov_b32 s18, s4
                                        ; implicit-def: $vgpr2_vgpr3
	s_delay_alu instid0(VALU_DEP_1) | instid1(SALU_CYCLE_1)
	v_cmp_gt_i64_e32 vcc_lo, s[18:19], v[4:5]
                                        ; implicit-def: $vgpr5
	s_and_saveexec_b32 s2, vcc_lo
	s_cbranch_execz .LBB596_22
; %bb.12:
	v_mad_u64_u32 v[2:3], null, s17, v4, 0
	s_ashr_i32 s16, s17, 31
	s_delay_alu instid0(VALU_DEP_1) | instid1(SALU_CYCLE_1)
	v_mad_u64_u32 v[5:6], null, s16, v4, v[3:4]
	v_cmp_eq_f32_e64 s16, s15, 0
	s_delay_alu instid0(VALU_DEP_1) | instskip(NEXT) | instid1(VALU_DEP_2)
	s_and_b32 vcc_lo, exec_lo, s16
	v_mov_b32_e32 v3, v5
	s_cbranch_vccnz .LBB596_20
; %bb.13:
	s_delay_alu instid0(VALU_DEP_1) | instskip(NEXT) | instid1(VALU_DEP_1)
	v_lshlrev_b64 v[4:5], 1, v[2:3]
	v_add_co_u32 v4, vcc_lo, s7, v4
	s_delay_alu instid0(VALU_DEP_2) | instskip(SKIP_3) | instid1(VALU_DEP_1)
	v_add_co_ci_u32_e32 v5, vcc_lo, s13, v5, vcc_lo
	global_load_u16 v4, v[4:5], off
	s_waitcnt vmcnt(0)
	v_lshlrev_b32_e32 v4, 16, v4
	v_mul_f32_e32 v4, s15, v4
	s_delay_alu instid0(VALU_DEP_1) | instskip(NEXT) | instid1(VALU_DEP_1)
	v_and_b32_e32 v5, 0x7f800000, v4
	v_cmp_ne_u32_e32 vcc_lo, 0x7f800000, v5
                                        ; implicit-def: $vgpr5
	s_and_saveexec_b32 s16, vcc_lo
	s_delay_alu instid0(SALU_CYCLE_1)
	s_xor_b32 s16, exec_lo, s16
; %bb.14:
	v_bfe_u32 v5, v4, 16, 1
	s_delay_alu instid0(VALU_DEP_1)
	v_add3_u32 v5, v4, v5, 0x7fff
                                        ; implicit-def: $vgpr4
; %bb.15:
	s_and_not1_saveexec_b32 s16, s16
; %bb.16:
	v_and_b32_e32 v5, 0xffff, v4
	v_or_b32_e32 v6, 0x10000, v4
	s_delay_alu instid0(VALU_DEP_2) | instskip(NEXT) | instid1(VALU_DEP_2)
	v_cmp_eq_u32_e32 vcc_lo, 0, v5
	v_cndmask_b32_e32 v5, v6, v4, vcc_lo
; %bb.17:
	s_or_b32 exec_lo, exec_lo, s16
	s_delay_alu instid0(VALU_DEP_1)
	v_lshrrev_b32_e32 v5, 16, v5
	s_branch .LBB596_21
.LBB596_18:
	s_mov_b32 s16, 0
                                        ; implicit-def: $vgpr5
                                        ; implicit-def: $vgpr2_vgpr3
	s_cbranch_execnz .LBB596_23
	s_branch .LBB596_75
.LBB596_19:
	s_or_b32 exec_lo, exec_lo, s12
	s_delay_alu instid0(SALU_CYCLE_1)
	s_and_b32 vcc_lo, exec_lo, s3
	s_cbranch_vccnz .LBB596_23
	s_branch .LBB596_75
.LBB596_20:
	v_mov_b32_e32 v5, 0
.LBB596_21:
	s_mov_b32 s16, exec_lo
.LBB596_22:
	s_or_b32 exec_lo, exec_lo, s2
	s_delay_alu instid0(SALU_CYCLE_1) | instskip(SKIP_1) | instid1(SALU_CYCLE_1)
	s_and_b32 s16, s16, exec_lo
	s_or_b32 exec_lo, exec_lo, s12
	s_and_b32 vcc_lo, exec_lo, s3
	s_cbranch_vccz .LBB596_75
.LBB596_23:
	s_clause 0x1
	s_load_b32 s18, s[0:1], 0x28
	s_load_b32 s12, s[0:1], 0x48
	s_ashr_i32 s0, s5, 31
	s_lshl_b32 s14, s14, 8
	s_lshr_b32 s0, s0, 26
	v_dual_mov_b32 v14, 0 :: v_dual_lshlrev_b32 v19, 2, v13
	v_dual_mov_b32 v15, 0 :: v_dual_add_nc_u32 v18, s14, v1
	v_dual_mov_b32 v16, 0 :: v_dual_mov_b32 v17, 0
	s_add_i32 s19, s5, s0
	s_mov_b32 s20, exec_lo
	s_and_not1_b32 s19, s19, 63
	s_delay_alu instid0(SALU_CYCLE_1)
	v_cmpx_gt_i32_e64 s19, v19
	s_cbranch_execz .LBB596_35
; %bb.24:
	s_waitcnt lgkmcnt(0)
	v_mul_lo_u32 v3, s18, v19
	v_dual_mov_b32 v15, 0 :: v_dual_add_nc_u32 v2, 64, v18
	v_add_nc_u32_e32 v6, 2, v19
	v_dual_mov_b32 v14, 0 :: v_dual_add_nc_u32 v5, 0xc0, v18
	s_delay_alu instid0(VALU_DEP_3)
	v_cmp_gt_i32_e64 s0, s4, v2
	v_dual_mov_b32 v17, 0 :: v_dual_add_nc_u32 v4, 0x80, v18
	v_add3_u32 v20, v3, s18, v1
	v_mad_u64_u32 v[2:3], null, s18, v6, v[1:2]
	v_cmp_gt_i32_e64 s2, s4, v5
	v_mul_lo_u32 v5, v13, s18
	v_dual_mov_b32 v16, 0 :: v_dual_add_nc_u32 v7, 3, v19
	v_mul_lo_u32 v8, v13, s12
	v_cmp_gt_i32_e64 s1, s4, v4
	v_mul_lo_u32 v22, s12, v6
	s_delay_alu instid0(VALU_DEP_4)
	v_mad_u64_u32 v[3:4], null, s18, v7, v[1:2]
	v_lshl_add_u32 v21, v5, 2, v1
	v_mad_u64_u32 v[4:5], null, s12, v19, s[12:13]
	v_mul_lo_u32 v23, s12, v7
	v_cmp_gt_i32_e32 vcc_lo, s4, v18
	v_lshlrev_b32_e32 v24, 2, v8
	s_lshl_b32 s21, s18, 6
	s_lshl_b32 s23, s12, 6
	s_mov_b32 s22, 0
	s_mov_b32 s24, 0
	s_branch .LBB596_29
.LBB596_25:                             ;   in Loop: Header=BB596_29 Depth=1
	s_or_b32 exec_lo, exec_lo, s27
	s_waitcnt vmcnt(2) lgkmcnt(2)
	v_lshlrev_b32_e32 v6, 16, v39
	v_lshlrev_b32_e32 v5, 16, v40
	s_waitcnt vmcnt(1) lgkmcnt(1)
	s_delay_alu instid0(VALU_DEP_1) | instskip(NEXT) | instid1(VALU_DEP_1)
	v_dual_fmac_f32 v16, v32, v5 :: v_dual_lshlrev_b32 v5, 16, v38
	v_fmac_f32_e32 v16, v30, v6
	s_delay_alu instid0(VALU_DEP_1) | instskip(SKIP_2) | instid1(VALU_DEP_1)
	v_fmac_f32_e32 v16, v28, v5
	s_waitcnt vmcnt(0) lgkmcnt(0)
	v_lshlrev_b32_e32 v5, 16, v37
	v_fmac_f32_e32 v16, v27, v5
.LBB596_26:                             ;   in Loop: Header=BB596_29 Depth=1
	s_or_b32 exec_lo, exec_lo, s26
	s_waitcnt vmcnt(3) lgkmcnt(3)
	v_lshlrev_b32_e32 v5, 16, v36
	s_waitcnt vmcnt(2) lgkmcnt(2)
	s_delay_alu instid0(VALU_DEP_1) | instskip(SKIP_2) | instid1(VALU_DEP_2)
	v_dual_fmac_f32 v15, v32, v5 :: v_dual_lshlrev_b32 v6, 16, v35
	s_waitcnt vmcnt(1) lgkmcnt(1)
	v_lshlrev_b32_e32 v5, 16, v34
	v_fmac_f32_e32 v15, v30, v6
	s_delay_alu instid0(VALU_DEP_1) | instskip(SKIP_2) | instid1(VALU_DEP_1)
	v_fmac_f32_e32 v15, v28, v5
	s_waitcnt vmcnt(0) lgkmcnt(0)
	v_lshlrev_b32_e32 v5, 16, v33
	v_fmac_f32_e32 v15, v27, v5
.LBB596_27:                             ;   in Loop: Header=BB596_29 Depth=1
	s_or_b32 exec_lo, exec_lo, s3
	s_waitcnt vmcnt(2) lgkmcnt(2)
	v_lshlrev_b32_e32 v6, 16, v29
	v_lshlrev_b32_e32 v5, 16, v31
	s_waitcnt vmcnt(1) lgkmcnt(1)
	s_delay_alu instid0(VALU_DEP_1) | instskip(NEXT) | instid1(VALU_DEP_1)
	v_dual_fmac_f32 v14, v32, v5 :: v_dual_lshlrev_b32 v5, 16, v26
	v_fmac_f32_e32 v14, v30, v6
	s_delay_alu instid0(VALU_DEP_1) | instskip(SKIP_2) | instid1(VALU_DEP_1)
	v_fmac_f32_e32 v14, v28, v5
	s_waitcnt vmcnt(0) lgkmcnt(0)
	v_lshlrev_b32_e32 v5, 16, v25
	v_fmac_f32_e32 v14, v27, v5
.LBB596_28:                             ;   in Loop: Header=BB596_29 Depth=1
	s_or_b32 exec_lo, exec_lo, s25
	v_add_nc_u32_e32 v19, 64, v19
	v_add_nc_u32_e32 v20, s21, v20
	;; [unrolled: 1-line block ×5, first 2 shown]
	v_cmp_le_i32_e64 s3, s19, v19
	s_add_i32 s24, s24, s23
	s_delay_alu instid0(VALU_DEP_1) | instskip(NEXT) | instid1(SALU_CYCLE_1)
	s_or_b32 s22, s3, s22
	s_and_not1_b32 exec_lo, exec_lo, s22
	s_cbranch_execz .LBB596_34
.LBB596_29:                             ; =>This Inner Loop Header: Depth=1
	s_and_saveexec_b32 s25, vcc_lo
	s_cbranch_execz .LBB596_28
; %bb.30:                               ;   in Loop: Header=BB596_29 Depth=1
	v_add_nc_u32_e32 v5, s24, v24
	v_add_nc_u32_e32 v7, s24, v4
	;; [unrolled: 1-line block ×5, first 2 shown]
	v_ashrrev_i32_e32 v6, 31, v5
	v_ashrrev_i32_e32 v8, 31, v7
	;; [unrolled: 1-line block ×4, first 2 shown]
	v_add_nc_u32_e32 v27, s14, v20
	v_lshlrev_b64 v[5:6], 1, v[5:6]
	v_lshlrev_b64 v[7:8], 1, v[7:8]
	;; [unrolled: 1-line block ×4, first 2 shown]
	v_ashrrev_i32_e32 v26, 31, v25
	v_ashrrev_i32_e32 v28, 31, v27
	v_add_co_u32 v5, s3, s10, v5
	s_delay_alu instid0(VALU_DEP_1) | instskip(SKIP_1) | instid1(VALU_DEP_1)
	v_add_co_ci_u32_e64 v6, s3, s11, v6, s3
	v_add_co_u32 v7, s3, s10, v7
	v_add_co_ci_u32_e64 v8, s3, s11, v8, s3
	v_add_co_u32 v9, s3, s10, v9
	s_delay_alu instid0(VALU_DEP_1)
	v_add_co_ci_u32_e64 v10, s3, s11, v10, s3
	v_add_co_u32 v11, s3, s10, v11
	v_add_nc_u32_e32 v29, s14, v2
	v_add_co_ci_u32_e64 v12, s3, s11, v12, s3
	v_lshlrev_b64 v[25:26], 1, v[25:26]
	s_clause 0x3
	flat_load_u16 v32, v[5:6]
	flat_load_u16 v33, v[7:8]
	;; [unrolled: 1-line block ×4, first 2 shown]
	v_add_nc_u32_e32 v11, s14, v3
	v_lshlrev_b64 v[5:6], 1, v[27:28]
	v_ashrrev_i32_e32 v30, 31, v29
	v_add_co_u32 v7, s3, s8, v25
	s_delay_alu instid0(VALU_DEP_4) | instskip(SKIP_1) | instid1(VALU_DEP_4)
	v_ashrrev_i32_e32 v12, 31, v11
	v_add_co_ci_u32_e64 v8, s3, s9, v26, s3
	v_lshlrev_b64 v[25:26], 1, v[29:30]
	v_add_co_u32 v9, s3, s8, v5
	s_delay_alu instid0(VALU_DEP_1) | instskip(SKIP_1) | instid1(VALU_DEP_4)
	v_add_co_ci_u32_e64 v10, s3, s9, v6, s3
	v_lshlrev_b64 v[5:6], 1, v[11:12]
	v_add_co_u32 v11, s3, s8, v25
	s_delay_alu instid0(VALU_DEP_1) | instskip(NEXT) | instid1(VALU_DEP_3)
	v_add_co_ci_u32_e64 v12, s3, s9, v26, s3
	v_add_co_u32 v5, s3, s8, v5
	s_delay_alu instid0(VALU_DEP_1)
	v_add_co_ci_u32_e64 v6, s3, s9, v6, s3
	s_clause 0x3
	flat_load_u16 v31, v[7:8]
	flat_load_u16 v29, v[9:10]
	;; [unrolled: 1-line block ×4, first 2 shown]
	s_waitcnt vmcnt(7) lgkmcnt(7)
	v_lshlrev_b32_e32 v32, 16, v32
	s_waitcnt vmcnt(6) lgkmcnt(6)
	v_lshlrev_b32_e32 v30, 16, v33
	;; [unrolled: 2-line block ×4, first 2 shown]
	s_and_saveexec_b32 s3, s0
	s_cbranch_execz .LBB596_27
; %bb.31:                               ;   in Loop: Header=BB596_29 Depth=1
	s_clause 0x3
	flat_load_u16 v36, v[7:8] offset:128
	flat_load_u16 v35, v[9:10] offset:128
	flat_load_u16 v34, v[11:12] offset:128
	flat_load_u16 v33, v[5:6] offset:128
	s_and_saveexec_b32 s26, s1
	s_cbranch_execz .LBB596_26
; %bb.32:                               ;   in Loop: Header=BB596_29 Depth=1
	s_clause 0x3
	flat_load_u16 v40, v[7:8] offset:256
	flat_load_u16 v39, v[9:10] offset:256
	flat_load_u16 v38, v[11:12] offset:256
	flat_load_u16 v37, v[5:6] offset:256
	;; [unrolled: 8-line block ×3, first 2 shown]
	s_waitcnt vmcnt(0) lgkmcnt(0)
	v_lshlrev_b32_e32 v5, 16, v5
	v_lshlrev_b32_e32 v6, 16, v7
	;; [unrolled: 1-line block ×3, first 2 shown]
	s_delay_alu instid0(VALU_DEP_2) | instskip(NEXT) | instid1(VALU_DEP_1)
	v_dual_fmac_f32 v17, v32, v6 :: v_dual_lshlrev_b32 v6, 16, v9
	v_fmac_f32_e32 v17, v30, v7
	s_delay_alu instid0(VALU_DEP_1) | instskip(NEXT) | instid1(VALU_DEP_1)
	v_fmac_f32_e32 v17, v28, v6
	v_fmac_f32_e32 v17, v27, v5
	s_branch .LBB596_25
.LBB596_34:
	s_or_b32 exec_lo, exec_lo, s22
.LBB596_35:
	s_delay_alu instid0(SALU_CYCLE_1) | instskip(SKIP_1) | instid1(SALU_CYCLE_1)
	s_or_b32 exec_lo, exec_lo, s20
	s_sub_i32 s0, s5, s19
	s_cmp_lt_i32 s0, 1
	s_cbranch_scc1 .LBB596_53
; %bb.36:
	v_cmp_gt_i32_e32 vcc_lo, s5, v19
	v_dual_mov_b32 v10, 0 :: v_dual_mov_b32 v11, 0
	v_or_b32_e32 v2, 1, v19
	v_mov_b32_e32 v12, 0
	v_mov_b32_e32 v20, 0
	s_and_saveexec_b32 s1, vcc_lo
	s_cbranch_execz .LBB596_44
; %bb.37:
	s_waitcnt lgkmcnt(0)
	v_mul_lo_u32 v3, v19, s12
	v_dual_mov_b32 v12, 0 :: v_dual_mov_b32 v11, 0
	v_mov_b32_e32 v10, 0
	s_mov_b32 s2, exec_lo
	s_delay_alu instid0(VALU_DEP_3) | instskip(NEXT) | instid1(VALU_DEP_1)
	v_ashrrev_i32_e32 v4, 31, v3
	v_lshlrev_b64 v[3:4], 1, v[3:4]
	s_delay_alu instid0(VALU_DEP_1) | instskip(NEXT) | instid1(VALU_DEP_1)
	v_add_co_u32 v3, s0, s10, v3
	v_add_co_ci_u32_e64 v4, s0, s11, v4, s0
	flat_load_u16 v3, v[3:4]
	v_cmpx_gt_i32_e64 s5, v2
	s_cbranch_execz .LBB596_43
; %bb.38:
	v_mul_lo_u32 v4, v2, s12
	v_dual_mov_b32 v11, 0 :: v_dual_mov_b32 v10, 0
	s_mov_b32 s3, exec_lo
	s_delay_alu instid0(VALU_DEP_2) | instskip(NEXT) | instid1(VALU_DEP_1)
	v_ashrrev_i32_e32 v5, 31, v4
	v_lshlrev_b64 v[4:5], 1, v[4:5]
	s_delay_alu instid0(VALU_DEP_1) | instskip(NEXT) | instid1(VALU_DEP_1)
	v_add_co_u32 v4, s0, s10, v4
	v_add_co_ci_u32_e64 v5, s0, s11, v5, s0
	flat_load_u16 v4, v[4:5]
	v_or_b32_e32 v5, 2, v19
	s_delay_alu instid0(VALU_DEP_1)
	v_cmpx_gt_i32_e64 s5, v5
	s_cbranch_execz .LBB596_42
; %bb.39:
	v_mul_lo_u32 v5, v5, s12
	v_mov_b32_e32 v10, 0
	s_mov_b32 s19, exec_lo
	s_delay_alu instid0(VALU_DEP_2) | instskip(NEXT) | instid1(VALU_DEP_1)
	v_ashrrev_i32_e32 v6, 31, v5
	v_lshlrev_b64 v[5:6], 1, v[5:6]
	s_delay_alu instid0(VALU_DEP_1) | instskip(NEXT) | instid1(VALU_DEP_1)
	v_add_co_u32 v5, s0, s10, v5
	v_add_co_ci_u32_e64 v6, s0, s11, v6, s0
	flat_load_u16 v5, v[5:6]
	v_or_b32_e32 v6, 3, v19
	s_delay_alu instid0(VALU_DEP_1)
	v_cmpx_gt_i32_e64 s5, v6
	s_cbranch_execz .LBB596_41
; %bb.40:
	v_mul_lo_u32 v6, v6, s12
	s_delay_alu instid0(VALU_DEP_1) | instskip(NEXT) | instid1(VALU_DEP_1)
	v_ashrrev_i32_e32 v7, 31, v6
	v_lshlrev_b64 v[6:7], 1, v[6:7]
	s_delay_alu instid0(VALU_DEP_1) | instskip(NEXT) | instid1(VALU_DEP_1)
	v_add_co_u32 v6, s0, s10, v6
	v_add_co_ci_u32_e64 v7, s0, s11, v7, s0
	flat_load_u16 v6, v[6:7]
	s_waitcnt vmcnt(0) lgkmcnt(0)
	v_lshlrev_b32_e32 v10, 16, v6
.LBB596_41:
	s_or_b32 exec_lo, exec_lo, s19
	s_waitcnt vmcnt(0) lgkmcnt(0)
	v_lshlrev_b32_e32 v11, 16, v5
.LBB596_42:
	s_or_b32 exec_lo, exec_lo, s3
	s_waitcnt vmcnt(0) lgkmcnt(0)
	v_lshlrev_b32_e32 v12, 16, v4
.LBB596_43:
	s_or_b32 exec_lo, exec_lo, s2
	s_waitcnt vmcnt(0) lgkmcnt(0)
	v_lshlrev_b32_e32 v20, 16, v3
.LBB596_44:
	s_or_b32 exec_lo, exec_lo, s1
	s_delay_alu instid0(SALU_CYCLE_1)
	s_mov_b32 s1, exec_lo
	v_cmpx_gt_i32_e64 s4, v18
	s_cbranch_execz .LBB596_52
; %bb.45:
	s_waitcnt lgkmcnt(0)
	v_mul_lo_u32 v3, v19, s18
	v_mul_lo_u32 v4, v2, s18
	v_or_b32_e32 v5, 2, v19
	v_or_b32_e32 v6, 3, v19
	s_mov_b32 s0, exec_lo
	s_delay_alu instid0(VALU_DEP_2)
	v_mul_lo_u32 v7, v5, s18
	v_cndmask_b32_e32 v3, 0, v3, vcc_lo
	v_cmp_gt_i32_e32 vcc_lo, s5, v2
	v_mul_lo_u32 v8, v6, s18
	v_cndmask_b32_e32 v4, 0, v4, vcc_lo
	v_cmp_gt_i32_e32 vcc_lo, s5, v5
	v_add_nc_u32_e32 v2, v3, v18
	s_delay_alu instid0(VALU_DEP_3) | instskip(NEXT) | instid1(VALU_DEP_2)
	v_dual_cndmask_b32 v7, 0, v7 :: v_dual_add_nc_u32 v4, v4, v18
	v_ashrrev_i32_e32 v3, 31, v2
	v_cmp_gt_i32_e32 vcc_lo, s5, v6
	s_delay_alu instid0(VALU_DEP_3) | instskip(NEXT) | instid1(VALU_DEP_4)
	v_ashrrev_i32_e32 v5, 31, v4
	v_add_nc_u32_e32 v6, v7, v18
	s_delay_alu instid0(VALU_DEP_4) | instskip(SKIP_1) | instid1(VALU_DEP_4)
	v_lshlrev_b64 v[2:3], 1, v[2:3]
	v_cndmask_b32_e32 v8, 0, v8, vcc_lo
	v_lshlrev_b64 v[21:22], 1, v[4:5]
	s_delay_alu instid0(VALU_DEP_4) | instskip(NEXT) | instid1(VALU_DEP_4)
	v_ashrrev_i32_e32 v7, 31, v6
	v_add_co_u32 v4, vcc_lo, s8, v2
	v_add_co_ci_u32_e32 v5, vcc_lo, s9, v3, vcc_lo
	s_delay_alu instid0(VALU_DEP_4)
	v_add_co_u32 v2, vcc_lo, s8, v21
	v_add_co_ci_u32_e32 v3, vcc_lo, s9, v22, vcc_lo
	s_clause 0x1
	flat_load_u16 v19, v[4:5]
	flat_load_u16 v23, v[2:3]
	v_lshlrev_b64 v[6:7], 1, v[6:7]
	s_waitcnt vmcnt(1) lgkmcnt(1)
	v_lshlrev_b32_e32 v19, 16, v19
	v_add_nc_u32_e32 v8, v8, v18
	s_delay_alu instid0(VALU_DEP_1) | instskip(NEXT) | instid1(VALU_DEP_1)
	v_ashrrev_i32_e32 v9, 31, v8
	v_lshlrev_b64 v[21:22], 1, v[8:9]
	v_add_co_u32 v8, vcc_lo, s8, v6
	v_add_co_ci_u32_e32 v9, vcc_lo, s9, v7, vcc_lo
	s_delay_alu instid0(VALU_DEP_3) | instskip(NEXT) | instid1(VALU_DEP_4)
	v_add_co_u32 v6, vcc_lo, s8, v21
	v_add_co_ci_u32_e32 v7, vcc_lo, s9, v22, vcc_lo
	s_clause 0x1
	flat_load_u16 v21, v[8:9]
	flat_load_u16 v22, v[6:7]
	s_waitcnt vmcnt(1) lgkmcnt(1)
	v_dual_fmac_f32 v14, v20, v19 :: v_dual_lshlrev_b32 v21, 16, v21
	v_lshlrev_b32_e32 v23, 16, v23
	s_waitcnt vmcnt(0) lgkmcnt(0)
	s_delay_alu instid0(VALU_DEP_1) | instskip(NEXT) | instid1(VALU_DEP_1)
	v_dual_fmac_f32 v14, v12, v23 :: v_dual_lshlrev_b32 v19, 16, v22
	v_dual_fmac_f32 v14, v11, v21 :: v_dual_add_nc_u32 v23, 64, v18
	s_delay_alu instid0(VALU_DEP_1)
	v_cmpx_gt_i32_e64 s4, v23
	s_cbranch_execz .LBB596_51
; %bb.46:
	s_clause 0x3
	flat_load_u16 v21, v[4:5] offset:128
	flat_load_u16 v22, v[2:3] offset:128
	;; [unrolled: 1-line block ×4, first 2 shown]
	s_mov_b32 s2, exec_lo
	s_waitcnt vmcnt(3) lgkmcnt(3)
	v_lshlrev_b32_e32 v21, 16, v21
	s_waitcnt vmcnt(2) lgkmcnt(2)
	v_lshlrev_b32_e32 v22, 16, v22
	;; [unrolled: 2-line block ×3, first 2 shown]
	v_fmac_f32_e32 v15, v20, v21
	s_waitcnt vmcnt(0) lgkmcnt(0)
	v_lshlrev_b32_e32 v21, 16, v24
	s_delay_alu instid0(VALU_DEP_2) | instskip(NEXT) | instid1(VALU_DEP_1)
	v_fmac_f32_e32 v15, v12, v22
	v_dual_fmac_f32 v15, v11, v23 :: v_dual_add_nc_u32 v22, 0x80, v18
	s_delay_alu instid0(VALU_DEP_1)
	v_cmpx_gt_i32_e64 s4, v22
	s_cbranch_execz .LBB596_50
; %bb.47:
	s_clause 0x3
	flat_load_u16 v22, v[4:5] offset:256
	flat_load_u16 v23, v[2:3] offset:256
	;; [unrolled: 1-line block ×4, first 2 shown]
	s_mov_b32 s3, exec_lo
	s_waitcnt vmcnt(3) lgkmcnt(3)
	v_lshlrev_b32_e32 v22, 16, v22
	s_waitcnt vmcnt(2) lgkmcnt(2)
	s_delay_alu instid0(VALU_DEP_1) | instskip(SKIP_2) | instid1(VALU_DEP_2)
	v_dual_fmac_f32 v16, v20, v22 :: v_dual_lshlrev_b32 v23, 16, v23
	s_waitcnt vmcnt(1) lgkmcnt(1)
	v_lshlrev_b32_e32 v22, 16, v24
	v_dual_fmac_f32 v16, v12, v23 :: v_dual_add_nc_u32 v23, 0xc0, v18
	s_waitcnt vmcnt(0) lgkmcnt(0)
	v_lshlrev_b32_e32 v18, 16, v25
	s_delay_alu instid0(VALU_DEP_2) | instskip(NEXT) | instid1(VALU_DEP_3)
	v_fmac_f32_e32 v16, v11, v22
	v_cmpx_gt_i32_e64 s4, v23
	s_cbranch_execz .LBB596_49
; %bb.48:
	s_clause 0x3
	flat_load_u16 v4, v[4:5] offset:384
	flat_load_u16 v2, v[2:3] offset:384
	;; [unrolled: 1-line block ×4, first 2 shown]
	s_waitcnt vmcnt(2) lgkmcnt(2)
	v_lshlrev_b32_e32 v2, 16, v2
	v_lshlrev_b32_e32 v4, 16, v4
	s_waitcnt vmcnt(1) lgkmcnt(1)
	v_lshlrev_b32_e32 v3, 16, v3
	s_delay_alu instid0(VALU_DEP_2) | instskip(SKIP_1) | instid1(VALU_DEP_1)
	v_fmac_f32_e32 v17, v20, v4
	s_waitcnt vmcnt(0) lgkmcnt(0)
	v_dual_fmac_f32 v17, v12, v2 :: v_dual_lshlrev_b32 v2, 16, v5
	s_delay_alu instid0(VALU_DEP_1) | instskip(NEXT) | instid1(VALU_DEP_1)
	v_fmac_f32_e32 v17, v11, v3
	v_fmac_f32_e32 v17, v10, v2
.LBB596_49:
	s_or_b32 exec_lo, exec_lo, s3
	s_delay_alu instid0(VALU_DEP_2)
	v_fmac_f32_e32 v16, v10, v18
.LBB596_50:
	s_or_b32 exec_lo, exec_lo, s2
	s_delay_alu instid0(VALU_DEP_2)
	v_fmac_f32_e32 v15, v10, v21
.LBB596_51:
	s_or_b32 exec_lo, exec_lo, s0
	s_delay_alu instid0(VALU_DEP_2)
	v_fmac_f32_e32 v14, v10, v19
.LBB596_52:
	s_or_b32 exec_lo, exec_lo, s1
.LBB596_53:
	v_lshlrev_b32_e32 v2, 8, v13
	s_mov_b32 s0, exec_lo
                                        ; implicit-def: $vgpr5
	s_delay_alu instid0(VALU_DEP_1)
	v_add_lshl_u32 v1, v2, v1, 2
                                        ; implicit-def: $vgpr2_vgpr3
	ds_store_2addr_stride64_b32 v1, v14, v15 offset1:1
	ds_store_2addr_stride64_b32 v1, v16, v17 offset0:2 offset1:3
	s_waitcnt lgkmcnt(0)
	s_barrier
	buffer_gl0_inv
	v_cmpx_gt_u32_e32 0x100, v0
	s_cbranch_execz .LBB596_74
; %bb.54:
	v_lshlrev_b32_e32 v7, 2, v0
	s_mov_b32 s2, s16
	s_mov_b32 s1, exec_lo
	ds_load_2addr_stride64_b32 v[1:2], v7 offset1:4
	ds_load_2addr_stride64_b32 v[3:4], v7 offset0:8 offset1:12
	ds_load_2addr_stride64_b32 v[5:6], v7 offset0:16 offset1:20
	s_waitcnt lgkmcnt(2)
	v_add_f32_e32 v8, v1, v2
	ds_load_2addr_stride64_b32 v[1:2], v7 offset0:24 offset1:28
	s_waitcnt lgkmcnt(2)
	v_add_f32_e32 v3, v3, v8
	s_delay_alu instid0(VALU_DEP_1) | instskip(SKIP_3) | instid1(VALU_DEP_1)
	v_add_f32_e32 v8, v4, v3
	ds_load_2addr_stride64_b32 v[3:4], v7 offset0:32 offset1:36
	s_waitcnt lgkmcnt(2)
	v_add_f32_e32 v5, v5, v8
	v_add_f32_e32 v8, v6, v5
	ds_load_2addr_stride64_b32 v[5:6], v7 offset0:40 offset1:44
	s_waitcnt lgkmcnt(2)
	v_add_f32_e32 v1, v1, v8
	s_delay_alu instid0(VALU_DEP_1) | instskip(SKIP_1) | instid1(VALU_DEP_1)
	v_add_f32_e32 v1, v2, v1
	s_waitcnt lgkmcnt(1)
	v_add_f32_e32 v3, v3, v1
	ds_load_2addr_stride64_b32 v[1:2], v7 offset0:48 offset1:52
	v_add_f32_e32 v3, v4, v3
	s_waitcnt lgkmcnt(1)
	s_delay_alu instid0(VALU_DEP_1) | instskip(SKIP_3) | instid1(VALU_DEP_1)
	v_add_f32_e32 v3, v5, v3
	ds_load_2addr_stride64_b32 v[4:5], v7 offset0:56 offset1:60
	v_add_f32_e32 v3, v6, v3
	s_waitcnt lgkmcnt(1)
	v_add_f32_e32 v1, v1, v3
	s_delay_alu instid0(VALU_DEP_1) | instskip(SKIP_1) | instid1(VALU_DEP_1)
	v_add_f32_e32 v1, v2, v1
                                        ; implicit-def: $vgpr2_vgpr3
	s_waitcnt lgkmcnt(0)
	v_add_f32_e32 v1, v4, v1
	v_or_b32_e32 v4, s14, v0
	s_delay_alu instid0(VALU_DEP_2)
	v_add_f32_e32 v0, v5, v1
                                        ; implicit-def: $vgpr5
	ds_store_b32 v7, v0
	v_cmpx_gt_i32_e64 s4, v4
	s_cbranch_execz .LBB596_73
; %bb.55:
	v_cmp_eq_f32_e64 s2, s15, 0
	v_mul_f32_e32 v0, s6, v0
	s_delay_alu instid0(VALU_DEP_2)
	s_and_b32 vcc_lo, exec_lo, s2
	s_cbranch_vccz .LBB596_61
; %bb.56:
	s_delay_alu instid0(VALU_DEP_1) | instskip(NEXT) | instid1(VALU_DEP_1)
	v_and_b32_e32 v1, 0x7f800000, v0
	v_cmp_ne_u32_e32 vcc_lo, 0x7f800000, v1
                                        ; implicit-def: $vgpr1
	s_and_saveexec_b32 s2, vcc_lo
	s_delay_alu instid0(SALU_CYCLE_1)
	s_xor_b32 s2, exec_lo, s2
; %bb.57:
	v_bfe_u32 v1, v0, 16, 1
	s_delay_alu instid0(VALU_DEP_1)
	v_add3_u32 v1, v0, v1, 0x7fff
; %bb.58:
	s_and_not1_saveexec_b32 s2, s2
; %bb.59:
	v_and_b32_e32 v1, 0xffff, v0
	v_or_b32_e32 v2, 0x10000, v0
	s_delay_alu instid0(VALU_DEP_2) | instskip(NEXT) | instid1(VALU_DEP_2)
	v_cmp_eq_u32_e32 vcc_lo, 0, v1
	v_cndmask_b32_e32 v1, v2, v0, vcc_lo
; %bb.60:
	s_or_b32 exec_lo, exec_lo, s2
	s_mov_b32 s2, 0
	s_branch .LBB596_62
.LBB596_61:
	s_mov_b32 s2, -1
                                        ; implicit-def: $vgpr1
.LBB596_62:
	v_mul_lo_u32 v2, v4, s17
	s_and_not1_b32 vcc_lo, exec_lo, s2
	s_delay_alu instid0(VALU_DEP_1)
	v_ashrrev_i32_e32 v3, 31, v2
	s_cbranch_vccnz .LBB596_72
; %bb.63:
	s_delay_alu instid0(VALU_DEP_1) | instskip(NEXT) | instid1(VALU_DEP_1)
	v_lshlrev_b64 v[4:5], 1, v[2:3]
	v_add_co_u32 v4, vcc_lo, s7, v4
	s_delay_alu instid0(VALU_DEP_2) | instskip(SKIP_3) | instid1(VALU_DEP_1)
	v_add_co_ci_u32_e32 v5, vcc_lo, s13, v5, vcc_lo
	global_load_u16 v1, v[4:5], off
	s_waitcnt vmcnt(0)
	v_lshlrev_b32_e32 v1, 16, v1
	v_mul_f32_e32 v1, s15, v1
	s_delay_alu instid0(VALU_DEP_1) | instskip(NEXT) | instid1(VALU_DEP_1)
	v_and_b32_e32 v4, 0x7f800000, v1
	v_cmp_ne_u32_e32 vcc_lo, 0x7f800000, v4
                                        ; implicit-def: $vgpr4
	s_and_saveexec_b32 s2, vcc_lo
	s_delay_alu instid0(SALU_CYCLE_1)
	s_xor_b32 s2, exec_lo, s2
; %bb.64:
	v_bfe_u32 v4, v1, 16, 1
	s_delay_alu instid0(VALU_DEP_1)
	v_add3_u32 v4, v1, v4, 0x7fff
                                        ; implicit-def: $vgpr1
; %bb.65:
	s_and_not1_saveexec_b32 s2, s2
; %bb.66:
	v_and_b32_e32 v4, 0xffff, v1
	v_or_b32_e32 v5, 0x10000, v1
	s_delay_alu instid0(VALU_DEP_2) | instskip(NEXT) | instid1(VALU_DEP_2)
	v_cmp_eq_u32_e32 vcc_lo, 0, v4
	v_cndmask_b32_e32 v4, v5, v1, vcc_lo
; %bb.67:
	s_or_b32 exec_lo, exec_lo, s2
	s_delay_alu instid0(VALU_DEP_1) | instskip(NEXT) | instid1(VALU_DEP_1)
	v_and_b32_e32 v1, 0xffff0000, v4
	v_add_f32_e32 v0, v0, v1
	s_delay_alu instid0(VALU_DEP_1) | instskip(NEXT) | instid1(VALU_DEP_1)
	v_and_b32_e32 v1, 0x7f800000, v0
	v_cmp_ne_u32_e32 vcc_lo, 0x7f800000, v1
                                        ; implicit-def: $vgpr1
	s_and_saveexec_b32 s2, vcc_lo
	s_delay_alu instid0(SALU_CYCLE_1)
	s_xor_b32 s2, exec_lo, s2
; %bb.68:
	v_bfe_u32 v1, v0, 16, 1
	s_delay_alu instid0(VALU_DEP_1)
	v_add3_u32 v1, v0, v1, 0x7fff
                                        ; implicit-def: $vgpr0
; %bb.69:
	s_and_not1_saveexec_b32 s2, s2
; %bb.70:
	v_and_b32_e32 v1, 0xffff, v0
	v_or_b32_e32 v4, 0x10000, v0
	s_delay_alu instid0(VALU_DEP_2) | instskip(NEXT) | instid1(VALU_DEP_2)
	v_cmp_eq_u32_e32 vcc_lo, 0, v1
	v_cndmask_b32_e32 v1, v4, v0, vcc_lo
; %bb.71:
	s_or_b32 exec_lo, exec_lo, s2
.LBB596_72:
	s_delay_alu instid0(VALU_DEP_1)
	v_lshrrev_b32_e32 v5, 16, v1
	s_or_b32 s2, s16, exec_lo
.LBB596_73:
	s_or_b32 exec_lo, exec_lo, s1
	s_delay_alu instid0(SALU_CYCLE_1) | instskip(SKIP_1) | instid1(SALU_CYCLE_1)
	s_and_not1_b32 s1, s16, exec_lo
	s_and_b32 s2, s2, exec_lo
	s_or_b32 s16, s1, s2
.LBB596_74:
	s_or_b32 exec_lo, exec_lo, s0
.LBB596_75:
	s_and_saveexec_b32 s0, s16
	s_cbranch_execz .LBB596_77
; %bb.76:
	v_lshlrev_b64 v[0:1], 1, v[2:3]
	s_delay_alu instid0(VALU_DEP_1) | instskip(NEXT) | instid1(VALU_DEP_2)
	v_add_co_u32 v0, vcc_lo, s7, v0
	v_add_co_ci_u32_e32 v1, vcc_lo, s13, v1, vcc_lo
	global_store_b16 v[0:1], v5, off
.LBB596_77:
	s_nop 0
	s_sendmsg sendmsg(MSG_DEALLOC_VGPRS)
	s_endpgm
	.section	.rodata,"a",@progbits
	.p2align	6, 0x0
	.amdhsa_kernel _ZL20rocblas_gemvn_kernelILi64ELi16EiPK16rocblas_bfloat16fKPS0_EviiT3_lPKT2_lT1_lS8_lS9_lS5_lPT4_lS9_li
		.amdhsa_group_segment_fixed_size 16384
		.amdhsa_private_segment_fixed_size 0
		.amdhsa_kernarg_size 400
		.amdhsa_user_sgpr_count 14
		.amdhsa_user_sgpr_dispatch_ptr 0
		.amdhsa_user_sgpr_queue_ptr 0
		.amdhsa_user_sgpr_kernarg_segment_ptr 1
		.amdhsa_user_sgpr_dispatch_id 0
		.amdhsa_user_sgpr_private_segment_size 0
		.amdhsa_wavefront_size32 1
		.amdhsa_uses_dynamic_stack 0
		.amdhsa_enable_private_segment 0
		.amdhsa_system_sgpr_workgroup_id_x 1
		.amdhsa_system_sgpr_workgroup_id_y 0
		.amdhsa_system_sgpr_workgroup_id_z 1
		.amdhsa_system_sgpr_workgroup_info 0
		.amdhsa_system_vgpr_workitem_id 1
		.amdhsa_next_free_vgpr 41
		.amdhsa_next_free_sgpr 28
		.amdhsa_reserve_vcc 1
		.amdhsa_float_round_mode_32 0
		.amdhsa_float_round_mode_16_64 0
		.amdhsa_float_denorm_mode_32 3
		.amdhsa_float_denorm_mode_16_64 3
		.amdhsa_dx10_clamp 1
		.amdhsa_ieee_mode 1
		.amdhsa_fp16_overflow 0
		.amdhsa_workgroup_processor_mode 1
		.amdhsa_memory_ordered 1
		.amdhsa_forward_progress 0
		.amdhsa_shared_vgpr_count 0
		.amdhsa_exception_fp_ieee_invalid_op 0
		.amdhsa_exception_fp_denorm_src 0
		.amdhsa_exception_fp_ieee_div_zero 0
		.amdhsa_exception_fp_ieee_overflow 0
		.amdhsa_exception_fp_ieee_underflow 0
		.amdhsa_exception_fp_ieee_inexact 0
		.amdhsa_exception_int_div_zero 0
	.end_amdhsa_kernel
	.section	.text._ZL20rocblas_gemvn_kernelILi64ELi16EiPK16rocblas_bfloat16fKPS0_EviiT3_lPKT2_lT1_lS8_lS9_lS5_lPT4_lS9_li,"axG",@progbits,_ZL20rocblas_gemvn_kernelILi64ELi16EiPK16rocblas_bfloat16fKPS0_EviiT3_lPKT2_lT1_lS8_lS9_lS5_lPT4_lS9_li,comdat
.Lfunc_end596:
	.size	_ZL20rocblas_gemvn_kernelILi64ELi16EiPK16rocblas_bfloat16fKPS0_EviiT3_lPKT2_lT1_lS8_lS9_lS5_lPT4_lS9_li, .Lfunc_end596-_ZL20rocblas_gemvn_kernelILi64ELi16EiPK16rocblas_bfloat16fKPS0_EviiT3_lPKT2_lT1_lS8_lS9_lS5_lPT4_lS9_li
                                        ; -- End function
	.section	.AMDGPU.csdata,"",@progbits
; Kernel info:
; codeLenInByte = 3628
; NumSgprs: 30
; NumVgprs: 41
; ScratchSize: 0
; MemoryBound: 0
; FloatMode: 240
; IeeeMode: 1
; LDSByteSize: 16384 bytes/workgroup (compile time only)
; SGPRBlocks: 3
; VGPRBlocks: 5
; NumSGPRsForWavesPerEU: 30
; NumVGPRsForWavesPerEU: 41
; Occupancy: 16
; WaveLimiterHint : 1
; COMPUTE_PGM_RSRC2:SCRATCH_EN: 0
; COMPUTE_PGM_RSRC2:USER_SGPR: 14
; COMPUTE_PGM_RSRC2:TRAP_HANDLER: 0
; COMPUTE_PGM_RSRC2:TGID_X_EN: 1
; COMPUTE_PGM_RSRC2:TGID_Y_EN: 0
; COMPUTE_PGM_RSRC2:TGID_Z_EN: 1
; COMPUTE_PGM_RSRC2:TIDIG_COMP_CNT: 1
	.section	.text._ZL20rocblas_gemvn_kernelILi64ELi16ElPK16rocblas_bfloat16fKPS0_EviiT3_lPKT2_lT1_lS8_lS9_lS5_lPT4_lS9_li,"axG",@progbits,_ZL20rocblas_gemvn_kernelILi64ELi16ElPK16rocblas_bfloat16fKPS0_EviiT3_lPKT2_lT1_lS8_lS9_lS5_lPT4_lS9_li,comdat
	.globl	_ZL20rocblas_gemvn_kernelILi64ELi16ElPK16rocblas_bfloat16fKPS0_EviiT3_lPKT2_lT1_lS8_lS9_lS5_lPT4_lS9_li ; -- Begin function _ZL20rocblas_gemvn_kernelILi64ELi16ElPK16rocblas_bfloat16fKPS0_EviiT3_lPKT2_lT1_lS8_lS9_lS5_lPT4_lS9_li
	.p2align	8
	.type	_ZL20rocblas_gemvn_kernelILi64ELi16ElPK16rocblas_bfloat16fKPS0_EviiT3_lPKT2_lT1_lS8_lS9_lS5_lPT4_lS9_li,@function
_ZL20rocblas_gemvn_kernelILi64ELi16ElPK16rocblas_bfloat16fKPS0_EviiT3_lPKT2_lT1_lS8_lS9_lS5_lPT4_lS9_li: ; @_ZL20rocblas_gemvn_kernelILi64ELi16ElPK16rocblas_bfloat16fKPS0_EviiT3_lPKT2_lT1_lS8_lS9_lS5_lPT4_lS9_li
; %bb.0:
	s_load_b64 s[4:5], s[0:1], 0x9c
	s_waitcnt lgkmcnt(0)
	s_lshr_b32 s3, s4, 16
	s_and_b32 s4, s4, 0xffff
	s_and_b32 s5, s5, 0xffff
	s_mul_i32 s3, s3, s4
	s_delay_alu instid0(SALU_CYCLE_1) | instskip(NEXT) | instid1(SALU_CYCLE_1)
	s_mul_i32 s3, s3, s5
	s_cmpk_lg_i32 s3, 0x400
	s_cbranch_scc1 .LBB597_77
; %bb.1:
	s_clause 0x1
	s_load_b128 s[8:11], s[0:1], 0x0
	s_load_b32 s26, s[0:1], 0x58
	s_mov_b32 s2, s15
	s_waitcnt lgkmcnt(0)
	v_cmp_eq_f32_e64 s15, s10, 0
	v_cmp_eq_f32_e64 s3, s26, 1.0
	s_delay_alu instid0(VALU_DEP_1) | instskip(NEXT) | instid1(SALU_CYCLE_1)
	s_and_b32 s3, s15, s3
	s_and_b32 vcc_lo, exec_lo, s3
	s_cbranch_vccnz .LBB597_77
; %bb.2:
	s_clause 0x1
	s_load_b128 s[4:7], s[0:1], 0x18
	s_load_b64 s[12:13], s[0:1], 0x28
	v_cmp_neq_f32_e64 s11, s10, 0
	s_delay_alu instid0(VALU_DEP_1)
	s_and_b32 vcc_lo, exec_lo, s11
	s_cbranch_vccnz .LBB597_4
; %bb.3:
	s_mov_b32 s3, 0
	s_mov_b64 s[16:17], 0
	s_cbranch_execz .LBB597_5
	s_branch .LBB597_6
.LBB597_4:
	s_mov_b32 s3, -1
                                        ; implicit-def: $sgpr16_sgpr17
.LBB597_5:
	s_mov_b32 s3, 0
	s_delay_alu instid0(SALU_CYCLE_1)
	s_lshl_b64 s[16:17], s[2:3], 3
	s_waitcnt lgkmcnt(0)
	s_add_u32 s4, s4, s16
	s_addc_u32 s5, s5, s17
	s_lshl_b64 s[6:7], s[6:7], 1
	s_load_b64 s[4:5], s[4:5], 0x0
	s_waitcnt lgkmcnt(0)
	s_add_u32 s16, s4, s6
	s_addc_u32 s17, s5, s7
.LBB597_6:
	s_waitcnt lgkmcnt(0)
	s_clause 0x1
	s_load_b128 s[4:7], s[0:1], 0x38
	s_load_b64 s[18:19], s[0:1], 0x48
	s_and_not1_b32 vcc_lo, exec_lo, s11
	s_cbranch_vccnz .LBB597_8
; %bb.7:
	s_lshl_b64 s[20:21], s[2:3], 3
	s_waitcnt lgkmcnt(0)
	s_add_u32 s4, s4, s20
	s_addc_u32 s5, s5, s21
	s_lshl_b64 s[6:7], s[6:7], 1
	s_load_b64 s[4:5], s[4:5], 0x0
	s_waitcnt lgkmcnt(0)
	s_add_u32 s20, s4, s6
	s_addc_u32 s21, s5, s7
	s_branch .LBB597_9
.LBB597_8:
	s_mov_b64 s[20:21], 0
.LBB597_9:
	s_load_b128 s[28:31], s[0:1], 0x68
	s_waitcnt lgkmcnt(0)
	s_load_b64 s[6:7], s[0:1], 0x78
	s_lshl_b64 s[2:3], s[2:3], 3
	v_and_b32_e32 v20, 0x3ff, v0
	v_bfe_u32 v21, v0, 10, 10
	s_delay_alu instid0(VALU_DEP_1)
	v_lshl_add_u32 v19, v21, 6, v20
	s_add_u32 s0, s28, s2
	s_addc_u32 s1, s29, s3
	s_lshl_b64 s[22:23], s[30:31], 1
	s_load_b64 s[2:3], s[0:1], 0x0
	v_cmp_gt_u32_e64 s0, 0x100, v19
	s_waitcnt lgkmcnt(0)
	s_add_u32 s5, s2, s22
	s_addc_u32 s11, s3, s23
	s_and_not1_b32 vcc_lo, exec_lo, s15
	s_cbranch_vccnz .LBB597_18
; %bb.10:
	s_mov_b32 s1, 0
	s_mov_b32 s27, 0
                                        ; implicit-def: $vgpr3
                                        ; implicit-def: $vgpr0_vgpr1
	s_and_saveexec_b32 s2, s0
	s_cbranch_execz .LBB597_19
; %bb.11:
	v_lshl_or_b32 v2, s14, 8, v19
	v_mov_b32_e32 v3, 0
	s_ashr_i32 s23, s8, 31
	s_mov_b32 s22, s8
	s_mov_b32 s3, 0
                                        ; implicit-def: $vgpr0_vgpr1
	s_delay_alu instid0(VALU_DEP_1)
	v_cmp_gt_i64_e32 vcc_lo, s[22:23], v[2:3]
                                        ; implicit-def: $vgpr3
	s_and_saveexec_b32 s0, vcc_lo
	s_cbranch_execz .LBB597_22
; %bb.12:
	v_mad_u64_u32 v[0:1], null, v2, s6, 0
	v_cmp_eq_f32_e64 s3, s26, 0
	s_delay_alu instid0(VALU_DEP_1) | instskip(NEXT) | instid1(VALU_DEP_2)
	s_and_b32 vcc_lo, exec_lo, s3
	v_mad_u64_u32 v[3:4], null, v2, s7, v[1:2]
	s_delay_alu instid0(VALU_DEP_1)
	v_mov_b32_e32 v1, v3
	s_cbranch_vccnz .LBB597_20
; %bb.13:
	s_delay_alu instid0(VALU_DEP_1) | instskip(NEXT) | instid1(VALU_DEP_1)
	v_lshlrev_b64 v[2:3], 1, v[0:1]
	v_add_co_u32 v2, vcc_lo, s5, v2
	s_delay_alu instid0(VALU_DEP_2) | instskip(SKIP_3) | instid1(VALU_DEP_1)
	v_add_co_ci_u32_e32 v3, vcc_lo, s11, v3, vcc_lo
	global_load_u16 v2, v[2:3], off
	s_waitcnt vmcnt(0)
	v_lshlrev_b32_e32 v2, 16, v2
	v_mul_f32_e32 v2, s26, v2
	s_delay_alu instid0(VALU_DEP_1) | instskip(NEXT) | instid1(VALU_DEP_1)
	v_and_b32_e32 v3, 0x7f800000, v2
	v_cmp_ne_u32_e32 vcc_lo, 0x7f800000, v3
                                        ; implicit-def: $vgpr3
	s_and_saveexec_b32 s3, vcc_lo
	s_delay_alu instid0(SALU_CYCLE_1)
	s_xor_b32 s3, exec_lo, s3
; %bb.14:
	v_bfe_u32 v3, v2, 16, 1
	s_delay_alu instid0(VALU_DEP_1)
	v_add3_u32 v3, v2, v3, 0x7fff
                                        ; implicit-def: $vgpr2
; %bb.15:
	s_and_not1_saveexec_b32 s3, s3
; %bb.16:
	v_and_b32_e32 v3, 0xffff, v2
	v_or_b32_e32 v4, 0x10000, v2
	s_delay_alu instid0(VALU_DEP_2) | instskip(NEXT) | instid1(VALU_DEP_2)
	v_cmp_eq_u32_e32 vcc_lo, 0, v3
	v_cndmask_b32_e32 v3, v4, v2, vcc_lo
; %bb.17:
	s_or_b32 exec_lo, exec_lo, s3
	s_delay_alu instid0(VALU_DEP_1)
	v_lshrrev_b32_e32 v3, 16, v3
	s_branch .LBB597_21
.LBB597_18:
	s_mov_b32 s27, 0
                                        ; implicit-def: $vgpr3
                                        ; implicit-def: $vgpr0_vgpr1
	s_cbranch_execnz .LBB597_23
	s_branch .LBB597_75
.LBB597_19:
	s_or_b32 exec_lo, exec_lo, s2
	s_delay_alu instid0(SALU_CYCLE_1)
	s_and_b32 vcc_lo, exec_lo, s1
	s_cbranch_vccnz .LBB597_23
	s_branch .LBB597_75
.LBB597_20:
	v_mov_b32_e32 v3, 0
.LBB597_21:
	s_mov_b32 s3, exec_lo
.LBB597_22:
	s_or_b32 exec_lo, exec_lo, s0
	s_delay_alu instid0(SALU_CYCLE_1) | instskip(SKIP_1) | instid1(SALU_CYCLE_1)
	s_and_b32 s27, s3, exec_lo
	s_or_b32 exec_lo, exec_lo, s2
	s_and_b32 vcc_lo, exec_lo, s1
	s_cbranch_vccz .LBB597_75
.LBB597_23:
	s_ashr_i32 s0, s9, 31
	s_lshl_b32 s28, s14, 8
	s_lshr_b32 s0, s0, 26
	v_dual_mov_b32 v23, 0 :: v_dual_lshlrev_b32 v26, 2, v21
	v_dual_mov_b32 v22, 0 :: v_dual_mov_b32 v25, 0
	v_add_nc_u32_e32 v0, s28, v20
	v_mov_b32_e32 v24, 0
	s_add_i32 s29, s9, s0
	s_mov_b32 s30, exec_lo
	s_and_not1_b32 s29, s29, 63
	s_delay_alu instid0(SALU_CYCLE_1)
	v_cmpx_gt_i32_e64 s29, v26
	s_cbranch_execz .LBB597_35
; %bb.24:
	v_lshlrev_b32_e32 v29, 2, v21
	v_mad_u64_u32 v[5:6], null, s18, v21, 0
	v_add_nc_u32_e32 v2, 64, v0
	v_mad_u64_u32 v[7:8], null, s12, v21, 0
	s_delay_alu instid0(VALU_DEP_4) | instskip(SKIP_1) | instid1(VALU_DEP_4)
	v_or_b32_e32 v25, 3, v29
	v_add_nc_u32_e32 v9, 0x80, v0
	v_cmp_gt_i32_e64 s0, s8, v2
	v_ashrrev_i32_e32 v1, 31, v0
	v_cmp_gt_i32_e32 vcc_lo, s8, v0
	v_mad_u64_u32 v[3:4], null, s12, v25, 0
	v_mad_u64_u32 v[16:17], null, s18, v25, 0
	v_add_nc_u32_e32 v10, 0xc0, v0
	s_lshl_b64 s[14:15], s[12:13], 7
	s_lshl_b64 s[22:23], s[18:19], 7
	s_mov_b32 s31, 0
	s_delay_alu instid0(VALU_DEP_3)
	v_mov_b32_e32 v2, v4
	v_mov_b32_e32 v4, v6
	v_cmp_gt_i32_e64 s1, s8, v9
	v_cmp_gt_i32_e64 s2, s8, v10
	v_mov_b32_e32 v6, v8
	v_mad_u64_u32 v[9:10], null, s13, v25, v[2:3]
	v_or_b32_e32 v31, 2, v29
	v_mad_u64_u32 v[10:11], null, s19, v21, v[4:5]
	s_delay_alu instid0(VALU_DEP_4) | instskip(SKIP_1) | instid1(VALU_DEP_4)
	v_mad_u64_u32 v[11:12], null, s13, v21, v[6:7]
	v_mad_u64_u32 v[12:13], null, s18, v29, s[18:19]
	;; [unrolled: 1-line block ×3, first 2 shown]
	v_mov_b32_e32 v4, v9
	v_mov_b32_e32 v6, v10
	v_lshlrev_b64 v[1:2], 1, v[0:1]
	s_mov_b64 s[24:25], s[20:21]
	s_delay_alu instid0(VALU_DEP_3) | instskip(NEXT) | instid1(VALU_DEP_3)
	v_lshlrev_b64 v[9:10], 1, v[3:4]
	v_lshlrev_b64 v[3:4], 3, v[5:6]
	v_dual_mov_b32 v5, v15 :: v_dual_mov_b32 v6, v13
	s_delay_alu instid0(VALU_DEP_3) | instskip(NEXT) | instid1(VALU_DEP_2)
	v_add_co_u32 v27, s3, s16, v9
	v_mad_u64_u32 v[22:23], null, s13, v31, v[5:6]
	v_mov_b32_e32 v5, v17
	v_add_co_ci_u32_e64 v28, s3, s17, v10, s3
	v_mad_u64_u32 v[9:10], null, s12, v29, s[12:13]
	s_delay_alu instid0(VALU_DEP_3) | instskip(SKIP_2) | instid1(VALU_DEP_4)
	v_mad_u64_u32 v[23:24], null, s19, v25, v[5:6]
	v_mad_u64_u32 v[24:25], null, s18, v31, 0
	v_dual_mov_b32 v8, v11 :: v_dual_mov_b32 v15, v22
	v_mov_b32_e32 v5, v10
	s_delay_alu instid0(VALU_DEP_2) | instskip(NEXT) | instid1(VALU_DEP_2)
	v_lshlrev_b64 v[14:15], 1, v[14:15]
	v_mad_u64_u32 v[10:11], null, s13, v29, v[5:6]
	v_mov_b32_e32 v5, v25
	v_lshlrev_b64 v[7:8], 3, v[7:8]
	s_delay_alu instid0(VALU_DEP_3) | instskip(NEXT) | instid1(VALU_DEP_2)
	v_lshlrev_b64 v[9:10], 1, v[9:10]
	v_mad_u64_u32 v[17:18], null, s19, v29, v[6:7]
	v_add_co_u32 v29, s3, s16, v7
	s_delay_alu instid0(VALU_DEP_1) | instskip(NEXT) | instid1(VALU_DEP_3)
	v_add_co_ci_u32_e64 v30, s3, s17, v8, s3
	v_mov_b32_e32 v13, v17
	v_mov_b32_e32 v17, v23
	v_mad_u64_u32 v[22:23], null, s19, v31, v[5:6]
	v_add_co_u32 v31, s3, s16, v14
	s_delay_alu instid0(VALU_DEP_1) | instskip(SKIP_1) | instid1(VALU_DEP_4)
	v_add_co_ci_u32_e64 v32, s3, s17, v15, s3
	v_add_co_u32 v33, s3, s16, v9
	v_dual_mov_b32 v25, v22 :: v_dual_mov_b32 v22, 0
	v_lshlrev_b64 v[5:6], 1, v[12:13]
	v_lshlrev_b64 v[7:8], 1, v[16:17]
	v_add_co_ci_u32_e64 v34, s3, s17, v10, s3
	s_delay_alu instid0(VALU_DEP_4)
	v_lshlrev_b64 v[9:10], 1, v[24:25]
	v_dual_mov_b32 v23, 0 :: v_dual_mov_b32 v24, 0
	v_mov_b32_e32 v25, 0
	s_branch .LBB597_29
.LBB597_25:                             ;   in Loop: Header=BB597_29 Depth=1
	s_or_b32 exec_lo, exec_lo, s34
	s_waitcnt vmcnt(2) lgkmcnt(2)
	v_lshlrev_b32_e32 v12, 16, v49
	v_lshlrev_b32_e32 v11, 16, v50
	s_waitcnt vmcnt(1) lgkmcnt(1)
	s_delay_alu instid0(VALU_DEP_1) | instskip(NEXT) | instid1(VALU_DEP_1)
	v_dual_fmac_f32 v24, v42, v11 :: v_dual_lshlrev_b32 v11, 16, v48
	v_fmac_f32_e32 v24, v40, v12
	s_delay_alu instid0(VALU_DEP_1) | instskip(SKIP_2) | instid1(VALU_DEP_1)
	v_fmac_f32_e32 v24, v38, v11
	s_waitcnt vmcnt(0) lgkmcnt(0)
	v_lshlrev_b32_e32 v11, 16, v47
	v_fmac_f32_e32 v24, v37, v11
.LBB597_26:                             ;   in Loop: Header=BB597_29 Depth=1
	s_or_b32 exec_lo, exec_lo, s33
	s_waitcnt vmcnt(3) lgkmcnt(3)
	v_lshlrev_b32_e32 v11, 16, v46
	s_waitcnt vmcnt(2) lgkmcnt(2)
	s_delay_alu instid0(VALU_DEP_1) | instskip(SKIP_2) | instid1(VALU_DEP_2)
	v_dual_fmac_f32 v23, v42, v11 :: v_dual_lshlrev_b32 v12, 16, v45
	s_waitcnt vmcnt(1) lgkmcnt(1)
	v_lshlrev_b32_e32 v11, 16, v44
	v_fmac_f32_e32 v23, v40, v12
	s_delay_alu instid0(VALU_DEP_1) | instskip(SKIP_2) | instid1(VALU_DEP_1)
	v_fmac_f32_e32 v23, v38, v11
	s_waitcnt vmcnt(0) lgkmcnt(0)
	v_lshlrev_b32_e32 v11, 16, v43
	v_fmac_f32_e32 v23, v37, v11
.LBB597_27:                             ;   in Loop: Header=BB597_29 Depth=1
	s_or_b32 exec_lo, exec_lo, s3
	s_waitcnt vmcnt(2) lgkmcnt(2)
	v_lshlrev_b32_e32 v12, 16, v39
	v_lshlrev_b32_e32 v11, 16, v41
	s_waitcnt vmcnt(1) lgkmcnt(1)
	s_delay_alu instid0(VALU_DEP_1) | instskip(NEXT) | instid1(VALU_DEP_1)
	v_dual_fmac_f32 v22, v42, v11 :: v_dual_lshlrev_b32 v11, 16, v36
	v_fmac_f32_e32 v22, v40, v12
	s_delay_alu instid0(VALU_DEP_1) | instskip(SKIP_2) | instid1(VALU_DEP_1)
	v_fmac_f32_e32 v22, v38, v11
	s_waitcnt vmcnt(0) lgkmcnt(0)
	v_lshlrev_b32_e32 v11, 16, v35
	v_fmac_f32_e32 v22, v37, v11
.LBB597_28:                             ;   in Loop: Header=BB597_29 Depth=1
	s_or_b32 exec_lo, exec_lo, s4
	v_add_co_u32 v27, s3, v27, s14
	s_delay_alu instid0(VALU_DEP_1) | instskip(SKIP_4) | instid1(VALU_DEP_1)
	v_add_co_ci_u32_e64 v28, s3, s15, v28, s3
	v_add_co_u32 v29, s3, v29, s14
	v_add_nc_u32_e32 v26, 64, v26
	v_add_co_ci_u32_e64 v30, s3, s15, v30, s3
	v_add_co_u32 v31, s3, v31, s14
	v_add_co_ci_u32_e64 v32, s3, s15, v32, s3
	s_delay_alu instid0(VALU_DEP_4) | instskip(SKIP_1) | instid1(VALU_DEP_1)
	v_cmp_le_i32_e64 s3, s29, v26
	v_add_co_u32 v33, s4, v33, s14
	v_add_co_ci_u32_e64 v34, s4, s15, v34, s4
	s_add_u32 s24, s24, s22
	s_addc_u32 s25, s25, s23
	s_or_b32 s31, s3, s31
	s_delay_alu instid0(SALU_CYCLE_1)
	s_and_not1_b32 exec_lo, exec_lo, s31
	s_cbranch_execz .LBB597_34
.LBB597_29:                             ; =>This Inner Loop Header: Depth=1
	s_and_saveexec_b32 s4, vcc_lo
	s_cbranch_execz .LBB597_28
; %bb.30:                               ;   in Loop: Header=BB597_29 Depth=1
	v_add_co_u32 v11, s3, s24, v3
	s_delay_alu instid0(VALU_DEP_1) | instskip(SKIP_1) | instid1(VALU_DEP_1)
	v_add_co_ci_u32_e64 v12, s3, s25, v4, s3
	v_add_co_u32 v13, s3, s24, v5
	v_add_co_ci_u32_e64 v14, s3, s25, v6, s3
	v_add_co_u32 v15, s3, s24, v9
	s_delay_alu instid0(VALU_DEP_1) | instskip(SKIP_1) | instid1(VALU_DEP_1)
	v_add_co_ci_u32_e64 v16, s3, s25, v10, s3
	v_add_co_u32 v17, s3, s24, v7
	v_add_co_ci_u32_e64 v18, s3, s25, v8, s3
	s_clause 0x3
	flat_load_u16 v37, v[11:12]
	flat_load_u16 v38, v[13:14]
	;; [unrolled: 1-line block ×4, first 2 shown]
	v_add_co_u32 v11, s3, v29, v1
	s_delay_alu instid0(VALU_DEP_1) | instskip(SKIP_1) | instid1(VALU_DEP_1)
	v_add_co_ci_u32_e64 v12, s3, v30, v2, s3
	v_add_co_u32 v13, s3, v33, v1
	v_add_co_ci_u32_e64 v14, s3, v34, v2, s3
	v_add_co_u32 v15, s3, v31, v1
	s_delay_alu instid0(VALU_DEP_1) | instskip(SKIP_1) | instid1(VALU_DEP_1)
	v_add_co_ci_u32_e64 v16, s3, v32, v2, s3
	v_add_co_u32 v17, s3, v27, v1
	v_add_co_ci_u32_e64 v18, s3, v28, v2, s3
	flat_load_u16 v41, v[11:12]
	flat_load_u16 v39, v[13:14]
	flat_load_u16 v36, v[15:16]
	flat_load_u16 v35, v[17:18]
	s_waitcnt vmcnt(7) lgkmcnt(7)
	v_lshlrev_b32_e32 v42, 16, v37
	s_waitcnt vmcnt(6) lgkmcnt(6)
	v_lshlrev_b32_e32 v40, 16, v38
	s_waitcnt vmcnt(5) lgkmcnt(5)
	v_lshlrev_b32_e32 v38, 16, v43
	s_waitcnt vmcnt(4) lgkmcnt(4)
	v_lshlrev_b32_e32 v37, 16, v44
	s_and_saveexec_b32 s3, s0
	s_cbranch_execz .LBB597_27
; %bb.31:                               ;   in Loop: Header=BB597_29 Depth=1
	flat_load_u16 v46, v[11:12] offset:128
	flat_load_u16 v45, v[13:14] offset:128
	flat_load_u16 v44, v[15:16] offset:128
	flat_load_u16 v43, v[17:18] offset:128
	s_and_saveexec_b32 s33, s1
	s_cbranch_execz .LBB597_26
; %bb.32:                               ;   in Loop: Header=BB597_29 Depth=1
	flat_load_u16 v50, v[11:12] offset:256
	flat_load_u16 v49, v[13:14] offset:256
	flat_load_u16 v48, v[15:16] offset:256
	flat_load_u16 v47, v[17:18] offset:256
	;; [unrolled: 7-line block ×3, first 2 shown]
	s_waitcnt vmcnt(3) lgkmcnt(3)
	v_lshlrev_b32_e32 v11, 16, v11
	s_waitcnt vmcnt(2) lgkmcnt(2)
	s_delay_alu instid0(VALU_DEP_1) | instskip(SKIP_2) | instid1(VALU_DEP_2)
	v_dual_fmac_f32 v25, v42, v11 :: v_dual_lshlrev_b32 v12, 16, v12
	s_waitcnt vmcnt(1) lgkmcnt(1)
	v_lshlrev_b32_e32 v11, 16, v13
	v_fmac_f32_e32 v25, v40, v12
	s_delay_alu instid0(VALU_DEP_1) | instskip(SKIP_2) | instid1(VALU_DEP_1)
	v_fmac_f32_e32 v25, v38, v11
	s_waitcnt vmcnt(0) lgkmcnt(0)
	v_lshlrev_b32_e32 v11, 16, v14
	v_fmac_f32_e32 v25, v37, v11
	s_branch .LBB597_25
.LBB597_34:
	s_or_b32 exec_lo, exec_lo, s31
.LBB597_35:
	s_delay_alu instid0(SALU_CYCLE_1) | instskip(SKIP_1) | instid1(SALU_CYCLE_1)
	s_or_b32 exec_lo, exec_lo, s30
	s_sub_i32 s0, s9, s29
	s_cmp_lt_i32 s0, 1
	s_cbranch_scc1 .LBB597_53
; %bb.36:
	v_cmp_gt_i32_e32 vcc_lo, s9, v26
	v_dual_mov_b32 v9, 0 :: v_dual_mov_b32 v10, 0
	v_or_b32_e32 v2, 1, v26
	v_dual_mov_b32 v11, 0 :: v_dual_mov_b32 v12, 0
	s_and_saveexec_b32 s1, vcc_lo
	s_cbranch_execz .LBB597_44
; %bb.37:
	v_mad_u64_u32 v[3:4], null, v26, s18, 0
	v_mov_b32_e32 v11, 0
	v_mov_b32_e32 v9, 0
	s_mov_b32 s2, exec_lo
	s_delay_alu instid0(VALU_DEP_3) | instskip(NEXT) | instid1(VALU_DEP_1)
	v_dual_mov_b32 v10, 0 :: v_dual_mov_b32 v1, v4
	v_mad_u64_u32 v[4:5], null, v26, s19, v[1:2]
	s_delay_alu instid0(VALU_DEP_1) | instskip(NEXT) | instid1(VALU_DEP_1)
	v_lshlrev_b64 v[3:4], 1, v[3:4]
	v_add_co_u32 v3, s0, s20, v3
	s_delay_alu instid0(VALU_DEP_1)
	v_add_co_ci_u32_e64 v4, s0, s21, v4, s0
	flat_load_u16 v1, v[3:4]
	v_cmpx_gt_i32_e64 s9, v2
	s_cbranch_execz .LBB597_43
; %bb.38:
	v_mad_u64_u32 v[3:4], null, v2, s18, 0
	v_mov_b32_e32 v10, 0
	s_mov_b32 s3, exec_lo
	v_mov_b32_e32 v9, 0
	s_delay_alu instid0(VALU_DEP_3) | instskip(NEXT) | instid1(VALU_DEP_1)
	v_mad_u64_u32 v[5:6], null, v2, s19, v[4:5]
	v_mov_b32_e32 v4, v5
	s_delay_alu instid0(VALU_DEP_1) | instskip(NEXT) | instid1(VALU_DEP_1)
	v_lshlrev_b64 v[3:4], 1, v[3:4]
	v_add_co_u32 v3, s0, s20, v3
	s_delay_alu instid0(VALU_DEP_1) | instskip(SKIP_2) | instid1(VALU_DEP_1)
	v_add_co_ci_u32_e64 v4, s0, s21, v4, s0
	flat_load_u16 v3, v[3:4]
	v_or_b32_e32 v4, 2, v26
	v_cmpx_gt_i32_e64 s9, v4
	s_cbranch_execz .LBB597_42
; %bb.39:
	v_mad_u64_u32 v[5:6], null, v4, s18, 0
	s_mov_b32 s4, exec_lo
	v_mov_b32_e32 v9, 0
	s_delay_alu instid0(VALU_DEP_2) | instskip(NEXT) | instid1(VALU_DEP_1)
	v_mad_u64_u32 v[7:8], null, v4, s19, v[6:7]
	v_mov_b32_e32 v6, v7
	s_delay_alu instid0(VALU_DEP_1) | instskip(NEXT) | instid1(VALU_DEP_1)
	v_lshlrev_b64 v[4:5], 1, v[5:6]
	v_add_co_u32 v4, s0, s20, v4
	s_delay_alu instid0(VALU_DEP_1) | instskip(SKIP_2) | instid1(VALU_DEP_1)
	v_add_co_ci_u32_e64 v5, s0, s21, v5, s0
	flat_load_u16 v4, v[4:5]
	v_or_b32_e32 v5, 3, v26
	v_cmpx_gt_i32_e64 s9, v5
	s_cbranch_execz .LBB597_41
; %bb.40:
	v_mad_u64_u32 v[6:7], null, v5, s18, 0
	s_delay_alu instid0(VALU_DEP_1) | instskip(NEXT) | instid1(VALU_DEP_1)
	v_mad_u64_u32 v[8:9], null, v5, s19, v[7:8]
	v_mov_b32_e32 v7, v8
	s_delay_alu instid0(VALU_DEP_1) | instskip(NEXT) | instid1(VALU_DEP_1)
	v_lshlrev_b64 v[5:6], 1, v[6:7]
	v_add_co_u32 v5, s0, s20, v5
	s_delay_alu instid0(VALU_DEP_1)
	v_add_co_ci_u32_e64 v6, s0, s21, v6, s0
	flat_load_u16 v5, v[5:6]
	s_waitcnt vmcnt(0) lgkmcnt(0)
	v_lshlrev_b32_e32 v9, 16, v5
.LBB597_41:
	s_or_b32 exec_lo, exec_lo, s4
	s_waitcnt vmcnt(0) lgkmcnt(0)
	v_lshlrev_b32_e32 v10, 16, v4
.LBB597_42:
	s_or_b32 exec_lo, exec_lo, s3
	s_waitcnt vmcnt(0) lgkmcnt(0)
	v_lshlrev_b32_e32 v11, 16, v3
.LBB597_43:
	s_or_b32 exec_lo, exec_lo, s2
	s_waitcnt vmcnt(0) lgkmcnt(0)
	v_lshlrev_b32_e32 v12, 16, v1
.LBB597_44:
	s_or_b32 exec_lo, exec_lo, s1
	s_delay_alu instid0(SALU_CYCLE_1)
	s_mov_b32 s1, exec_lo
	v_cmpx_gt_i32_e64 s8, v0
	s_cbranch_execz .LBB597_52
; %bb.45:
	v_mad_u64_u32 v[3:4], null, v26, s12, 0
	v_mad_u64_u32 v[5:6], null, v2, s12, 0
	v_ashrrev_i32_e32 v1, 31, v0
	v_or_b32_e32 v28, 2, v26
	v_or_b32_e32 v29, 3, v26
	v_cndmask_b32_e32 v3, 0, v3, vcc_lo
	s_delay_alu instid0(VALU_DEP_4)
	v_lshlrev_b64 v[13:14], 1, v[0:1]
	v_mad_u64_u32 v[7:8], null, v26, s13, v[4:5]
	v_mov_b32_e32 v1, v6
	v_mad_u64_u32 v[15:16], null, v28, s12, 0
	v_mad_u64_u32 v[17:18], null, v29, s12, 0
	v_cmp_gt_i32_e64 s0, s9, v28
	v_cndmask_b32_e32 v4, 0, v7, vcc_lo
	v_mad_u64_u32 v[6:7], null, v2, s13, v[1:2]
	v_cmp_gt_i32_e32 vcc_lo, s9, v2
	v_mov_b32_e32 v1, v16
	v_dual_mov_b32 v7, v18 :: v_dual_cndmask_b32 v2, 0, v5
	v_lshlrev_b64 v[4:5], 1, v[3:4]
	v_cndmask_b32_e32 v3, 0, v6, vcc_lo
	s_delay_alu instid0(VALU_DEP_3) | instskip(NEXT) | instid1(VALU_DEP_3)
	v_mad_u64_u32 v[26:27], null, v28, s13, v[1:2]
	v_add_co_u32 v1, vcc_lo, s16, v4
	s_delay_alu instid0(VALU_DEP_4) | instskip(NEXT) | instid1(VALU_DEP_4)
	v_add_co_ci_u32_e32 v5, vcc_lo, s17, v5, vcc_lo
	v_lshlrev_b64 v[3:4], 1, v[2:3]
	s_delay_alu instid0(VALU_DEP_3) | instskip(NEXT) | instid1(VALU_DEP_3)
	v_add_co_u32 v1, vcc_lo, v1, v13
	v_add_co_ci_u32_e32 v2, vcc_lo, v5, v14, vcc_lo
	v_cndmask_b32_e64 v5, 0, v15, s0
	s_delay_alu instid0(VALU_DEP_4) | instskip(SKIP_3) | instid1(VALU_DEP_4)
	v_add_co_u32 v3, vcc_lo, s16, v3
	v_add_co_ci_u32_e32 v4, vcc_lo, s17, v4, vcc_lo
	v_mad_u64_u32 v[15:16], null, v29, s13, v[7:8]
	v_cndmask_b32_e64 v6, 0, v26, s0
	v_add_co_u32 v3, s0, v3, v13
	v_cmp_gt_i32_e32 vcc_lo, s9, v29
	v_add_co_ci_u32_e64 v4, s0, v4, v14, s0
	s_delay_alu instid0(VALU_DEP_4)
	v_lshlrev_b64 v[5:6], 1, v[5:6]
	s_mov_b32 s0, exec_lo
	v_cndmask_b32_e32 v8, 0, v15, vcc_lo
	s_clause 0x1
	flat_load_u16 v15, v[1:2]
	flat_load_u16 v16, v[3:4]
	s_waitcnt vmcnt(1) lgkmcnt(1)
	v_lshlrev_b32_e32 v15, 16, v15
	s_waitcnt vmcnt(0) lgkmcnt(0)
	v_lshlrev_b32_e32 v16, 16, v16
	s_delay_alu instid0(VALU_DEP_2) | instskip(SKIP_2) | instid1(VALU_DEP_3)
	v_dual_fmac_f32 v22, v12, v15 :: v_dual_cndmask_b32 v7, 0, v17
	v_add_co_u32 v5, vcc_lo, s16, v5
	v_add_co_ci_u32_e32 v6, vcc_lo, s17, v6, vcc_lo
	v_fmac_f32_e32 v22, v11, v16
	s_delay_alu instid0(VALU_DEP_4) | instskip(SKIP_1) | instid1(VALU_DEP_2)
	v_lshlrev_b64 v[7:8], 1, v[7:8]
	v_add_nc_u32_e32 v16, 64, v0
	v_add_co_u32 v17, vcc_lo, s16, v7
	s_delay_alu instid0(VALU_DEP_3) | instskip(SKIP_2) | instid1(VALU_DEP_4)
	v_add_co_ci_u32_e32 v18, vcc_lo, s17, v8, vcc_lo
	v_add_co_u32 v7, vcc_lo, v5, v13
	v_add_co_ci_u32_e32 v8, vcc_lo, v6, v14, vcc_lo
	v_add_co_u32 v5, vcc_lo, v17, v13
	s_delay_alu instid0(VALU_DEP_4)
	v_add_co_ci_u32_e32 v6, vcc_lo, v18, v14, vcc_lo
	s_clause 0x1
	flat_load_u16 v13, v[7:8]
	flat_load_u16 v14, v[5:6]
	s_waitcnt vmcnt(1) lgkmcnt(1)
	v_lshlrev_b32_e32 v15, 16, v13
	s_waitcnt vmcnt(0) lgkmcnt(0)
	s_delay_alu instid0(VALU_DEP_1)
	v_dual_fmac_f32 v22, v10, v15 :: v_dual_lshlrev_b32 v13, 16, v14
	v_cmpx_gt_i32_e64 s8, v16
	s_cbranch_execz .LBB597_51
; %bb.46:
	s_clause 0x3
	flat_load_u16 v14, v[1:2] offset:128
	flat_load_u16 v15, v[3:4] offset:128
	;; [unrolled: 1-line block ×4, first 2 shown]
	s_mov_b32 s2, exec_lo
	s_waitcnt vmcnt(2) lgkmcnt(2)
	v_lshlrev_b32_e32 v15, 16, v15
	v_lshlrev_b32_e32 v14, 16, v14
	s_waitcnt vmcnt(1) lgkmcnt(1)
	s_delay_alu instid0(VALU_DEP_1) | instskip(NEXT) | instid1(VALU_DEP_1)
	v_dual_fmac_f32 v23, v12, v14 :: v_dual_lshlrev_b32 v16, 16, v16
	v_fmac_f32_e32 v23, v11, v15
	v_add_nc_u32_e32 v15, 0x80, v0
	s_waitcnt vmcnt(0) lgkmcnt(0)
	s_delay_alu instid0(VALU_DEP_2) | instskip(NEXT) | instid1(VALU_DEP_2)
	v_dual_fmac_f32 v23, v10, v16 :: v_dual_lshlrev_b32 v14, 16, v17
	v_cmpx_gt_i32_e64 s8, v15
	s_cbranch_execz .LBB597_50
; %bb.47:
	s_clause 0x3
	flat_load_u16 v15, v[1:2] offset:256
	flat_load_u16 v16, v[3:4] offset:256
	;; [unrolled: 1-line block ×4, first 2 shown]
	s_mov_b32 s3, exec_lo
	s_waitcnt vmcnt(2) lgkmcnt(2)
	v_lshlrev_b32_e32 v16, 16, v16
	v_lshlrev_b32_e32 v15, 16, v15
	s_waitcnt vmcnt(1) lgkmcnt(1)
	s_delay_alu instid0(VALU_DEP_1) | instskip(NEXT) | instid1(VALU_DEP_1)
	v_dual_fmac_f32 v24, v12, v15 :: v_dual_lshlrev_b32 v15, 16, v17
	v_fmac_f32_e32 v24, v11, v16
	v_add_nc_u32_e32 v16, 0xc0, v0
	s_waitcnt vmcnt(0) lgkmcnt(0)
	v_lshlrev_b32_e32 v0, 16, v18
	s_delay_alu instid0(VALU_DEP_3) | instskip(NEXT) | instid1(VALU_DEP_3)
	v_fmac_f32_e32 v24, v10, v15
	v_cmpx_gt_i32_e64 s8, v16
	s_cbranch_execz .LBB597_49
; %bb.48:
	s_clause 0x3
	flat_load_u16 v1, v[1:2] offset:384
	flat_load_u16 v2, v[3:4] offset:384
	;; [unrolled: 1-line block ×4, first 2 shown]
	s_waitcnt vmcnt(3) lgkmcnt(3)
	v_lshlrev_b32_e32 v1, 16, v1
	s_waitcnt vmcnt(2) lgkmcnt(2)
	s_delay_alu instid0(VALU_DEP_1) | instskip(SKIP_2) | instid1(VALU_DEP_2)
	v_dual_fmac_f32 v25, v12, v1 :: v_dual_lshlrev_b32 v2, 16, v2
	s_waitcnt vmcnt(1) lgkmcnt(1)
	v_lshlrev_b32_e32 v1, 16, v3
	v_fmac_f32_e32 v25, v11, v2
	s_delay_alu instid0(VALU_DEP_1) | instskip(SKIP_2) | instid1(VALU_DEP_1)
	v_fmac_f32_e32 v25, v10, v1
	s_waitcnt vmcnt(0) lgkmcnt(0)
	v_lshlrev_b32_e32 v1, 16, v4
	v_fmac_f32_e32 v25, v9, v1
.LBB597_49:
	s_or_b32 exec_lo, exec_lo, s3
	s_delay_alu instid0(VALU_DEP_2)
	v_fmac_f32_e32 v24, v9, v0
.LBB597_50:
	s_or_b32 exec_lo, exec_lo, s2
	s_delay_alu instid0(VALU_DEP_2)
	v_fmac_f32_e32 v23, v9, v14
.LBB597_51:
	s_or_b32 exec_lo, exec_lo, s0
	s_delay_alu instid0(VALU_DEP_2)
	v_fmac_f32_e32 v22, v9, v13
.LBB597_52:
	s_or_b32 exec_lo, exec_lo, s1
.LBB597_53:
	v_lshlrev_b32_e32 v0, 8, v21
	s_mov_b32 s0, exec_lo
                                        ; implicit-def: $vgpr3
	s_delay_alu instid0(VALU_DEP_1)
	v_add_lshl_u32 v0, v0, v20, 2
	ds_store_2addr_stride64_b32 v0, v22, v23 offset1:1
	ds_store_2addr_stride64_b32 v0, v24, v25 offset0:2 offset1:3
	s_waitcnt lgkmcnt(0)
	s_barrier
	buffer_gl0_inv
                                        ; implicit-def: $vgpr0_vgpr1
	v_cmpx_gt_u32_e32 0x100, v19
	s_cbranch_execz .LBB597_74
; %bb.54:
	v_lshlrev_b32_e32 v6, 2, v19
	s_mov_b32 s2, s27
	s_mov_b32 s1, exec_lo
	ds_load_2addr_stride64_b32 v[0:1], v6 offset1:4
	ds_load_2addr_stride64_b32 v[2:3], v6 offset0:8 offset1:12
	ds_load_2addr_stride64_b32 v[4:5], v6 offset0:16 offset1:20
	s_waitcnt lgkmcnt(2)
	v_add_f32_e32 v7, v0, v1
	ds_load_2addr_stride64_b32 v[0:1], v6 offset0:24 offset1:28
	s_waitcnt lgkmcnt(2)
	v_add_f32_e32 v2, v2, v7
	s_delay_alu instid0(VALU_DEP_1) | instskip(SKIP_3) | instid1(VALU_DEP_1)
	v_add_f32_e32 v7, v3, v2
	ds_load_2addr_stride64_b32 v[2:3], v6 offset0:32 offset1:36
	s_waitcnt lgkmcnt(2)
	v_add_f32_e32 v4, v4, v7
	v_add_f32_e32 v7, v5, v4
	ds_load_2addr_stride64_b32 v[4:5], v6 offset0:40 offset1:44
	s_waitcnt lgkmcnt(2)
	v_add_f32_e32 v0, v0, v7
	s_delay_alu instid0(VALU_DEP_1) | instskip(SKIP_1) | instid1(VALU_DEP_1)
	v_add_f32_e32 v0, v1, v0
	s_waitcnt lgkmcnt(1)
	v_add_f32_e32 v2, v2, v0
	ds_load_2addr_stride64_b32 v[0:1], v6 offset0:48 offset1:52
	v_add_f32_e32 v2, v3, v2
	s_waitcnt lgkmcnt(1)
	s_delay_alu instid0(VALU_DEP_1) | instskip(SKIP_3) | instid1(VALU_DEP_1)
	v_add_f32_e32 v4, v4, v2
	ds_load_2addr_stride64_b32 v[2:3], v6 offset0:56 offset1:60
	v_add_f32_e32 v4, v5, v4
	s_waitcnt lgkmcnt(1)
	v_add_f32_e32 v0, v0, v4
	s_delay_alu instid0(VALU_DEP_1) | instskip(SKIP_1) | instid1(VALU_DEP_1)
	v_add_f32_e32 v0, v1, v0
	s_waitcnt lgkmcnt(0)
	v_add_f32_e32 v0, v2, v0
	v_or_b32_e32 v2, s28, v19
	s_delay_alu instid0(VALU_DEP_2)
	v_add_f32_e32 v4, v3, v0
                                        ; implicit-def: $vgpr3
                                        ; implicit-def: $vgpr0_vgpr1
	ds_store_b32 v6, v4
	v_cmpx_gt_i32_e64 s8, v2
	s_cbranch_execz .LBB597_73
; %bb.55:
	v_cmp_eq_f32_e64 s2, s26, 0
	v_mul_f32_e32 v0, s10, v4
	s_delay_alu instid0(VALU_DEP_2)
	s_and_b32 vcc_lo, exec_lo, s2
	s_cbranch_vccz .LBB597_61
; %bb.56:
	s_delay_alu instid0(VALU_DEP_1) | instskip(SKIP_1) | instid1(VALU_DEP_1)
	v_and_b32_e32 v1, 0x7f800000, v0
	s_mov_b32 s2, exec_lo
                                        ; implicit-def: $vgpr3
	v_cmpx_ne_u32_e32 0x7f800000, v1
	s_xor_b32 s2, exec_lo, s2
; %bb.57:
	v_bfe_u32 v1, v0, 16, 1
	s_delay_alu instid0(VALU_DEP_1)
	v_add3_u32 v3, v0, v1, 0x7fff
; %bb.58:
	s_and_not1_saveexec_b32 s2, s2
; %bb.59:
	v_and_b32_e32 v1, 0xffff, v0
	v_or_b32_e32 v3, 0x10000, v0
	s_delay_alu instid0(VALU_DEP_2) | instskip(NEXT) | instid1(VALU_DEP_2)
	v_cmp_eq_u32_e32 vcc_lo, 0, v1
	v_cndmask_b32_e32 v3, v3, v0, vcc_lo
; %bb.60:
	s_or_b32 exec_lo, exec_lo, s2
	s_mov_b32 s2, 0
	s_branch .LBB597_62
.LBB597_61:
	s_mov_b32 s2, -1
                                        ; implicit-def: $vgpr3
.LBB597_62:
	v_ashrrev_i32_e32 v1, 31, v2
	v_mul_lo_u32 v4, v2, s7
	s_and_not1_b32 vcc_lo, exec_lo, s2
	s_delay_alu instid0(VALU_DEP_2)
	v_mul_lo_u32 v5, v1, s6
	s_cbranch_vccnz .LBB597_72
; %bb.63:
	v_mad_u64_u32 v[6:7], null, v2, s6, 0
	s_delay_alu instid0(VALU_DEP_1) | instskip(NEXT) | instid1(VALU_DEP_1)
	v_add3_u32 v7, v7, v4, v5
	v_lshlrev_b64 v[6:7], 1, v[6:7]
	s_delay_alu instid0(VALU_DEP_1) | instskip(NEXT) | instid1(VALU_DEP_2)
	v_add_co_u32 v6, vcc_lo, s5, v6
	v_add_co_ci_u32_e32 v7, vcc_lo, s11, v7, vcc_lo
	global_load_u16 v1, v[6:7], off
	s_waitcnt vmcnt(0)
	v_lshlrev_b32_e32 v1, 16, v1
	s_delay_alu instid0(VALU_DEP_1) | instskip(NEXT) | instid1(VALU_DEP_1)
	v_mul_f32_e32 v1, s26, v1
	v_and_b32_e32 v3, 0x7f800000, v1
	s_delay_alu instid0(VALU_DEP_1) | instskip(SKIP_1) | instid1(SALU_CYCLE_1)
	v_cmp_ne_u32_e32 vcc_lo, 0x7f800000, v3
                                        ; implicit-def: $vgpr3
	s_and_saveexec_b32 s2, vcc_lo
	s_xor_b32 s2, exec_lo, s2
; %bb.64:
	v_bfe_u32 v3, v1, 16, 1
	s_delay_alu instid0(VALU_DEP_1)
	v_add3_u32 v3, v1, v3, 0x7fff
                                        ; implicit-def: $vgpr1
; %bb.65:
	s_and_not1_saveexec_b32 s2, s2
; %bb.66:
	v_and_b32_e32 v3, 0xffff, v1
	v_or_b32_e32 v6, 0x10000, v1
	s_delay_alu instid0(VALU_DEP_2) | instskip(NEXT) | instid1(VALU_DEP_2)
	v_cmp_eq_u32_e32 vcc_lo, 0, v3
	v_cndmask_b32_e32 v3, v6, v1, vcc_lo
; %bb.67:
	s_or_b32 exec_lo, exec_lo, s2
	s_delay_alu instid0(VALU_DEP_1) | instskip(SKIP_1) | instid1(VALU_DEP_1)
	v_and_b32_e32 v1, 0xffff0000, v3
	s_mov_b32 s2, exec_lo
                                        ; implicit-def: $vgpr3
	v_add_f32_e32 v0, v0, v1
	s_delay_alu instid0(VALU_DEP_1) | instskip(NEXT) | instid1(VALU_DEP_1)
	v_and_b32_e32 v1, 0x7f800000, v0
	v_cmpx_ne_u32_e32 0x7f800000, v1
	s_xor_b32 s2, exec_lo, s2
; %bb.68:
	v_bfe_u32 v1, v0, 16, 1
	s_delay_alu instid0(VALU_DEP_1)
	v_add3_u32 v3, v0, v1, 0x7fff
                                        ; implicit-def: $vgpr0
; %bb.69:
	s_and_not1_saveexec_b32 s2, s2
; %bb.70:
	v_and_b32_e32 v1, 0xffff, v0
	v_or_b32_e32 v3, 0x10000, v0
	s_delay_alu instid0(VALU_DEP_2) | instskip(NEXT) | instid1(VALU_DEP_2)
	v_cmp_eq_u32_e32 vcc_lo, 0, v1
	v_cndmask_b32_e32 v3, v3, v0, vcc_lo
; %bb.71:
	s_or_b32 exec_lo, exec_lo, s2
.LBB597_72:
	v_mad_u64_u32 v[0:1], null, v2, s6, 0
	s_delay_alu instid0(VALU_DEP_2) | instskip(SKIP_1) | instid1(VALU_DEP_2)
	v_lshrrev_b32_e32 v3, 16, v3
	s_or_b32 s2, s27, exec_lo
	v_add3_u32 v1, v1, v4, v5
.LBB597_73:
	s_or_b32 exec_lo, exec_lo, s1
	s_delay_alu instid0(SALU_CYCLE_1) | instskip(SKIP_1) | instid1(SALU_CYCLE_1)
	s_and_not1_b32 s1, s27, exec_lo
	s_and_b32 s2, s2, exec_lo
	s_or_b32 s27, s1, s2
.LBB597_74:
	s_or_b32 exec_lo, exec_lo, s0
.LBB597_75:
	s_and_saveexec_b32 s0, s27
	s_cbranch_execz .LBB597_77
; %bb.76:
	v_lshlrev_b64 v[0:1], 1, v[0:1]
	s_delay_alu instid0(VALU_DEP_1) | instskip(NEXT) | instid1(VALU_DEP_2)
	v_add_co_u32 v0, vcc_lo, s5, v0
	v_add_co_ci_u32_e32 v1, vcc_lo, s11, v1, vcc_lo
	global_store_b16 v[0:1], v3, off
.LBB597_77:
	s_nop 0
	s_sendmsg sendmsg(MSG_DEALLOC_VGPRS)
	s_endpgm
	.section	.rodata,"a",@progbits
	.p2align	6, 0x0
	.amdhsa_kernel _ZL20rocblas_gemvn_kernelILi64ELi16ElPK16rocblas_bfloat16fKPS0_EviiT3_lPKT2_lT1_lS8_lS9_lS5_lPT4_lS9_li
		.amdhsa_group_segment_fixed_size 16384
		.amdhsa_private_segment_fixed_size 0
		.amdhsa_kernarg_size 400
		.amdhsa_user_sgpr_count 14
		.amdhsa_user_sgpr_dispatch_ptr 0
		.amdhsa_user_sgpr_queue_ptr 0
		.amdhsa_user_sgpr_kernarg_segment_ptr 1
		.amdhsa_user_sgpr_dispatch_id 0
		.amdhsa_user_sgpr_private_segment_size 0
		.amdhsa_wavefront_size32 1
		.amdhsa_uses_dynamic_stack 0
		.amdhsa_enable_private_segment 0
		.amdhsa_system_sgpr_workgroup_id_x 1
		.amdhsa_system_sgpr_workgroup_id_y 0
		.amdhsa_system_sgpr_workgroup_id_z 1
		.amdhsa_system_sgpr_workgroup_info 0
		.amdhsa_system_vgpr_workitem_id 1
		.amdhsa_next_free_vgpr 51
		.amdhsa_next_free_sgpr 35
		.amdhsa_reserve_vcc 1
		.amdhsa_float_round_mode_32 0
		.amdhsa_float_round_mode_16_64 0
		.amdhsa_float_denorm_mode_32 3
		.amdhsa_float_denorm_mode_16_64 3
		.amdhsa_dx10_clamp 1
		.amdhsa_ieee_mode 1
		.amdhsa_fp16_overflow 0
		.amdhsa_workgroup_processor_mode 1
		.amdhsa_memory_ordered 1
		.amdhsa_forward_progress 0
		.amdhsa_shared_vgpr_count 0
		.amdhsa_exception_fp_ieee_invalid_op 0
		.amdhsa_exception_fp_denorm_src 0
		.amdhsa_exception_fp_ieee_div_zero 0
		.amdhsa_exception_fp_ieee_overflow 0
		.amdhsa_exception_fp_ieee_underflow 0
		.amdhsa_exception_fp_ieee_inexact 0
		.amdhsa_exception_int_div_zero 0
	.end_amdhsa_kernel
	.section	.text._ZL20rocblas_gemvn_kernelILi64ELi16ElPK16rocblas_bfloat16fKPS0_EviiT3_lPKT2_lT1_lS8_lS9_lS5_lPT4_lS9_li,"axG",@progbits,_ZL20rocblas_gemvn_kernelILi64ELi16ElPK16rocblas_bfloat16fKPS0_EviiT3_lPKT2_lT1_lS8_lS9_lS5_lPT4_lS9_li,comdat
.Lfunc_end597:
	.size	_ZL20rocblas_gemvn_kernelILi64ELi16ElPK16rocblas_bfloat16fKPS0_EviiT3_lPKT2_lT1_lS8_lS9_lS5_lPT4_lS9_li, .Lfunc_end597-_ZL20rocblas_gemvn_kernelILi64ELi16ElPK16rocblas_bfloat16fKPS0_EviiT3_lPKT2_lT1_lS8_lS9_lS5_lPT4_lS9_li
                                        ; -- End function
	.section	.AMDGPU.csdata,"",@progbits
; Kernel info:
; codeLenInByte = 4004
; NumSgprs: 37
; NumVgprs: 51
; ScratchSize: 0
; MemoryBound: 0
; FloatMode: 240
; IeeeMode: 1
; LDSByteSize: 16384 bytes/workgroup (compile time only)
; SGPRBlocks: 4
; VGPRBlocks: 6
; NumSGPRsForWavesPerEU: 37
; NumVGPRsForWavesPerEU: 51
; Occupancy: 16
; WaveLimiterHint : 1
; COMPUTE_PGM_RSRC2:SCRATCH_EN: 0
; COMPUTE_PGM_RSRC2:USER_SGPR: 14
; COMPUTE_PGM_RSRC2:TRAP_HANDLER: 0
; COMPUTE_PGM_RSRC2:TGID_X_EN: 1
; COMPUTE_PGM_RSRC2:TGID_Y_EN: 0
; COMPUTE_PGM_RSRC2:TGID_Z_EN: 1
; COMPUTE_PGM_RSRC2:TIDIG_COMP_CNT: 1
	.section	.text._ZL22rocblas_gemvtsm_kernelILb0ELi256EPK16rocblas_bfloat16PKfKPS0_EviiT2_lPKT1_lilSA_lilS7_lPT3_lil,"axG",@progbits,_ZL22rocblas_gemvtsm_kernelILb0ELi256EPK16rocblas_bfloat16PKfKPS0_EviiT2_lPKT1_lilSA_lilS7_lPT3_lil,comdat
	.globl	_ZL22rocblas_gemvtsm_kernelILb0ELi256EPK16rocblas_bfloat16PKfKPS0_EviiT2_lPKT1_lilSA_lilS7_lPT3_lil ; -- Begin function _ZL22rocblas_gemvtsm_kernelILb0ELi256EPK16rocblas_bfloat16PKfKPS0_EviiT2_lPKT1_lilSA_lilS7_lPT3_lil
	.p2align	8
	.type	_ZL22rocblas_gemvtsm_kernelILb0ELi256EPK16rocblas_bfloat16PKfKPS0_EviiT2_lPKT1_lilSA_lilS7_lPT3_lil,@function
_ZL22rocblas_gemvtsm_kernelILb0ELi256EPK16rocblas_bfloat16PKfKPS0_EviiT2_lPKT1_lilSA_lilS7_lPT3_lil: ; @_ZL22rocblas_gemvtsm_kernelILb0ELi256EPK16rocblas_bfloat16PKfKPS0_EviiT2_lPKT1_lilSA_lilS7_lPT3_lil
; %bb.0:
	s_mov_b32 s2, s15
	s_clause 0x1
	s_load_b256 s[12:19], s[0:1], 0x8
	s_load_b256 s[4:11], s[0:1], 0x58
	s_waitcnt lgkmcnt(0)
	s_mul_i32 s3, s2, s15
	s_mul_hi_u32 s15, s2, s14
	s_mul_i32 s14, s2, s14
	s_add_i32 s15, s15, s3
	s_mul_i32 s3, s2, s7
	s_lshl_b64 s[14:15], s[14:15], 2
	s_mul_hi_u32 s7, s2, s6
	s_add_u32 s12, s12, s14
	s_addc_u32 s13, s13, s15
	s_add_i32 s7, s7, s3
	s_mul_i32 s6, s2, s6
	s_delay_alu instid0(SALU_CYCLE_1) | instskip(NEXT) | instid1(SALU_CYCLE_1)
	s_lshl_b64 s[6:7], s[6:7], 2
	s_add_u32 s4, s4, s6
	s_addc_u32 s5, s5, s7
	s_load_b32 s21, s[12:13], 0x0
	s_load_b32 s20, s[4:5], 0x0
	s_waitcnt lgkmcnt(0)
	v_cmp_eq_f32_e64 s7, s21, 0
	v_cmp_eq_f32_e64 s3, s20, 1.0
	s_delay_alu instid0(VALU_DEP_1) | instskip(NEXT) | instid1(SALU_CYCLE_1)
	s_and_b32 s3, s7, s3
	s_and_b32 vcc_lo, exec_lo, s3
	s_mov_b32 s3, 0
	s_cbranch_vccnz .LBB598_74
; %bb.1:
	v_cmp_neq_f32_e64 s4, s21, 0
	s_mov_b64 s[14:15], 0
	s_and_b32 vcc_lo, exec_lo, s7
	s_mov_b64 s[12:13], 0
	s_cbranch_vccnz .LBB598_3
; %bb.2:
	s_lshl_b64 s[12:13], s[2:3], 3
	s_delay_alu instid0(SALU_CYCLE_1)
	s_add_u32 s12, s16, s12
	s_addc_u32 s13, s17, s13
	s_lshl_b64 s[16:17], s[18:19], 1
	s_load_b64 s[12:13], s[12:13], 0x0
	s_waitcnt lgkmcnt(0)
	s_add_u32 s12, s12, s16
	s_addc_u32 s13, s13, s17
.LBB598_3:
	s_and_not1_b32 vcc_lo, exec_lo, s4
	s_cbranch_vccnz .LBB598_5
; %bb.4:
	s_load_b128 s[16:19], s[0:1], 0x38
	s_lshl_b64 s[4:5], s[2:3], 3
	s_waitcnt lgkmcnt(0)
	s_add_u32 s4, s16, s4
	s_addc_u32 s5, s17, s5
	s_lshl_b64 s[14:15], s[18:19], 1
	s_load_b64 s[4:5], s[4:5], 0x0
	s_waitcnt lgkmcnt(0)
	s_add_u32 s14, s4, s14
	s_addc_u32 s15, s5, s15
.LBB598_5:
	s_lshl_b64 s[2:3], s[2:3], 3
	s_delay_alu instid0(SALU_CYCLE_1)
	s_add_u32 s2, s8, s2
	s_addc_u32 s3, s9, s3
	s_clause 0x1
	s_load_b64 s[4:5], s[0:1], 0x0
	s_load_b32 s6, s[0:1], 0x78
	s_load_b64 s[8:9], s[2:3], 0x0
	s_and_not1_b32 vcc_lo, exec_lo, s7
	s_mov_b32 s2, -1
	s_cbranch_vccnz .LBB598_24
; %bb.6:
	s_waitcnt lgkmcnt(0)
	s_cmp_gt_i32 s5, 0
	v_cmp_neq_f32_e64 s2, s20, 0
	s_cselect_b32 s16, -1, 0
	s_delay_alu instid0(SALU_CYCLE_1) | instskip(NEXT) | instid1(VALU_DEP_2)
	v_cndmask_b32_e64 v1, 0, 1, s16
	s_and_b32 vcc_lo, exec_lo, s2
	s_delay_alu instid0(VALU_DEP_1)
	v_cmp_ne_u32_e64 s2, 1, v1
	s_cbranch_vccnz .LBB598_13
; %bb.7:
	s_delay_alu instid0(VALU_DEP_1)
	s_and_b32 vcc_lo, exec_lo, s2
	s_cbranch_vccnz .LBB598_12
; %bb.8:
	v_mad_i64_i32 v[1:2], null, s6, v0, 0
	s_lshl_b64 s[2:3], s[10:11], 1
	s_ashr_i32 s7, s6, 31
	s_add_u32 s2, s8, s2
	s_addc_u32 s3, s9, s3
	v_mov_b32_e32 v3, 0
	s_delay_alu instid0(VALU_DEP_2) | instskip(NEXT) | instid1(VALU_DEP_1)
	v_lshlrev_b64 v[1:2], 1, v[1:2]
	v_add_co_u32 v1, vcc_lo, s2, v1
	s_delay_alu instid0(VALU_DEP_2)
	v_add_co_ci_u32_e32 v2, vcc_lo, s3, v2, vcc_lo
	s_lshl_b64 s[2:3], s[6:7], 9
	s_mov_b32 s7, 0
	s_branch .LBB598_10
.LBB598_9:                              ;   in Loop: Header=BB598_10 Depth=1
	s_or_b32 exec_lo, exec_lo, s17
	v_add_co_u32 v1, vcc_lo, v1, s2
	v_add_co_ci_u32_e32 v2, vcc_lo, s3, v2, vcc_lo
	s_addk_i32 s7, 0x100
	s_delay_alu instid0(SALU_CYCLE_1)
	s_cmp_ge_i32 s7, s5
	s_cbranch_scc1 .LBB598_12
.LBB598_10:                             ; =>This Inner Loop Header: Depth=1
	v_add_nc_u32_e32 v4, s7, v0
	s_mov_b32 s17, exec_lo
	s_delay_alu instid0(VALU_DEP_1)
	v_cmpx_gt_i32_e64 s5, v4
	s_cbranch_execz .LBB598_9
; %bb.11:                               ;   in Loop: Header=BB598_10 Depth=1
	global_store_b16 v[1:2], v3, off
	s_branch .LBB598_9
.LBB598_12:
	s_cbranch_execz .LBB598_14
	s_branch .LBB598_23
.LBB598_13:
.LBB598_14:
	s_and_not1_b32 vcc_lo, exec_lo, s16
	s_cbranch_vccnz .LBB598_23
; %bb.15:
	v_mad_i64_i32 v[1:2], null, s6, v0, 0
	s_lshl_b64 s[2:3], s[10:11], 1
	s_ashr_i32 s7, s6, 31
	s_add_u32 s2, s8, s2
	s_addc_u32 s3, s9, s3
	s_delay_alu instid0(VALU_DEP_1) | instskip(NEXT) | instid1(VALU_DEP_1)
	v_lshlrev_b64 v[1:2], 1, v[1:2]
	v_add_co_u32 v1, vcc_lo, s2, v1
	s_delay_alu instid0(VALU_DEP_2)
	v_add_co_ci_u32_e32 v2, vcc_lo, s3, v2, vcc_lo
	s_lshl_b64 s[2:3], s[6:7], 9
	s_mov_b32 s7, 0
	s_set_inst_prefetch_distance 0x1
	s_branch .LBB598_18
	.p2align	6
.LBB598_16:                             ;   in Loop: Header=BB598_18 Depth=1
	s_or_b32 exec_lo, exec_lo, s17
	global_store_d16_hi_b16 v[1:2], v4, off
.LBB598_17:                             ;   in Loop: Header=BB598_18 Depth=1
	s_or_b32 exec_lo, exec_lo, s16
	v_add_co_u32 v1, vcc_lo, v1, s2
	v_add_co_ci_u32_e32 v2, vcc_lo, s3, v2, vcc_lo
	s_addk_i32 s7, 0x100
	s_delay_alu instid0(SALU_CYCLE_1)
	s_cmp_ge_i32 s7, s5
	s_cbranch_scc1 .LBB598_23
.LBB598_18:                             ; =>This Inner Loop Header: Depth=1
	v_add_nc_u32_e32 v3, s7, v0
	s_mov_b32 s16, exec_lo
	s_delay_alu instid0(VALU_DEP_1)
	v_cmpx_gt_i32_e64 s5, v3
	s_cbranch_execz .LBB598_17
; %bb.19:                               ;   in Loop: Header=BB598_18 Depth=1
	global_load_u16 v3, v[1:2], off
	s_waitcnt vmcnt(0)
	v_lshlrev_b32_e32 v3, 16, v3
	s_delay_alu instid0(VALU_DEP_1) | instskip(NEXT) | instid1(VALU_DEP_1)
	v_mul_f32_e32 v3, s20, v3
	v_and_b32_e32 v4, 0x7f800000, v3
	s_delay_alu instid0(VALU_DEP_1) | instskip(SKIP_1) | instid1(SALU_CYCLE_1)
	v_cmp_ne_u32_e32 vcc_lo, 0x7f800000, v4
                                        ; implicit-def: $vgpr4
	s_and_saveexec_b32 s17, vcc_lo
	s_xor_b32 s17, exec_lo, s17
; %bb.20:                               ;   in Loop: Header=BB598_18 Depth=1
	v_bfe_u32 v4, v3, 16, 1
	s_delay_alu instid0(VALU_DEP_1)
	v_add3_u32 v4, v3, v4, 0x7fff
                                        ; implicit-def: $vgpr3
; %bb.21:                               ;   in Loop: Header=BB598_18 Depth=1
	s_and_not1_saveexec_b32 s17, s17
	s_cbranch_execz .LBB598_16
; %bb.22:                               ;   in Loop: Header=BB598_18 Depth=1
	v_and_b32_e32 v4, 0xffff, v3
	v_or_b32_e32 v5, 0x10000, v3
	s_delay_alu instid0(VALU_DEP_2) | instskip(NEXT) | instid1(VALU_DEP_2)
	v_cmp_eq_u32_e32 vcc_lo, 0, v4
	v_cndmask_b32_e32 v4, v5, v3, vcc_lo
	s_branch .LBB598_16
.LBB598_23:
	s_set_inst_prefetch_distance 0x2
	s_mov_b32 s2, 0
.LBB598_24:
	s_delay_alu instid0(SALU_CYCLE_1)
	s_and_not1_b32 vcc_lo, exec_lo, s2
	s_cbranch_vccnz .LBB598_74
; %bb.25:
	s_mov_b32 s2, exec_lo
	s_waitcnt lgkmcnt(0)
	v_cmpx_gt_i32_e64 s4, v0
	s_cbranch_execz .LBB598_31
; %bb.26:
	s_load_b32 s3, s[0:1], 0x48
	s_waitcnt lgkmcnt(0)
	v_mad_i64_i32 v[1:2], null, s3, v0, 0
	s_delay_alu instid0(VALU_DEP_1) | instskip(NEXT) | instid1(VALU_DEP_1)
	v_lshlrev_b64 v[1:2], 1, v[1:2]
	v_add_co_u32 v1, vcc_lo, s14, v1
	s_delay_alu instid0(VALU_DEP_2) | instskip(SKIP_3) | instid1(VALU_DEP_1)
	v_add_co_ci_u32_e32 v2, vcc_lo, s15, v2, vcc_lo
	flat_load_u16 v1, v[1:2]
	s_waitcnt vmcnt(0) lgkmcnt(0)
	v_lshlrev_b32_e32 v1, 16, v1
	v_mul_f32_e32 v1, s21, v1
	s_delay_alu instid0(VALU_DEP_1) | instskip(NEXT) | instid1(VALU_DEP_1)
	v_and_b32_e32 v2, 0x7f800000, v1
	v_cmp_ne_u32_e32 vcc_lo, 0x7f800000, v2
                                        ; implicit-def: $vgpr2
	s_and_saveexec_b32 s3, vcc_lo
	s_delay_alu instid0(SALU_CYCLE_1)
	s_xor_b32 s3, exec_lo, s3
; %bb.27:
	v_bfe_u32 v2, v1, 16, 1
	s_delay_alu instid0(VALU_DEP_1)
	v_add3_u32 v2, v1, v2, 0x7fff
                                        ; implicit-def: $vgpr1
; %bb.28:
	s_and_not1_saveexec_b32 s3, s3
; %bb.29:
	v_and_b32_e32 v2, 0xffff, v1
	v_or_b32_e32 v3, 0x10000, v1
	s_delay_alu instid0(VALU_DEP_2) | instskip(NEXT) | instid1(VALU_DEP_2)
	v_cmp_eq_u32_e32 vcc_lo, 0, v2
	v_cndmask_b32_e32 v2, v3, v1, vcc_lo
; %bb.30:
	s_or_b32 exec_lo, exec_lo, s3
	s_delay_alu instid0(VALU_DEP_1)
	v_and_b32_e32 v1, 0xffff0000, v2
	v_lshlrev_b32_e32 v2, 2, v0
	ds_store_b32 v2, v1
.LBB598_31:
	s_or_b32 exec_lo, exec_lo, s2
	s_cmp_lt_i32 s5, 1
	s_waitcnt lgkmcnt(0)
	s_waitcnt_vscnt null, 0x0
	s_barrier
	buffer_gl0_inv
	s_cbranch_scc1 .LBB598_74
; %bb.32:
	s_load_b32 s0, s[0:1], 0x28
	s_lshl_b64 s[2:3], s[10:11], 1
	s_delay_alu instid0(SALU_CYCLE_1)
	s_add_u32 s2, s8, s2
	s_addc_u32 s3, s9, s3
	s_ashr_i32 s7, s6, 31
	v_cmp_neq_f32_e64 s8, s20, 0
	s_waitcnt lgkmcnt(0)
	v_mad_i64_i32 v[1:2], null, s0, v0, 0
	s_ashr_i32 s1, s0, 31
	s_cmp_gt_i32 s4, 0
	s_cselect_b32 s9, -1, 0
	s_and_b32 s10, s4, 3
	s_cmp_gt_u32 s4, 3
	s_delay_alu instid0(VALU_DEP_1) | instskip(SKIP_3) | instid1(VALU_DEP_1)
	v_lshlrev_b64 v[1:2], 1, v[1:2]
	s_cselect_b32 s11, -1, 0
	s_and_b32 s4, s4, 0x7ffffffc
	s_cmp_lg_u32 s10, 0
	v_add_co_u32 v1, vcc_lo, s12, v1
	s_delay_alu instid0(VALU_DEP_2)
	v_add_co_ci_u32_e32 v2, vcc_lo, s13, v2, vcc_lo
	s_cselect_b32 s12, -1, 0
	s_mov_b32 s13, 0
	s_lshl_b64 s[0:1], s[0:1], 9
	s_branch .LBB598_35
.LBB598_33:                             ;   in Loop: Header=BB598_35 Depth=1
	s_or_b32 exec_lo, exec_lo, s15
	v_add_co_u32 v3, vcc_lo, s2, v3
	v_add_co_ci_u32_e32 v4, vcc_lo, s3, v4, vcc_lo
	global_store_d16_hi_b16 v[3:4], v5, off
.LBB598_34:                             ;   in Loop: Header=BB598_35 Depth=1
	s_or_b32 exec_lo, exec_lo, s14
	v_add_co_u32 v1, vcc_lo, v1, s0
	v_add_co_ci_u32_e32 v2, vcc_lo, s1, v2, vcc_lo
	s_addk_i32 s13, 0x100
	s_delay_alu instid0(SALU_CYCLE_1)
	s_cmp_ge_i32 s13, s5
	s_cbranch_scc1 .LBB598_74
.LBB598_35:                             ; =>This Loop Header: Depth=1
                                        ;     Child Loop BB598_46 Depth 2
                                        ;     Child Loop BB598_66 Depth 2
	v_add_nc_u32_e32 v3, s13, v0
	s_mov_b32 s14, exec_lo
	s_delay_alu instid0(VALU_DEP_1)
	v_cmpx_gt_i32_e64 s5, v3
	s_cbranch_execz .LBB598_34
; %bb.36:                               ;   in Loop: Header=BB598_35 Depth=1
	v_mad_u64_u32 v[4:5], null, v3, s6, 0
	s_and_not1_b32 vcc_lo, exec_lo, s8
	s_delay_alu instid0(VALU_DEP_1) | instskip(NEXT) | instid1(VALU_DEP_1)
	v_mad_u64_u32 v[6:7], null, v3, s7, v[5:6]
	v_mov_b32_e32 v5, v6
	s_delay_alu instid0(VALU_DEP_1)
	v_lshlrev_b64 v[3:4], 1, v[4:5]
	s_cbranch_vccnz .LBB598_42
; %bb.37:                               ;   in Loop: Header=BB598_35 Depth=1
	s_delay_alu instid0(VALU_DEP_1) | instskip(NEXT) | instid1(VALU_DEP_2)
	v_add_co_u32 v5, vcc_lo, s2, v3
	v_add_co_ci_u32_e32 v6, vcc_lo, s3, v4, vcc_lo
	global_load_u16 v5, v[5:6], off
	s_waitcnt vmcnt(0)
	v_lshlrev_b32_e32 v5, 16, v5
	s_delay_alu instid0(VALU_DEP_1) | instskip(NEXT) | instid1(VALU_DEP_1)
	v_mul_f32_e32 v5, s20, v5
	v_and_b32_e32 v6, 0x7f800000, v5
	s_delay_alu instid0(VALU_DEP_1) | instskip(SKIP_1) | instid1(SALU_CYCLE_1)
	v_cmp_ne_u32_e32 vcc_lo, 0x7f800000, v6
                                        ; implicit-def: $vgpr6
	s_and_saveexec_b32 s15, vcc_lo
	s_xor_b32 s15, exec_lo, s15
; %bb.38:                               ;   in Loop: Header=BB598_35 Depth=1
	v_bfe_u32 v6, v5, 16, 1
	s_delay_alu instid0(VALU_DEP_1)
	v_add3_u32 v6, v5, v6, 0x7fff
                                        ; implicit-def: $vgpr5
; %bb.39:                               ;   in Loop: Header=BB598_35 Depth=1
	s_and_not1_saveexec_b32 s15, s15
; %bb.40:                               ;   in Loop: Header=BB598_35 Depth=1
	v_and_b32_e32 v6, 0xffff, v5
	v_or_b32_e32 v7, 0x10000, v5
	s_delay_alu instid0(VALU_DEP_2) | instskip(NEXT) | instid1(VALU_DEP_2)
	v_cmp_eq_u32_e32 vcc_lo, 0, v6
	v_cndmask_b32_e32 v6, v7, v5, vcc_lo
; %bb.41:                               ;   in Loop: Header=BB598_35 Depth=1
	s_or_b32 exec_lo, exec_lo, s15
	s_delay_alu instid0(VALU_DEP_1) | instskip(NEXT) | instid1(VALU_DEP_1)
	v_and_b32_e32 v5, 0xffff0000, v6
	v_cvt_i32_f32_e32 v5, v5
	s_delay_alu instid0(VALU_DEP_1)
	v_cvt_f32_i32_e32 v7, v5
	s_and_not1_b32 vcc_lo, exec_lo, s9
	s_cbranch_vccz .LBB598_43
	s_branch .LBB598_70
.LBB598_42:                             ;   in Loop: Header=BB598_35 Depth=1
	v_mov_b32_e32 v5, 0
	s_delay_alu instid0(VALU_DEP_1)
	v_cvt_f32_i32_e32 v7, v5
	s_and_not1_b32 vcc_lo, exec_lo, s9
	s_cbranch_vccnz .LBB598_70
.LBB598_43:                             ;   in Loop: Header=BB598_35 Depth=1
	s_and_not1_b32 vcc_lo, exec_lo, s11
	s_cbranch_vccnz .LBB598_62
; %bb.44:                               ;   in Loop: Header=BB598_35 Depth=1
	v_dual_mov_b32 v6, v2 :: v_dual_mov_b32 v5, v1
	s_mov_b32 s15, 0
	s_mov_b32 s16, 0
	s_branch .LBB598_46
.LBB598_45:                             ;   in Loop: Header=BB598_46 Depth=2
	s_or_b32 exec_lo, exec_lo, s17
	v_and_b32_e32 v9, 0xffff0000, v9
	v_and_b32_e32 v8, 0xffff0000, v8
	v_add_co_u32 v5, vcc_lo, v5, 8
	v_add_co_ci_u32_e32 v6, vcc_lo, 0, v6, vcc_lo
	s_delay_alu instid0(VALU_DEP_3) | instskip(SKIP_3) | instid1(VALU_DEP_1)
	v_dual_add_f32 v7, v7, v8 :: v_dual_and_b32 v8, 0xffff0000, v10
	s_add_i32 s16, s16, 4
	s_add_i32 s15, s15, 16
	s_cmp_eq_u32 s4, s16
	v_add_f32_e32 v7, v7, v9
	v_and_b32_e32 v9, 0xffff0000, v11
	s_delay_alu instid0(VALU_DEP_2) | instskip(NEXT) | instid1(VALU_DEP_1)
	v_add_f32_e32 v7, v7, v8
	v_add_f32_e32 v7, v7, v9
	s_cbranch_scc1 .LBB598_63
.LBB598_46:                             ;   Parent Loop BB598_35 Depth=1
                                        ; =>  This Inner Loop Header: Depth=2
	flat_load_u16 v8, v[5:6]
	s_waitcnt vmcnt(0) lgkmcnt(0)
	v_dual_mov_b32 v9, s15 :: v_dual_lshlrev_b32 v8, 16, v8
	ds_load_b32 v9, v9
	s_waitcnt lgkmcnt(0)
	v_mul_f32_e32 v9, v9, v8
	s_delay_alu instid0(VALU_DEP_1) | instskip(NEXT) | instid1(VALU_DEP_1)
	v_and_b32_e32 v8, 0x7f800000, v9
	v_cmp_ne_u32_e32 vcc_lo, 0x7f800000, v8
                                        ; implicit-def: $vgpr8
	s_and_saveexec_b32 s17, vcc_lo
	s_delay_alu instid0(SALU_CYCLE_1)
	s_xor_b32 s17, exec_lo, s17
; %bb.47:                               ;   in Loop: Header=BB598_46 Depth=2
	v_bfe_u32 v8, v9, 16, 1
	s_delay_alu instid0(VALU_DEP_1)
	v_add3_u32 v8, v9, v8, 0x7fff
                                        ; implicit-def: $vgpr9
; %bb.48:                               ;   in Loop: Header=BB598_46 Depth=2
	s_and_not1_saveexec_b32 s17, s17
; %bb.49:                               ;   in Loop: Header=BB598_46 Depth=2
	v_and_b32_e32 v8, 0xffff, v9
	v_or_b32_e32 v10, 0x10000, v9
	s_delay_alu instid0(VALU_DEP_2) | instskip(NEXT) | instid1(VALU_DEP_2)
	v_cmp_eq_u32_e32 vcc_lo, 0, v8
	v_cndmask_b32_e32 v8, v10, v9, vcc_lo
; %bb.50:                               ;   in Loop: Header=BB598_46 Depth=2
	s_or_b32 exec_lo, exec_lo, s17
	flat_load_u16 v9, v[5:6] offset:2
	s_waitcnt vmcnt(0) lgkmcnt(0)
	v_dual_mov_b32 v10, s15 :: v_dual_lshlrev_b32 v9, 16, v9
	ds_load_b32 v10, v10 offset:4
	s_waitcnt lgkmcnt(0)
	v_mul_f32_e32 v10, v10, v9
	s_delay_alu instid0(VALU_DEP_1) | instskip(NEXT) | instid1(VALU_DEP_1)
	v_and_b32_e32 v9, 0x7f800000, v10
	v_cmp_ne_u32_e32 vcc_lo, 0x7f800000, v9
                                        ; implicit-def: $vgpr9
	s_and_saveexec_b32 s17, vcc_lo
	s_delay_alu instid0(SALU_CYCLE_1)
	s_xor_b32 s17, exec_lo, s17
; %bb.51:                               ;   in Loop: Header=BB598_46 Depth=2
	v_bfe_u32 v9, v10, 16, 1
	s_delay_alu instid0(VALU_DEP_1)
	v_add3_u32 v9, v10, v9, 0x7fff
                                        ; implicit-def: $vgpr10
; %bb.52:                               ;   in Loop: Header=BB598_46 Depth=2
	s_and_not1_saveexec_b32 s17, s17
; %bb.53:                               ;   in Loop: Header=BB598_46 Depth=2
	v_and_b32_e32 v9, 0xffff, v10
	v_or_b32_e32 v11, 0x10000, v10
	s_delay_alu instid0(VALU_DEP_2) | instskip(NEXT) | instid1(VALU_DEP_2)
	v_cmp_eq_u32_e32 vcc_lo, 0, v9
	v_cndmask_b32_e32 v9, v11, v10, vcc_lo
; %bb.54:                               ;   in Loop: Header=BB598_46 Depth=2
	s_or_b32 exec_lo, exec_lo, s17
	flat_load_u16 v10, v[5:6] offset:4
	s_waitcnt vmcnt(0) lgkmcnt(0)
	v_dual_mov_b32 v11, s15 :: v_dual_lshlrev_b32 v10, 16, v10
	ds_load_b32 v11, v11 offset:8
	s_waitcnt lgkmcnt(0)
	v_mul_f32_e32 v11, v11, v10
	s_delay_alu instid0(VALU_DEP_1) | instskip(NEXT) | instid1(VALU_DEP_1)
	v_and_b32_e32 v10, 0x7f800000, v11
	v_cmp_ne_u32_e32 vcc_lo, 0x7f800000, v10
                                        ; implicit-def: $vgpr10
	s_and_saveexec_b32 s17, vcc_lo
	s_delay_alu instid0(SALU_CYCLE_1)
	s_xor_b32 s17, exec_lo, s17
; %bb.55:                               ;   in Loop: Header=BB598_46 Depth=2
	v_bfe_u32 v10, v11, 16, 1
	s_delay_alu instid0(VALU_DEP_1)
	v_add3_u32 v10, v11, v10, 0x7fff
                                        ; implicit-def: $vgpr11
; %bb.56:                               ;   in Loop: Header=BB598_46 Depth=2
	s_and_not1_saveexec_b32 s17, s17
; %bb.57:                               ;   in Loop: Header=BB598_46 Depth=2
	v_and_b32_e32 v10, 0xffff, v11
	v_or_b32_e32 v12, 0x10000, v11
	s_delay_alu instid0(VALU_DEP_2) | instskip(NEXT) | instid1(VALU_DEP_2)
	v_cmp_eq_u32_e32 vcc_lo, 0, v10
	v_cndmask_b32_e32 v10, v12, v11, vcc_lo
; %bb.58:                               ;   in Loop: Header=BB598_46 Depth=2
	s_or_b32 exec_lo, exec_lo, s17
	flat_load_u16 v11, v[5:6] offset:6
	s_waitcnt vmcnt(0) lgkmcnt(0)
	v_dual_mov_b32 v12, s15 :: v_dual_lshlrev_b32 v11, 16, v11
	ds_load_b32 v12, v12 offset:12
	s_waitcnt lgkmcnt(0)
	v_mul_f32_e32 v12, v12, v11
	s_delay_alu instid0(VALU_DEP_1) | instskip(NEXT) | instid1(VALU_DEP_1)
	v_and_b32_e32 v11, 0x7f800000, v12
	v_cmp_ne_u32_e32 vcc_lo, 0x7f800000, v11
                                        ; implicit-def: $vgpr11
	s_and_saveexec_b32 s17, vcc_lo
	s_delay_alu instid0(SALU_CYCLE_1)
	s_xor_b32 s17, exec_lo, s17
; %bb.59:                               ;   in Loop: Header=BB598_46 Depth=2
	v_bfe_u32 v11, v12, 16, 1
	s_delay_alu instid0(VALU_DEP_1)
	v_add3_u32 v11, v12, v11, 0x7fff
                                        ; implicit-def: $vgpr12
; %bb.60:                               ;   in Loop: Header=BB598_46 Depth=2
	s_and_not1_saveexec_b32 s17, s17
	s_cbranch_execz .LBB598_45
; %bb.61:                               ;   in Loop: Header=BB598_46 Depth=2
	v_and_b32_e32 v11, 0xffff, v12
	v_or_b32_e32 v13, 0x10000, v12
	s_delay_alu instid0(VALU_DEP_2) | instskip(NEXT) | instid1(VALU_DEP_2)
	v_cmp_eq_u32_e32 vcc_lo, 0, v11
	v_cndmask_b32_e32 v11, v13, v12, vcc_lo
	s_branch .LBB598_45
.LBB598_62:                             ;   in Loop: Header=BB598_35 Depth=1
	s_mov_b32 s15, 0
	s_and_not1_b32 vcc_lo, exec_lo, s12
	s_cbranch_vccz .LBB598_64
	s_branch .LBB598_70
.LBB598_63:                             ;   in Loop: Header=BB598_35 Depth=1
	s_mov_b32 s15, s4
	s_and_not1_b32 vcc_lo, exec_lo, s12
	s_cbranch_vccnz .LBB598_70
.LBB598_64:                             ;   in Loop: Header=BB598_35 Depth=1
	s_lshl_b32 s16, s15, 1
	s_lshl_b32 s15, s15, 2
	v_add_co_u32 v5, vcc_lo, v1, s16
	v_add_co_ci_u32_e32 v6, vcc_lo, 0, v2, vcc_lo
	s_mov_b32 s16, s10
	s_set_inst_prefetch_distance 0x1
	s_branch .LBB598_66
	.p2align	6
.LBB598_65:                             ;   in Loop: Header=BB598_66 Depth=2
	s_or_b32 exec_lo, exec_lo, s17
	s_delay_alu instid0(VALU_DEP_1) | instskip(SKIP_2) | instid1(VALU_DEP_3)
	v_and_b32_e32 v8, 0xffff0000, v9
	v_add_co_u32 v5, vcc_lo, v5, 2
	v_add_co_ci_u32_e32 v6, vcc_lo, 0, v6, vcc_lo
	v_add_f32_e32 v7, v7, v8
	s_add_i32 s16, s16, -1
	s_add_i32 s15, s15, 4
	s_cmp_lg_u32 s16, 0
	s_cbranch_scc0 .LBB598_70
.LBB598_66:                             ;   Parent Loop BB598_35 Depth=1
                                        ; =>  This Inner Loop Header: Depth=2
	flat_load_u16 v8, v[5:6]
	s_waitcnt vmcnt(0) lgkmcnt(0)
	v_dual_mov_b32 v9, s15 :: v_dual_lshlrev_b32 v8, 16, v8
	ds_load_b32 v9, v9
	s_waitcnt lgkmcnt(0)
	v_mul_f32_e32 v8, v9, v8
	s_delay_alu instid0(VALU_DEP_1) | instskip(NEXT) | instid1(VALU_DEP_1)
	v_and_b32_e32 v9, 0x7f800000, v8
	v_cmp_ne_u32_e32 vcc_lo, 0x7f800000, v9
                                        ; implicit-def: $vgpr9
	s_and_saveexec_b32 s17, vcc_lo
	s_delay_alu instid0(SALU_CYCLE_1)
	s_xor_b32 s17, exec_lo, s17
; %bb.67:                               ;   in Loop: Header=BB598_66 Depth=2
	v_bfe_u32 v9, v8, 16, 1
	s_delay_alu instid0(VALU_DEP_1)
	v_add3_u32 v9, v8, v9, 0x7fff
                                        ; implicit-def: $vgpr8
; %bb.68:                               ;   in Loop: Header=BB598_66 Depth=2
	s_and_not1_saveexec_b32 s17, s17
	s_cbranch_execz .LBB598_65
; %bb.69:                               ;   in Loop: Header=BB598_66 Depth=2
	v_and_b32_e32 v9, 0xffff, v8
	v_or_b32_e32 v10, 0x10000, v8
	s_delay_alu instid0(VALU_DEP_2) | instskip(NEXT) | instid1(VALU_DEP_2)
	v_cmp_eq_u32_e32 vcc_lo, 0, v9
	v_cndmask_b32_e32 v9, v10, v8, vcc_lo
	s_branch .LBB598_65
.LBB598_70:                             ;   in Loop: Header=BB598_35 Depth=1
	s_set_inst_prefetch_distance 0x2
	s_delay_alu instid0(VALU_DEP_1) | instskip(NEXT) | instid1(VALU_DEP_1)
	v_and_b32_e32 v5, 0x7f800000, v7
	v_cmp_ne_u32_e32 vcc_lo, 0x7f800000, v5
                                        ; implicit-def: $vgpr5
	s_and_saveexec_b32 s15, vcc_lo
	s_delay_alu instid0(SALU_CYCLE_1)
	s_xor_b32 s15, exec_lo, s15
; %bb.71:                               ;   in Loop: Header=BB598_35 Depth=1
	v_bfe_u32 v5, v7, 16, 1
	s_delay_alu instid0(VALU_DEP_1)
	v_add3_u32 v5, v7, v5, 0x7fff
                                        ; implicit-def: $vgpr7
; %bb.72:                               ;   in Loop: Header=BB598_35 Depth=1
	s_and_not1_saveexec_b32 s15, s15
	s_cbranch_execz .LBB598_33
; %bb.73:                               ;   in Loop: Header=BB598_35 Depth=1
	v_and_b32_e32 v5, 0xffff, v7
	v_or_b32_e32 v6, 0x10000, v7
	s_delay_alu instid0(VALU_DEP_2) | instskip(NEXT) | instid1(VALU_DEP_2)
	v_cmp_eq_u32_e32 vcc_lo, 0, v5
	v_cndmask_b32_e32 v5, v6, v7, vcc_lo
	s_branch .LBB598_33
.LBB598_74:
	s_nop 0
	s_sendmsg sendmsg(MSG_DEALLOC_VGPRS)
	s_endpgm
	.section	.rodata,"a",@progbits
	.p2align	6, 0x0
	.amdhsa_kernel _ZL22rocblas_gemvtsm_kernelILb0ELi256EPK16rocblas_bfloat16PKfKPS0_EviiT2_lPKT1_lilSA_lilS7_lPT3_lil
		.amdhsa_group_segment_fixed_size 256
		.amdhsa_private_segment_fixed_size 0
		.amdhsa_kernarg_size 136
		.amdhsa_user_sgpr_count 15
		.amdhsa_user_sgpr_dispatch_ptr 0
		.amdhsa_user_sgpr_queue_ptr 0
		.amdhsa_user_sgpr_kernarg_segment_ptr 1
		.amdhsa_user_sgpr_dispatch_id 0
		.amdhsa_user_sgpr_private_segment_size 0
		.amdhsa_wavefront_size32 1
		.amdhsa_uses_dynamic_stack 0
		.amdhsa_enable_private_segment 0
		.amdhsa_system_sgpr_workgroup_id_x 1
		.amdhsa_system_sgpr_workgroup_id_y 0
		.amdhsa_system_sgpr_workgroup_id_z 0
		.amdhsa_system_sgpr_workgroup_info 0
		.amdhsa_system_vgpr_workitem_id 0
		.amdhsa_next_free_vgpr 14
		.amdhsa_next_free_sgpr 22
		.amdhsa_reserve_vcc 1
		.amdhsa_float_round_mode_32 0
		.amdhsa_float_round_mode_16_64 0
		.amdhsa_float_denorm_mode_32 3
		.amdhsa_float_denorm_mode_16_64 3
		.amdhsa_dx10_clamp 1
		.amdhsa_ieee_mode 1
		.amdhsa_fp16_overflow 0
		.amdhsa_workgroup_processor_mode 1
		.amdhsa_memory_ordered 1
		.amdhsa_forward_progress 0
		.amdhsa_shared_vgpr_count 0
		.amdhsa_exception_fp_ieee_invalid_op 0
		.amdhsa_exception_fp_denorm_src 0
		.amdhsa_exception_fp_ieee_div_zero 0
		.amdhsa_exception_fp_ieee_overflow 0
		.amdhsa_exception_fp_ieee_underflow 0
		.amdhsa_exception_fp_ieee_inexact 0
		.amdhsa_exception_int_div_zero 0
	.end_amdhsa_kernel
	.section	.text._ZL22rocblas_gemvtsm_kernelILb0ELi256EPK16rocblas_bfloat16PKfKPS0_EviiT2_lPKT1_lilSA_lilS7_lPT3_lil,"axG",@progbits,_ZL22rocblas_gemvtsm_kernelILb0ELi256EPK16rocblas_bfloat16PKfKPS0_EviiT2_lPKT1_lilSA_lilS7_lPT3_lil,comdat
.Lfunc_end598:
	.size	_ZL22rocblas_gemvtsm_kernelILb0ELi256EPK16rocblas_bfloat16PKfKPS0_EviiT2_lPKT1_lilSA_lilS7_lPT3_lil, .Lfunc_end598-_ZL22rocblas_gemvtsm_kernelILb0ELi256EPK16rocblas_bfloat16PKfKPS0_EviiT2_lPKT1_lilSA_lilS7_lPT3_lil
                                        ; -- End function
	.section	.AMDGPU.csdata,"",@progbits
; Kernel info:
; codeLenInByte = 2464
; NumSgprs: 24
; NumVgprs: 14
; ScratchSize: 0
; MemoryBound: 0
; FloatMode: 240
; IeeeMode: 1
; LDSByteSize: 256 bytes/workgroup (compile time only)
; SGPRBlocks: 2
; VGPRBlocks: 1
; NumSGPRsForWavesPerEU: 24
; NumVGPRsForWavesPerEU: 14
; Occupancy: 16
; WaveLimiterHint : 1
; COMPUTE_PGM_RSRC2:SCRATCH_EN: 0
; COMPUTE_PGM_RSRC2:USER_SGPR: 15
; COMPUTE_PGM_RSRC2:TRAP_HANDLER: 0
; COMPUTE_PGM_RSRC2:TGID_X_EN: 1
; COMPUTE_PGM_RSRC2:TGID_Y_EN: 0
; COMPUTE_PGM_RSRC2:TGID_Z_EN: 0
; COMPUTE_PGM_RSRC2:TIDIG_COMP_CNT: 0
	.section	.text._ZL22rocblas_gemvtsm_kernelILb0ELi256EPK16rocblas_bfloat16fKPS0_EviiT2_lPKT1_lilS8_lilS5_lPT3_lil,"axG",@progbits,_ZL22rocblas_gemvtsm_kernelILb0ELi256EPK16rocblas_bfloat16fKPS0_EviiT2_lPKT1_lilS8_lilS5_lPT3_lil,comdat
	.globl	_ZL22rocblas_gemvtsm_kernelILb0ELi256EPK16rocblas_bfloat16fKPS0_EviiT2_lPKT1_lilS8_lilS5_lPT3_lil ; -- Begin function _ZL22rocblas_gemvtsm_kernelILb0ELi256EPK16rocblas_bfloat16fKPS0_EviiT2_lPKT1_lilS8_lilS5_lPT3_lil
	.p2align	8
	.type	_ZL22rocblas_gemvtsm_kernelILb0ELi256EPK16rocblas_bfloat16fKPS0_EviiT2_lPKT1_lilS8_lilS5_lPT3_lil,@function
_ZL22rocblas_gemvtsm_kernelILb0ELi256EPK16rocblas_bfloat16fKPS0_EviiT2_lPKT1_lilS8_lilS5_lPT3_lil: ; @_ZL22rocblas_gemvtsm_kernelILb0ELi256EPK16rocblas_bfloat16fKPS0_EviiT2_lPKT1_lilS8_lilS5_lPT3_lil
; %bb.0:
	s_load_b128 s[4:7], s[0:1], 0x0
	s_waitcnt lgkmcnt(0)
	s_load_b32 s7, s[0:1], 0x58
	v_cmp_eq_f32_e64 s13, s6, 0
	s_waitcnt lgkmcnt(0)
	v_cmp_eq_f32_e64 s3, s7, 1.0
	s_delay_alu instid0(VALU_DEP_1) | instskip(NEXT) | instid1(SALU_CYCLE_1)
	s_and_b32 s3, s13, s3
	s_and_b32 vcc_lo, exec_lo, s3
	s_cbranch_vccnz .LBB599_77
; %bb.1:
	v_cmp_neq_f32_e64 s8, s6, 0
	s_mov_b32 s2, s15
	s_delay_alu instid0(VALU_DEP_1)
	s_and_b32 vcc_lo, exec_lo, s8
	s_cbranch_vccnz .LBB599_3
; %bb.2:
	s_mov_b32 s3, 0
	s_mov_b64 s[14:15], 0
	s_cbranch_execz .LBB599_4
	s_branch .LBB599_5
.LBB599_3:
	s_mov_b32 s3, -1
                                        ; implicit-def: $sgpr14_sgpr15
.LBB599_4:
	s_load_b128 s[16:19], s[0:1], 0x18
	s_mov_b32 s3, 0
	s_delay_alu instid0(SALU_CYCLE_1)
	s_lshl_b64 s[10:11], s[2:3], 3
	s_waitcnt lgkmcnt(0)
	s_add_u32 s10, s16, s10
	s_addc_u32 s11, s17, s11
	s_lshl_b64 s[14:15], s[18:19], 1
	s_load_b64 s[10:11], s[10:11], 0x0
	s_waitcnt lgkmcnt(0)
	s_add_u32 s14, s10, s14
	s_addc_u32 s15, s11, s15
.LBB599_5:
	s_and_not1_b32 vcc_lo, exec_lo, s8
	s_cbranch_vccnz .LBB599_7
; %bb.6:
	s_load_b128 s[8:11], s[0:1], 0x38
	s_lshl_b64 s[16:17], s[2:3], 3
	s_waitcnt lgkmcnt(0)
	s_add_u32 s8, s8, s16
	s_addc_u32 s9, s9, s17
	s_lshl_b64 s[10:11], s[10:11], 1
	s_load_b64 s[8:9], s[8:9], 0x0
	s_waitcnt lgkmcnt(0)
	s_add_u32 s16, s8, s10
	s_addc_u32 s17, s9, s11
	s_branch .LBB599_8
.LBB599_7:
	s_mov_b64 s[16:17], 0
.LBB599_8:
	s_clause 0x1
	s_load_b128 s[8:11], s[0:1], 0x68
	s_load_b32 s12, s[0:1], 0x78
	s_lshl_b64 s[2:3], s[2:3], 3
	s_waitcnt lgkmcnt(0)
	s_add_u32 s2, s8, s2
	s_addc_u32 s3, s9, s3
	s_and_not1_b32 vcc_lo, exec_lo, s13
	s_load_b64 s[8:9], s[2:3], 0x0
	s_mov_b32 s2, -1
	s_cbranch_vccnz .LBB599_27
; %bb.9:
	s_cmp_gt_i32 s5, 0
	v_cmp_neq_f32_e64 s2, s7, 0
	s_cselect_b32 s18, -1, 0
	s_delay_alu instid0(SALU_CYCLE_1) | instskip(NEXT) | instid1(VALU_DEP_2)
	v_cndmask_b32_e64 v1, 0, 1, s18
	s_and_b32 vcc_lo, exec_lo, s2
	s_delay_alu instid0(VALU_DEP_1)
	v_cmp_ne_u32_e64 s2, 1, v1
	s_cbranch_vccnz .LBB599_16
; %bb.10:
	s_delay_alu instid0(VALU_DEP_1)
	s_and_b32 vcc_lo, exec_lo, s2
	s_cbranch_vccnz .LBB599_15
; %bb.11:
	v_mad_i64_i32 v[1:2], null, s12, v0, 0
	s_lshl_b64 s[2:3], s[10:11], 1
	s_ashr_i32 s13, s12, 31
	s_waitcnt lgkmcnt(0)
	s_add_u32 s2, s8, s2
	s_addc_u32 s3, s9, s3
	v_mov_b32_e32 v3, 0
	s_delay_alu instid0(VALU_DEP_2) | instskip(NEXT) | instid1(VALU_DEP_1)
	v_lshlrev_b64 v[1:2], 1, v[1:2]
	v_add_co_u32 v1, vcc_lo, s2, v1
	s_delay_alu instid0(VALU_DEP_2)
	v_add_co_ci_u32_e32 v2, vcc_lo, s3, v2, vcc_lo
	s_lshl_b64 s[2:3], s[12:13], 9
	s_mov_b32 s13, 0
	s_branch .LBB599_13
.LBB599_12:                             ;   in Loop: Header=BB599_13 Depth=1
	s_or_b32 exec_lo, exec_lo, s19
	v_add_co_u32 v1, vcc_lo, v1, s2
	v_add_co_ci_u32_e32 v2, vcc_lo, s3, v2, vcc_lo
	s_addk_i32 s13, 0x100
	s_delay_alu instid0(SALU_CYCLE_1)
	s_cmp_ge_i32 s13, s5
	s_cbranch_scc1 .LBB599_15
.LBB599_13:                             ; =>This Inner Loop Header: Depth=1
	v_add_nc_u32_e32 v4, s13, v0
	s_mov_b32 s19, exec_lo
	s_delay_alu instid0(VALU_DEP_1)
	v_cmpx_gt_i32_e64 s5, v4
	s_cbranch_execz .LBB599_12
; %bb.14:                               ;   in Loop: Header=BB599_13 Depth=1
	global_store_b16 v[1:2], v3, off
	s_branch .LBB599_12
.LBB599_15:
	s_cbranch_execz .LBB599_17
	s_branch .LBB599_26
.LBB599_16:
.LBB599_17:
	s_and_not1_b32 vcc_lo, exec_lo, s18
	s_cbranch_vccnz .LBB599_26
; %bb.18:
	v_mad_i64_i32 v[1:2], null, s12, v0, 0
	s_lshl_b64 s[2:3], s[10:11], 1
	s_ashr_i32 s13, s12, 31
	s_waitcnt lgkmcnt(0)
	s_add_u32 s2, s8, s2
	s_addc_u32 s3, s9, s3
	s_delay_alu instid0(VALU_DEP_1) | instskip(NEXT) | instid1(VALU_DEP_1)
	v_lshlrev_b64 v[1:2], 1, v[1:2]
	v_add_co_u32 v1, vcc_lo, s2, v1
	s_delay_alu instid0(VALU_DEP_2)
	v_add_co_ci_u32_e32 v2, vcc_lo, s3, v2, vcc_lo
	s_lshl_b64 s[2:3], s[12:13], 9
	s_mov_b32 s13, 0
	s_set_inst_prefetch_distance 0x1
	s_branch .LBB599_21
	.p2align	6
.LBB599_19:                             ;   in Loop: Header=BB599_21 Depth=1
	s_or_b32 exec_lo, exec_lo, s19
	global_store_d16_hi_b16 v[1:2], v4, off
.LBB599_20:                             ;   in Loop: Header=BB599_21 Depth=1
	s_or_b32 exec_lo, exec_lo, s18
	v_add_co_u32 v1, vcc_lo, v1, s2
	v_add_co_ci_u32_e32 v2, vcc_lo, s3, v2, vcc_lo
	s_addk_i32 s13, 0x100
	s_delay_alu instid0(SALU_CYCLE_1)
	s_cmp_ge_i32 s13, s5
	s_cbranch_scc1 .LBB599_26
.LBB599_21:                             ; =>This Inner Loop Header: Depth=1
	v_add_nc_u32_e32 v3, s13, v0
	s_mov_b32 s18, exec_lo
	s_delay_alu instid0(VALU_DEP_1)
	v_cmpx_gt_i32_e64 s5, v3
	s_cbranch_execz .LBB599_20
; %bb.22:                               ;   in Loop: Header=BB599_21 Depth=1
	global_load_u16 v3, v[1:2], off
	s_waitcnt vmcnt(0)
	v_lshlrev_b32_e32 v3, 16, v3
	s_delay_alu instid0(VALU_DEP_1) | instskip(NEXT) | instid1(VALU_DEP_1)
	v_mul_f32_e32 v3, s7, v3
	v_and_b32_e32 v4, 0x7f800000, v3
	s_delay_alu instid0(VALU_DEP_1) | instskip(SKIP_1) | instid1(SALU_CYCLE_1)
	v_cmp_ne_u32_e32 vcc_lo, 0x7f800000, v4
                                        ; implicit-def: $vgpr4
	s_and_saveexec_b32 s19, vcc_lo
	s_xor_b32 s19, exec_lo, s19
; %bb.23:                               ;   in Loop: Header=BB599_21 Depth=1
	v_bfe_u32 v4, v3, 16, 1
	s_delay_alu instid0(VALU_DEP_1)
	v_add3_u32 v4, v3, v4, 0x7fff
                                        ; implicit-def: $vgpr3
; %bb.24:                               ;   in Loop: Header=BB599_21 Depth=1
	s_and_not1_saveexec_b32 s19, s19
	s_cbranch_execz .LBB599_19
; %bb.25:                               ;   in Loop: Header=BB599_21 Depth=1
	v_and_b32_e32 v4, 0xffff, v3
	v_or_b32_e32 v5, 0x10000, v3
	s_delay_alu instid0(VALU_DEP_2) | instskip(NEXT) | instid1(VALU_DEP_2)
	v_cmp_eq_u32_e32 vcc_lo, 0, v4
	v_cndmask_b32_e32 v4, v5, v3, vcc_lo
	s_branch .LBB599_19
.LBB599_26:
	s_set_inst_prefetch_distance 0x2
	s_mov_b32 s2, 0
.LBB599_27:
	s_delay_alu instid0(SALU_CYCLE_1)
	s_and_not1_b32 vcc_lo, exec_lo, s2
	s_cbranch_vccnz .LBB599_77
; %bb.28:
	s_mov_b32 s2, exec_lo
	v_cmpx_gt_i32_e64 s4, v0
	s_cbranch_execz .LBB599_34
; %bb.29:
	s_load_b32 s3, s[0:1], 0x48
	s_waitcnt lgkmcnt(0)
	v_mad_i64_i32 v[1:2], null, s3, v0, 0
	s_delay_alu instid0(VALU_DEP_1) | instskip(NEXT) | instid1(VALU_DEP_1)
	v_lshlrev_b64 v[1:2], 1, v[1:2]
	v_add_co_u32 v1, vcc_lo, s16, v1
	s_delay_alu instid0(VALU_DEP_2) | instskip(SKIP_3) | instid1(VALU_DEP_1)
	v_add_co_ci_u32_e32 v2, vcc_lo, s17, v2, vcc_lo
	flat_load_u16 v1, v[1:2]
	s_waitcnt vmcnt(0) lgkmcnt(0)
	v_lshlrev_b32_e32 v1, 16, v1
	v_mul_f32_e32 v1, s6, v1
	s_delay_alu instid0(VALU_DEP_1) | instskip(NEXT) | instid1(VALU_DEP_1)
	v_and_b32_e32 v2, 0x7f800000, v1
	v_cmp_ne_u32_e32 vcc_lo, 0x7f800000, v2
                                        ; implicit-def: $vgpr2
	s_and_saveexec_b32 s3, vcc_lo
	s_delay_alu instid0(SALU_CYCLE_1)
	s_xor_b32 s3, exec_lo, s3
; %bb.30:
	v_bfe_u32 v2, v1, 16, 1
	s_delay_alu instid0(VALU_DEP_1)
	v_add3_u32 v2, v1, v2, 0x7fff
                                        ; implicit-def: $vgpr1
; %bb.31:
	s_and_not1_saveexec_b32 s3, s3
; %bb.32:
	v_and_b32_e32 v2, 0xffff, v1
	v_or_b32_e32 v3, 0x10000, v1
	s_delay_alu instid0(VALU_DEP_2) | instskip(NEXT) | instid1(VALU_DEP_2)
	v_cmp_eq_u32_e32 vcc_lo, 0, v2
	v_cndmask_b32_e32 v2, v3, v1, vcc_lo
; %bb.33:
	s_or_b32 exec_lo, exec_lo, s3
	s_delay_alu instid0(VALU_DEP_1)
	v_and_b32_e32 v1, 0xffff0000, v2
	v_lshlrev_b32_e32 v2, 2, v0
	ds_store_b32 v2, v1
.LBB599_34:
	s_or_b32 exec_lo, exec_lo, s2
	s_cmp_lt_i32 s5, 1
	s_waitcnt lgkmcnt(0)
	s_waitcnt_vscnt null, 0x0
	s_barrier
	buffer_gl0_inv
	s_cbranch_scc1 .LBB599_77
; %bb.35:
	s_load_b32 s0, s[0:1], 0x28
	s_lshl_b64 s[2:3], s[10:11], 1
	s_delay_alu instid0(SALU_CYCLE_1)
	s_add_u32 s2, s8, s2
	s_addc_u32 s3, s9, s3
	s_ashr_i32 s6, s12, 31
	v_cmp_neq_f32_e64 s8, s7, 0
	s_waitcnt lgkmcnt(0)
	v_mad_i64_i32 v[1:2], null, s0, v0, 0
	s_ashr_i32 s1, s0, 31
	s_cmp_gt_i32 s4, 0
	s_cselect_b32 s9, -1, 0
	s_and_b32 s10, s4, 3
	s_cmp_gt_u32 s4, 3
	s_delay_alu instid0(VALU_DEP_1) | instskip(SKIP_4) | instid1(VALU_DEP_1)
	v_lshlrev_b64 v[1:2], 1, v[1:2]
	s_cselect_b32 s11, -1, 0
	s_and_b32 s4, s4, 0x7ffffffc
	s_cmp_lg_u32 s10, 0
	s_cselect_b32 s13, -1, 0
	v_add_co_u32 v1, vcc_lo, s14, v1
	v_add_co_ci_u32_e32 v2, vcc_lo, s15, v2, vcc_lo
	s_mov_b32 s14, 0
	s_lshl_b64 s[0:1], s[0:1], 9
	s_branch .LBB599_38
.LBB599_36:                             ;   in Loop: Header=BB599_38 Depth=1
	s_or_b32 exec_lo, exec_lo, s16
	v_add_co_u32 v3, vcc_lo, s2, v3
	v_add_co_ci_u32_e32 v4, vcc_lo, s3, v4, vcc_lo
	global_store_d16_hi_b16 v[3:4], v5, off
.LBB599_37:                             ;   in Loop: Header=BB599_38 Depth=1
	s_or_b32 exec_lo, exec_lo, s15
	v_add_co_u32 v1, vcc_lo, v1, s0
	v_add_co_ci_u32_e32 v2, vcc_lo, s1, v2, vcc_lo
	s_addk_i32 s14, 0x100
	s_delay_alu instid0(SALU_CYCLE_1)
	s_cmp_ge_i32 s14, s5
	s_cbranch_scc1 .LBB599_77
.LBB599_38:                             ; =>This Loop Header: Depth=1
                                        ;     Child Loop BB599_49 Depth 2
                                        ;     Child Loop BB599_69 Depth 2
	v_add_nc_u32_e32 v3, s14, v0
	s_mov_b32 s15, exec_lo
	s_delay_alu instid0(VALU_DEP_1)
	v_cmpx_gt_i32_e64 s5, v3
	s_cbranch_execz .LBB599_37
; %bb.39:                               ;   in Loop: Header=BB599_38 Depth=1
	v_mad_u64_u32 v[4:5], null, v3, s12, 0
	s_and_not1_b32 vcc_lo, exec_lo, s8
	s_delay_alu instid0(VALU_DEP_1) | instskip(NEXT) | instid1(VALU_DEP_1)
	v_mad_u64_u32 v[6:7], null, v3, s6, v[5:6]
	v_mov_b32_e32 v5, v6
	s_delay_alu instid0(VALU_DEP_1)
	v_lshlrev_b64 v[3:4], 1, v[4:5]
	s_cbranch_vccnz .LBB599_45
; %bb.40:                               ;   in Loop: Header=BB599_38 Depth=1
	s_delay_alu instid0(VALU_DEP_1) | instskip(NEXT) | instid1(VALU_DEP_2)
	v_add_co_u32 v5, vcc_lo, s2, v3
	v_add_co_ci_u32_e32 v6, vcc_lo, s3, v4, vcc_lo
	global_load_u16 v5, v[5:6], off
	s_waitcnt vmcnt(0)
	v_lshlrev_b32_e32 v5, 16, v5
	s_delay_alu instid0(VALU_DEP_1) | instskip(NEXT) | instid1(VALU_DEP_1)
	v_mul_f32_e32 v5, s7, v5
	v_and_b32_e32 v6, 0x7f800000, v5
	s_delay_alu instid0(VALU_DEP_1) | instskip(SKIP_1) | instid1(SALU_CYCLE_1)
	v_cmp_ne_u32_e32 vcc_lo, 0x7f800000, v6
                                        ; implicit-def: $vgpr6
	s_and_saveexec_b32 s16, vcc_lo
	s_xor_b32 s16, exec_lo, s16
; %bb.41:                               ;   in Loop: Header=BB599_38 Depth=1
	v_bfe_u32 v6, v5, 16, 1
	s_delay_alu instid0(VALU_DEP_1)
	v_add3_u32 v6, v5, v6, 0x7fff
                                        ; implicit-def: $vgpr5
; %bb.42:                               ;   in Loop: Header=BB599_38 Depth=1
	s_and_not1_saveexec_b32 s16, s16
; %bb.43:                               ;   in Loop: Header=BB599_38 Depth=1
	v_and_b32_e32 v6, 0xffff, v5
	v_or_b32_e32 v7, 0x10000, v5
	s_delay_alu instid0(VALU_DEP_2) | instskip(NEXT) | instid1(VALU_DEP_2)
	v_cmp_eq_u32_e32 vcc_lo, 0, v6
	v_cndmask_b32_e32 v6, v7, v5, vcc_lo
; %bb.44:                               ;   in Loop: Header=BB599_38 Depth=1
	s_or_b32 exec_lo, exec_lo, s16
	s_delay_alu instid0(VALU_DEP_1) | instskip(NEXT) | instid1(VALU_DEP_1)
	v_and_b32_e32 v5, 0xffff0000, v6
	v_cvt_i32_f32_e32 v5, v5
	s_delay_alu instid0(VALU_DEP_1)
	v_cvt_f32_i32_e32 v7, v5
	s_and_not1_b32 vcc_lo, exec_lo, s9
	s_cbranch_vccz .LBB599_46
	s_branch .LBB599_73
.LBB599_45:                             ;   in Loop: Header=BB599_38 Depth=1
	v_mov_b32_e32 v5, 0
	s_delay_alu instid0(VALU_DEP_1)
	v_cvt_f32_i32_e32 v7, v5
	s_and_not1_b32 vcc_lo, exec_lo, s9
	s_cbranch_vccnz .LBB599_73
.LBB599_46:                             ;   in Loop: Header=BB599_38 Depth=1
	s_and_not1_b32 vcc_lo, exec_lo, s11
	s_cbranch_vccnz .LBB599_65
; %bb.47:                               ;   in Loop: Header=BB599_38 Depth=1
	v_dual_mov_b32 v6, v2 :: v_dual_mov_b32 v5, v1
	s_mov_b32 s16, 0
	s_mov_b32 s17, 0
	s_branch .LBB599_49
.LBB599_48:                             ;   in Loop: Header=BB599_49 Depth=2
	s_or_b32 exec_lo, exec_lo, s18
	v_and_b32_e32 v9, 0xffff0000, v9
	v_and_b32_e32 v8, 0xffff0000, v8
	v_add_co_u32 v5, vcc_lo, v5, 8
	v_add_co_ci_u32_e32 v6, vcc_lo, 0, v6, vcc_lo
	s_delay_alu instid0(VALU_DEP_3) | instskip(SKIP_3) | instid1(VALU_DEP_1)
	v_dual_add_f32 v7, v7, v8 :: v_dual_and_b32 v8, 0xffff0000, v10
	s_add_i32 s17, s17, 4
	s_add_i32 s16, s16, 16
	s_cmp_eq_u32 s4, s17
	v_add_f32_e32 v7, v7, v9
	v_and_b32_e32 v9, 0xffff0000, v11
	s_delay_alu instid0(VALU_DEP_2) | instskip(NEXT) | instid1(VALU_DEP_1)
	v_add_f32_e32 v7, v7, v8
	v_add_f32_e32 v7, v7, v9
	s_cbranch_scc1 .LBB599_66
.LBB599_49:                             ;   Parent Loop BB599_38 Depth=1
                                        ; =>  This Inner Loop Header: Depth=2
	flat_load_u16 v8, v[5:6]
	s_waitcnt vmcnt(0) lgkmcnt(0)
	v_dual_mov_b32 v9, s16 :: v_dual_lshlrev_b32 v8, 16, v8
	ds_load_b32 v9, v9
	s_waitcnt lgkmcnt(0)
	v_mul_f32_e32 v9, v9, v8
	s_delay_alu instid0(VALU_DEP_1) | instskip(NEXT) | instid1(VALU_DEP_1)
	v_and_b32_e32 v8, 0x7f800000, v9
	v_cmp_ne_u32_e32 vcc_lo, 0x7f800000, v8
                                        ; implicit-def: $vgpr8
	s_and_saveexec_b32 s18, vcc_lo
	s_delay_alu instid0(SALU_CYCLE_1)
	s_xor_b32 s18, exec_lo, s18
; %bb.50:                               ;   in Loop: Header=BB599_49 Depth=2
	v_bfe_u32 v8, v9, 16, 1
	s_delay_alu instid0(VALU_DEP_1)
	v_add3_u32 v8, v9, v8, 0x7fff
                                        ; implicit-def: $vgpr9
; %bb.51:                               ;   in Loop: Header=BB599_49 Depth=2
	s_and_not1_saveexec_b32 s18, s18
; %bb.52:                               ;   in Loop: Header=BB599_49 Depth=2
	v_and_b32_e32 v8, 0xffff, v9
	v_or_b32_e32 v10, 0x10000, v9
	s_delay_alu instid0(VALU_DEP_2) | instskip(NEXT) | instid1(VALU_DEP_2)
	v_cmp_eq_u32_e32 vcc_lo, 0, v8
	v_cndmask_b32_e32 v8, v10, v9, vcc_lo
; %bb.53:                               ;   in Loop: Header=BB599_49 Depth=2
	s_or_b32 exec_lo, exec_lo, s18
	flat_load_u16 v9, v[5:6] offset:2
	s_waitcnt vmcnt(0) lgkmcnt(0)
	v_dual_mov_b32 v10, s16 :: v_dual_lshlrev_b32 v9, 16, v9
	ds_load_b32 v10, v10 offset:4
	s_waitcnt lgkmcnt(0)
	v_mul_f32_e32 v10, v10, v9
	s_delay_alu instid0(VALU_DEP_1) | instskip(NEXT) | instid1(VALU_DEP_1)
	v_and_b32_e32 v9, 0x7f800000, v10
	v_cmp_ne_u32_e32 vcc_lo, 0x7f800000, v9
                                        ; implicit-def: $vgpr9
	s_and_saveexec_b32 s18, vcc_lo
	s_delay_alu instid0(SALU_CYCLE_1)
	s_xor_b32 s18, exec_lo, s18
; %bb.54:                               ;   in Loop: Header=BB599_49 Depth=2
	v_bfe_u32 v9, v10, 16, 1
	s_delay_alu instid0(VALU_DEP_1)
	v_add3_u32 v9, v10, v9, 0x7fff
                                        ; implicit-def: $vgpr10
; %bb.55:                               ;   in Loop: Header=BB599_49 Depth=2
	s_and_not1_saveexec_b32 s18, s18
; %bb.56:                               ;   in Loop: Header=BB599_49 Depth=2
	v_and_b32_e32 v9, 0xffff, v10
	v_or_b32_e32 v11, 0x10000, v10
	s_delay_alu instid0(VALU_DEP_2) | instskip(NEXT) | instid1(VALU_DEP_2)
	v_cmp_eq_u32_e32 vcc_lo, 0, v9
	v_cndmask_b32_e32 v9, v11, v10, vcc_lo
; %bb.57:                               ;   in Loop: Header=BB599_49 Depth=2
	s_or_b32 exec_lo, exec_lo, s18
	flat_load_u16 v10, v[5:6] offset:4
	s_waitcnt vmcnt(0) lgkmcnt(0)
	v_dual_mov_b32 v11, s16 :: v_dual_lshlrev_b32 v10, 16, v10
	ds_load_b32 v11, v11 offset:8
	s_waitcnt lgkmcnt(0)
	v_mul_f32_e32 v11, v11, v10
	s_delay_alu instid0(VALU_DEP_1) | instskip(NEXT) | instid1(VALU_DEP_1)
	v_and_b32_e32 v10, 0x7f800000, v11
	v_cmp_ne_u32_e32 vcc_lo, 0x7f800000, v10
                                        ; implicit-def: $vgpr10
	s_and_saveexec_b32 s18, vcc_lo
	s_delay_alu instid0(SALU_CYCLE_1)
	s_xor_b32 s18, exec_lo, s18
; %bb.58:                               ;   in Loop: Header=BB599_49 Depth=2
	v_bfe_u32 v10, v11, 16, 1
	s_delay_alu instid0(VALU_DEP_1)
	v_add3_u32 v10, v11, v10, 0x7fff
                                        ; implicit-def: $vgpr11
; %bb.59:                               ;   in Loop: Header=BB599_49 Depth=2
	s_and_not1_saveexec_b32 s18, s18
; %bb.60:                               ;   in Loop: Header=BB599_49 Depth=2
	v_and_b32_e32 v10, 0xffff, v11
	v_or_b32_e32 v12, 0x10000, v11
	s_delay_alu instid0(VALU_DEP_2) | instskip(NEXT) | instid1(VALU_DEP_2)
	v_cmp_eq_u32_e32 vcc_lo, 0, v10
	v_cndmask_b32_e32 v10, v12, v11, vcc_lo
; %bb.61:                               ;   in Loop: Header=BB599_49 Depth=2
	s_or_b32 exec_lo, exec_lo, s18
	flat_load_u16 v11, v[5:6] offset:6
	s_waitcnt vmcnt(0) lgkmcnt(0)
	v_dual_mov_b32 v12, s16 :: v_dual_lshlrev_b32 v11, 16, v11
	ds_load_b32 v12, v12 offset:12
	s_waitcnt lgkmcnt(0)
	v_mul_f32_e32 v12, v12, v11
	s_delay_alu instid0(VALU_DEP_1) | instskip(NEXT) | instid1(VALU_DEP_1)
	v_and_b32_e32 v11, 0x7f800000, v12
	v_cmp_ne_u32_e32 vcc_lo, 0x7f800000, v11
                                        ; implicit-def: $vgpr11
	s_and_saveexec_b32 s18, vcc_lo
	s_delay_alu instid0(SALU_CYCLE_1)
	s_xor_b32 s18, exec_lo, s18
; %bb.62:                               ;   in Loop: Header=BB599_49 Depth=2
	v_bfe_u32 v11, v12, 16, 1
	s_delay_alu instid0(VALU_DEP_1)
	v_add3_u32 v11, v12, v11, 0x7fff
                                        ; implicit-def: $vgpr12
; %bb.63:                               ;   in Loop: Header=BB599_49 Depth=2
	s_and_not1_saveexec_b32 s18, s18
	s_cbranch_execz .LBB599_48
; %bb.64:                               ;   in Loop: Header=BB599_49 Depth=2
	v_and_b32_e32 v11, 0xffff, v12
	v_or_b32_e32 v13, 0x10000, v12
	s_delay_alu instid0(VALU_DEP_2) | instskip(NEXT) | instid1(VALU_DEP_2)
	v_cmp_eq_u32_e32 vcc_lo, 0, v11
	v_cndmask_b32_e32 v11, v13, v12, vcc_lo
	s_branch .LBB599_48
.LBB599_65:                             ;   in Loop: Header=BB599_38 Depth=1
	s_mov_b32 s16, 0
	s_and_not1_b32 vcc_lo, exec_lo, s13
	s_cbranch_vccz .LBB599_67
	s_branch .LBB599_73
.LBB599_66:                             ;   in Loop: Header=BB599_38 Depth=1
	s_mov_b32 s16, s4
	s_and_not1_b32 vcc_lo, exec_lo, s13
	s_cbranch_vccnz .LBB599_73
.LBB599_67:                             ;   in Loop: Header=BB599_38 Depth=1
	s_lshl_b32 s17, s16, 1
	s_lshl_b32 s16, s16, 2
	v_add_co_u32 v5, vcc_lo, v1, s17
	v_add_co_ci_u32_e32 v6, vcc_lo, 0, v2, vcc_lo
	s_mov_b32 s17, s10
	s_set_inst_prefetch_distance 0x1
	s_branch .LBB599_69
	.p2align	6
.LBB599_68:                             ;   in Loop: Header=BB599_69 Depth=2
	s_or_b32 exec_lo, exec_lo, s18
	s_delay_alu instid0(VALU_DEP_1) | instskip(SKIP_2) | instid1(VALU_DEP_3)
	v_and_b32_e32 v8, 0xffff0000, v9
	v_add_co_u32 v5, vcc_lo, v5, 2
	v_add_co_ci_u32_e32 v6, vcc_lo, 0, v6, vcc_lo
	v_add_f32_e32 v7, v7, v8
	s_add_i32 s17, s17, -1
	s_add_i32 s16, s16, 4
	s_cmp_lg_u32 s17, 0
	s_cbranch_scc0 .LBB599_73
.LBB599_69:                             ;   Parent Loop BB599_38 Depth=1
                                        ; =>  This Inner Loop Header: Depth=2
	flat_load_u16 v8, v[5:6]
	s_waitcnt vmcnt(0) lgkmcnt(0)
	v_dual_mov_b32 v9, s16 :: v_dual_lshlrev_b32 v8, 16, v8
	ds_load_b32 v9, v9
	s_waitcnt lgkmcnt(0)
	v_mul_f32_e32 v8, v9, v8
	s_delay_alu instid0(VALU_DEP_1) | instskip(NEXT) | instid1(VALU_DEP_1)
	v_and_b32_e32 v9, 0x7f800000, v8
	v_cmp_ne_u32_e32 vcc_lo, 0x7f800000, v9
                                        ; implicit-def: $vgpr9
	s_and_saveexec_b32 s18, vcc_lo
	s_delay_alu instid0(SALU_CYCLE_1)
	s_xor_b32 s18, exec_lo, s18
; %bb.70:                               ;   in Loop: Header=BB599_69 Depth=2
	v_bfe_u32 v9, v8, 16, 1
	s_delay_alu instid0(VALU_DEP_1)
	v_add3_u32 v9, v8, v9, 0x7fff
                                        ; implicit-def: $vgpr8
; %bb.71:                               ;   in Loop: Header=BB599_69 Depth=2
	s_and_not1_saveexec_b32 s18, s18
	s_cbranch_execz .LBB599_68
; %bb.72:                               ;   in Loop: Header=BB599_69 Depth=2
	v_and_b32_e32 v9, 0xffff, v8
	v_or_b32_e32 v10, 0x10000, v8
	s_delay_alu instid0(VALU_DEP_2) | instskip(NEXT) | instid1(VALU_DEP_2)
	v_cmp_eq_u32_e32 vcc_lo, 0, v9
	v_cndmask_b32_e32 v9, v10, v8, vcc_lo
	s_branch .LBB599_68
.LBB599_73:                             ;   in Loop: Header=BB599_38 Depth=1
	s_set_inst_prefetch_distance 0x2
	s_delay_alu instid0(VALU_DEP_1) | instskip(NEXT) | instid1(VALU_DEP_1)
	v_and_b32_e32 v5, 0x7f800000, v7
	v_cmp_ne_u32_e32 vcc_lo, 0x7f800000, v5
                                        ; implicit-def: $vgpr5
	s_and_saveexec_b32 s16, vcc_lo
	s_delay_alu instid0(SALU_CYCLE_1)
	s_xor_b32 s16, exec_lo, s16
; %bb.74:                               ;   in Loop: Header=BB599_38 Depth=1
	v_bfe_u32 v5, v7, 16, 1
	s_delay_alu instid0(VALU_DEP_1)
	v_add3_u32 v5, v7, v5, 0x7fff
                                        ; implicit-def: $vgpr7
; %bb.75:                               ;   in Loop: Header=BB599_38 Depth=1
	s_and_not1_saveexec_b32 s16, s16
	s_cbranch_execz .LBB599_36
; %bb.76:                               ;   in Loop: Header=BB599_38 Depth=1
	v_and_b32_e32 v5, 0xffff, v7
	v_or_b32_e32 v6, 0x10000, v7
	s_delay_alu instid0(VALU_DEP_2) | instskip(NEXT) | instid1(VALU_DEP_2)
	v_cmp_eq_u32_e32 vcc_lo, 0, v5
	v_cndmask_b32_e32 v5, v6, v7, vcc_lo
	s_branch .LBB599_36
.LBB599_77:
	s_nop 0
	s_sendmsg sendmsg(MSG_DEALLOC_VGPRS)
	s_endpgm
	.section	.rodata,"a",@progbits
	.p2align	6, 0x0
	.amdhsa_kernel _ZL22rocblas_gemvtsm_kernelILb0ELi256EPK16rocblas_bfloat16fKPS0_EviiT2_lPKT1_lilS8_lilS5_lPT3_lil
		.amdhsa_group_segment_fixed_size 256
		.amdhsa_private_segment_fixed_size 0
		.amdhsa_kernarg_size 136
		.amdhsa_user_sgpr_count 15
		.amdhsa_user_sgpr_dispatch_ptr 0
		.amdhsa_user_sgpr_queue_ptr 0
		.amdhsa_user_sgpr_kernarg_segment_ptr 1
		.amdhsa_user_sgpr_dispatch_id 0
		.amdhsa_user_sgpr_private_segment_size 0
		.amdhsa_wavefront_size32 1
		.amdhsa_uses_dynamic_stack 0
		.amdhsa_enable_private_segment 0
		.amdhsa_system_sgpr_workgroup_id_x 1
		.amdhsa_system_sgpr_workgroup_id_y 0
		.amdhsa_system_sgpr_workgroup_id_z 0
		.amdhsa_system_sgpr_workgroup_info 0
		.amdhsa_system_vgpr_workitem_id 0
		.amdhsa_next_free_vgpr 14
		.amdhsa_next_free_sgpr 20
		.amdhsa_reserve_vcc 1
		.amdhsa_float_round_mode_32 0
		.amdhsa_float_round_mode_16_64 0
		.amdhsa_float_denorm_mode_32 3
		.amdhsa_float_denorm_mode_16_64 3
		.amdhsa_dx10_clamp 1
		.amdhsa_ieee_mode 1
		.amdhsa_fp16_overflow 0
		.amdhsa_workgroup_processor_mode 1
		.amdhsa_memory_ordered 1
		.amdhsa_forward_progress 0
		.amdhsa_shared_vgpr_count 0
		.amdhsa_exception_fp_ieee_invalid_op 0
		.amdhsa_exception_fp_denorm_src 0
		.amdhsa_exception_fp_ieee_div_zero 0
		.amdhsa_exception_fp_ieee_overflow 0
		.amdhsa_exception_fp_ieee_underflow 0
		.amdhsa_exception_fp_ieee_inexact 0
		.amdhsa_exception_int_div_zero 0
	.end_amdhsa_kernel
	.section	.text._ZL22rocblas_gemvtsm_kernelILb0ELi256EPK16rocblas_bfloat16fKPS0_EviiT2_lPKT1_lilS8_lilS5_lPT3_lil,"axG",@progbits,_ZL22rocblas_gemvtsm_kernelILb0ELi256EPK16rocblas_bfloat16fKPS0_EviiT2_lPKT1_lilS8_lilS5_lPT3_lil,comdat
.Lfunc_end599:
	.size	_ZL22rocblas_gemvtsm_kernelILb0ELi256EPK16rocblas_bfloat16fKPS0_EviiT2_lPKT1_lilS8_lilS5_lPT3_lil, .Lfunc_end599-_ZL22rocblas_gemvtsm_kernelILb0ELi256EPK16rocblas_bfloat16fKPS0_EviiT2_lPKT1_lilS8_lilS5_lPT3_lil
                                        ; -- End function
	.section	.AMDGPU.csdata,"",@progbits
; Kernel info:
; codeLenInByte = 2416
; NumSgprs: 22
; NumVgprs: 14
; ScratchSize: 0
; MemoryBound: 0
; FloatMode: 240
; IeeeMode: 1
; LDSByteSize: 256 bytes/workgroup (compile time only)
; SGPRBlocks: 2
; VGPRBlocks: 1
; NumSGPRsForWavesPerEU: 22
; NumVGPRsForWavesPerEU: 14
; Occupancy: 16
; WaveLimiterHint : 1
; COMPUTE_PGM_RSRC2:SCRATCH_EN: 0
; COMPUTE_PGM_RSRC2:USER_SGPR: 15
; COMPUTE_PGM_RSRC2:TRAP_HANDLER: 0
; COMPUTE_PGM_RSRC2:TGID_X_EN: 1
; COMPUTE_PGM_RSRC2:TGID_Y_EN: 0
; COMPUTE_PGM_RSRC2:TGID_Z_EN: 0
; COMPUTE_PGM_RSRC2:TIDIG_COMP_CNT: 0
	.section	.text._ZL23rocblas_gemvt_sn_kernelILb0ELi256ELi4EiPK16rocblas_bfloat16PKffEviiT4_lPKT3_lilS8_lilPT5_i,"axG",@progbits,_ZL23rocblas_gemvt_sn_kernelILb0ELi256ELi4EiPK16rocblas_bfloat16PKffEviiT4_lPKT3_lilS8_lilPT5_i,comdat
	.globl	_ZL23rocblas_gemvt_sn_kernelILb0ELi256ELi4EiPK16rocblas_bfloat16PKffEviiT4_lPKT3_lilS8_lilPT5_i ; -- Begin function _ZL23rocblas_gemvt_sn_kernelILb0ELi256ELi4EiPK16rocblas_bfloat16PKffEviiT4_lPKT3_lilS8_lilPT5_i
	.p2align	8
	.type	_ZL23rocblas_gemvt_sn_kernelILb0ELi256ELi4EiPK16rocblas_bfloat16PKffEviiT4_lPKT3_lilS8_lilPT5_i,@function
_ZL23rocblas_gemvt_sn_kernelILb0ELi256ELi4EiPK16rocblas_bfloat16PKffEviiT4_lPKT3_lilS8_lilPT5_i: ; @_ZL23rocblas_gemvt_sn_kernelILb0ELi256ELi4EiPK16rocblas_bfloat16PKffEviiT4_lPKT3_lilS8_lilPT5_i
; %bb.0:
	s_load_b256 s[4:11], s[0:1], 0x8
	s_mov_b32 s16, s15
	s_mov_b32 s17, 0
	s_mov_b64 s[12:13], 0
	s_waitcnt lgkmcnt(0)
	s_mul_i32 s2, s15, s7
	s_mul_hi_u32 s3, s15, s6
	s_delay_alu instid0(SALU_CYCLE_1) | instskip(SKIP_1) | instid1(SALU_CYCLE_1)
	s_add_i32 s3, s3, s2
	s_mul_i32 s2, s15, s6
	s_lshl_b64 s[2:3], s[2:3], 2
	s_delay_alu instid0(SALU_CYCLE_1)
	s_add_u32 s2, s4, s2
	s_addc_u32 s3, s5, s3
	s_load_b32 s28, s[2:3], 0x0
	s_mov_b64 s[2:3], 0
	s_waitcnt lgkmcnt(0)
	v_cmp_eq_f32_e64 s4, s28, 0
	v_cmp_neq_f32_e64 s5, s28, 0
	s_delay_alu instid0(VALU_DEP_2)
	s_and_b32 vcc_lo, exec_lo, s4
	s_cbranch_vccnz .LBB600_2
; %bb.1:
	s_lshl_b64 s[2:3], s[16:17], 3
	s_delay_alu instid0(SALU_CYCLE_1)
	s_add_u32 s2, s8, s2
	s_addc_u32 s3, s9, s3
	s_lshl_b64 s[6:7], s[10:11], 1
	s_load_b64 s[2:3], s[2:3], 0x0
	s_waitcnt lgkmcnt(0)
	s_add_u32 s2, s2, s6
	s_addc_u32 s3, s3, s7
.LBB600_2:
	s_delay_alu instid0(VALU_DEP_1)
	s_and_not1_b32 vcc_lo, exec_lo, s5
	s_cbranch_vccnz .LBB600_4
; %bb.3:
	s_load_b128 s[8:11], s[0:1], 0x38
	s_lshl_b64 s[6:7], s[16:17], 3
	s_waitcnt lgkmcnt(0)
	s_add_u32 s6, s8, s6
	s_addc_u32 s7, s9, s7
	s_lshl_b64 s[8:9], s[10:11], 1
	s_load_b64 s[6:7], s[6:7], 0x0
	s_waitcnt lgkmcnt(0)
	s_add_u32 s12, s6, s8
	s_addc_u32 s13, s7, s9
.LBB600_4:
	s_clause 0x2
	s_load_b64 s[8:9], s[0:1], 0x0
	s_load_b32 s10, s[0:1], 0x68
	s_load_b64 s[6:7], s[0:1], 0x58
	s_waitcnt lgkmcnt(0)
	s_ashr_i32 s17, s9, 31
	s_mul_hi_u32 s5, s9, s16
	s_mul_i32 s11, s17, s16
	s_mul_i32 s15, s9, s16
	s_add_i32 s5, s5, s11
	s_mul_hi_u32 s11, s15, s10
	s_mul_i32 s5, s5, s10
	s_mul_i32 s18, s15, s10
	s_add_i32 s19, s11, s5
	s_mov_b32 s11, 0
	s_lshl_b64 s[18:19], s[18:19], 2
	s_delay_alu instid0(SALU_CYCLE_1)
	s_add_u32 s30, s6, s18
	s_addc_u32 s31, s7, s19
	s_and_not1_b32 vcc_lo, exec_lo, s4
	s_mov_b32 s4, -1
	s_cbranch_vccnz .LBB600_9
; %bb.5:
	v_cmp_eq_u32_e32 vcc_lo, 0, v0
	s_cmp_gt_i32 s9, 0
	s_cselect_b32 s4, -1, 0
	s_delay_alu instid0(SALU_CYCLE_1) | instskip(NEXT) | instid1(SALU_CYCLE_1)
	s_and_b32 s4, vcc_lo, s4
	s_and_saveexec_b32 s16, s4
	s_cbranch_execz .LBB600_8
; %bb.6:
	s_mov_b32 s15, 0
	v_mov_b32_e32 v1, 0
	s_lshl_b64 s[4:5], s[14:15], 2
	s_delay_alu instid0(SALU_CYCLE_1)
	s_add_u32 s4, s30, s4
	s_addc_u32 s5, s31, s5
	s_lshl_b64 s[6:7], s[10:11], 2
	s_mov_b32 s11, s9
.LBB600_7:                              ; =>This Inner Loop Header: Depth=1
	s_delay_alu instid0(SALU_CYCLE_1)
	s_add_i32 s11, s11, -1
	global_store_b32 v1, v1, s[4:5]
	s_add_u32 s4, s4, s6
	s_addc_u32 s5, s5, s7
	s_cmp_eq_u32 s11, 0
	s_cbranch_scc0 .LBB600_7
.LBB600_8:
	s_or_b32 exec_lo, exec_lo, s16
	s_mov_b32 s4, 0
.LBB600_9:
	s_delay_alu instid0(SALU_CYCLE_1)
	s_and_not1_b32 vcc_lo, exec_lo, s4
	s_cbranch_vccnz .LBB600_83
; %bb.10:
	s_clause 0x1
	s_load_b32 s16, s[0:1], 0x28
	s_load_b32 s11, s[0:1], 0x48
	s_lshl_b32 s4, s14, 10
	s_ashr_i32 s0, s8, 31
	v_lshl_or_b32 v1, v0, 2, s4
	s_lshr_b32 s0, s0, 30
	s_lshr_b32 s1, s17, 30
	s_add_i32 s0, s8, s0
	s_add_i32 s1, s9, s1
	v_ashrrev_i32_e32 v2, 31, v1
	s_and_b32 s0, s0, -4
	s_and_b32 s15, s1, -4
	s_sub_i32 s29, s8, s0
	v_add_nc_u32_e32 v22, 4, v1
	v_lshlrev_b64 v[2:3], 1, v[1:2]
	v_add_nc_u32_e32 v23, s29, v1
	v_and_b32_e32 v19, 31, v0
	v_cmp_gt_u32_e64 s0, 32, v0
	v_mbcnt_lo_u32_b32 v21, -1, 0
	v_cmp_gt_u32_e64 s1, 8, v0
	v_add_co_u32 v17, vcc_lo, s2, v2
	s_waitcnt lgkmcnt(0)
	v_mul_lo_u32 v5, v1, s11
	v_add_co_ci_u32_e32 v18, vcc_lo, s3, v3, vcc_lo
	v_lshrrev_b32_e32 v20, 3, v0
	v_cmp_eq_u32_e64 s2, 0, v0
	s_cmp_lt_i32 s15, 1
	s_cbranch_scc1 .LBB600_58
; %bb.11:
	v_cmp_gt_u32_e32 vcc_lo, 16, v21
	v_mul_lo_u32 v6, v1, s11
	s_mov_b32 s19, 0
	s_cmp_gt_i32 s29, 0
	v_cmp_ge_i32_e64 s3, s8, v22
	v_cndmask_b32_e64 v2, 0, 1, vcc_lo
	v_cmp_gt_u32_e32 vcc_lo, 24, v21
	v_cmp_ge_i32_e64 s4, s8, v23
	v_cmp_eq_u32_e64 s5, 0, v19
	v_lshlrev_b32_e32 v29, 2, v19
	v_dual_mov_b32 v31, 0 :: v_dual_lshlrev_b32 v2, 4, v2
	v_cndmask_b32_e64 v3, 0, 1, vcc_lo
	v_cmp_gt_u32_e32 vcc_lo, 28, v21
	v_and_b32_e32 v30, 28, v20
	s_delay_alu instid0(VALU_DEP_4)
	v_add_lshl_u32 v24, v2, v21, 2
	s_mov_b32 s17, s19
	v_lshlrev_b32_e32 v2, 3, v3
	v_cndmask_b32_e64 v4, 0, 1, vcc_lo
	v_cmp_gt_u32_e32 vcc_lo, 30, v21
	s_cselect_b32 s33, -1, 0
	s_lshl_b32 s18, s16, 1
	v_add_lshl_u32 v25, v2, v21, 2
	v_lshlrev_b32_e32 v1, 2, v4
	v_cndmask_b32_e64 v7, 0, 1, vcc_lo
	v_cmp_ne_u32_e32 vcc_lo, 31, v21
	s_lshl_b32 s34, s16, 2
	s_mul_i32 s35, s16, 3
	v_add_lshl_u32 v26, v1, v21, 2
	v_lshlrev_b32_e32 v3, 1, v7
	v_add_nc_u32_e32 v1, s11, v6
	v_ashrrev_i32_e32 v7, 31, v6
	v_add_co_ci_u32_e32 v4, vcc_lo, 0, v21, vcc_lo
	s_delay_alu instid0(VALU_DEP_4) | instskip(NEXT) | instid1(VALU_DEP_4)
	v_add_lshl_u32 v27, v3, v21, 2
	v_add_nc_u32_e32 v3, s11, v1
	v_ashrrev_i32_e32 v2, 31, v1
	v_lshlrev_b64 v[7:8], 1, v[6:7]
	v_lshlrev_b32_e32 v28, 2, v4
	s_mov_b32 s36, s19
	v_add_nc_u32_e32 v11, s11, v3
	v_lshlrev_b64 v[1:2], 1, v[1:2]
	v_ashrrev_i32_e32 v4, 31, v3
	v_add_co_u32 v7, vcc_lo, s12, v7
	s_delay_alu instid0(VALU_DEP_4) | instskip(SKIP_1) | instid1(VALU_DEP_4)
	v_ashrrev_i32_e32 v12, 31, v11
	v_add_co_ci_u32_e32 v8, vcc_lo, s13, v8, vcc_lo
	v_lshlrev_b64 v[3:4], 1, v[3:4]
	v_add_co_u32 v9, vcc_lo, s12, v1
	v_add_co_ci_u32_e32 v10, vcc_lo, s13, v2, vcc_lo
	v_lshlrev_b64 v[1:2], 1, v[11:12]
	s_delay_alu instid0(VALU_DEP_4) | instskip(SKIP_2) | instid1(VALU_DEP_3)
	v_add_co_u32 v11, vcc_lo, s12, v3
	v_add_co_ci_u32_e32 v12, vcc_lo, s13, v4, vcc_lo
	s_mov_b32 s20, s19
	v_add_co_u32 v13, vcc_lo, s12, v1
	s_delay_alu instid0(VALU_DEP_4)
	v_add_co_ci_u32_e32 v14, vcc_lo, s13, v2, vcc_lo
	s_mov_b64 s[22:23], s[18:19]
	s_mov_b64 s[24:25], s[16:17]
	s_mov_b32 s17, 0
                                        ; implicit-def: $vgpr1_vgpr2_vgpr3_vgpr4
	s_branch .LBB600_13
.LBB600_12:                             ;   in Loop: Header=BB600_13 Depth=1
	s_or_b32 exec_lo, exec_lo, s6
	s_add_i32 s17, s17, 4
	s_add_u32 s24, s24, s34
	s_addc_u32 s25, s25, 0
	s_add_u32 s22, s22, s34
	s_addc_u32 s23, s23, 0
	;; [unrolled: 2-line block ×3, first 2 shown]
	s_add_i32 s20, s20, s34
	s_cmp_ge_i32 s17, s15
	s_cbranch_scc1 .LBB600_59
.LBB600_13:                             ; =>This Loop Header: Depth=1
                                        ;     Child Loop BB600_44 Depth 2
                                        ;     Child Loop BB600_47 Depth 2
                                        ; implicit-def: $vgpr32
                                        ; implicit-def: $vgpr33
                                        ; implicit-def: $vgpr34
                                        ; implicit-def: $vgpr35
	s_and_saveexec_b32 s6, s3
	s_delay_alu instid0(SALU_CYCLE_1)
	s_xor_b32 s6, exec_lo, s6
	s_cbranch_execnz .LBB600_40
; %bb.14:                               ;   in Loop: Header=BB600_13 Depth=1
	s_and_not1_saveexec_b32 s18, s6
	s_cbranch_execnz .LBB600_41
.LBB600_15:                             ;   in Loop: Header=BB600_13 Depth=1
	s_or_b32 exec_lo, exec_lo, s18
	s_and_saveexec_b32 s6, s0
	s_cbranch_execz .LBB600_17
.LBB600_16:                             ;   in Loop: Header=BB600_13 Depth=1
	ds_store_b32 v29, v31
.LBB600_17:                             ;   in Loop: Header=BB600_13 Depth=1
	s_or_b32 exec_lo, exec_lo, s6
	ds_bpermute_b32 v15, v24, v35
	s_waitcnt lgkmcnt(0)
	s_waitcnt_vscnt null, 0x0
	s_barrier
	buffer_gl0_inv
	v_add_f32_e32 v15, v35, v15
	ds_bpermute_b32 v16, v25, v15
	s_waitcnt lgkmcnt(0)
	v_add_f32_e32 v15, v15, v16
	ds_bpermute_b32 v16, v26, v15
	s_waitcnt lgkmcnt(0)
	;; [unrolled: 3-line block ×3, first 2 shown]
	v_add_f32_e32 v15, v15, v16
	ds_bpermute_b32 v16, v28, v15
	s_and_saveexec_b32 s6, s5
	s_cbranch_execz .LBB600_19
; %bb.18:                               ;   in Loop: Header=BB600_13 Depth=1
	s_waitcnt lgkmcnt(0)
	v_add_f32_e32 v15, v15, v16
	ds_store_b32 v30, v15
.LBB600_19:                             ;   in Loop: Header=BB600_13 Depth=1
	s_or_b32 exec_lo, exec_lo, s6
	v_mov_b32_e32 v15, 0
	s_waitcnt lgkmcnt(0)
	s_barrier
	buffer_gl0_inv
	s_and_saveexec_b32 s6, s1
	s_cbranch_execnz .LBB600_49
; %bb.20:                               ;   in Loop: Header=BB600_13 Depth=1
	s_or_b32 exec_lo, exec_lo, s6
	s_and_saveexec_b32 s6, s0
	s_cbranch_execnz .LBB600_50
.LBB600_21:                             ;   in Loop: Header=BB600_13 Depth=1
	s_or_b32 exec_lo, exec_lo, s6
	s_and_saveexec_b32 s6, s0
	s_cbranch_execz .LBB600_23
.LBB600_22:                             ;   in Loop: Header=BB600_13 Depth=1
	ds_store_b32 v29, v31
.LBB600_23:                             ;   in Loop: Header=BB600_13 Depth=1
	s_or_b32 exec_lo, exec_lo, s6
	ds_bpermute_b32 v16, v24, v34
	s_waitcnt lgkmcnt(0)
	s_barrier
	buffer_gl0_inv
	v_add_f32_e32 v16, v34, v16
	ds_bpermute_b32 v34, v25, v16
	s_waitcnt lgkmcnt(0)
	v_add_f32_e32 v16, v16, v34
	ds_bpermute_b32 v34, v26, v16
	s_waitcnt lgkmcnt(0)
	;; [unrolled: 3-line block ×3, first 2 shown]
	v_add_f32_e32 v16, v16, v34
	ds_bpermute_b32 v34, v28, v16
	s_and_saveexec_b32 s6, s5
	s_cbranch_execz .LBB600_25
; %bb.24:                               ;   in Loop: Header=BB600_13 Depth=1
	s_waitcnt lgkmcnt(0)
	v_add_f32_e32 v16, v16, v34
	ds_store_b32 v30, v16
.LBB600_25:                             ;   in Loop: Header=BB600_13 Depth=1
	s_or_b32 exec_lo, exec_lo, s6
	v_mov_b32_e32 v16, 0
	s_waitcnt lgkmcnt(0)
	s_barrier
	buffer_gl0_inv
	s_and_saveexec_b32 s6, s1
	s_cbranch_execnz .LBB600_51
; %bb.26:                               ;   in Loop: Header=BB600_13 Depth=1
	s_or_b32 exec_lo, exec_lo, s6
	s_and_saveexec_b32 s6, s0
	s_cbranch_execnz .LBB600_52
.LBB600_27:                             ;   in Loop: Header=BB600_13 Depth=1
	s_or_b32 exec_lo, exec_lo, s6
	s_and_saveexec_b32 s6, s0
	s_cbranch_execz .LBB600_29
.LBB600_28:                             ;   in Loop: Header=BB600_13 Depth=1
	ds_store_b32 v29, v31
.LBB600_29:                             ;   in Loop: Header=BB600_13 Depth=1
	s_or_b32 exec_lo, exec_lo, s6
	ds_bpermute_b32 v34, v24, v33
	s_waitcnt lgkmcnt(0)
	s_barrier
	buffer_gl0_inv
	v_add_f32_e32 v33, v33, v34
	ds_bpermute_b32 v34, v25, v33
	s_waitcnt lgkmcnt(0)
	v_add_f32_e32 v33, v33, v34
	ds_bpermute_b32 v34, v26, v33
	s_waitcnt lgkmcnt(0)
	;; [unrolled: 3-line block ×3, first 2 shown]
	v_add_f32_e32 v33, v33, v34
	ds_bpermute_b32 v34, v28, v33
	s_and_saveexec_b32 s6, s5
	s_cbranch_execz .LBB600_31
; %bb.30:                               ;   in Loop: Header=BB600_13 Depth=1
	s_waitcnt lgkmcnt(0)
	v_add_f32_e32 v33, v33, v34
	ds_store_b32 v30, v33
.LBB600_31:                             ;   in Loop: Header=BB600_13 Depth=1
	s_or_b32 exec_lo, exec_lo, s6
	v_mov_b32_e32 v33, 0
	s_waitcnt lgkmcnt(0)
	s_barrier
	buffer_gl0_inv
	s_and_saveexec_b32 s6, s1
	s_cbranch_execnz .LBB600_53
; %bb.32:                               ;   in Loop: Header=BB600_13 Depth=1
	s_or_b32 exec_lo, exec_lo, s6
	s_and_saveexec_b32 s6, s0
	s_cbranch_execnz .LBB600_54
.LBB600_33:                             ;   in Loop: Header=BB600_13 Depth=1
	s_or_b32 exec_lo, exec_lo, s6
	s_and_saveexec_b32 s6, s0
	s_cbranch_execz .LBB600_35
.LBB600_34:                             ;   in Loop: Header=BB600_13 Depth=1
	ds_store_b32 v29, v31
.LBB600_35:                             ;   in Loop: Header=BB600_13 Depth=1
	s_or_b32 exec_lo, exec_lo, s6
	ds_bpermute_b32 v34, v24, v32
	s_waitcnt lgkmcnt(0)
	s_barrier
	buffer_gl0_inv
	v_add_f32_e32 v32, v32, v34
	ds_bpermute_b32 v34, v25, v32
	s_waitcnt lgkmcnt(0)
	v_add_f32_e32 v32, v32, v34
	ds_bpermute_b32 v34, v26, v32
	s_waitcnt lgkmcnt(0)
	;; [unrolled: 3-line block ×3, first 2 shown]
	v_add_f32_e32 v32, v32, v34
	ds_bpermute_b32 v34, v28, v32
	s_and_saveexec_b32 s6, s5
	s_cbranch_execz .LBB600_37
; %bb.36:                               ;   in Loop: Header=BB600_13 Depth=1
	s_waitcnt lgkmcnt(0)
	v_add_f32_e32 v32, v32, v34
	ds_store_b32 v30, v32
.LBB600_37:                             ;   in Loop: Header=BB600_13 Depth=1
	s_or_b32 exec_lo, exec_lo, s6
	v_mov_b32_e32 v32, 0
	s_waitcnt lgkmcnt(0)
	s_barrier
	buffer_gl0_inv
	s_and_saveexec_b32 s6, s1
	s_cbranch_execnz .LBB600_55
; %bb.38:                               ;   in Loop: Header=BB600_13 Depth=1
	s_or_b32 exec_lo, exec_lo, s6
	s_and_saveexec_b32 s6, s0
	s_cbranch_execnz .LBB600_56
.LBB600_39:                             ;   in Loop: Header=BB600_13 Depth=1
	s_or_b32 exec_lo, exec_lo, s6
	s_and_saveexec_b32 s6, s2
	s_cbranch_execz .LBB600_12
	s_branch .LBB600_57
.LBB600_40:                             ;   in Loop: Header=BB600_13 Depth=1
	s_mul_i32 s26, s17, s16
	s_delay_alu instid0(SALU_CYCLE_1)
	s_ashr_i32 s27, s26, 31
	s_add_i32 s38, s26, s16
	s_lshl_b64 s[26:27], s[26:27], 1
	s_ashr_i32 s39, s38, 31
	v_add_co_u32 v1, vcc_lo, v17, s26
	v_add_co_ci_u32_e32 v2, vcc_lo, s27, v18, vcc_lo
	s_lshl_b64 s[26:27], s[38:39], 1
	s_delay_alu instid0(SALU_CYCLE_1)
	v_add_co_u32 v3, vcc_lo, v17, s26
	s_add_i32 s26, s38, s16
	v_add_co_ci_u32_e32 v4, vcc_lo, s27, v18, vcc_lo
	s_ashr_i32 s27, s26, 31
	s_add_i32 s38, s26, s16
	s_lshl_b64 s[26:27], s[26:27], 1
	flat_load_b64 v[15:16], v[1:2]
	s_waitcnt lgkmcnt(1)
	flat_load_b64 v[32:33], v[3:4]
	s_ashr_i32 s39, s38, 31
	v_add_co_u32 v1, vcc_lo, v17, s26
	v_add_co_ci_u32_e32 v2, vcc_lo, s27, v18, vcc_lo
	s_lshl_b64 s[26:27], s[38:39], 1
	s_clause 0x3
	flat_load_u16 v34, v[7:8]
	flat_load_u16 v39, v[9:10]
	;; [unrolled: 1-line block ×4, first 2 shown]
	v_add_co_u32 v3, vcc_lo, v17, s26
	v_add_co_ci_u32_e32 v4, vcc_lo, s27, v18, vcc_lo
	s_clause 0x1
	flat_load_b64 v[35:36], v[1:2]
	flat_load_b64 v[37:38], v[3:4]
	s_waitcnt vmcnt(1) lgkmcnt(1)
	v_and_b32_e32 v44, 0xffff0000, v35
	v_lshlrev_b32_e32 v45, 16, v36
	s_waitcnt vmcnt(0) lgkmcnt(0)
	v_lshlrev_b32_e32 v46, 16, v37
	v_and_b32_e32 v37, 0xffff0000, v37
	v_lshlrev_b32_e32 v3, 16, v40
	v_lshlrev_b32_e32 v2, 16, v39
	;; [unrolled: 1-line block ×4, first 2 shown]
	v_and_b32_e32 v41, 0xffff0000, v32
	v_lshlrev_b32_e32 v1, 16, v34
	v_lshlrev_b32_e32 v34, 16, v15
	;; [unrolled: 1-line block ×4, first 2 shown]
	s_delay_alu instid0(VALU_DEP_3) | instskip(SKIP_3) | instid1(VALU_DEP_3)
	v_fma_f32 v35, v1, v34, 0
	v_fma_f32 v34, v1, v40, 0
	v_lshlrev_b32_e32 v40, 16, v38
	v_and_b32_e32 v43, 0xffff0000, v33
	v_fmac_f32_e32 v34, v2, v41
	v_fma_f32 v33, v1, v32, 0
	v_fma_f32 v32, v1, v46, 0
	s_delay_alu instid0(VALU_DEP_2) | instskip(NEXT) | instid1(VALU_DEP_1)
	v_fmac_f32_e32 v33, v2, v44
	v_fmac_f32_e32 v33, v3, v45
	s_delay_alu instid0(VALU_DEP_3) | instskip(SKIP_1) | instid1(VALU_DEP_2)
	v_dual_fmac_f32 v32, v2, v37 :: v_dual_and_b32 v15, 0xffff0000, v15
	v_fmac_f32_e32 v34, v3, v42
	v_dual_fmac_f32 v32, v3, v40 :: v_dual_fmac_f32 v35, v2, v15
	s_delay_alu instid0(VALU_DEP_2) | instskip(SKIP_2) | instid1(VALU_DEP_3)
	v_dual_fmac_f32 v34, v4, v43 :: v_dual_lshlrev_b32 v39, 16, v16
	v_and_b32_e32 v16, 0xffff0000, v16
	v_and_b32_e32 v15, 0xffff0000, v36
	v_dual_fmac_f32 v35, v3, v39 :: v_dual_and_b32 v36, 0xffff0000, v38
	s_delay_alu instid0(VALU_DEP_2) | instskip(NEXT) | instid1(VALU_DEP_2)
	v_fmac_f32_e32 v33, v4, v15
	v_fmac_f32_e32 v32, v4, v36
	s_delay_alu instid0(VALU_DEP_3)
	v_fmac_f32_e32 v35, v4, v16
	s_and_not1_saveexec_b32 s18, s6
	s_cbranch_execz .LBB600_15
.LBB600_41:                             ;   in Loop: Header=BB600_13 Depth=1
	s_waitcnt lgkmcnt(0)
	v_dual_mov_b32 v32, 0 :: v_dual_mov_b32 v33, 0
	v_dual_mov_b32 v34, 0 :: v_dual_mov_b32 v35, 0
	s_and_saveexec_b32 s37, s4
	s_cbranch_execz .LBB600_48
; %bb.42:                               ;   in Loop: Header=BB600_13 Depth=1
	s_and_not1_b32 vcc_lo, exec_lo, s33
	s_cbranch_vccnz .LBB600_45
; %bb.43:                               ;   in Loop: Header=BB600_13 Depth=1
	v_mov_b32_e32 v15, v6
	s_mov_b64 s[26:27], 0
	.p2align	6
.LBB600_44:                             ;   Parent Loop BB600_13 Depth=1
                                        ; =>  This Inner Loop Header: Depth=2
	s_delay_alu instid0(VALU_DEP_1) | instskip(SKIP_1) | instid1(VALU_DEP_1)
	v_ashrrev_i32_e32 v16, 31, v15
	s_cmp_eq_u32 s26, 3
	v_lshlrev_b64 v[32:33], 1, v[15:16]
	s_delay_alu instid0(VALU_DEP_1) | instskip(NEXT) | instid1(VALU_DEP_2)
	v_add_co_u32 v32, vcc_lo, s12, v32
	v_add_co_ci_u32_e32 v33, vcc_lo, s13, v33, vcc_lo
	s_cselect_b32 vcc_lo, -1, 0
	s_cmp_eq_u32 s26, 2
	s_cselect_b32 s6, -1, 0
	flat_load_u16 v16, v[32:33]
	s_cmp_eq_u32 s26, 1
	s_cselect_b32 s7, -1, 0
	s_cmp_eq_u32 s26, 0
	s_waitcnt vmcnt(0) lgkmcnt(0)
	v_lshlrev_b32_e32 v16, 16, v16
	s_delay_alu instid0(VALU_DEP_1)
	v_dual_cndmask_b32 v4, v4, v16 :: v_dual_add_nc_u32 v15, s11, v15
	s_cselect_b32 vcc_lo, -1, 0
	v_cndmask_b32_e64 v3, v3, v16, s6
	v_cndmask_b32_e64 v2, v2, v16, s7
	v_cndmask_b32_e32 v1, v1, v16, vcc_lo
	s_add_u32 s26, s26, 1
	s_addc_u32 s27, s27, 0
	s_cmp_eq_u32 s29, s26
	s_cbranch_scc0 .LBB600_44
.LBB600_45:                             ;   in Loop: Header=BB600_13 Depth=1
	v_dual_mov_b32 v32, 0 :: v_dual_mov_b32 v33, 0
	v_dual_mov_b32 v34, 0 :: v_dual_mov_b32 v35, 0
	s_and_not1_b32 vcc_lo, exec_lo, s33
	s_cbranch_vccnz .LBB600_48
; %bb.46:                               ;   in Loop: Header=BB600_13 Depth=1
	s_ashr_i32 s21, s20, 31
	v_dual_mov_b32 v35, 0 :: v_dual_mov_b32 v34, 0
	s_lshl_b64 s[6:7], s[20:21], 1
	v_dual_mov_b32 v33, 0 :: v_dual_mov_b32 v32, 0
	v_add_co_u32 v15, vcc_lo, v17, s6
	v_add_co_ci_u32_e32 v16, vcc_lo, s7, v18, vcc_lo
	s_mov_b64 s[26:27], 0
.LBB600_47:                             ;   Parent Loop BB600_13 Depth=1
                                        ; =>  This Inner Loop Header: Depth=2
	s_delay_alu instid0(SALU_CYCLE_1)
	s_cmp_eq_u32 s26, 1
	s_cselect_b32 vcc_lo, -1, 0
	s_cmp_eq_u32 s26, 2
	v_cndmask_b32_e32 v36, v1, v2, vcc_lo
	s_cselect_b32 vcc_lo, -1, 0
	s_cmp_eq_u32 s26, 3
	s_delay_alu instid0(VALU_DEP_1)
	v_cndmask_b32_e32 v42, v36, v3, vcc_lo
	s_cselect_b32 vcc_lo, -1, 0
	s_add_i32 s6, s24, s26
	s_add_i32 s38, s22, s26
	s_ashr_i32 s7, s6, 31
	s_ashr_i32 s39, s38, 31
	s_lshl_b64 s[6:7], s[6:7], 1
	s_add_i32 s40, s35, s26
	v_add_co_u32 v36, s6, v17, s6
	s_lshl_b64 s[38:39], s[38:39], 1
	s_ashr_i32 s41, s40, 31
	v_add_co_ci_u32_e64 v37, s6, s7, v18, s6
	v_add_co_u32 v38, s6, v17, s38
	s_lshl_b64 s[40:41], s[40:41], 1
	v_add_co_ci_u32_e64 v39, s6, s39, v18, s6
	v_add_co_u32 v40, s6, v17, s40
	s_delay_alu instid0(VALU_DEP_1)
	v_add_co_ci_u32_e64 v41, s6, s41, v18, s6
	flat_load_u16 v43, v[15:16]
	s_clause 0x2
	flat_load_u16 v36, v[36:37]
	flat_load_u16 v37, v[38:39]
	;; [unrolled: 1-line block ×3, first 2 shown]
	v_add_co_u32 v15, s6, v15, 2
	s_delay_alu instid0(VALU_DEP_1)
	v_add_co_ci_u32_e64 v16, s6, 0, v16, s6
	s_add_u32 s26, s26, 1
	s_addc_u32 s27, s27, 0
	s_cmp_lg_u32 s29, s26
	s_waitcnt vmcnt(2) lgkmcnt(2)
	v_lshlrev_b32_e32 v36, 16, v36
	s_waitcnt vmcnt(1) lgkmcnt(1)
	v_lshlrev_b32_e32 v37, 16, v37
	v_dual_cndmask_b32 v39, v42, v4 :: v_dual_lshlrev_b32 v40, 16, v43
	s_waitcnt vmcnt(0) lgkmcnt(0)
	s_delay_alu instid0(VALU_DEP_1) | instskip(NEXT) | instid1(VALU_DEP_2)
	v_dual_fmac_f32 v33, v39, v37 :: v_dual_lshlrev_b32 v38, 16, v38
	v_fmac_f32_e32 v35, v39, v40
	v_fmac_f32_e32 v34, v39, v36
	s_delay_alu instid0(VALU_DEP_3)
	v_fmac_f32_e32 v32, v39, v38
	s_cbranch_scc1 .LBB600_47
.LBB600_48:                             ;   in Loop: Header=BB600_13 Depth=1
	s_or_b32 exec_lo, exec_lo, s37
	s_delay_alu instid0(SALU_CYCLE_1)
	s_or_b32 exec_lo, exec_lo, s18
	s_and_saveexec_b32 s6, s0
	s_cbranch_execnz .LBB600_16
	s_branch .LBB600_17
.LBB600_49:                             ;   in Loop: Header=BB600_13 Depth=1
	ds_load_b32 v15, v29
	s_or_b32 exec_lo, exec_lo, s6
	s_and_saveexec_b32 s6, s0
	s_cbranch_execz .LBB600_21
.LBB600_50:                             ;   in Loop: Header=BB600_13 Depth=1
	s_waitcnt lgkmcnt(0)
	ds_bpermute_b32 v16, v26, v15
	s_waitcnt lgkmcnt(0)
	v_add_f32_e32 v15, v15, v16
	ds_bpermute_b32 v16, v27, v15
	s_waitcnt lgkmcnt(0)
	v_add_f32_e32 v15, v15, v16
	;; [unrolled: 3-line block ×3, first 2 shown]
	s_or_b32 exec_lo, exec_lo, s6
	s_and_saveexec_b32 s6, s0
	s_cbranch_execnz .LBB600_22
	s_branch .LBB600_23
.LBB600_51:                             ;   in Loop: Header=BB600_13 Depth=1
	ds_load_b32 v16, v29
	s_or_b32 exec_lo, exec_lo, s6
	s_and_saveexec_b32 s6, s0
	s_cbranch_execz .LBB600_27
.LBB600_52:                             ;   in Loop: Header=BB600_13 Depth=1
	s_waitcnt lgkmcnt(0)
	ds_bpermute_b32 v34, v26, v16
	s_waitcnt lgkmcnt(0)
	v_add_f32_e32 v16, v16, v34
	ds_bpermute_b32 v34, v27, v16
	s_waitcnt lgkmcnt(0)
	v_add_f32_e32 v16, v16, v34
	;; [unrolled: 3-line block ×3, first 2 shown]
	s_or_b32 exec_lo, exec_lo, s6
	s_and_saveexec_b32 s6, s0
	s_cbranch_execnz .LBB600_28
	s_branch .LBB600_29
.LBB600_53:                             ;   in Loop: Header=BB600_13 Depth=1
	ds_load_b32 v33, v29
	s_or_b32 exec_lo, exec_lo, s6
	s_and_saveexec_b32 s6, s0
	s_cbranch_execz .LBB600_33
.LBB600_54:                             ;   in Loop: Header=BB600_13 Depth=1
	s_waitcnt lgkmcnt(0)
	ds_bpermute_b32 v34, v26, v33
	s_waitcnt lgkmcnt(0)
	v_add_f32_e32 v33, v33, v34
	ds_bpermute_b32 v34, v27, v33
	s_waitcnt lgkmcnt(0)
	v_add_f32_e32 v33, v33, v34
	;; [unrolled: 3-line block ×3, first 2 shown]
	s_or_b32 exec_lo, exec_lo, s6
	s_and_saveexec_b32 s6, s0
	s_cbranch_execnz .LBB600_34
	s_branch .LBB600_35
.LBB600_55:                             ;   in Loop: Header=BB600_13 Depth=1
	ds_load_b32 v32, v29
	s_or_b32 exec_lo, exec_lo, s6
	s_and_saveexec_b32 s6, s0
	s_cbranch_execz .LBB600_39
.LBB600_56:                             ;   in Loop: Header=BB600_13 Depth=1
	s_waitcnt lgkmcnt(0)
	ds_bpermute_b32 v34, v26, v32
	s_waitcnt lgkmcnt(0)
	v_add_f32_e32 v32, v32, v34
	ds_bpermute_b32 v34, v27, v32
	s_waitcnt lgkmcnt(0)
	v_add_f32_e32 v32, v32, v34
	ds_bpermute_b32 v34, v28, v32
	s_waitcnt lgkmcnt(0)
	v_add_f32_e32 v32, v32, v34
	s_or_b32 exec_lo, exec_lo, s6
	s_and_saveexec_b32 s6, s2
	s_cbranch_execz .LBB600_12
.LBB600_57:                             ;   in Loop: Header=BB600_13 Depth=1
	s_mul_i32 s7, s17, s10
	v_dual_mul_f32 v15, s28, v15 :: v_dual_mul_f32 v16, s28, v16
	s_add_i32 s18, s7, s14
	v_mul_f32_e32 v33, s28, v33
	s_lshl_b64 s[26:27], s[18:19], 2
	s_delay_alu instid0(SALU_CYCLE_1)
	s_add_u32 s26, s30, s26
	s_addc_u32 s27, s31, s27
	s_add_i32 s18, s18, s10
	global_store_b32 v31, v15, s[26:27]
	s_lshl_b64 s[38:39], s[18:19], 2
	s_waitcnt lgkmcnt(0)
	v_mul_f32_e32 v15, s28, v32
	s_add_u32 s38, s30, s38
	s_addc_u32 s39, s31, s39
	s_add_i32 s18, s18, s10
	global_store_b32 v31, v16, s[38:39]
	s_lshl_b64 s[40:41], s[18:19], 2
	s_delay_alu instid0(SALU_CYCLE_1) | instskip(SKIP_2) | instid1(SALU_CYCLE_1)
	s_add_u32 s26, s30, s40
	s_addc_u32 s27, s31, s41
	s_add_i32 s18, s18, s10
	s_lshl_b64 s[40:41], s[18:19], 2
	s_delay_alu instid0(SALU_CYCLE_1)
	s_add_u32 s38, s30, s40
	s_addc_u32 s39, s31, s41
	s_clause 0x1
	global_store_b32 v31, v33, s[26:27]
	global_store_b32 v31, v15, s[38:39]
	s_branch .LBB600_12
.LBB600_58:
	s_mov_b32 s17, 0
                                        ; implicit-def: $vgpr1_vgpr2_vgpr3_vgpr4
.LBB600_59:
	s_delay_alu instid0(SALU_CYCLE_1)
	s_cmp_ge_i32 s17, s9
	s_cbranch_scc1 .LBB600_83
; %bb.60:
	v_cmp_gt_u32_e32 vcc_lo, 16, v21
	v_cmp_ge_i32_e64 s1, s8, v23
	v_cmp_gt_u32_e64 s2, 32, v0
	v_cmp_gt_u32_e64 s4, 8, v0
	v_cmp_eq_u32_e64 s5, 0, v0
	v_cndmask_b32_e64 v6, 0, 1, vcc_lo
	v_cmp_gt_u32_e32 vcc_lo, 24, v21
	v_cmp_ge_i32_e64 s0, s8, v22
	s_cmp_gt_i32 s29, 0
	s_mov_b32 s15, 0
	v_lshlrev_b32_e32 v6, 4, v6
	v_cndmask_b32_e64 v7, 0, 1, vcc_lo
	v_cmp_gt_u32_e32 vcc_lo, 28, v21
	s_cselect_b32 s8, -1, 0
	v_lshlrev_b32_e32 v16, 2, v19
	s_delay_alu instid0(VALU_DEP_3)
	v_dual_mov_b32 v0, 0 :: v_dual_lshlrev_b32 v7, 3, v7
	v_cndmask_b32_e64 v8, 0, 1, vcc_lo
	v_cmp_gt_u32_e32 vcc_lo, 30, v21
	v_add_lshl_u32 v22, v6, v21, 2
	v_ashrrev_i32_e32 v6, 31, v5
	v_add_lshl_u32 v23, v7, v21, 2
	v_lshlrev_b32_e32 v8, 2, v8
	v_cndmask_b32_e64 v9, 0, 1, vcc_lo
	v_cmp_ne_u32_e32 vcc_lo, 31, v21
	v_add_nc_u32_e32 v7, s11, v5
	v_lshlrev_b64 v[11:12], 1, v[5:6]
	v_add_lshl_u32 v24, v8, v21, 2
	v_lshlrev_b32_e32 v9, 1, v9
	v_add_co_ci_u32_e32 v10, vcc_lo, 0, v21, vcc_lo
	v_ashrrev_i32_e32 v8, 31, v7
	v_add_co_u32 v6, vcc_lo, s12, v11
	s_delay_alu instid0(VALU_DEP_4) | instskip(SKIP_4) | instid1(VALU_DEP_4)
	v_add_lshl_u32 v21, v9, v21, 2
	v_add_nc_u32_e32 v9, s11, v7
	v_lshlrev_b32_e32 v25, 2, v10
	v_lshlrev_b64 v[13:14], 1, v[7:8]
	v_add_co_ci_u32_e32 v7, vcc_lo, s13, v12, vcc_lo
	v_add_nc_u32_e32 v26, s11, v9
	v_ashrrev_i32_e32 v10, 31, v9
	v_cmp_eq_u32_e64 s3, 0, v19
	v_add_co_u32 v8, vcc_lo, s12, v13
	s_delay_alu instid0(VALU_DEP_4) | instskip(NEXT) | instid1(VALU_DEP_4)
	v_ashrrev_i32_e32 v27, 31, v26
	v_lshlrev_b64 v[10:11], 1, v[9:10]
	v_add_co_ci_u32_e32 v9, vcc_lo, s13, v14, vcc_lo
	v_and_b32_e32 v19, 28, v20
	s_delay_alu instid0(VALU_DEP_4) | instskip(SKIP_1) | instid1(VALU_DEP_4)
	v_lshlrev_b64 v[12:13], 1, v[26:27]
	s_lshl_b64 s[6:7], s[14:15], 2
	v_add_co_u32 v10, vcc_lo, s12, v10
	v_add_co_ci_u32_e32 v11, vcc_lo, s13, v11, vcc_lo
	s_delay_alu instid0(VALU_DEP_3) | instskip(NEXT) | instid1(VALU_DEP_4)
	v_add_co_u32 v12, vcc_lo, s12, v12
	v_add_co_ci_u32_e32 v13, vcc_lo, s13, v13, vcc_lo
	s_add_u32 s14, s30, s6
	s_addc_u32 s22, s31, s7
	s_mul_i32 s18, s17, s16
	s_branch .LBB600_62
.LBB600_61:                             ;   in Loop: Header=BB600_62 Depth=1
	s_or_b32 exec_lo, exec_lo, s6
	s_add_i32 s17, s17, 1
	s_add_i32 s18, s18, s16
	s_cmp_ge_i32 s17, s9
	s_cbranch_scc1 .LBB600_83
.LBB600_62:                             ; =>This Loop Header: Depth=1
                                        ;     Child Loop BB600_75 Depth 2
                                        ;     Child Loop BB600_78 Depth 2
	v_mov_b32_e32 v20, s15
	s_and_saveexec_b32 s6, s0
	s_delay_alu instid0(SALU_CYCLE_1)
	s_xor_b32 s6, exec_lo, s6
	s_cbranch_execnz .LBB600_71
; %bb.63:                               ;   in Loop: Header=BB600_62 Depth=1
	s_and_not1_saveexec_b32 s23, s6
	s_cbranch_execnz .LBB600_72
.LBB600_64:                             ;   in Loop: Header=BB600_62 Depth=1
	s_or_b32 exec_lo, exec_lo, s23
	s_and_saveexec_b32 s6, s2
	s_cbranch_execz .LBB600_66
.LBB600_65:                             ;   in Loop: Header=BB600_62 Depth=1
	ds_store_b32 v16, v0
.LBB600_66:                             ;   in Loop: Header=BB600_62 Depth=1
	s_or_b32 exec_lo, exec_lo, s6
	s_waitcnt lgkmcnt(0)
	ds_bpermute_b32 v14, v22, v20
	s_waitcnt lgkmcnt(0)
	s_waitcnt_vscnt null, 0x0
	s_barrier
	buffer_gl0_inv
	v_add_f32_e32 v14, v20, v14
	ds_bpermute_b32 v15, v23, v14
	s_waitcnt lgkmcnt(0)
	v_add_f32_e32 v14, v14, v15
	ds_bpermute_b32 v15, v24, v14
	s_waitcnt lgkmcnt(0)
	v_add_f32_e32 v14, v14, v15
	ds_bpermute_b32 v15, v21, v14
	s_waitcnt lgkmcnt(0)
	v_add_f32_e32 v14, v14, v15
	ds_bpermute_b32 v15, v25, v14
	s_and_saveexec_b32 s6, s3
	s_cbranch_execz .LBB600_68
; %bb.67:                               ;   in Loop: Header=BB600_62 Depth=1
	s_waitcnt lgkmcnt(0)
	v_add_f32_e32 v14, v14, v15
	ds_store_b32 v19, v14
.LBB600_68:                             ;   in Loop: Header=BB600_62 Depth=1
	s_or_b32 exec_lo, exec_lo, s6
	v_mov_b32_e32 v14, 0
	s_waitcnt lgkmcnt(0)
	s_barrier
	buffer_gl0_inv
	s_and_saveexec_b32 s6, s4
	s_cbranch_execnz .LBB600_80
; %bb.69:                               ;   in Loop: Header=BB600_62 Depth=1
	s_or_b32 exec_lo, exec_lo, s6
	s_and_saveexec_b32 s6, s2
	s_cbranch_execnz .LBB600_81
.LBB600_70:                             ;   in Loop: Header=BB600_62 Depth=1
	s_or_b32 exec_lo, exec_lo, s6
	s_and_saveexec_b32 s6, s5
	s_cbranch_execz .LBB600_61
	s_branch .LBB600_82
.LBB600_71:                             ;   in Loop: Header=BB600_62 Depth=1
	s_mul_i32 s20, s17, s16
	s_delay_alu instid0(SALU_CYCLE_1) | instskip(NEXT) | instid1(SALU_CYCLE_1)
	s_ashr_i32 s21, s20, 31
	s_lshl_b64 s[20:21], s[20:21], 1
	s_delay_alu instid0(SALU_CYCLE_1)
	v_add_co_u32 v1, vcc_lo, v17, s20
	v_add_co_ci_u32_e32 v2, vcc_lo, s21, v18, vcc_lo
	flat_load_u16 v3, v[6:7]
	s_waitcnt lgkmcnt(1)
	flat_load_b64 v[14:15], v[1:2]
	s_clause 0x2
	flat_load_u16 v2, v[8:9]
	flat_load_u16 v4, v[10:11]
	;; [unrolled: 1-line block ×3, first 2 shown]
	s_waitcnt vmcnt(2) lgkmcnt(2)
	v_lshlrev_b32_e32 v2, 16, v2
	v_lshlrev_b32_e32 v1, 16, v3
	;; [unrolled: 1-line block ×3, first 2 shown]
	v_and_b32_e32 v14, 0xffff0000, v14
	s_delay_alu instid0(VALU_DEP_2)
	v_fma_f32 v20, v1, v3, 0
	s_waitcnt vmcnt(1) lgkmcnt(1)
	v_lshlrev_b32_e32 v3, 16, v4
	s_waitcnt vmcnt(0) lgkmcnt(0)
	v_lshlrev_b32_e32 v4, 16, v26
	v_fmac_f32_e32 v20, v2, v14
	v_lshlrev_b32_e32 v14, 16, v15
	s_delay_alu instid0(VALU_DEP_1) | instskip(NEXT) | instid1(VALU_DEP_1)
	v_dual_fmac_f32 v20, v3, v14 :: v_dual_and_b32 v15, 0xffff0000, v15
	v_fmac_f32_e32 v20, v4, v15
	s_and_not1_saveexec_b32 s23, s6
	s_cbranch_execz .LBB600_64
.LBB600_72:                             ;   in Loop: Header=BB600_62 Depth=1
	s_and_saveexec_b32 s24, s1
	s_cbranch_execz .LBB600_79
; %bb.73:                               ;   in Loop: Header=BB600_62 Depth=1
	s_and_not1_b32 vcc_lo, exec_lo, s8
	s_cbranch_vccnz .LBB600_76
; %bb.74:                               ;   in Loop: Header=BB600_62 Depth=1
	s_waitcnt lgkmcnt(0)
	v_mov_b32_e32 v14, v5
	s_mov_b64 s[20:21], 0
	.p2align	6
.LBB600_75:                             ;   Parent Loop BB600_62 Depth=1
                                        ; =>  This Inner Loop Header: Depth=2
	s_delay_alu instid0(VALU_DEP_1) | instskip(SKIP_1) | instid1(VALU_DEP_1)
	v_ashrrev_i32_e32 v15, 31, v14
	s_cmp_eq_u32 s20, 3
	v_lshlrev_b64 v[26:27], 1, v[14:15]
	s_delay_alu instid0(VALU_DEP_1) | instskip(NEXT) | instid1(VALU_DEP_2)
	v_add_co_u32 v26, vcc_lo, s12, v26
	v_add_co_ci_u32_e32 v27, vcc_lo, s13, v27, vcc_lo
	s_cselect_b32 vcc_lo, -1, 0
	s_cmp_eq_u32 s20, 2
	s_cselect_b32 s6, -1, 0
	flat_load_u16 v15, v[26:27]
	s_cmp_eq_u32 s20, 1
	s_cselect_b32 s7, -1, 0
	s_cmp_eq_u32 s20, 0
	s_waitcnt vmcnt(0) lgkmcnt(0)
	v_lshlrev_b32_e32 v15, 16, v15
	s_delay_alu instid0(VALU_DEP_1)
	v_cndmask_b32_e32 v4, v4, v15, vcc_lo
	s_cselect_b32 vcc_lo, -1, 0
	v_dual_cndmask_b32 v1, v1, v15 :: v_dual_add_nc_u32 v14, s11, v14
	v_cndmask_b32_e64 v3, v3, v15, s6
	v_cndmask_b32_e64 v2, v2, v15, s7
	s_add_u32 s20, s20, 1
	s_addc_u32 s21, s21, 0
	s_cmp_eq_u32 s29, s20
	s_cbranch_scc0 .LBB600_75
.LBB600_76:                             ;   in Loop: Header=BB600_62 Depth=1
	s_and_not1_b32 vcc_lo, exec_lo, s8
	s_cbranch_vccnz .LBB600_79
; %bb.77:                               ;   in Loop: Header=BB600_62 Depth=1
	s_ashr_i32 s19, s18, 31
	s_delay_alu instid0(SALU_CYCLE_1)
	s_lshl_b64 s[6:7], s[18:19], 1
	s_waitcnt lgkmcnt(0)
	v_add_co_u32 v14, vcc_lo, v17, s6
	v_add_co_ci_u32_e32 v15, vcc_lo, s7, v18, vcc_lo
	s_mov_b64 s[6:7], 0
	.p2align	6
.LBB600_78:                             ;   Parent Loop BB600_62 Depth=1
                                        ; =>  This Inner Loop Header: Depth=2
	flat_load_u16 v26, v[14:15]
	s_cmp_eq_u32 s6, 1
	s_cselect_b32 vcc_lo, -1, 0
	s_cmp_eq_u32 s6, 2
	v_cndmask_b32_e32 v27, v1, v2, vcc_lo
	s_cselect_b32 vcc_lo, -1, 0
	s_cmp_eq_u32 s6, 3
	s_delay_alu instid0(VALU_DEP_1)
	v_cndmask_b32_e32 v27, v27, v3, vcc_lo
	s_cselect_b32 vcc_lo, -1, 0
	s_add_u32 s6, s6, 1
	s_addc_u32 s7, s7, 0
	s_cmp_lg_u32 s29, s6
	s_waitcnt vmcnt(0) lgkmcnt(0)
	v_dual_cndmask_b32 v27, v27, v4 :: v_dual_lshlrev_b32 v26, 16, v26
	v_add_co_u32 v14, vcc_lo, v14, 2
	v_add_co_ci_u32_e32 v15, vcc_lo, 0, v15, vcc_lo
	s_delay_alu instid0(VALU_DEP_3)
	v_fmac_f32_e32 v20, v27, v26
	s_cbranch_scc1 .LBB600_78
.LBB600_79:                             ;   in Loop: Header=BB600_62 Depth=1
	s_or_b32 exec_lo, exec_lo, s24
	s_delay_alu instid0(SALU_CYCLE_1)
	s_or_b32 exec_lo, exec_lo, s23
	s_and_saveexec_b32 s6, s2
	s_cbranch_execnz .LBB600_65
	s_branch .LBB600_66
.LBB600_80:                             ;   in Loop: Header=BB600_62 Depth=1
	ds_load_b32 v14, v16
	s_or_b32 exec_lo, exec_lo, s6
	s_and_saveexec_b32 s6, s2
	s_cbranch_execz .LBB600_70
.LBB600_81:                             ;   in Loop: Header=BB600_62 Depth=1
	s_waitcnt lgkmcnt(0)
	ds_bpermute_b32 v15, v24, v14
	s_waitcnt lgkmcnt(0)
	v_add_f32_e32 v14, v14, v15
	ds_bpermute_b32 v15, v21, v14
	s_waitcnt lgkmcnt(0)
	v_add_f32_e32 v14, v14, v15
	;; [unrolled: 3-line block ×3, first 2 shown]
	s_or_b32 exec_lo, exec_lo, s6
	s_and_saveexec_b32 s6, s5
	s_cbranch_execz .LBB600_61
.LBB600_82:                             ;   in Loop: Header=BB600_62 Depth=1
	s_mul_hi_u32 s21, s17, s10
	s_mul_i32 s20, s17, s10
	s_waitcnt lgkmcnt(0)
	v_mul_f32_e32 v14, s28, v14
	s_lshl_b64 s[20:21], s[20:21], 2
	s_delay_alu instid0(SALU_CYCLE_1)
	s_add_u32 s20, s14, s20
	s_addc_u32 s21, s22, s21
	global_store_b32 v0, v14, s[20:21]
	s_branch .LBB600_61
.LBB600_83:
	s_nop 0
	s_sendmsg sendmsg(MSG_DEALLOC_VGPRS)
	s_endpgm
	.section	.rodata,"a",@progbits
	.p2align	6, 0x0
	.amdhsa_kernel _ZL23rocblas_gemvt_sn_kernelILb0ELi256ELi4EiPK16rocblas_bfloat16PKffEviiT4_lPKT3_lilS8_lilPT5_i
		.amdhsa_group_segment_fixed_size 128
		.amdhsa_private_segment_fixed_size 0
		.amdhsa_kernarg_size 360
		.amdhsa_user_sgpr_count 14
		.amdhsa_user_sgpr_dispatch_ptr 0
		.amdhsa_user_sgpr_queue_ptr 0
		.amdhsa_user_sgpr_kernarg_segment_ptr 1
		.amdhsa_user_sgpr_dispatch_id 0
		.amdhsa_user_sgpr_private_segment_size 0
		.amdhsa_wavefront_size32 1
		.amdhsa_uses_dynamic_stack 0
		.amdhsa_enable_private_segment 0
		.amdhsa_system_sgpr_workgroup_id_x 1
		.amdhsa_system_sgpr_workgroup_id_y 0
		.amdhsa_system_sgpr_workgroup_id_z 1
		.amdhsa_system_sgpr_workgroup_info 0
		.amdhsa_system_vgpr_workitem_id 0
		.amdhsa_next_free_vgpr 47
		.amdhsa_next_free_sgpr 42
		.amdhsa_reserve_vcc 1
		.amdhsa_float_round_mode_32 0
		.amdhsa_float_round_mode_16_64 0
		.amdhsa_float_denorm_mode_32 3
		.amdhsa_float_denorm_mode_16_64 3
		.amdhsa_dx10_clamp 1
		.amdhsa_ieee_mode 1
		.amdhsa_fp16_overflow 0
		.amdhsa_workgroup_processor_mode 1
		.amdhsa_memory_ordered 1
		.amdhsa_forward_progress 0
		.amdhsa_shared_vgpr_count 0
		.amdhsa_exception_fp_ieee_invalid_op 0
		.amdhsa_exception_fp_denorm_src 0
		.amdhsa_exception_fp_ieee_div_zero 0
		.amdhsa_exception_fp_ieee_overflow 0
		.amdhsa_exception_fp_ieee_underflow 0
		.amdhsa_exception_fp_ieee_inexact 0
		.amdhsa_exception_int_div_zero 0
	.end_amdhsa_kernel
	.section	.text._ZL23rocblas_gemvt_sn_kernelILb0ELi256ELi4EiPK16rocblas_bfloat16PKffEviiT4_lPKT3_lilS8_lilPT5_i,"axG",@progbits,_ZL23rocblas_gemvt_sn_kernelILb0ELi256ELi4EiPK16rocblas_bfloat16PKffEviiT4_lPKT3_lilS8_lilPT5_i,comdat
.Lfunc_end600:
	.size	_ZL23rocblas_gemvt_sn_kernelILb0ELi256ELi4EiPK16rocblas_bfloat16PKffEviiT4_lPKT3_lilS8_lilPT5_i, .Lfunc_end600-_ZL23rocblas_gemvt_sn_kernelILb0ELi256ELi4EiPK16rocblas_bfloat16PKffEviiT4_lPKT3_lilS8_lilPT5_i
                                        ; -- End function
	.section	.AMDGPU.csdata,"",@progbits
; Kernel info:
; codeLenInByte = 4324
; NumSgprs: 44
; NumVgprs: 47
; ScratchSize: 0
; MemoryBound: 0
; FloatMode: 240
; IeeeMode: 1
; LDSByteSize: 128 bytes/workgroup (compile time only)
; SGPRBlocks: 5
; VGPRBlocks: 5
; NumSGPRsForWavesPerEU: 44
; NumVGPRsForWavesPerEU: 47
; Occupancy: 16
; WaveLimiterHint : 0
; COMPUTE_PGM_RSRC2:SCRATCH_EN: 0
; COMPUTE_PGM_RSRC2:USER_SGPR: 14
; COMPUTE_PGM_RSRC2:TRAP_HANDLER: 0
; COMPUTE_PGM_RSRC2:TGID_X_EN: 1
; COMPUTE_PGM_RSRC2:TGID_Y_EN: 0
; COMPUTE_PGM_RSRC2:TGID_Z_EN: 1
; COMPUTE_PGM_RSRC2:TIDIG_COMP_CNT: 0
	.section	.text._ZL23rocblas_gemvt_sn_kernelILb0ELi256ELi4ElPK16rocblas_bfloat16PKffEviiT4_lPKT3_lilS8_lilPT5_i,"axG",@progbits,_ZL23rocblas_gemvt_sn_kernelILb0ELi256ELi4ElPK16rocblas_bfloat16PKffEviiT4_lPKT3_lilS8_lilPT5_i,comdat
	.globl	_ZL23rocblas_gemvt_sn_kernelILb0ELi256ELi4ElPK16rocblas_bfloat16PKffEviiT4_lPKT3_lilS8_lilPT5_i ; -- Begin function _ZL23rocblas_gemvt_sn_kernelILb0ELi256ELi4ElPK16rocblas_bfloat16PKffEviiT4_lPKT3_lilS8_lilPT5_i
	.p2align	8
	.type	_ZL23rocblas_gemvt_sn_kernelILb0ELi256ELi4ElPK16rocblas_bfloat16PKffEviiT4_lPKT3_lilS8_lilPT5_i,@function
_ZL23rocblas_gemvt_sn_kernelILb0ELi256ELi4ElPK16rocblas_bfloat16PKffEviiT4_lPKT3_lilS8_lilPT5_i: ; @_ZL23rocblas_gemvt_sn_kernelILb0ELi256ELi4ElPK16rocblas_bfloat16PKffEviiT4_lPKT3_lilS8_lilPT5_i
; %bb.0:
	s_load_b256 s[4:11], s[0:1], 0x8
	s_mov_b32 s2, s15
	s_mov_b64 s[18:19], 0
	s_mov_b64 s[16:17], 0
	s_waitcnt lgkmcnt(0)
	s_mul_i32 s3, s15, s7
	s_mul_hi_u32 s7, s15, s6
	s_mul_i32 s6, s15, s6
	s_add_i32 s7, s7, s3
	s_mov_b32 s3, 0
	s_lshl_b64 s[6:7], s[6:7], 2
	s_delay_alu instid0(SALU_CYCLE_1)
	s_add_u32 s4, s4, s6
	s_addc_u32 s5, s5, s7
	s_load_b32 s33, s[4:5], 0x0
	s_waitcnt lgkmcnt(0)
	v_cmp_eq_f32_e64 s4, s33, 0
	v_cmp_neq_f32_e64 s5, s33, 0
	s_delay_alu instid0(VALU_DEP_2)
	s_and_b32 vcc_lo, exec_lo, s4
	s_cbranch_vccnz .LBB601_2
; %bb.1:
	s_lshl_b64 s[6:7], s[2:3], 3
	s_delay_alu instid0(SALU_CYCLE_1)
	s_add_u32 s6, s8, s6
	s_addc_u32 s7, s9, s7
	s_lshl_b64 s[8:9], s[10:11], 1
	s_load_b64 s[6:7], s[6:7], 0x0
	s_waitcnt lgkmcnt(0)
	s_add_u32 s16, s6, s8
	s_addc_u32 s17, s7, s9
.LBB601_2:
	s_delay_alu instid0(VALU_DEP_1)
	s_and_not1_b32 vcc_lo, exec_lo, s5
	s_cbranch_vccnz .LBB601_4
; %bb.3:
	s_load_b128 s[8:11], s[0:1], 0x38
	s_lshl_b64 s[6:7], s[2:3], 3
	s_waitcnt lgkmcnt(0)
	s_add_u32 s6, s8, s6
	s_addc_u32 s7, s9, s7
	s_lshl_b64 s[8:9], s[10:11], 1
	s_load_b64 s[6:7], s[6:7], 0x0
	s_waitcnt lgkmcnt(0)
	s_add_u32 s18, s6, s8
	s_addc_u32 s19, s7, s9
.LBB601_4:
	s_clause 0x2
	s_load_b64 s[8:9], s[0:1], 0x0
	s_load_b32 s10, s[0:1], 0x68
	s_load_b64 s[12:13], s[0:1], 0x58
	s_mov_b32 s11, 0
	s_waitcnt lgkmcnt(0)
	s_ashr_i32 s6, s9, 31
	s_mul_hi_u32 s3, s9, s2
	s_mul_i32 s5, s6, s2
	s_mul_i32 s2, s9, s2
	s_add_i32 s3, s3, s5
	s_mul_hi_u32 s5, s2, s10
	s_mul_i32 s3, s3, s10
	s_mul_i32 s2, s2, s10
	s_add_i32 s3, s5, s3
	s_delay_alu instid0(SALU_CYCLE_1) | instskip(NEXT) | instid1(SALU_CYCLE_1)
	s_lshl_b64 s[2:3], s[2:3], 2
	s_add_u32 s34, s12, s2
	s_addc_u32 s35, s13, s3
	s_and_not1_b32 vcc_lo, exec_lo, s4
	s_mov_b32 s2, -1
	s_cbranch_vccnz .LBB601_9
; %bb.5:
	v_cmp_eq_u32_e32 vcc_lo, 0, v0
	s_cmp_gt_i32 s9, 0
	s_cselect_b32 s2, -1, 0
	s_delay_alu instid0(SALU_CYCLE_1) | instskip(NEXT) | instid1(SALU_CYCLE_1)
	s_and_b32 s2, vcc_lo, s2
	s_and_saveexec_b32 s7, s2
	s_cbranch_execz .LBB601_8
; %bb.6:
	s_mov_b32 s15, 0
	v_mov_b32_e32 v1, 0
	s_lshl_b64 s[2:3], s[14:15], 2
	s_delay_alu instid0(SALU_CYCLE_1)
	s_add_u32 s2, s34, s2
	s_addc_u32 s3, s35, s3
	s_lshl_b64 s[4:5], s[10:11], 2
	s_mov_b32 s11, s9
.LBB601_7:                              ; =>This Inner Loop Header: Depth=1
	s_delay_alu instid0(SALU_CYCLE_1)
	s_add_i32 s11, s11, -1
	global_store_b32 v1, v1, s[2:3]
	s_add_u32 s2, s2, s4
	s_addc_u32 s3, s3, s5
	s_cmp_eq_u32 s11, 0
	s_cbranch_scc0 .LBB601_7
.LBB601_8:
	s_or_b32 exec_lo, exec_lo, s7
	s_mov_b32 s2, 0
.LBB601_9:
	s_delay_alu instid0(SALU_CYCLE_1)
	s_and_not1_b32 vcc_lo, exec_lo, s2
	s_cbranch_vccnz .LBB601_83
; %bb.10:
	s_lshl_b32 s2, s14, 10
	s_clause 0x1
	s_load_b32 s12, s[0:1], 0x28
	s_load_b32 s20, s[0:1], 0x48
	v_lshl_or_b32 v9, v0, 2, s2
	s_ashr_i32 s2, s8, 31
	s_lshr_b32 s1, s6, 30
	s_lshr_b32 s0, s2, 30
	s_add_i32 s1, s9, s1
	v_ashrrev_i32_e32 v10, 31, v9
	s_add_i32 s0, s8, s0
	s_and_b32 s36, s1, -4
	s_and_b32 s0, s0, -4
	v_add_nc_u32_e32 v28, 4, v9
	v_lshlrev_b64 v[7:8], 1, v[9:10]
	s_sub_i32 s11, s8, s0
	v_and_b32_e32 v25, 31, v0
	v_add_nc_u32_e32 v29, s11, v9
	v_cmp_gt_u32_e64 s0, 32, v0
	v_mbcnt_lo_u32_b32 v27, -1, 0
	v_add_co_u32 v5, vcc_lo, s16, v7
	v_add_co_ci_u32_e32 v6, vcc_lo, s17, v8, vcc_lo
	v_cmp_gt_u32_e64 s1, 8, v0
	v_lshrrev_b32_e32 v26, 3, v0
	v_cmp_eq_u32_e64 s2, 0, v0
	v_or_b32_e32 v24, 1, v9
	v_or_b32_e32 v23, 2, v9
	;; [unrolled: 1-line block ×3, first 2 shown]
	s_waitcnt lgkmcnt(0)
	s_ashr_i32 s13, s12, 31
	s_ashr_i32 s21, s20, 31
	s_cmp_lt_i32 s36, 1
	s_cbranch_scc1 .LBB601_58
; %bb.11:
	v_cmp_gt_u32_e32 vcc_lo, 16, v27
	v_mad_i64_i32 v[12:13], null, s20, v23, 0
	v_mad_i64_i32 v[14:15], null, s20, v22, 0
	v_cndmask_b32_e64 v1, 0, 1, vcc_lo
	v_cmp_gt_u32_e32 vcc_lo, 24, v27
	s_mov_b32 s15, 0
	s_cmp_gt_i32 s11, 0
	v_cmp_ge_i32_e64 s3, s8, v28
	v_lshlrev_b32_e32 v1, 4, v1
	v_cndmask_b32_e64 v2, 0, 1, vcc_lo
	v_cmp_gt_u32_e32 vcc_lo, 28, v27
	v_cmp_ge_i32_e64 s4, s8, v29
	s_cselect_b32 s37, -1, 0
	s_delay_alu instid0(VALU_DEP_3)
	v_dual_mov_b32 v37, 0 :: v_dual_lshlrev_b32 v2, 3, v2
	v_cndmask_b32_e64 v3, 0, 1, vcc_lo
	v_cmp_gt_u32_e32 vcc_lo, 30, v27
	v_cmp_eq_u32_e64 s5, 0, v25
	v_lshlrev_b32_e32 v35, 2, v25
	v_add_lshl_u32 v31, v2, v27, 2
	v_lshlrev_b32_e32 v3, 2, v3
	v_cndmask_b32_e64 v4, 0, 1, vcc_lo
	v_cmp_ne_u32_e32 vcc_lo, 31, v27
	v_dual_mov_b32 v19, v6 :: v_dual_mov_b32 v18, v5
	v_add_lshl_u32 v30, v1, v27, 2
	s_delay_alu instid0(VALU_DEP_4) | instskip(SKIP_3) | instid1(VALU_DEP_4)
	v_lshlrev_b32_e32 v4, 1, v4
	v_mad_i64_i32 v[1:2], null, s20, v9, 0
	v_add_lshl_u32 v32, v3, v27, 2
	v_add_co_ci_u32_e32 v10, vcc_lo, 0, v27, vcc_lo
	v_add_lshl_u32 v33, v4, v27, 2
	v_mad_i64_i32 v[3:4], null, s20, v24, 0
	v_lshlrev_b64 v[1:2], 1, v[1:2]
	s_delay_alu instid0(VALU_DEP_4) | instskip(SKIP_4) | instid1(VALU_DEP_4)
	v_lshlrev_b32_e32 v34, 2, v10
	s_lshl_b64 s[6:7], s[14:15], 2
	v_and_b32_e32 v36, 28, v26
	s_add_u32 s38, s34, s6
	s_addc_u32 s39, s35, s7
	v_lshlrev_b64 v[3:4], 1, v[3:4]
	v_add_co_u32 v10, vcc_lo, s18, v1
	v_add_co_ci_u32_e32 v11, vcc_lo, s19, v2, vcc_lo
	v_lshlrev_b64 v[1:2], 1, v[12:13]
	s_delay_alu instid0(VALU_DEP_4) | instskip(SKIP_2) | instid1(VALU_DEP_4)
	v_add_co_u32 v12, vcc_lo, s18, v3
	v_add_co_ci_u32_e32 v13, vcc_lo, s19, v4, vcc_lo
	v_lshlrev_b64 v[3:4], 1, v[14:15]
	v_add_co_u32 v14, vcc_lo, s18, v1
	v_add_co_ci_u32_e32 v15, vcc_lo, s19, v2, vcc_lo
	s_lshl_b64 s[22:23], s[20:21], 1
	s_delay_alu instid0(VALU_DEP_3) | instskip(NEXT) | instid1(VALU_DEP_4)
	v_add_co_u32 v16, vcc_lo, s18, v3
	v_add_co_ci_u32_e32 v17, vcc_lo, s19, v4, vcc_lo
	s_mul_hi_i32 s40, s12, 6
	s_mul_i32 s41, s12, 6
	s_lshl_b64 s[24:25], s[12:13], 3
	s_lshl_b64 s[26:27], s[12:13], 2
	;; [unrolled: 1-line block ×3, first 2 shown]
                                        ; implicit-def: $vgpr1_vgpr2_vgpr3_vgpr4
	s_branch .LBB601_13
.LBB601_12:                             ;   in Loop: Header=BB601_13 Depth=1
	s_or_b32 exec_lo, exec_lo, s6
	v_add_co_u32 v18, vcc_lo, v18, s24
	v_add_co_ci_u32_e32 v19, vcc_lo, s25, v19, vcc_lo
	s_add_i32 s15, s15, 4
	s_delay_alu instid0(SALU_CYCLE_1)
	s_cmp_ge_i32 s15, s36
	s_cbranch_scc1 .LBB601_59
.LBB601_13:                             ; =>This Loop Header: Depth=1
                                        ;     Child Loop BB601_44 Depth 2
                                        ;     Child Loop BB601_47 Depth 2
                                        ; implicit-def: $vgpr38
                                        ; implicit-def: $vgpr39
                                        ; implicit-def: $vgpr40
                                        ; implicit-def: $vgpr41
	s_and_saveexec_b32 s6, s3
	s_delay_alu instid0(SALU_CYCLE_1)
	s_xor_b32 s6, exec_lo, s6
	s_cbranch_execnz .LBB601_40
; %bb.14:                               ;   in Loop: Header=BB601_13 Depth=1
	s_and_not1_saveexec_b32 s42, s6
	s_cbranch_execnz .LBB601_41
.LBB601_15:                             ;   in Loop: Header=BB601_13 Depth=1
	s_or_b32 exec_lo, exec_lo, s42
	s_and_saveexec_b32 s6, s0
	s_cbranch_execz .LBB601_17
.LBB601_16:                             ;   in Loop: Header=BB601_13 Depth=1
	ds_store_b32 v35, v37
.LBB601_17:                             ;   in Loop: Header=BB601_13 Depth=1
	s_or_b32 exec_lo, exec_lo, s6
	ds_bpermute_b32 v20, v30, v41
	s_waitcnt lgkmcnt(0)
	s_waitcnt_vscnt null, 0x0
	s_barrier
	buffer_gl0_inv
	v_add_f32_e32 v20, v41, v20
	ds_bpermute_b32 v21, v31, v20
	s_waitcnt lgkmcnt(0)
	v_add_f32_e32 v20, v20, v21
	ds_bpermute_b32 v21, v32, v20
	s_waitcnt lgkmcnt(0)
	;; [unrolled: 3-line block ×3, first 2 shown]
	v_add_f32_e32 v20, v20, v21
	ds_bpermute_b32 v21, v34, v20
	s_and_saveexec_b32 s6, s5
	s_cbranch_execz .LBB601_19
; %bb.18:                               ;   in Loop: Header=BB601_13 Depth=1
	s_waitcnt lgkmcnt(0)
	v_add_f32_e32 v20, v20, v21
	ds_store_b32 v36, v20
.LBB601_19:                             ;   in Loop: Header=BB601_13 Depth=1
	s_or_b32 exec_lo, exec_lo, s6
	v_mov_b32_e32 v20, 0
	s_waitcnt lgkmcnt(0)
	s_barrier
	buffer_gl0_inv
	s_and_saveexec_b32 s6, s1
	s_cbranch_execnz .LBB601_49
; %bb.20:                               ;   in Loop: Header=BB601_13 Depth=1
	s_or_b32 exec_lo, exec_lo, s6
	s_and_saveexec_b32 s6, s0
	s_cbranch_execnz .LBB601_50
.LBB601_21:                             ;   in Loop: Header=BB601_13 Depth=1
	s_or_b32 exec_lo, exec_lo, s6
	s_and_saveexec_b32 s6, s0
	s_cbranch_execz .LBB601_23
.LBB601_22:                             ;   in Loop: Header=BB601_13 Depth=1
	ds_store_b32 v35, v37
.LBB601_23:                             ;   in Loop: Header=BB601_13 Depth=1
	s_or_b32 exec_lo, exec_lo, s6
	ds_bpermute_b32 v21, v30, v40
	s_waitcnt lgkmcnt(0)
	s_barrier
	buffer_gl0_inv
	v_add_f32_e32 v21, v40, v21
	ds_bpermute_b32 v40, v31, v21
	s_waitcnt lgkmcnt(0)
	v_add_f32_e32 v21, v21, v40
	ds_bpermute_b32 v40, v32, v21
	s_waitcnt lgkmcnt(0)
	;; [unrolled: 3-line block ×3, first 2 shown]
	v_add_f32_e32 v21, v21, v40
	ds_bpermute_b32 v40, v34, v21
	s_and_saveexec_b32 s6, s5
	s_cbranch_execz .LBB601_25
; %bb.24:                               ;   in Loop: Header=BB601_13 Depth=1
	s_waitcnt lgkmcnt(0)
	v_add_f32_e32 v21, v21, v40
	ds_store_b32 v36, v21
.LBB601_25:                             ;   in Loop: Header=BB601_13 Depth=1
	s_or_b32 exec_lo, exec_lo, s6
	v_mov_b32_e32 v21, 0
	s_waitcnt lgkmcnt(0)
	s_barrier
	buffer_gl0_inv
	s_and_saveexec_b32 s6, s1
	s_cbranch_execnz .LBB601_51
; %bb.26:                               ;   in Loop: Header=BB601_13 Depth=1
	s_or_b32 exec_lo, exec_lo, s6
	s_and_saveexec_b32 s6, s0
	s_cbranch_execnz .LBB601_52
.LBB601_27:                             ;   in Loop: Header=BB601_13 Depth=1
	s_or_b32 exec_lo, exec_lo, s6
	s_and_saveexec_b32 s6, s0
	s_cbranch_execz .LBB601_29
.LBB601_28:                             ;   in Loop: Header=BB601_13 Depth=1
	ds_store_b32 v35, v37
.LBB601_29:                             ;   in Loop: Header=BB601_13 Depth=1
	s_or_b32 exec_lo, exec_lo, s6
	ds_bpermute_b32 v40, v30, v39
	s_waitcnt lgkmcnt(0)
	s_barrier
	buffer_gl0_inv
	v_add_f32_e32 v39, v39, v40
	ds_bpermute_b32 v40, v31, v39
	s_waitcnt lgkmcnt(0)
	v_add_f32_e32 v39, v39, v40
	ds_bpermute_b32 v40, v32, v39
	s_waitcnt lgkmcnt(0)
	;; [unrolled: 3-line block ×3, first 2 shown]
	v_add_f32_e32 v39, v39, v40
	ds_bpermute_b32 v40, v34, v39
	s_and_saveexec_b32 s6, s5
	s_cbranch_execz .LBB601_31
; %bb.30:                               ;   in Loop: Header=BB601_13 Depth=1
	s_waitcnt lgkmcnt(0)
	v_add_f32_e32 v39, v39, v40
	ds_store_b32 v36, v39
.LBB601_31:                             ;   in Loop: Header=BB601_13 Depth=1
	s_or_b32 exec_lo, exec_lo, s6
	v_mov_b32_e32 v39, 0
	s_waitcnt lgkmcnt(0)
	s_barrier
	buffer_gl0_inv
	s_and_saveexec_b32 s6, s1
	s_cbranch_execnz .LBB601_53
; %bb.32:                               ;   in Loop: Header=BB601_13 Depth=1
	s_or_b32 exec_lo, exec_lo, s6
	s_and_saveexec_b32 s6, s0
	s_cbranch_execnz .LBB601_54
.LBB601_33:                             ;   in Loop: Header=BB601_13 Depth=1
	s_or_b32 exec_lo, exec_lo, s6
	s_and_saveexec_b32 s6, s0
	s_cbranch_execz .LBB601_35
.LBB601_34:                             ;   in Loop: Header=BB601_13 Depth=1
	ds_store_b32 v35, v37
.LBB601_35:                             ;   in Loop: Header=BB601_13 Depth=1
	s_or_b32 exec_lo, exec_lo, s6
	ds_bpermute_b32 v40, v30, v38
	s_waitcnt lgkmcnt(0)
	s_barrier
	buffer_gl0_inv
	v_add_f32_e32 v38, v38, v40
	ds_bpermute_b32 v40, v31, v38
	s_waitcnt lgkmcnt(0)
	v_add_f32_e32 v38, v38, v40
	ds_bpermute_b32 v40, v32, v38
	s_waitcnt lgkmcnt(0)
	;; [unrolled: 3-line block ×3, first 2 shown]
	v_add_f32_e32 v38, v38, v40
	ds_bpermute_b32 v40, v34, v38
	s_and_saveexec_b32 s6, s5
	s_cbranch_execz .LBB601_37
; %bb.36:                               ;   in Loop: Header=BB601_13 Depth=1
	s_waitcnt lgkmcnt(0)
	v_add_f32_e32 v38, v38, v40
	ds_store_b32 v36, v38
.LBB601_37:                             ;   in Loop: Header=BB601_13 Depth=1
	s_or_b32 exec_lo, exec_lo, s6
	v_mov_b32_e32 v38, 0
	s_waitcnt lgkmcnt(0)
	s_barrier
	buffer_gl0_inv
	s_and_saveexec_b32 s6, s1
	s_cbranch_execnz .LBB601_55
; %bb.38:                               ;   in Loop: Header=BB601_13 Depth=1
	s_or_b32 exec_lo, exec_lo, s6
	s_and_saveexec_b32 s6, s0
	s_cbranch_execnz .LBB601_56
.LBB601_39:                             ;   in Loop: Header=BB601_13 Depth=1
	s_or_b32 exec_lo, exec_lo, s6
	s_and_saveexec_b32 s6, s2
	s_cbranch_execz .LBB601_12
	s_branch .LBB601_57
.LBB601_40:                             ;   in Loop: Header=BB601_13 Depth=1
	s_mul_i32 s7, s15, s13
	s_mul_hi_u32 s31, s15, s12
	s_mul_i32 s30, s15, s12
	s_add_i32 s31, s31, s7
	s_or_b32 s7, s15, 1
	s_lshl_b64 s[30:31], s[30:31], 1
	s_delay_alu instid0(SALU_CYCLE_1) | instskip(SKIP_3) | instid1(SALU_CYCLE_1)
	v_add_co_u32 v1, vcc_lo, v5, s30
	v_add_co_ci_u32_e32 v2, vcc_lo, s31, v6, vcc_lo
	s_mul_i32 s30, s7, s13
	s_mul_hi_u32 s31, s7, s12
	s_add_i32 s31, s31, s30
	s_mul_i32 s30, s7, s12
	s_or_b32 s7, s15, 2
	s_lshl_b64 s[30:31], s[30:31], 1
	flat_load_b64 v[20:21], v[1:2]
	s_mul_i32 s42, s7, s13
	s_mul_hi_u32 s43, s7, s12
	v_add_co_u32 v1, vcc_lo, v5, s30
	v_add_co_ci_u32_e32 v2, vcc_lo, s31, v6, vcc_lo
	s_add_i32 s31, s43, s42
	s_or_b32 s42, s15, 3
	s_mul_i32 s30, s7, s12
	s_mul_i32 s7, s42, s13
	s_mul_hi_u32 s43, s42, s12
	s_lshl_b64 s[30:31], s[30:31], 1
	s_add_i32 s43, s43, s7
	s_mul_i32 s42, s42, s12
	v_add_co_u32 v3, vcc_lo, v5, s30
	v_add_co_ci_u32_e32 v4, vcc_lo, s31, v6, vcc_lo
	s_lshl_b64 s[30:31], s[42:43], 1
	s_clause 0x3
	flat_load_u16 v46, v[10:11]
	flat_load_u16 v47, v[12:13]
	;; [unrolled: 1-line block ×4, first 2 shown]
	s_waitcnt lgkmcnt(5)
	v_add_co_u32 v38, vcc_lo, v5, s30
	v_add_co_ci_u32_e32 v39, vcc_lo, s31, v6, vcc_lo
	s_clause 0x2
	flat_load_b64 v[40:41], v[1:2]
	flat_load_b64 v[42:43], v[3:4]
	;; [unrolled: 1-line block ×3, first 2 shown]
	s_waitcnt vmcnt(7) lgkmcnt(7)
	v_lshlrev_b32_e32 v38, 16, v20
	s_waitcnt vmcnt(2) lgkmcnt(2)
	v_lshlrev_b32_e32 v50, 16, v41
	;; [unrolled: 2-line block ×3, first 2 shown]
	v_and_b32_e32 v20, 0xffff0000, v20
	v_lshlrev_b32_e32 v4, 16, v49
	v_and_b32_e32 v49, 0xffff0000, v40
	v_and_b32_e32 v53, 0xffff0000, v41
	v_lshlrev_b32_e32 v3, 16, v48
	v_lshlrev_b32_e32 v2, 16, v47
	;; [unrolled: 1-line block ×4, first 2 shown]
	v_and_b32_e32 v43, 0xffff0000, v43
	s_waitcnt vmcnt(0) lgkmcnt(0)
	v_lshlrev_b32_e32 v52, 16, v45
	s_delay_alu instid0(VALU_DEP_3) | instskip(NEXT) | instid1(VALU_DEP_1)
	v_fma_f32 v40, v1, v39, 0
	v_fmac_f32_e32 v40, v2, v49
	v_fma_f32 v41, v1, v38, 0
	s_delay_alu instid0(VALU_DEP_1) | instskip(SKIP_2) | instid1(VALU_DEP_2)
	v_dual_fmac_f32 v40, v3, v50 :: v_dual_fmac_f32 v41, v2, v20
	v_lshlrev_b32_e32 v46, 16, v21
	v_and_b32_e32 v20, 0xffff0000, v45
	v_dual_fmac_f32 v40, v4, v53 :: v_dual_fmac_f32 v41, v3, v46
	v_lshlrev_b32_e32 v48, 16, v44
	v_and_b32_e32 v44, 0xffff0000, v44
	s_delay_alu instid0(VALU_DEP_2) | instskip(NEXT) | instid1(VALU_DEP_1)
	v_fma_f32 v38, v1, v48, 0
	v_dual_fmac_f32 v38, v2, v44 :: v_dual_and_b32 v21, 0xffff0000, v21
	v_lshlrev_b32_e32 v47, 16, v42
	s_delay_alu instid0(VALU_DEP_2) | instskip(NEXT) | instid1(VALU_DEP_3)
	v_dual_fmac_f32 v41, v4, v21 :: v_dual_and_b32 v42, 0xffff0000, v42
	v_fmac_f32_e32 v38, v3, v52
	s_delay_alu instid0(VALU_DEP_3) | instskip(NEXT) | instid1(VALU_DEP_1)
	v_fma_f32 v39, v1, v47, 0
	v_dual_fmac_f32 v38, v4, v20 :: v_dual_fmac_f32 v39, v2, v42
	s_delay_alu instid0(VALU_DEP_1) | instskip(NEXT) | instid1(VALU_DEP_1)
	v_fmac_f32_e32 v39, v3, v51
	v_fmac_f32_e32 v39, v4, v43
	s_and_not1_saveexec_b32 s42, s6
	s_cbranch_execz .LBB601_15
.LBB601_41:                             ;   in Loop: Header=BB601_13 Depth=1
	s_waitcnt lgkmcnt(0)
	v_dual_mov_b32 v38, 0 :: v_dual_mov_b32 v39, 0
	v_dual_mov_b32 v40, 0 :: v_dual_mov_b32 v41, 0
	s_and_saveexec_b32 s43, s4
	s_cbranch_execz .LBB601_48
; %bb.42:                               ;   in Loop: Header=BB601_13 Depth=1
	s_and_not1_b32 vcc_lo, exec_lo, s37
	s_cbranch_vccnz .LBB601_45
; %bb.43:                               ;   in Loop: Header=BB601_13 Depth=1
	v_dual_mov_b32 v21, v11 :: v_dual_mov_b32 v20, v10
	s_mov_b64 s[30:31], 0
	.p2align	6
.LBB601_44:                             ;   Parent Loop BB601_13 Depth=1
                                        ; =>  This Inner Loop Header: Depth=2
	flat_load_u16 v38, v[20:21]
	v_add_co_u32 v20, vcc_lo, v20, s22
	s_cmp_eq_u32 s30, 3
	v_add_co_ci_u32_e32 v21, vcc_lo, s23, v21, vcc_lo
	s_cselect_b32 vcc_lo, -1, 0
	s_cmp_eq_u32 s30, 2
	s_cselect_b32 s6, -1, 0
	s_cmp_eq_u32 s30, 1
	s_cselect_b32 s7, -1, 0
	s_cmp_eq_u32 s30, 0
	s_waitcnt vmcnt(0) lgkmcnt(0)
	v_lshlrev_b32_e32 v38, 16, v38
	s_delay_alu instid0(VALU_DEP_1)
	v_cndmask_b32_e32 v4, v4, v38, vcc_lo
	s_cselect_b32 vcc_lo, -1, 0
	v_cndmask_b32_e64 v3, v3, v38, s6
	v_cndmask_b32_e64 v2, v2, v38, s7
	v_cndmask_b32_e32 v1, v1, v38, vcc_lo
	s_add_u32 s30, s30, 1
	s_addc_u32 s31, s31, 0
	s_cmp_eq_u32 s11, s30
	s_cbranch_scc0 .LBB601_44
.LBB601_45:                             ;   in Loop: Header=BB601_13 Depth=1
	v_dual_mov_b32 v38, 0 :: v_dual_mov_b32 v39, 0
	v_dual_mov_b32 v40, 0 :: v_dual_mov_b32 v41, 0
	s_and_not1_b32 vcc_lo, exec_lo, s37
	s_cbranch_vccnz .LBB601_48
; %bb.46:                               ;   in Loop: Header=BB601_13 Depth=1
	v_dual_mov_b32 v21, v19 :: v_dual_mov_b32 v40, 0
	v_dual_mov_b32 v41, 0 :: v_dual_mov_b32 v20, v18
	;; [unrolled: 1-line block ×3, first 2 shown]
	s_mov_b64 s[30:31], 0
	s_set_inst_prefetch_distance 0x1
	.p2align	6
.LBB601_47:                             ;   Parent Loop BB601_13 Depth=1
                                        ; =>  This Inner Loop Header: Depth=2
	s_delay_alu instid0(VALU_DEP_2)
	v_add_co_u32 v42, vcc_lo, v20, s28
	v_add_co_ci_u32_e32 v43, vcc_lo, s29, v21, vcc_lo
	v_add_co_u32 v44, vcc_lo, v20, s26
	v_add_co_ci_u32_e32 v45, vcc_lo, s27, v21, vcc_lo
	;; [unrolled: 2-line block ×3, first 2 shown]
	s_clause 0x3
	flat_load_u16 v48, v[20:21]
	flat_load_u16 v42, v[42:43]
	;; [unrolled: 1-line block ×4, first 2 shown]
	s_cmp_eq_u32 s30, 1
	v_add_co_u32 v20, s6, v20, 2
	s_cselect_b32 vcc_lo, -1, 0
	s_cmp_eq_u32 s30, 2
	v_cndmask_b32_e32 v45, v1, v2, vcc_lo
	s_cselect_b32 vcc_lo, -1, 0
	s_cmp_eq_u32 s30, 3
	v_add_co_ci_u32_e64 v21, s6, 0, v21, s6
	s_waitcnt vmcnt(3) lgkmcnt(3)
	v_dual_cndmask_b32 v45, v45, v3 :: v_dual_lshlrev_b32 v46, 16, v48
	s_waitcnt vmcnt(2) lgkmcnt(2)
	v_lshlrev_b32_e32 v42, 16, v42
	s_cselect_b32 vcc_lo, -1, 0
	s_add_u32 s30, s30, 1
	s_addc_u32 s31, s31, 0
	v_cndmask_b32_e32 v45, v45, v4, vcc_lo
	s_waitcnt vmcnt(1) lgkmcnt(1)
	v_lshlrev_b32_e32 v43, 16, v43
	s_waitcnt vmcnt(0) lgkmcnt(0)
	v_lshlrev_b32_e32 v44, 16, v44
	s_cmp_lg_u32 s11, s30
	v_fmac_f32_e32 v41, v45, v46
	v_fmac_f32_e32 v40, v45, v42
	;; [unrolled: 1-line block ×4, first 2 shown]
	s_cbranch_scc1 .LBB601_47
.LBB601_48:                             ;   in Loop: Header=BB601_13 Depth=1
	s_set_inst_prefetch_distance 0x2
	s_or_b32 exec_lo, exec_lo, s43
	s_delay_alu instid0(SALU_CYCLE_1)
	s_or_b32 exec_lo, exec_lo, s42
	s_and_saveexec_b32 s6, s0
	s_cbranch_execnz .LBB601_16
	s_branch .LBB601_17
.LBB601_49:                             ;   in Loop: Header=BB601_13 Depth=1
	ds_load_b32 v20, v35
	s_or_b32 exec_lo, exec_lo, s6
	s_and_saveexec_b32 s6, s0
	s_cbranch_execz .LBB601_21
.LBB601_50:                             ;   in Loop: Header=BB601_13 Depth=1
	s_waitcnt lgkmcnt(0)
	ds_bpermute_b32 v21, v32, v20
	s_waitcnt lgkmcnt(0)
	v_add_f32_e32 v20, v20, v21
	ds_bpermute_b32 v21, v33, v20
	s_waitcnt lgkmcnt(0)
	v_add_f32_e32 v20, v20, v21
	;; [unrolled: 3-line block ×3, first 2 shown]
	s_or_b32 exec_lo, exec_lo, s6
	s_and_saveexec_b32 s6, s0
	s_cbranch_execnz .LBB601_22
	s_branch .LBB601_23
.LBB601_51:                             ;   in Loop: Header=BB601_13 Depth=1
	ds_load_b32 v21, v35
	s_or_b32 exec_lo, exec_lo, s6
	s_and_saveexec_b32 s6, s0
	s_cbranch_execz .LBB601_27
.LBB601_52:                             ;   in Loop: Header=BB601_13 Depth=1
	s_waitcnt lgkmcnt(0)
	ds_bpermute_b32 v40, v32, v21
	s_waitcnt lgkmcnt(0)
	v_add_f32_e32 v21, v21, v40
	ds_bpermute_b32 v40, v33, v21
	s_waitcnt lgkmcnt(0)
	v_add_f32_e32 v21, v21, v40
	;; [unrolled: 3-line block ×3, first 2 shown]
	s_or_b32 exec_lo, exec_lo, s6
	s_and_saveexec_b32 s6, s0
	s_cbranch_execnz .LBB601_28
	s_branch .LBB601_29
.LBB601_53:                             ;   in Loop: Header=BB601_13 Depth=1
	ds_load_b32 v39, v35
	s_or_b32 exec_lo, exec_lo, s6
	s_and_saveexec_b32 s6, s0
	s_cbranch_execz .LBB601_33
.LBB601_54:                             ;   in Loop: Header=BB601_13 Depth=1
	s_waitcnt lgkmcnt(0)
	ds_bpermute_b32 v40, v32, v39
	s_waitcnt lgkmcnt(0)
	v_add_f32_e32 v39, v39, v40
	ds_bpermute_b32 v40, v33, v39
	s_waitcnt lgkmcnt(0)
	v_add_f32_e32 v39, v39, v40
	;; [unrolled: 3-line block ×3, first 2 shown]
	s_or_b32 exec_lo, exec_lo, s6
	s_and_saveexec_b32 s6, s0
	s_cbranch_execnz .LBB601_34
	s_branch .LBB601_35
.LBB601_55:                             ;   in Loop: Header=BB601_13 Depth=1
	ds_load_b32 v38, v35
	s_or_b32 exec_lo, exec_lo, s6
	s_and_saveexec_b32 s6, s0
	s_cbranch_execz .LBB601_39
.LBB601_56:                             ;   in Loop: Header=BB601_13 Depth=1
	s_waitcnt lgkmcnt(0)
	ds_bpermute_b32 v40, v32, v38
	s_waitcnt lgkmcnt(0)
	v_add_f32_e32 v38, v38, v40
	ds_bpermute_b32 v40, v33, v38
	s_waitcnt lgkmcnt(0)
	v_add_f32_e32 v38, v38, v40
	;; [unrolled: 3-line block ×3, first 2 shown]
	s_or_b32 exec_lo, exec_lo, s6
	s_and_saveexec_b32 s6, s2
	s_cbranch_execz .LBB601_12
.LBB601_57:                             ;   in Loop: Header=BB601_13 Depth=1
	s_mul_hi_u32 s31, s15, s10
	s_mul_i32 s30, s15, s10
	v_dual_mul_f32 v20, s33, v20 :: v_dual_mul_f32 v21, s33, v21
	s_lshl_b64 s[30:31], s[30:31], 2
	s_waitcnt lgkmcnt(0)
	v_mul_f32_e32 v38, s33, v38
	s_add_u32 s30, s38, s30
	s_addc_u32 s31, s39, s31
	s_or_b32 s7, s15, 1
	global_store_b32 v37, v20, s[30:31]
	s_mul_hi_u32 s43, s7, s10
	s_mul_i32 s42, s7, s10
	v_mul_f32_e32 v20, s33, v39
	s_lshl_b64 s[42:43], s[42:43], 2
	s_delay_alu instid0(SALU_CYCLE_1)
	s_add_u32 s42, s38, s42
	s_addc_u32 s43, s39, s43
	s_or_b32 s7, s15, 2
	global_store_b32 v37, v21, s[42:43]
	s_mul_hi_u32 s45, s7, s10
	s_mul_i32 s44, s7, s10
	s_delay_alu instid0(SALU_CYCLE_1) | instskip(NEXT) | instid1(SALU_CYCLE_1)
	s_lshl_b64 s[44:45], s[44:45], 2
	s_add_u32 s30, s38, s44
	s_addc_u32 s31, s39, s45
	s_or_b32 s7, s15, 3
	s_delay_alu instid0(SALU_CYCLE_1) | instskip(SKIP_1) | instid1(SALU_CYCLE_1)
	s_mul_hi_u32 s45, s7, s10
	s_mul_i32 s44, s7, s10
	s_lshl_b64 s[44:45], s[44:45], 2
	s_delay_alu instid0(SALU_CYCLE_1)
	s_add_u32 s42, s38, s44
	s_addc_u32 s43, s39, s45
	s_clause 0x1
	global_store_b32 v37, v20, s[30:31]
	global_store_b32 v37, v38, s[42:43]
	s_branch .LBB601_12
.LBB601_58:
	s_mov_b32 s15, 0
                                        ; implicit-def: $vgpr1_vgpr2_vgpr3_vgpr4
.LBB601_59:
	s_delay_alu instid0(SALU_CYCLE_1)
	s_cmp_ge_i32 s15, s9
	s_cbranch_scc1 .LBB601_83
; %bb.60:
	v_cmp_gt_u32_e32 vcc_lo, 16, v27
	v_cmp_ge_i32_e64 s0, s8, v28
	v_cmp_ge_i32_e64 s1, s8, v29
	v_mad_i64_i32 v[16:17], null, s20, v22, 0
	v_cndmask_b32_e64 v10, 0, 1, vcc_lo
	v_cmp_gt_u32_e32 vcc_lo, 24, v27
	s_cmp_gt_i32 s11, 0
	s_mov_b32 s23, 0
	s_mov_b32 s22, s14
	v_lshlrev_b32_e32 v10, 4, v10
	v_cndmask_b32_e64 v11, 0, 1, vcc_lo
	v_cmp_gt_u32_e32 vcc_lo, 28, v27
	s_cselect_b32 s8, -1, 0
	s_lshl_b64 s[6:7], s[22:23], 2
	v_add_lshl_u32 v20, v10, v27, 2
	v_lshlrev_b32_e32 v11, 3, v11
	v_cndmask_b32_e64 v12, 0, 1, vcc_lo
	v_cmp_gt_u32_e32 vcc_lo, 30, v27
	s_add_u32 s14, s34, s6
	s_addc_u32 s22, s35, s7
	v_add_lshl_u32 v21, v11, v27, 2
	v_lshlrev_b32_e32 v12, 2, v12
	v_cndmask_b32_e64 v13, 0, 1, vcc_lo
	v_cmp_ne_u32_e32 vcc_lo, 31, v27
	v_mad_i64_i32 v[10:11], null, s20, v9, 0
	s_delay_alu instid0(VALU_DEP_4) | instskip(NEXT) | instid1(VALU_DEP_4)
	v_add_lshl_u32 v28, v12, v27, 2
	v_lshlrev_b32_e32 v13, 1, v13
	v_add_co_ci_u32_e32 v14, vcc_lo, 0, v27, vcc_lo
	s_mul_i32 s6, s13, s15
	s_mul_hi_u32 s7, s12, s15
	s_delay_alu instid0(VALU_DEP_2)
	v_add_lshl_u32 v27, v13, v27, 2
	v_mad_i64_i32 v[12:13], null, s20, v24, 0
	v_lshlrev_b32_e32 v29, 2, v14
	v_mad_i64_i32 v[14:15], null, s20, v23, 0
	v_lshlrev_b64 v[9:10], 1, v[10:11]
	s_add_i32 s7, s7, s6
	s_mul_i32 s6, s12, s15
	s_delay_alu instid0(VALU_DEP_4)
	v_lshlrev_b64 v[11:12], 1, v[12:13]
	s_lshl_b64 s[6:7], s[6:7], 1
	v_cmp_gt_u32_e64 s2, 32, v0
	v_add_co_u32 v9, vcc_lo, s18, v9
	v_lshlrev_b64 v[13:14], 1, v[14:15]
	v_add_co_ci_u32_e32 v10, vcc_lo, s19, v10, vcc_lo
	v_add_co_u32 v11, vcc_lo, s18, v11
	v_lshlrev_b64 v[15:16], 1, v[16:17]
	v_add_co_ci_u32_e32 v12, vcc_lo, s19, v12, vcc_lo
	v_add_co_u32 v13, vcc_lo, s18, v13
	v_add_co_ci_u32_e32 v14, vcc_lo, s19, v14, vcc_lo
	s_delay_alu instid0(VALU_DEP_4)
	v_add_co_u32 v15, vcc_lo, s18, v15
	v_add_co_ci_u32_e32 v16, vcc_lo, s19, v16, vcc_lo
	s_lshl_b64 s[18:19], s[20:21], 1
	s_add_u32 s6, s16, s6
	s_addc_u32 s7, s17, s7
	v_add_co_u32 v7, vcc_lo, s6, v7
	v_lshlrev_b32_e32 v19, 2, v25
	v_cmp_eq_u32_e64 s3, 0, v25
	v_and_b32_e32 v25, 28, v26
	v_cmp_gt_u32_e64 s4, 8, v0
	v_cmp_eq_u32_e64 s5, 0, v0
	v_mov_b32_e32 v0, 0
	v_add_co_ci_u32_e32 v8, vcc_lo, s7, v8, vcc_lo
	s_lshl_b64 s[16:17], s[12:13], 1
	s_branch .LBB601_62
.LBB601_61:                             ;   in Loop: Header=BB601_62 Depth=1
	s_or_b32 exec_lo, exec_lo, s6
	v_add_co_u32 v7, vcc_lo, v7, s16
	v_add_co_ci_u32_e32 v8, vcc_lo, s17, v8, vcc_lo
	s_add_i32 s15, s15, 1
	s_delay_alu instid0(SALU_CYCLE_1)
	s_cmp_ge_i32 s15, s9
	s_cbranch_scc1 .LBB601_83
.LBB601_62:                             ; =>This Loop Header: Depth=1
                                        ;     Child Loop BB601_75 Depth 2
                                        ;     Child Loop BB601_78 Depth 2
	v_mov_b32_e32 v22, s23
	s_and_saveexec_b32 s6, s0
	s_delay_alu instid0(SALU_CYCLE_1)
	s_xor_b32 s6, exec_lo, s6
	s_cbranch_execnz .LBB601_71
; %bb.63:                               ;   in Loop: Header=BB601_62 Depth=1
	s_and_not1_saveexec_b32 s24, s6
	s_cbranch_execnz .LBB601_72
.LBB601_64:                             ;   in Loop: Header=BB601_62 Depth=1
	s_or_b32 exec_lo, exec_lo, s24
	s_and_saveexec_b32 s6, s2
	s_cbranch_execz .LBB601_66
.LBB601_65:                             ;   in Loop: Header=BB601_62 Depth=1
	ds_store_b32 v19, v0
.LBB601_66:                             ;   in Loop: Header=BB601_62 Depth=1
	s_or_b32 exec_lo, exec_lo, s6
	s_waitcnt lgkmcnt(0)
	ds_bpermute_b32 v17, v20, v22
	s_waitcnt lgkmcnt(0)
	s_waitcnt_vscnt null, 0x0
	s_barrier
	buffer_gl0_inv
	v_add_f32_e32 v17, v22, v17
	ds_bpermute_b32 v18, v21, v17
	s_waitcnt lgkmcnt(0)
	v_add_f32_e32 v17, v17, v18
	ds_bpermute_b32 v18, v28, v17
	s_waitcnt lgkmcnt(0)
	;; [unrolled: 3-line block ×3, first 2 shown]
	v_add_f32_e32 v17, v17, v18
	ds_bpermute_b32 v18, v29, v17
	s_and_saveexec_b32 s6, s3
	s_cbranch_execz .LBB601_68
; %bb.67:                               ;   in Loop: Header=BB601_62 Depth=1
	s_waitcnt lgkmcnt(0)
	v_add_f32_e32 v17, v17, v18
	ds_store_b32 v25, v17
.LBB601_68:                             ;   in Loop: Header=BB601_62 Depth=1
	s_or_b32 exec_lo, exec_lo, s6
	v_mov_b32_e32 v17, 0
	s_waitcnt lgkmcnt(0)
	s_barrier
	buffer_gl0_inv
	s_and_saveexec_b32 s6, s4
	s_cbranch_execnz .LBB601_80
; %bb.69:                               ;   in Loop: Header=BB601_62 Depth=1
	s_or_b32 exec_lo, exec_lo, s6
	s_and_saveexec_b32 s6, s2
	s_cbranch_execnz .LBB601_81
.LBB601_70:                             ;   in Loop: Header=BB601_62 Depth=1
	s_or_b32 exec_lo, exec_lo, s6
	s_and_saveexec_b32 s6, s5
	s_cbranch_execz .LBB601_61
	s_branch .LBB601_82
.LBB601_71:                             ;   in Loop: Header=BB601_62 Depth=1
	s_mul_i32 s7, s15, s13
	s_mul_hi_u32 s21, s15, s12
	s_mul_i32 s20, s15, s12
	s_add_i32 s21, s21, s7
	s_delay_alu instid0(SALU_CYCLE_1) | instskip(NEXT) | instid1(SALU_CYCLE_1)
	s_lshl_b64 s[20:21], s[20:21], 1
	v_add_co_u32 v1, vcc_lo, v5, s20
	v_add_co_ci_u32_e32 v2, vcc_lo, s21, v6, vcc_lo
	flat_load_u16 v3, v[9:10]
	s_waitcnt lgkmcnt(1)
	flat_load_b64 v[17:18], v[1:2]
	s_clause 0x2
	flat_load_u16 v2, v[11:12]
	flat_load_u16 v4, v[13:14]
	;; [unrolled: 1-line block ×3, first 2 shown]
	s_waitcnt vmcnt(2) lgkmcnt(2)
	v_lshlrev_b32_e32 v2, 16, v2
	v_lshlrev_b32_e32 v1, 16, v3
	;; [unrolled: 1-line block ×3, first 2 shown]
	v_and_b32_e32 v17, 0xffff0000, v17
	s_delay_alu instid0(VALU_DEP_2)
	v_fma_f32 v22, v1, v3, 0
	s_waitcnt vmcnt(1) lgkmcnt(1)
	v_lshlrev_b32_e32 v3, 16, v4
	s_waitcnt vmcnt(0) lgkmcnt(0)
	v_lshlrev_b32_e32 v4, 16, v23
	v_dual_fmac_f32 v22, v2, v17 :: v_dual_lshlrev_b32 v17, 16, v18
	v_and_b32_e32 v18, 0xffff0000, v18
	s_delay_alu instid0(VALU_DEP_2) | instskip(NEXT) | instid1(VALU_DEP_1)
	v_fmac_f32_e32 v22, v3, v17
	v_fmac_f32_e32 v22, v4, v18
	s_and_not1_saveexec_b32 s24, s6
	s_cbranch_execz .LBB601_64
.LBB601_72:                             ;   in Loop: Header=BB601_62 Depth=1
	s_and_saveexec_b32 s25, s1
	s_cbranch_execz .LBB601_79
; %bb.73:                               ;   in Loop: Header=BB601_62 Depth=1
	s_and_not1_b32 vcc_lo, exec_lo, s8
	s_cbranch_vccnz .LBB601_76
; %bb.74:                               ;   in Loop: Header=BB601_62 Depth=1
	s_waitcnt lgkmcnt(0)
	v_dual_mov_b32 v18, v10 :: v_dual_mov_b32 v17, v9
	s_mov_b64 s[20:21], 0
	.p2align	6
.LBB601_75:                             ;   Parent Loop BB601_62 Depth=1
                                        ; =>  This Inner Loop Header: Depth=2
	flat_load_u16 v23, v[17:18]
	v_add_co_u32 v17, vcc_lo, v17, s18
	s_cmp_eq_u32 s20, 3
	v_add_co_ci_u32_e32 v18, vcc_lo, s19, v18, vcc_lo
	s_cselect_b32 vcc_lo, -1, 0
	s_cmp_eq_u32 s20, 2
	s_cselect_b32 s6, -1, 0
	s_cmp_eq_u32 s20, 1
	s_cselect_b32 s7, -1, 0
	s_cmp_eq_u32 s20, 0
	s_waitcnt vmcnt(0) lgkmcnt(0)
	v_lshlrev_b32_e32 v23, 16, v23
	s_delay_alu instid0(VALU_DEP_1)
	v_cndmask_b32_e32 v4, v4, v23, vcc_lo
	s_cselect_b32 vcc_lo, -1, 0
	v_cndmask_b32_e64 v3, v3, v23, s6
	v_cndmask_b32_e64 v2, v2, v23, s7
	v_cndmask_b32_e32 v1, v1, v23, vcc_lo
	s_add_u32 s20, s20, 1
	s_addc_u32 s21, s21, 0
	s_cmp_eq_u32 s11, s20
	s_cbranch_scc0 .LBB601_75
.LBB601_76:                             ;   in Loop: Header=BB601_62 Depth=1
	s_and_not1_b32 vcc_lo, exec_lo, s8
	s_cbranch_vccnz .LBB601_79
; %bb.77:                               ;   in Loop: Header=BB601_62 Depth=1
	s_waitcnt lgkmcnt(0)
	v_dual_mov_b32 v18, v8 :: v_dual_mov_b32 v17, v7
	s_mov_b64 s[6:7], 0
	.p2align	6
.LBB601_78:                             ;   Parent Loop BB601_62 Depth=1
                                        ; =>  This Inner Loop Header: Depth=2
	flat_load_u16 v23, v[17:18]
	s_cmp_eq_u32 s6, 1
	s_cselect_b32 vcc_lo, -1, 0
	s_cmp_eq_u32 s6, 2
	v_cndmask_b32_e32 v24, v1, v2, vcc_lo
	s_cselect_b32 vcc_lo, -1, 0
	s_cmp_eq_u32 s6, 3
	s_waitcnt vmcnt(0) lgkmcnt(0)
	v_lshlrev_b32_e32 v23, 16, v23
	v_cndmask_b32_e32 v24, v24, v3, vcc_lo
	s_cselect_b32 vcc_lo, -1, 0
	s_add_u32 s6, s6, 1
	s_addc_u32 s7, s7, 0
	s_cmp_lg_u32 s11, s6
	v_cndmask_b32_e32 v24, v24, v4, vcc_lo
	v_add_co_u32 v17, vcc_lo, v17, 2
	v_add_co_ci_u32_e32 v18, vcc_lo, 0, v18, vcc_lo
	s_delay_alu instid0(VALU_DEP_3)
	v_fmac_f32_e32 v22, v24, v23
	s_cbranch_scc1 .LBB601_78
.LBB601_79:                             ;   in Loop: Header=BB601_62 Depth=1
	s_or_b32 exec_lo, exec_lo, s25
	s_delay_alu instid0(SALU_CYCLE_1)
	s_or_b32 exec_lo, exec_lo, s24
	s_and_saveexec_b32 s6, s2
	s_cbranch_execnz .LBB601_65
	s_branch .LBB601_66
.LBB601_80:                             ;   in Loop: Header=BB601_62 Depth=1
	ds_load_b32 v17, v19
	s_or_b32 exec_lo, exec_lo, s6
	s_and_saveexec_b32 s6, s2
	s_cbranch_execz .LBB601_70
.LBB601_81:                             ;   in Loop: Header=BB601_62 Depth=1
	s_waitcnt lgkmcnt(0)
	ds_bpermute_b32 v18, v28, v17
	s_waitcnt lgkmcnt(0)
	v_add_f32_e32 v17, v17, v18
	ds_bpermute_b32 v18, v27, v17
	s_waitcnt lgkmcnt(0)
	v_add_f32_e32 v17, v17, v18
	;; [unrolled: 3-line block ×3, first 2 shown]
	s_or_b32 exec_lo, exec_lo, s6
	s_and_saveexec_b32 s6, s5
	s_cbranch_execz .LBB601_61
.LBB601_82:                             ;   in Loop: Header=BB601_62 Depth=1
	s_mul_hi_u32 s21, s15, s10
	s_mul_i32 s20, s15, s10
	s_waitcnt lgkmcnt(0)
	v_mul_f32_e32 v17, s33, v17
	s_lshl_b64 s[20:21], s[20:21], 2
	s_delay_alu instid0(SALU_CYCLE_1)
	s_add_u32 s20, s14, s20
	s_addc_u32 s21, s22, s21
	global_store_b32 v0, v17, s[20:21]
	s_branch .LBB601_61
.LBB601_83:
	s_nop 0
	s_sendmsg sendmsg(MSG_DEALLOC_VGPRS)
	s_endpgm
	.section	.rodata,"a",@progbits
	.p2align	6, 0x0
	.amdhsa_kernel _ZL23rocblas_gemvt_sn_kernelILb0ELi256ELi4ElPK16rocblas_bfloat16PKffEviiT4_lPKT3_lilS8_lilPT5_i
		.amdhsa_group_segment_fixed_size 128
		.amdhsa_private_segment_fixed_size 0
		.amdhsa_kernarg_size 360
		.amdhsa_user_sgpr_count 14
		.amdhsa_user_sgpr_dispatch_ptr 0
		.amdhsa_user_sgpr_queue_ptr 0
		.amdhsa_user_sgpr_kernarg_segment_ptr 1
		.amdhsa_user_sgpr_dispatch_id 0
		.amdhsa_user_sgpr_private_segment_size 0
		.amdhsa_wavefront_size32 1
		.amdhsa_uses_dynamic_stack 0
		.amdhsa_enable_private_segment 0
		.amdhsa_system_sgpr_workgroup_id_x 1
		.amdhsa_system_sgpr_workgroup_id_y 0
		.amdhsa_system_sgpr_workgroup_id_z 1
		.amdhsa_system_sgpr_workgroup_info 0
		.amdhsa_system_vgpr_workitem_id 0
		.amdhsa_next_free_vgpr 54
		.amdhsa_next_free_sgpr 46
		.amdhsa_reserve_vcc 1
		.amdhsa_float_round_mode_32 0
		.amdhsa_float_round_mode_16_64 0
		.amdhsa_float_denorm_mode_32 3
		.amdhsa_float_denorm_mode_16_64 3
		.amdhsa_dx10_clamp 1
		.amdhsa_ieee_mode 1
		.amdhsa_fp16_overflow 0
		.amdhsa_workgroup_processor_mode 1
		.amdhsa_memory_ordered 1
		.amdhsa_forward_progress 0
		.amdhsa_shared_vgpr_count 0
		.amdhsa_exception_fp_ieee_invalid_op 0
		.amdhsa_exception_fp_denorm_src 0
		.amdhsa_exception_fp_ieee_div_zero 0
		.amdhsa_exception_fp_ieee_overflow 0
		.amdhsa_exception_fp_ieee_underflow 0
		.amdhsa_exception_fp_ieee_inexact 0
		.amdhsa_exception_int_div_zero 0
	.end_amdhsa_kernel
	.section	.text._ZL23rocblas_gemvt_sn_kernelILb0ELi256ELi4ElPK16rocblas_bfloat16PKffEviiT4_lPKT3_lilS8_lilPT5_i,"axG",@progbits,_ZL23rocblas_gemvt_sn_kernelILb0ELi256ELi4ElPK16rocblas_bfloat16PKffEviiT4_lPKT3_lilS8_lilPT5_i,comdat
.Lfunc_end601:
	.size	_ZL23rocblas_gemvt_sn_kernelILb0ELi256ELi4ElPK16rocblas_bfloat16PKffEviiT4_lPKT3_lilS8_lilPT5_i, .Lfunc_end601-_ZL23rocblas_gemvt_sn_kernelILb0ELi256ELi4ElPK16rocblas_bfloat16PKffEviiT4_lPKT3_lilS8_lilPT5_i
                                        ; -- End function
	.section	.AMDGPU.csdata,"",@progbits
; Kernel info:
; codeLenInByte = 4336
; NumSgprs: 48
; NumVgprs: 54
; ScratchSize: 0
; MemoryBound: 0
; FloatMode: 240
; IeeeMode: 1
; LDSByteSize: 128 bytes/workgroup (compile time only)
; SGPRBlocks: 5
; VGPRBlocks: 6
; NumSGPRsForWavesPerEU: 48
; NumVGPRsForWavesPerEU: 54
; Occupancy: 16
; WaveLimiterHint : 0
; COMPUTE_PGM_RSRC2:SCRATCH_EN: 0
; COMPUTE_PGM_RSRC2:USER_SGPR: 14
; COMPUTE_PGM_RSRC2:TRAP_HANDLER: 0
; COMPUTE_PGM_RSRC2:TGID_X_EN: 1
; COMPUTE_PGM_RSRC2:TGID_Y_EN: 0
; COMPUTE_PGM_RSRC2:TGID_Z_EN: 1
; COMPUTE_PGM_RSRC2:TIDIG_COMP_CNT: 0
	.section	.text._ZL23rocblas_gemvt_sn_reduceILi256ELi8EfPKfKP16rocblas_bfloat16EviT2_lPT3_lilPT1_i,"axG",@progbits,_ZL23rocblas_gemvt_sn_reduceILi256ELi8EfPKfKP16rocblas_bfloat16EviT2_lPT3_lilPT1_i,comdat
	.globl	_ZL23rocblas_gemvt_sn_reduceILi256ELi8EfPKfKP16rocblas_bfloat16EviT2_lPT3_lilPT1_i ; -- Begin function _ZL23rocblas_gemvt_sn_reduceILi256ELi8EfPKfKP16rocblas_bfloat16EviT2_lPT3_lilPT1_i
	.p2align	8
	.type	_ZL23rocblas_gemvt_sn_reduceILi256ELi8EfPKfKP16rocblas_bfloat16EviT2_lPT3_lilPT1_i,@function
_ZL23rocblas_gemvt_sn_reduceILi256ELi8EfPKfKP16rocblas_bfloat16EviT2_lPT3_lilPT1_i: ; @_ZL23rocblas_gemvt_sn_reduceILi256ELi8EfPKfKP16rocblas_bfloat16EviT2_lPT3_lilPT1_i
; %bb.0:
	s_clause 0x1
	s_load_b32 s16, s[0:1], 0x0
	s_load_b256 s[4:11], s[0:1], 0x8
	s_mov_b32 s2, s15
	s_mov_b32 s3, 0
	s_load_b32 s17, s[0:1], 0x4c
	s_lshl_b64 s[12:13], s[2:3], 3
	v_dual_mov_b32 v3, 0 :: v_dual_lshlrev_b32 v4, 3, v0
	s_waitcnt lgkmcnt(0)
	s_ashr_i32 s18, s16, 31
	s_mul_i32 s7, s15, s7
	s_mul_hi_u32 s15, s15, s6
	s_add_u32 s8, s8, s12
	s_addc_u32 s9, s9, s13
	s_add_i32 s7, s15, s7
	s_mul_i32 s6, s2, s6
	s_delay_alu instid0(SALU_CYCLE_1)
	s_lshl_b64 s[12:13], s[6:7], 2
	s_load_b64 s[6:7], s[0:1], 0x38
	s_add_u32 s12, s4, s12
	s_addc_u32 s13, s5, s13
	s_load_b64 s[4:5], s[8:9], 0x0
	s_load_b32 s15, s[12:13], 0x0
	s_add_u32 s12, s0, 0x48
	s_mul_i32 s2, s17, s2
	s_addc_u32 s13, s1, 0
	s_lshr_b32 s8, s18, 29
	s_add_i32 s2, s2, s14
	s_add_i32 s8, s16, s8
	s_mul_i32 s9, s2, s18
	s_and_b32 s17, s8, -8
	s_mul_hi_u32 s8, s2, s16
	s_mov_b32 s18, exec_lo
	s_add_i32 s9, s8, s9
	s_mul_i32 s8, s2, s16
	v_cmpx_gt_i32_e64 s17, v4
	s_cbranch_execz .LBB602_4
; %bb.1:
	s_load_b32 s2, s[12:13], 0xc
	v_lshlrev_b32_e32 v1, 5, v0
	s_lshl_b64 s[20:21], s[8:9], 2
	v_mov_b32_e32 v3, 0
	s_waitcnt lgkmcnt(0)
	s_and_b32 s2, s2, 0xffff
	s_delay_alu instid0(SALU_CYCLE_1) | instskip(SKIP_3) | instid1(VALU_DEP_1)
	s_lshl_b32 s12, s2, 3
	s_add_u32 s13, s6, s20
	s_addc_u32 s19, s7, s21
	v_add_co_u32 v1, s13, s13, v1
	v_add_co_ci_u32_e64 v2, null, s19, 0, s13
	s_lshl_b32 s13, s2, 5
	s_delay_alu instid0(VALU_DEP_2) | instskip(NEXT) | instid1(VALU_DEP_2)
	v_add_co_u32 v1, vcc_lo, v1, 28
	v_add_co_ci_u32_e32 v2, vcc_lo, 0, v2, vcc_lo
	.p2align	6
.LBB602_2:                              ; =>This Inner Loop Header: Depth=1
	s_clause 0x1
	global_load_b128 v[5:8], v[1:2], off offset:-28
	global_load_b128 v[9:12], v[1:2], off offset:-12
	v_add_co_u32 v1, vcc_lo, v1, s13
	v_add_co_ci_u32_e32 v2, vcc_lo, 0, v2, vcc_lo
	v_add_nc_u32_e32 v4, s12, v4
	s_delay_alu instid0(VALU_DEP_1) | instskip(NEXT) | instid1(VALU_DEP_1)
	v_cmp_le_i32_e64 s2, s17, v4
	s_or_b32 s3, s2, s3
	s_waitcnt vmcnt(1)
	v_add_f32_e32 v3, v3, v5
	s_delay_alu instid0(VALU_DEP_1) | instskip(NEXT) | instid1(VALU_DEP_1)
	v_add_f32_e32 v3, v3, v6
	v_add_f32_e32 v3, v3, v7
	s_delay_alu instid0(VALU_DEP_1) | instskip(SKIP_1) | instid1(VALU_DEP_1)
	v_add_f32_e32 v3, v3, v8
	s_waitcnt vmcnt(0)
	v_add_f32_e32 v3, v3, v9
	s_delay_alu instid0(VALU_DEP_1) | instskip(NEXT) | instid1(VALU_DEP_1)
	v_add_f32_e32 v3, v3, v10
	v_add_f32_e32 v3, v3, v11
	s_delay_alu instid0(VALU_DEP_1)
	v_add_f32_e32 v3, v3, v12
	s_and_not1_b32 exec_lo, exec_lo, s3
	s_cbranch_execnz .LBB602_2
; %bb.3:
	s_or_b32 exec_lo, exec_lo, s3
.LBB602_4:
	s_delay_alu instid0(SALU_CYCLE_1) | instskip(SKIP_1) | instid1(SALU_CYCLE_1)
	s_or_b32 exec_lo, exec_lo, s18
	s_sub_i32 s2, s16, s17
	v_cmp_gt_u32_e32 vcc_lo, s2, v0
	s_and_saveexec_b32 s2, vcc_lo
	s_cbranch_execz .LBB602_6
; %bb.5:
	v_xad_u32 v1, v0, -1, s16
	v_mov_b32_e32 v2, 0
	s_lshl_b64 s[8:9], s[8:9], 2
	s_waitcnt lgkmcnt(0)
	s_add_u32 s3, s6, s8
	s_addc_u32 s6, s7, s9
	v_lshlrev_b64 v[1:2], 2, v[1:2]
	s_delay_alu instid0(VALU_DEP_1) | instskip(NEXT) | instid1(VALU_DEP_2)
	v_add_co_u32 v1, vcc_lo, s3, v1
	v_add_co_ci_u32_e32 v2, vcc_lo, s6, v2, vcc_lo
	global_load_b32 v1, v[1:2], off
	s_waitcnt vmcnt(0)
	v_add_f32_e32 v3, v3, v1
.LBB602_6:
	s_or_b32 exec_lo, exec_lo, s2
	v_and_b32_e32 v1, 31, v0
	v_cmp_gt_u32_e32 vcc_lo, 32, v0
	s_delay_alu instid0(VALU_DEP_2)
	v_lshlrev_b32_e32 v2, 2, v1
	s_and_saveexec_b32 s2, vcc_lo
	s_cbranch_execz .LBB602_8
; %bb.7:
	v_mov_b32_e32 v4, 0
	ds_store_b32 v2, v4
.LBB602_8:
	s_or_b32 exec_lo, exec_lo, s2
	v_mbcnt_lo_u32_b32 v5, -1, 0
	s_mov_b32 s3, exec_lo
	s_waitcnt lgkmcnt(0)
	s_barrier
	buffer_gl0_inv
	v_cmp_gt_u32_e64 s2, 16, v5
	s_delay_alu instid0(VALU_DEP_1) | instskip(SKIP_1) | instid1(VALU_DEP_2)
	v_cndmask_b32_e64 v4, 0, 1, s2
	v_cmp_gt_u32_e64 s2, 24, v5
	v_lshlrev_b32_e32 v4, 4, v4
	s_delay_alu instid0(VALU_DEP_2) | instskip(SKIP_1) | instid1(VALU_DEP_3)
	v_cndmask_b32_e64 v6, 0, 1, s2
	v_cmp_gt_u32_e64 s2, 28, v5
	v_add_lshl_u32 v4, v4, v5, 2
	s_delay_alu instid0(VALU_DEP_3)
	v_lshlrev_b32_e32 v6, 3, v6
	ds_bpermute_b32 v4, v4, v3
	v_add_lshl_u32 v6, v6, v5, 2
	s_waitcnt lgkmcnt(0)
	v_add_f32_e32 v4, v3, v4
	v_cndmask_b32_e64 v3, 0, 1, s2
	v_cmp_gt_u32_e64 s2, 30, v5
	s_delay_alu instid0(VALU_DEP_2)
	v_lshlrev_b32_e32 v3, 2, v3
	ds_bpermute_b32 v6, v6, v4
	v_add_lshl_u32 v3, v3, v5, 2
	s_waitcnt lgkmcnt(0)
	v_add_f32_e32 v6, v4, v6
	v_cndmask_b32_e64 v4, 0, 1, s2
	v_cmp_ne_u32_e64 s2, 31, v5
	s_delay_alu instid0(VALU_DEP_2) | instskip(NEXT) | instid1(VALU_DEP_1)
	v_lshlrev_b32_e32 v4, 1, v4
	v_add_lshl_u32 v4, v4, v5, 2
	s_delay_alu instid0(VALU_DEP_3) | instskip(NEXT) | instid1(VALU_DEP_1)
	v_add_co_ci_u32_e64 v5, s2, 0, v5, s2
	v_lshlrev_b32_e32 v5, 2, v5
	ds_bpermute_b32 v7, v3, v6
	s_waitcnt lgkmcnt(0)
	v_add_f32_e32 v6, v6, v7
	ds_bpermute_b32 v7, v4, v6
	s_waitcnt lgkmcnt(0)
	v_add_f32_e32 v6, v6, v7
	ds_bpermute_b32 v7, v5, v6
	v_cmpx_eq_u32_e32 0, v1
	s_cbranch_execz .LBB602_10
; %bb.9:
	v_lshrrev_b32_e32 v1, 3, v0
	s_waitcnt lgkmcnt(0)
	s_delay_alu instid0(VALU_DEP_1)
	v_dual_add_f32 v6, v6, v7 :: v_dual_and_b32 v1, 28, v1
	ds_store_b32 v1, v6
.LBB602_10:
	s_or_b32 exec_lo, exec_lo, s3
	v_mov_b32_e32 v1, 0
	s_mov_b32 s3, exec_lo
	s_waitcnt lgkmcnt(0)
	s_barrier
	buffer_gl0_inv
	v_cmpx_gt_u32_e32 8, v0
	s_cbranch_execz .LBB602_12
; %bb.11:
	ds_load_b32 v1, v2
.LBB602_12:
	s_or_b32 exec_lo, exec_lo, s3
	s_and_saveexec_b32 s2, vcc_lo
	s_cbranch_execz .LBB602_14
; %bb.13:
	s_waitcnt lgkmcnt(0)
	ds_bpermute_b32 v2, v3, v1
	s_waitcnt lgkmcnt(0)
	v_add_f32_e32 v1, v1, v2
	ds_bpermute_b32 v2, v4, v1
	s_waitcnt lgkmcnt(0)
	v_add_f32_e32 v1, v1, v2
	;; [unrolled: 3-line block ×3, first 2 shown]
.LBB602_14:
	s_or_b32 exec_lo, exec_lo, s2
	s_delay_alu instid0(SALU_CYCLE_1)
	s_mov_b32 s2, exec_lo
	v_cmpx_eq_u32_e32 0, v0
	s_cbranch_execz .LBB602_28
; %bb.15:
	s_load_b32 s6, s[0:1], 0x28
	v_cmp_eq_f32_e64 s7, s15, 0
	s_lshl_b64 s[0:1], s[10:11], 1
	s_delay_alu instid0(SALU_CYCLE_1) | instskip(SKIP_1) | instid1(VALU_DEP_1)
	s_add_u32 s2, s4, s0
	s_addc_u32 s3, s5, s1
	s_and_b32 vcc_lo, exec_lo, s7
	s_cbranch_vccz .LBB602_21
; %bb.16:
	s_waitcnt lgkmcnt(0)
	v_and_b32_e32 v0, 0x7f800000, v1
	s_delay_alu instid0(VALU_DEP_1) | instskip(SKIP_1) | instid1(SALU_CYCLE_1)
	v_cmp_ne_u32_e32 vcc_lo, 0x7f800000, v0
                                        ; implicit-def: $vgpr0
	s_and_saveexec_b32 s0, vcc_lo
	s_xor_b32 s0, exec_lo, s0
; %bb.17:
	v_bfe_u32 v0, v1, 16, 1
	s_delay_alu instid0(VALU_DEP_1)
	v_add3_u32 v0, v1, v0, 0x7fff
; %bb.18:
	s_and_not1_saveexec_b32 s0, s0
; %bb.19:
	v_and_b32_e32 v0, 0xffff, v1
	v_or_b32_e32 v2, 0x10000, v1
	s_delay_alu instid0(VALU_DEP_2) | instskip(NEXT) | instid1(VALU_DEP_2)
	v_cmp_eq_u32_e32 vcc_lo, 0, v0
	v_cndmask_b32_e32 v0, v2, v1, vcc_lo
; %bb.20:
	s_or_b32 exec_lo, exec_lo, s0
	s_mul_hi_u32 s4, s6, s14
	s_mul_i32 s0, s6, s14
	s_cbranch_execz .LBB602_22
	s_branch .LBB602_27
.LBB602_21:
                                        ; implicit-def: $vgpr0
	s_waitcnt lgkmcnt(0)
	s_mul_hi_u32 s4, s6, s14
	s_mul_i32 s0, s6, s14
.LBB602_22:
	s_ashr_i32 s1, s6, 31
	v_mov_b32_e32 v0, 0
	s_mul_i32 s1, s1, s14
	s_delay_alu instid0(SALU_CYCLE_1) | instskip(NEXT) | instid1(SALU_CYCLE_1)
	s_add_i32 s1, s4, s1
	s_lshl_b64 s[8:9], s[0:1], 1
	s_delay_alu instid0(SALU_CYCLE_1) | instskip(SKIP_4) | instid1(VALU_DEP_1)
	s_add_u32 s8, s2, s8
	s_addc_u32 s9, s3, s9
	global_load_u16 v0, v0, s[8:9]
	s_waitcnt vmcnt(0)
	v_lshlrev_b32_e32 v0, 16, v0
	v_fmac_f32_e32 v1, s15, v0
	s_delay_alu instid0(VALU_DEP_1) | instskip(NEXT) | instid1(VALU_DEP_1)
	v_and_b32_e32 v0, 0x7f800000, v1
	v_cmp_ne_u32_e32 vcc_lo, 0x7f800000, v0
                                        ; implicit-def: $vgpr0
	s_and_saveexec_b32 s1, vcc_lo
	s_delay_alu instid0(SALU_CYCLE_1)
	s_xor_b32 s1, exec_lo, s1
; %bb.23:
	v_bfe_u32 v0, v1, 16, 1
	s_delay_alu instid0(VALU_DEP_1)
	v_add3_u32 v0, v1, v0, 0x7fff
                                        ; implicit-def: $vgpr1
; %bb.24:
	s_and_not1_saveexec_b32 s1, s1
; %bb.25:
	v_and_b32_e32 v0, 0xffff, v1
	v_or_b32_e32 v2, 0x10000, v1
	s_delay_alu instid0(VALU_DEP_2) | instskip(NEXT) | instid1(VALU_DEP_2)
	v_cmp_eq_u32_e32 vcc_lo, 0, v0
	v_cndmask_b32_e32 v0, v2, v1, vcc_lo
; %bb.26:
	s_or_b32 exec_lo, exec_lo, s1
.LBB602_27:
	s_ashr_i32 s1, s6, 31
	v_mov_b32_e32 v1, 0
	s_mul_i32 s1, s1, s14
	s_delay_alu instid0(SALU_CYCLE_1) | instskip(NEXT) | instid1(SALU_CYCLE_1)
	s_add_i32 s1, s4, s1
	s_lshl_b64 s[0:1], s[0:1], 1
	s_delay_alu instid0(SALU_CYCLE_1)
	s_add_u32 s0, s2, s0
	s_addc_u32 s1, s3, s1
	global_store_d16_hi_b16 v1, v0, s[0:1]
.LBB602_28:
	s_nop 0
	s_sendmsg sendmsg(MSG_DEALLOC_VGPRS)
	s_endpgm
	.section	.rodata,"a",@progbits
	.p2align	6, 0x0
	.amdhsa_kernel _ZL23rocblas_gemvt_sn_reduceILi256ELi8EfPKfKP16rocblas_bfloat16EviT2_lPT3_lilPT1_i
		.amdhsa_group_segment_fixed_size 128
		.amdhsa_private_segment_fixed_size 0
		.amdhsa_kernarg_size 328
		.amdhsa_user_sgpr_count 13
		.amdhsa_user_sgpr_dispatch_ptr 0
		.amdhsa_user_sgpr_queue_ptr 0
		.amdhsa_user_sgpr_kernarg_segment_ptr 1
		.amdhsa_user_sgpr_dispatch_id 0
		.amdhsa_user_sgpr_private_segment_size 0
		.amdhsa_wavefront_size32 1
		.amdhsa_uses_dynamic_stack 0
		.amdhsa_enable_private_segment 0
		.amdhsa_system_sgpr_workgroup_id_x 1
		.amdhsa_system_sgpr_workgroup_id_y 1
		.amdhsa_system_sgpr_workgroup_id_z 1
		.amdhsa_system_sgpr_workgroup_info 0
		.amdhsa_system_vgpr_workitem_id 0
		.amdhsa_next_free_vgpr 13
		.amdhsa_next_free_sgpr 22
		.amdhsa_reserve_vcc 1
		.amdhsa_float_round_mode_32 0
		.amdhsa_float_round_mode_16_64 0
		.amdhsa_float_denorm_mode_32 3
		.amdhsa_float_denorm_mode_16_64 3
		.amdhsa_dx10_clamp 1
		.amdhsa_ieee_mode 1
		.amdhsa_fp16_overflow 0
		.amdhsa_workgroup_processor_mode 1
		.amdhsa_memory_ordered 1
		.amdhsa_forward_progress 0
		.amdhsa_shared_vgpr_count 0
		.amdhsa_exception_fp_ieee_invalid_op 0
		.amdhsa_exception_fp_denorm_src 0
		.amdhsa_exception_fp_ieee_div_zero 0
		.amdhsa_exception_fp_ieee_overflow 0
		.amdhsa_exception_fp_ieee_underflow 0
		.amdhsa_exception_fp_ieee_inexact 0
		.amdhsa_exception_int_div_zero 0
	.end_amdhsa_kernel
	.section	.text._ZL23rocblas_gemvt_sn_reduceILi256ELi8EfPKfKP16rocblas_bfloat16EviT2_lPT3_lilPT1_i,"axG",@progbits,_ZL23rocblas_gemvt_sn_reduceILi256ELi8EfPKfKP16rocblas_bfloat16EviT2_lPT3_lilPT1_i,comdat
.Lfunc_end602:
	.size	_ZL23rocblas_gemvt_sn_reduceILi256ELi8EfPKfKP16rocblas_bfloat16EviT2_lPT3_lilPT1_i, .Lfunc_end602-_ZL23rocblas_gemvt_sn_reduceILi256ELi8EfPKfKP16rocblas_bfloat16EviT2_lPT3_lilPT1_i
                                        ; -- End function
	.section	.AMDGPU.csdata,"",@progbits
; Kernel info:
; codeLenInByte = 1308
; NumSgprs: 24
; NumVgprs: 13
; ScratchSize: 0
; MemoryBound: 0
; FloatMode: 240
; IeeeMode: 1
; LDSByteSize: 128 bytes/workgroup (compile time only)
; SGPRBlocks: 2
; VGPRBlocks: 1
; NumSGPRsForWavesPerEU: 24
; NumVGPRsForWavesPerEU: 13
; Occupancy: 16
; WaveLimiterHint : 1
; COMPUTE_PGM_RSRC2:SCRATCH_EN: 0
; COMPUTE_PGM_RSRC2:USER_SGPR: 13
; COMPUTE_PGM_RSRC2:TRAP_HANDLER: 0
; COMPUTE_PGM_RSRC2:TGID_X_EN: 1
; COMPUTE_PGM_RSRC2:TGID_Y_EN: 1
; COMPUTE_PGM_RSRC2:TGID_Z_EN: 1
; COMPUTE_PGM_RSRC2:TIDIG_COMP_CNT: 0
	.section	.text._ZL23rocblas_gemvt_sn_kernelILb0ELi256ELi4EiPK16rocblas_bfloat16ffEviiT4_lPKT3_lilS6_lilPT5_i,"axG",@progbits,_ZL23rocblas_gemvt_sn_kernelILb0ELi256ELi4EiPK16rocblas_bfloat16ffEviiT4_lPKT3_lilS6_lilPT5_i,comdat
	.globl	_ZL23rocblas_gemvt_sn_kernelILb0ELi256ELi4EiPK16rocblas_bfloat16ffEviiT4_lPKT3_lilS6_lilPT5_i ; -- Begin function _ZL23rocblas_gemvt_sn_kernelILb0ELi256ELi4EiPK16rocblas_bfloat16ffEviiT4_lPKT3_lilS6_lilPT5_i
	.p2align	8
	.type	_ZL23rocblas_gemvt_sn_kernelILb0ELi256ELi4EiPK16rocblas_bfloat16ffEviiT4_lPKT3_lilS6_lilPT5_i,@function
_ZL23rocblas_gemvt_sn_kernelILb0ELi256ELi4EiPK16rocblas_bfloat16ffEviiT4_lPKT3_lilS6_lilPT5_i: ; @_ZL23rocblas_gemvt_sn_kernelILb0ELi256ELi4EiPK16rocblas_bfloat16ffEviiT4_lPKT3_lilS6_lilPT5_i
; %bb.0:
	s_load_b128 s[8:11], s[0:1], 0x0
	s_mov_b32 s4, s15
	s_mov_b32 s5, 0
	s_waitcnt lgkmcnt(0)
	v_cmp_neq_f32_e64 s7, s10, 0
	v_cmp_eq_f32_e64 s6, s10, 0
	s_delay_alu instid0(VALU_DEP_2)
	s_and_b32 vcc_lo, exec_lo, s7
	s_cbranch_vccnz .LBB603_2
; %bb.1:
	s_mov_b64 s[2:3], 0
	s_and_not1_b32 vcc_lo, exec_lo, s5
	s_cbranch_vccz .LBB603_3
	s_branch .LBB603_4
.LBB603_2:
	s_mov_b32 s5, -1
                                        ; implicit-def: $sgpr2_sgpr3
.LBB603_3:
	s_load_b128 s[16:19], s[0:1], 0x18
	s_mov_b32 s5, 0
	s_delay_alu instid0(SALU_CYCLE_1)
	s_lshl_b64 s[2:3], s[4:5], 3
	s_waitcnt lgkmcnt(0)
	s_add_u32 s2, s16, s2
	s_addc_u32 s3, s17, s3
	s_lshl_b64 s[12:13], s[18:19], 1
	s_load_b64 s[2:3], s[2:3], 0x0
	s_waitcnt lgkmcnt(0)
	s_add_u32 s2, s2, s12
	s_addc_u32 s3, s3, s13
.LBB603_4:
	s_and_not1_b32 vcc_lo, exec_lo, s7
	s_cbranch_vccnz .LBB603_6
; %bb.5:
	s_load_b128 s[16:19], s[0:1], 0x38
	s_lshl_b64 s[12:13], s[4:5], 3
	s_waitcnt lgkmcnt(0)
	s_add_u32 s12, s16, s12
	s_addc_u32 s13, s17, s13
	s_lshl_b64 s[16:17], s[18:19], 1
	s_load_b64 s[12:13], s[12:13], 0x0
	s_waitcnt lgkmcnt(0)
	s_add_u32 s12, s12, s16
	s_addc_u32 s13, s13, s17
	s_branch .LBB603_7
.LBB603_6:
	s_mov_b64 s[12:13], 0
.LBB603_7:
	s_clause 0x1
	s_load_b32 s16, s[0:1], 0x68
	s_load_b64 s[20:21], s[0:1], 0x58
	s_ashr_i32 s19, s9, 31
	s_mul_hi_u32 s7, s4, s9
	s_mul_i32 s11, s4, s19
	s_mul_i32 s5, s5, s9
	s_add_i32 s7, s7, s11
	s_mul_i32 s4, s4, s9
	s_add_i32 s5, s7, s5
	s_mov_b32 s17, 0
	s_waitcnt lgkmcnt(0)
	s_mul_i32 s5, s5, s16
	s_mul_hi_u32 s7, s4, s16
	s_mul_i32 s4, s4, s16
	s_add_i32 s5, s7, s5
	s_delay_alu instid0(SALU_CYCLE_1) | instskip(NEXT) | instid1(SALU_CYCLE_1)
	s_lshl_b64 s[4:5], s[4:5], 2
	s_add_u32 s30, s20, s4
	s_addc_u32 s31, s21, s5
	s_and_not1_b32 vcc_lo, exec_lo, s6
	s_mov_b32 s4, -1
	s_cbranch_vccnz .LBB603_12
; %bb.8:
	v_cmp_eq_u32_e32 vcc_lo, 0, v0
	s_cmp_gt_i32 s9, 0
	s_cselect_b32 s4, -1, 0
	s_delay_alu instid0(SALU_CYCLE_1) | instskip(NEXT) | instid1(SALU_CYCLE_1)
	s_and_b32 s4, vcc_lo, s4
	s_and_saveexec_b32 s11, s4
	s_cbranch_execz .LBB603_11
; %bb.9:
	s_mov_b32 s15, 0
	v_mov_b32_e32 v1, 0
	s_lshl_b64 s[4:5], s[14:15], 2
	s_mov_b32 s15, s9
	s_add_u32 s4, s30, s4
	s_addc_u32 s5, s31, s5
	s_lshl_b64 s[6:7], s[16:17], 2
.LBB603_10:                             ; =>This Inner Loop Header: Depth=1
	s_add_i32 s15, s15, -1
	global_store_b32 v1, v1, s[4:5]
	s_add_u32 s4, s4, s6
	s_addc_u32 s5, s5, s7
	s_cmp_eq_u32 s15, 0
	s_cbranch_scc0 .LBB603_10
.LBB603_11:
	s_or_b32 exec_lo, exec_lo, s11
	s_mov_b32 s4, 0
.LBB603_12:
	s_delay_alu instid0(SALU_CYCLE_1)
	s_and_not1_b32 vcc_lo, exec_lo, s4
	s_cbranch_vccnz .LBB603_86
; %bb.13:
	s_clause 0x1
	s_load_b32 s18, s[0:1], 0x28
	s_load_b32 s11, s[0:1], 0x48
	s_lshl_b32 s4, s14, 10
	s_ashr_i32 s0, s8, 31
	v_lshl_or_b32 v1, v0, 2, s4
	s_lshr_b32 s0, s0, 30
	s_lshr_b32 s1, s19, 30
	s_add_i32 s0, s8, s0
	s_add_i32 s1, s9, s1
	v_ashrrev_i32_e32 v2, 31, v1
	s_and_b32 s0, s0, -4
	s_and_b32 s15, s1, -4
	s_sub_i32 s17, s8, s0
	v_add_nc_u32_e32 v22, 4, v1
	v_lshlrev_b64 v[2:3], 1, v[1:2]
	v_add_nc_u32_e32 v23, s17, v1
	v_and_b32_e32 v19, 31, v0
	v_cmp_gt_u32_e64 s0, 32, v0
	v_mbcnt_lo_u32_b32 v21, -1, 0
	v_cmp_gt_u32_e64 s1, 8, v0
	v_add_co_u32 v17, vcc_lo, s2, v2
	s_waitcnt lgkmcnt(0)
	v_mul_lo_u32 v5, v1, s11
	v_add_co_ci_u32_e32 v18, vcc_lo, s3, v3, vcc_lo
	v_lshrrev_b32_e32 v20, 3, v0
	v_cmp_eq_u32_e64 s2, 0, v0
	s_cmp_lt_i32 s15, 1
	s_cbranch_scc1 .LBB603_61
; %bb.14:
	v_cmp_gt_u32_e32 vcc_lo, 16, v21
	v_mul_lo_u32 v6, v1, s11
	s_mov_b32 s21, 0
	s_cmp_gt_i32 s17, 0
	v_cmp_ge_i32_e64 s3, s8, v22
	v_cndmask_b32_e64 v2, 0, 1, vcc_lo
	v_cmp_gt_u32_e32 vcc_lo, 24, v21
	v_cmp_ge_i32_e64 s4, s8, v23
	v_cmp_eq_u32_e64 s5, 0, v19
	v_lshlrev_b32_e32 v29, 2, v19
	v_dual_mov_b32 v31, 0 :: v_dual_lshlrev_b32 v2, 4, v2
	v_cndmask_b32_e64 v3, 0, 1, vcc_lo
	v_cmp_gt_u32_e32 vcc_lo, 28, v21
	v_and_b32_e32 v30, 28, v20
	s_delay_alu instid0(VALU_DEP_4)
	v_add_lshl_u32 v24, v2, v21, 2
	s_mov_b32 s19, s21
	v_lshlrev_b32_e32 v2, 3, v3
	v_cndmask_b32_e64 v4, 0, 1, vcc_lo
	v_cmp_gt_u32_e32 vcc_lo, 30, v21
	s_cselect_b32 s33, -1, 0
	s_lshl_b32 s20, s18, 1
	v_add_lshl_u32 v25, v2, v21, 2
	v_lshlrev_b32_e32 v1, 2, v4
	v_cndmask_b32_e64 v7, 0, 1, vcc_lo
	v_cmp_ne_u32_e32 vcc_lo, 31, v21
	s_lshl_b32 s34, s18, 2
	s_mul_i32 s35, s18, 3
	v_add_lshl_u32 v26, v1, v21, 2
	v_lshlrev_b32_e32 v3, 1, v7
	v_add_nc_u32_e32 v1, s11, v6
	v_ashrrev_i32_e32 v7, 31, v6
	v_add_co_ci_u32_e32 v4, vcc_lo, 0, v21, vcc_lo
	s_delay_alu instid0(VALU_DEP_4) | instskip(NEXT) | instid1(VALU_DEP_4)
	v_add_lshl_u32 v27, v3, v21, 2
	v_add_nc_u32_e32 v3, s11, v1
	v_ashrrev_i32_e32 v2, 31, v1
	v_lshlrev_b64 v[7:8], 1, v[6:7]
	v_lshlrev_b32_e32 v28, 2, v4
	s_mov_b32 s36, s21
	v_add_nc_u32_e32 v11, s11, v3
	v_lshlrev_b64 v[1:2], 1, v[1:2]
	v_ashrrev_i32_e32 v4, 31, v3
	v_add_co_u32 v7, vcc_lo, s12, v7
	s_delay_alu instid0(VALU_DEP_4) | instskip(SKIP_1) | instid1(VALU_DEP_4)
	v_ashrrev_i32_e32 v12, 31, v11
	v_add_co_ci_u32_e32 v8, vcc_lo, s13, v8, vcc_lo
	v_lshlrev_b64 v[3:4], 1, v[3:4]
	v_add_co_u32 v9, vcc_lo, s12, v1
	v_add_co_ci_u32_e32 v10, vcc_lo, s13, v2, vcc_lo
	v_lshlrev_b64 v[1:2], 1, v[11:12]
	s_delay_alu instid0(VALU_DEP_4) | instskip(SKIP_2) | instid1(VALU_DEP_3)
	v_add_co_u32 v11, vcc_lo, s12, v3
	v_add_co_ci_u32_e32 v12, vcc_lo, s13, v4, vcc_lo
	s_mov_b32 s22, s21
	v_add_co_u32 v13, vcc_lo, s12, v1
	s_delay_alu instid0(VALU_DEP_4)
	v_add_co_ci_u32_e32 v14, vcc_lo, s13, v2, vcc_lo
	s_mov_b64 s[24:25], s[20:21]
	s_mov_b64 s[26:27], s[18:19]
	s_mov_b32 s19, 0
                                        ; implicit-def: $vgpr1_vgpr2_vgpr3_vgpr4
	s_branch .LBB603_16
.LBB603_15:                             ;   in Loop: Header=BB603_16 Depth=1
	s_or_b32 exec_lo, exec_lo, s6
	s_add_i32 s19, s19, 4
	s_add_u32 s26, s26, s34
	s_addc_u32 s27, s27, 0
	s_add_u32 s24, s24, s34
	s_addc_u32 s25, s25, 0
	;; [unrolled: 2-line block ×3, first 2 shown]
	s_add_i32 s22, s22, s34
	s_cmp_ge_i32 s19, s15
	s_cbranch_scc1 .LBB603_62
.LBB603_16:                             ; =>This Loop Header: Depth=1
                                        ;     Child Loop BB603_47 Depth 2
                                        ;     Child Loop BB603_50 Depth 2
                                        ; implicit-def: $vgpr32
                                        ; implicit-def: $vgpr33
                                        ; implicit-def: $vgpr34
                                        ; implicit-def: $vgpr35
	s_and_saveexec_b32 s6, s3
	s_delay_alu instid0(SALU_CYCLE_1)
	s_xor_b32 s6, exec_lo, s6
	s_cbranch_execnz .LBB603_43
; %bb.17:                               ;   in Loop: Header=BB603_16 Depth=1
	s_and_not1_saveexec_b32 s20, s6
	s_cbranch_execnz .LBB603_44
.LBB603_18:                             ;   in Loop: Header=BB603_16 Depth=1
	s_or_b32 exec_lo, exec_lo, s20
	s_and_saveexec_b32 s6, s0
	s_cbranch_execz .LBB603_20
.LBB603_19:                             ;   in Loop: Header=BB603_16 Depth=1
	ds_store_b32 v29, v31
.LBB603_20:                             ;   in Loop: Header=BB603_16 Depth=1
	s_or_b32 exec_lo, exec_lo, s6
	ds_bpermute_b32 v15, v24, v35
	s_waitcnt lgkmcnt(0)
	s_waitcnt_vscnt null, 0x0
	s_barrier
	buffer_gl0_inv
	v_add_f32_e32 v15, v35, v15
	ds_bpermute_b32 v16, v25, v15
	s_waitcnt lgkmcnt(0)
	v_add_f32_e32 v15, v15, v16
	ds_bpermute_b32 v16, v26, v15
	s_waitcnt lgkmcnt(0)
	;; [unrolled: 3-line block ×3, first 2 shown]
	v_add_f32_e32 v15, v15, v16
	ds_bpermute_b32 v16, v28, v15
	s_and_saveexec_b32 s6, s5
	s_cbranch_execz .LBB603_22
; %bb.21:                               ;   in Loop: Header=BB603_16 Depth=1
	s_waitcnt lgkmcnt(0)
	v_add_f32_e32 v15, v15, v16
	ds_store_b32 v30, v15
.LBB603_22:                             ;   in Loop: Header=BB603_16 Depth=1
	s_or_b32 exec_lo, exec_lo, s6
	v_mov_b32_e32 v15, 0
	s_waitcnt lgkmcnt(0)
	s_barrier
	buffer_gl0_inv
	s_and_saveexec_b32 s6, s1
	s_cbranch_execnz .LBB603_52
; %bb.23:                               ;   in Loop: Header=BB603_16 Depth=1
	s_or_b32 exec_lo, exec_lo, s6
	s_and_saveexec_b32 s6, s0
	s_cbranch_execnz .LBB603_53
.LBB603_24:                             ;   in Loop: Header=BB603_16 Depth=1
	s_or_b32 exec_lo, exec_lo, s6
	s_and_saveexec_b32 s6, s0
	s_cbranch_execz .LBB603_26
.LBB603_25:                             ;   in Loop: Header=BB603_16 Depth=1
	ds_store_b32 v29, v31
.LBB603_26:                             ;   in Loop: Header=BB603_16 Depth=1
	s_or_b32 exec_lo, exec_lo, s6
	ds_bpermute_b32 v16, v24, v34
	s_waitcnt lgkmcnt(0)
	s_barrier
	buffer_gl0_inv
	v_add_f32_e32 v16, v34, v16
	ds_bpermute_b32 v34, v25, v16
	s_waitcnt lgkmcnt(0)
	v_add_f32_e32 v16, v16, v34
	ds_bpermute_b32 v34, v26, v16
	s_waitcnt lgkmcnt(0)
	;; [unrolled: 3-line block ×3, first 2 shown]
	v_add_f32_e32 v16, v16, v34
	ds_bpermute_b32 v34, v28, v16
	s_and_saveexec_b32 s6, s5
	s_cbranch_execz .LBB603_28
; %bb.27:                               ;   in Loop: Header=BB603_16 Depth=1
	s_waitcnt lgkmcnt(0)
	v_add_f32_e32 v16, v16, v34
	ds_store_b32 v30, v16
.LBB603_28:                             ;   in Loop: Header=BB603_16 Depth=1
	s_or_b32 exec_lo, exec_lo, s6
	v_mov_b32_e32 v16, 0
	s_waitcnt lgkmcnt(0)
	s_barrier
	buffer_gl0_inv
	s_and_saveexec_b32 s6, s1
	s_cbranch_execnz .LBB603_54
; %bb.29:                               ;   in Loop: Header=BB603_16 Depth=1
	s_or_b32 exec_lo, exec_lo, s6
	s_and_saveexec_b32 s6, s0
	s_cbranch_execnz .LBB603_55
.LBB603_30:                             ;   in Loop: Header=BB603_16 Depth=1
	s_or_b32 exec_lo, exec_lo, s6
	s_and_saveexec_b32 s6, s0
	s_cbranch_execz .LBB603_32
.LBB603_31:                             ;   in Loop: Header=BB603_16 Depth=1
	ds_store_b32 v29, v31
.LBB603_32:                             ;   in Loop: Header=BB603_16 Depth=1
	s_or_b32 exec_lo, exec_lo, s6
	ds_bpermute_b32 v34, v24, v33
	s_waitcnt lgkmcnt(0)
	s_barrier
	buffer_gl0_inv
	v_add_f32_e32 v33, v33, v34
	ds_bpermute_b32 v34, v25, v33
	s_waitcnt lgkmcnt(0)
	v_add_f32_e32 v33, v33, v34
	ds_bpermute_b32 v34, v26, v33
	s_waitcnt lgkmcnt(0)
	;; [unrolled: 3-line block ×3, first 2 shown]
	v_add_f32_e32 v33, v33, v34
	ds_bpermute_b32 v34, v28, v33
	s_and_saveexec_b32 s6, s5
	s_cbranch_execz .LBB603_34
; %bb.33:                               ;   in Loop: Header=BB603_16 Depth=1
	s_waitcnt lgkmcnt(0)
	v_add_f32_e32 v33, v33, v34
	ds_store_b32 v30, v33
.LBB603_34:                             ;   in Loop: Header=BB603_16 Depth=1
	s_or_b32 exec_lo, exec_lo, s6
	v_mov_b32_e32 v33, 0
	s_waitcnt lgkmcnt(0)
	s_barrier
	buffer_gl0_inv
	s_and_saveexec_b32 s6, s1
	s_cbranch_execnz .LBB603_56
; %bb.35:                               ;   in Loop: Header=BB603_16 Depth=1
	s_or_b32 exec_lo, exec_lo, s6
	s_and_saveexec_b32 s6, s0
	s_cbranch_execnz .LBB603_57
.LBB603_36:                             ;   in Loop: Header=BB603_16 Depth=1
	s_or_b32 exec_lo, exec_lo, s6
	s_and_saveexec_b32 s6, s0
	s_cbranch_execz .LBB603_38
.LBB603_37:                             ;   in Loop: Header=BB603_16 Depth=1
	ds_store_b32 v29, v31
.LBB603_38:                             ;   in Loop: Header=BB603_16 Depth=1
	s_or_b32 exec_lo, exec_lo, s6
	ds_bpermute_b32 v34, v24, v32
	s_waitcnt lgkmcnt(0)
	s_barrier
	buffer_gl0_inv
	v_add_f32_e32 v32, v32, v34
	ds_bpermute_b32 v34, v25, v32
	s_waitcnt lgkmcnt(0)
	v_add_f32_e32 v32, v32, v34
	ds_bpermute_b32 v34, v26, v32
	s_waitcnt lgkmcnt(0)
	;; [unrolled: 3-line block ×3, first 2 shown]
	v_add_f32_e32 v32, v32, v34
	ds_bpermute_b32 v34, v28, v32
	s_and_saveexec_b32 s6, s5
	s_cbranch_execz .LBB603_40
; %bb.39:                               ;   in Loop: Header=BB603_16 Depth=1
	s_waitcnt lgkmcnt(0)
	v_add_f32_e32 v32, v32, v34
	ds_store_b32 v30, v32
.LBB603_40:                             ;   in Loop: Header=BB603_16 Depth=1
	s_or_b32 exec_lo, exec_lo, s6
	v_mov_b32_e32 v32, 0
	s_waitcnt lgkmcnt(0)
	s_barrier
	buffer_gl0_inv
	s_and_saveexec_b32 s6, s1
	s_cbranch_execnz .LBB603_58
; %bb.41:                               ;   in Loop: Header=BB603_16 Depth=1
	s_or_b32 exec_lo, exec_lo, s6
	s_and_saveexec_b32 s6, s0
	s_cbranch_execnz .LBB603_59
.LBB603_42:                             ;   in Loop: Header=BB603_16 Depth=1
	s_or_b32 exec_lo, exec_lo, s6
	s_and_saveexec_b32 s6, s2
	s_cbranch_execz .LBB603_15
	s_branch .LBB603_60
.LBB603_43:                             ;   in Loop: Header=BB603_16 Depth=1
	s_mul_i32 s28, s19, s18
	s_delay_alu instid0(SALU_CYCLE_1)
	s_ashr_i32 s29, s28, 31
	s_add_i32 s38, s28, s18
	s_lshl_b64 s[28:29], s[28:29], 1
	s_ashr_i32 s39, s38, 31
	v_add_co_u32 v1, vcc_lo, v17, s28
	v_add_co_ci_u32_e32 v2, vcc_lo, s29, v18, vcc_lo
	s_lshl_b64 s[28:29], s[38:39], 1
	s_delay_alu instid0(SALU_CYCLE_1)
	v_add_co_u32 v3, vcc_lo, v17, s28
	s_add_i32 s28, s38, s18
	v_add_co_ci_u32_e32 v4, vcc_lo, s29, v18, vcc_lo
	s_ashr_i32 s29, s28, 31
	s_add_i32 s38, s28, s18
	s_lshl_b64 s[28:29], s[28:29], 1
	flat_load_b64 v[15:16], v[1:2]
	s_waitcnt lgkmcnt(1)
	flat_load_b64 v[32:33], v[3:4]
	s_ashr_i32 s39, s38, 31
	v_add_co_u32 v1, vcc_lo, v17, s28
	v_add_co_ci_u32_e32 v2, vcc_lo, s29, v18, vcc_lo
	s_lshl_b64 s[28:29], s[38:39], 1
	s_clause 0x3
	flat_load_u16 v34, v[7:8]
	flat_load_u16 v39, v[9:10]
	;; [unrolled: 1-line block ×4, first 2 shown]
	v_add_co_u32 v3, vcc_lo, v17, s28
	v_add_co_ci_u32_e32 v4, vcc_lo, s29, v18, vcc_lo
	s_clause 0x1
	flat_load_b64 v[35:36], v[1:2]
	flat_load_b64 v[37:38], v[3:4]
	s_waitcnt vmcnt(1) lgkmcnt(1)
	v_and_b32_e32 v44, 0xffff0000, v35
	v_lshlrev_b32_e32 v45, 16, v36
	s_waitcnt vmcnt(0) lgkmcnt(0)
	v_lshlrev_b32_e32 v46, 16, v37
	v_and_b32_e32 v37, 0xffff0000, v37
	v_lshlrev_b32_e32 v3, 16, v40
	v_lshlrev_b32_e32 v2, 16, v39
	;; [unrolled: 1-line block ×4, first 2 shown]
	v_and_b32_e32 v41, 0xffff0000, v32
	v_lshlrev_b32_e32 v1, 16, v34
	v_lshlrev_b32_e32 v34, 16, v15
	;; [unrolled: 1-line block ×4, first 2 shown]
	s_delay_alu instid0(VALU_DEP_3) | instskip(SKIP_3) | instid1(VALU_DEP_3)
	v_fma_f32 v35, v1, v34, 0
	v_fma_f32 v34, v1, v40, 0
	v_lshlrev_b32_e32 v40, 16, v38
	v_and_b32_e32 v43, 0xffff0000, v33
	v_fmac_f32_e32 v34, v2, v41
	v_fma_f32 v33, v1, v32, 0
	v_fma_f32 v32, v1, v46, 0
	s_delay_alu instid0(VALU_DEP_2) | instskip(NEXT) | instid1(VALU_DEP_1)
	v_fmac_f32_e32 v33, v2, v44
	v_fmac_f32_e32 v33, v3, v45
	s_delay_alu instid0(VALU_DEP_3) | instskip(SKIP_1) | instid1(VALU_DEP_2)
	v_dual_fmac_f32 v32, v2, v37 :: v_dual_and_b32 v15, 0xffff0000, v15
	v_fmac_f32_e32 v34, v3, v42
	v_dual_fmac_f32 v32, v3, v40 :: v_dual_fmac_f32 v35, v2, v15
	s_delay_alu instid0(VALU_DEP_2) | instskip(SKIP_2) | instid1(VALU_DEP_3)
	v_dual_fmac_f32 v34, v4, v43 :: v_dual_lshlrev_b32 v39, 16, v16
	v_and_b32_e32 v16, 0xffff0000, v16
	v_and_b32_e32 v15, 0xffff0000, v36
	v_dual_fmac_f32 v35, v3, v39 :: v_dual_and_b32 v36, 0xffff0000, v38
	s_delay_alu instid0(VALU_DEP_2) | instskip(NEXT) | instid1(VALU_DEP_2)
	v_fmac_f32_e32 v33, v4, v15
	v_fmac_f32_e32 v32, v4, v36
	s_delay_alu instid0(VALU_DEP_3)
	v_fmac_f32_e32 v35, v4, v16
	s_and_not1_saveexec_b32 s20, s6
	s_cbranch_execz .LBB603_18
.LBB603_44:                             ;   in Loop: Header=BB603_16 Depth=1
	s_waitcnt lgkmcnt(0)
	v_dual_mov_b32 v32, 0 :: v_dual_mov_b32 v33, 0
	v_dual_mov_b32 v34, 0 :: v_dual_mov_b32 v35, 0
	s_and_saveexec_b32 s37, s4
	s_cbranch_execz .LBB603_51
; %bb.45:                               ;   in Loop: Header=BB603_16 Depth=1
	s_and_not1_b32 vcc_lo, exec_lo, s33
	s_cbranch_vccnz .LBB603_48
; %bb.46:                               ;   in Loop: Header=BB603_16 Depth=1
	v_mov_b32_e32 v15, v6
	s_mov_b64 s[28:29], 0
	.p2align	6
.LBB603_47:                             ;   Parent Loop BB603_16 Depth=1
                                        ; =>  This Inner Loop Header: Depth=2
	s_delay_alu instid0(VALU_DEP_1) | instskip(SKIP_1) | instid1(VALU_DEP_1)
	v_ashrrev_i32_e32 v16, 31, v15
	s_cmp_eq_u32 s28, 3
	v_lshlrev_b64 v[32:33], 1, v[15:16]
	s_delay_alu instid0(VALU_DEP_1) | instskip(NEXT) | instid1(VALU_DEP_2)
	v_add_co_u32 v32, vcc_lo, s12, v32
	v_add_co_ci_u32_e32 v33, vcc_lo, s13, v33, vcc_lo
	s_cselect_b32 vcc_lo, -1, 0
	s_cmp_eq_u32 s28, 2
	s_cselect_b32 s6, -1, 0
	flat_load_u16 v16, v[32:33]
	s_cmp_eq_u32 s28, 1
	s_cselect_b32 s7, -1, 0
	s_cmp_eq_u32 s28, 0
	s_waitcnt vmcnt(0) lgkmcnt(0)
	v_lshlrev_b32_e32 v16, 16, v16
	s_delay_alu instid0(VALU_DEP_1)
	v_dual_cndmask_b32 v4, v4, v16 :: v_dual_add_nc_u32 v15, s11, v15
	s_cselect_b32 vcc_lo, -1, 0
	v_cndmask_b32_e64 v3, v3, v16, s6
	v_cndmask_b32_e64 v2, v2, v16, s7
	v_cndmask_b32_e32 v1, v1, v16, vcc_lo
	s_add_u32 s28, s28, 1
	s_addc_u32 s29, s29, 0
	s_cmp_eq_u32 s17, s28
	s_cbranch_scc0 .LBB603_47
.LBB603_48:                             ;   in Loop: Header=BB603_16 Depth=1
	v_dual_mov_b32 v32, 0 :: v_dual_mov_b32 v33, 0
	v_dual_mov_b32 v34, 0 :: v_dual_mov_b32 v35, 0
	s_and_not1_b32 vcc_lo, exec_lo, s33
	s_cbranch_vccnz .LBB603_51
; %bb.49:                               ;   in Loop: Header=BB603_16 Depth=1
	s_ashr_i32 s23, s22, 31
	v_dual_mov_b32 v35, 0 :: v_dual_mov_b32 v34, 0
	s_lshl_b64 s[6:7], s[22:23], 1
	v_dual_mov_b32 v33, 0 :: v_dual_mov_b32 v32, 0
	v_add_co_u32 v15, vcc_lo, v17, s6
	v_add_co_ci_u32_e32 v16, vcc_lo, s7, v18, vcc_lo
	s_mov_b64 s[28:29], 0
.LBB603_50:                             ;   Parent Loop BB603_16 Depth=1
                                        ; =>  This Inner Loop Header: Depth=2
	s_delay_alu instid0(SALU_CYCLE_1)
	s_cmp_eq_u32 s28, 1
	s_cselect_b32 vcc_lo, -1, 0
	s_cmp_eq_u32 s28, 2
	v_cndmask_b32_e32 v36, v1, v2, vcc_lo
	s_cselect_b32 vcc_lo, -1, 0
	s_cmp_eq_u32 s28, 3
	s_delay_alu instid0(VALU_DEP_1)
	v_cndmask_b32_e32 v42, v36, v3, vcc_lo
	s_cselect_b32 vcc_lo, -1, 0
	s_add_i32 s6, s26, s28
	s_add_i32 s38, s24, s28
	s_ashr_i32 s7, s6, 31
	s_ashr_i32 s39, s38, 31
	s_lshl_b64 s[6:7], s[6:7], 1
	s_add_i32 s40, s35, s28
	v_add_co_u32 v36, s6, v17, s6
	s_lshl_b64 s[38:39], s[38:39], 1
	s_ashr_i32 s41, s40, 31
	v_add_co_ci_u32_e64 v37, s6, s7, v18, s6
	v_add_co_u32 v38, s6, v17, s38
	s_lshl_b64 s[40:41], s[40:41], 1
	v_add_co_ci_u32_e64 v39, s6, s39, v18, s6
	v_add_co_u32 v40, s6, v17, s40
	s_delay_alu instid0(VALU_DEP_1)
	v_add_co_ci_u32_e64 v41, s6, s41, v18, s6
	flat_load_u16 v43, v[15:16]
	s_clause 0x2
	flat_load_u16 v36, v[36:37]
	flat_load_u16 v37, v[38:39]
	;; [unrolled: 1-line block ×3, first 2 shown]
	v_add_co_u32 v15, s6, v15, 2
	s_delay_alu instid0(VALU_DEP_1)
	v_add_co_ci_u32_e64 v16, s6, 0, v16, s6
	s_add_u32 s28, s28, 1
	s_addc_u32 s29, s29, 0
	s_cmp_lg_u32 s17, s28
	s_waitcnt vmcnt(2) lgkmcnt(2)
	v_lshlrev_b32_e32 v36, 16, v36
	s_waitcnt vmcnt(1) lgkmcnt(1)
	v_lshlrev_b32_e32 v37, 16, v37
	v_dual_cndmask_b32 v39, v42, v4 :: v_dual_lshlrev_b32 v40, 16, v43
	s_waitcnt vmcnt(0) lgkmcnt(0)
	s_delay_alu instid0(VALU_DEP_1) | instskip(NEXT) | instid1(VALU_DEP_2)
	v_dual_fmac_f32 v33, v39, v37 :: v_dual_lshlrev_b32 v38, 16, v38
	v_fmac_f32_e32 v35, v39, v40
	v_fmac_f32_e32 v34, v39, v36
	s_delay_alu instid0(VALU_DEP_3)
	v_fmac_f32_e32 v32, v39, v38
	s_cbranch_scc1 .LBB603_50
.LBB603_51:                             ;   in Loop: Header=BB603_16 Depth=1
	s_or_b32 exec_lo, exec_lo, s37
	s_delay_alu instid0(SALU_CYCLE_1)
	s_or_b32 exec_lo, exec_lo, s20
	s_and_saveexec_b32 s6, s0
	s_cbranch_execnz .LBB603_19
	s_branch .LBB603_20
.LBB603_52:                             ;   in Loop: Header=BB603_16 Depth=1
	ds_load_b32 v15, v29
	s_or_b32 exec_lo, exec_lo, s6
	s_and_saveexec_b32 s6, s0
	s_cbranch_execz .LBB603_24
.LBB603_53:                             ;   in Loop: Header=BB603_16 Depth=1
	s_waitcnt lgkmcnt(0)
	ds_bpermute_b32 v16, v26, v15
	s_waitcnt lgkmcnt(0)
	v_add_f32_e32 v15, v15, v16
	ds_bpermute_b32 v16, v27, v15
	s_waitcnt lgkmcnt(0)
	v_add_f32_e32 v15, v15, v16
	;; [unrolled: 3-line block ×3, first 2 shown]
	s_or_b32 exec_lo, exec_lo, s6
	s_and_saveexec_b32 s6, s0
	s_cbranch_execnz .LBB603_25
	s_branch .LBB603_26
.LBB603_54:                             ;   in Loop: Header=BB603_16 Depth=1
	ds_load_b32 v16, v29
	s_or_b32 exec_lo, exec_lo, s6
	s_and_saveexec_b32 s6, s0
	s_cbranch_execz .LBB603_30
.LBB603_55:                             ;   in Loop: Header=BB603_16 Depth=1
	s_waitcnt lgkmcnt(0)
	ds_bpermute_b32 v34, v26, v16
	s_waitcnt lgkmcnt(0)
	v_add_f32_e32 v16, v16, v34
	ds_bpermute_b32 v34, v27, v16
	s_waitcnt lgkmcnt(0)
	v_add_f32_e32 v16, v16, v34
	;; [unrolled: 3-line block ×3, first 2 shown]
	s_or_b32 exec_lo, exec_lo, s6
	s_and_saveexec_b32 s6, s0
	s_cbranch_execnz .LBB603_31
	s_branch .LBB603_32
.LBB603_56:                             ;   in Loop: Header=BB603_16 Depth=1
	ds_load_b32 v33, v29
	s_or_b32 exec_lo, exec_lo, s6
	s_and_saveexec_b32 s6, s0
	s_cbranch_execz .LBB603_36
.LBB603_57:                             ;   in Loop: Header=BB603_16 Depth=1
	s_waitcnt lgkmcnt(0)
	ds_bpermute_b32 v34, v26, v33
	s_waitcnt lgkmcnt(0)
	v_add_f32_e32 v33, v33, v34
	ds_bpermute_b32 v34, v27, v33
	s_waitcnt lgkmcnt(0)
	v_add_f32_e32 v33, v33, v34
	ds_bpermute_b32 v34, v28, v33
	s_waitcnt lgkmcnt(0)
	v_add_f32_e32 v33, v33, v34
	s_or_b32 exec_lo, exec_lo, s6
	s_and_saveexec_b32 s6, s0
	s_cbranch_execnz .LBB603_37
	s_branch .LBB603_38
.LBB603_58:                             ;   in Loop: Header=BB603_16 Depth=1
	ds_load_b32 v32, v29
	s_or_b32 exec_lo, exec_lo, s6
	s_and_saveexec_b32 s6, s0
	s_cbranch_execz .LBB603_42
.LBB603_59:                             ;   in Loop: Header=BB603_16 Depth=1
	s_waitcnt lgkmcnt(0)
	ds_bpermute_b32 v34, v26, v32
	s_waitcnt lgkmcnt(0)
	v_add_f32_e32 v32, v32, v34
	ds_bpermute_b32 v34, v27, v32
	s_waitcnt lgkmcnt(0)
	v_add_f32_e32 v32, v32, v34
	;; [unrolled: 3-line block ×3, first 2 shown]
	s_or_b32 exec_lo, exec_lo, s6
	s_and_saveexec_b32 s6, s2
	s_cbranch_execz .LBB603_15
.LBB603_60:                             ;   in Loop: Header=BB603_16 Depth=1
	s_mul_i32 s7, s19, s16
	v_dual_mul_f32 v15, s10, v15 :: v_dual_mul_f32 v16, s10, v16
	s_add_i32 s20, s7, s14
	v_mul_f32_e32 v33, s10, v33
	s_lshl_b64 s[28:29], s[20:21], 2
	s_delay_alu instid0(SALU_CYCLE_1)
	s_add_u32 s28, s30, s28
	s_addc_u32 s29, s31, s29
	s_add_i32 s20, s20, s16
	global_store_b32 v31, v15, s[28:29]
	s_lshl_b64 s[38:39], s[20:21], 2
	s_waitcnt lgkmcnt(0)
	v_mul_f32_e32 v15, s10, v32
	s_add_u32 s38, s30, s38
	s_addc_u32 s39, s31, s39
	s_add_i32 s20, s20, s16
	global_store_b32 v31, v16, s[38:39]
	s_lshl_b64 s[40:41], s[20:21], 2
	s_delay_alu instid0(SALU_CYCLE_1) | instskip(SKIP_2) | instid1(SALU_CYCLE_1)
	s_add_u32 s28, s30, s40
	s_addc_u32 s29, s31, s41
	s_add_i32 s20, s20, s16
	s_lshl_b64 s[40:41], s[20:21], 2
	s_delay_alu instid0(SALU_CYCLE_1)
	s_add_u32 s38, s30, s40
	s_addc_u32 s39, s31, s41
	s_clause 0x1
	global_store_b32 v31, v33, s[28:29]
	global_store_b32 v31, v15, s[38:39]
	s_branch .LBB603_15
.LBB603_61:
	s_mov_b32 s19, 0
                                        ; implicit-def: $vgpr1_vgpr2_vgpr3_vgpr4
.LBB603_62:
	s_delay_alu instid0(SALU_CYCLE_1)
	s_cmp_ge_i32 s19, s9
	s_cbranch_scc1 .LBB603_86
; %bb.63:
	v_cmp_gt_u32_e32 vcc_lo, 16, v21
	v_cmp_ge_i32_e64 s1, s8, v23
	v_cmp_gt_u32_e64 s2, 32, v0
	v_cmp_gt_u32_e64 s4, 8, v0
	v_cmp_eq_u32_e64 s5, 0, v0
	v_cndmask_b32_e64 v6, 0, 1, vcc_lo
	v_cmp_gt_u32_e32 vcc_lo, 24, v21
	v_cmp_ge_i32_e64 s0, s8, v22
	s_cmp_gt_i32 s17, 0
	s_mov_b32 s15, 0
	v_lshlrev_b32_e32 v6, 4, v6
	v_cndmask_b32_e64 v7, 0, 1, vcc_lo
	v_cmp_gt_u32_e32 vcc_lo, 28, v21
	s_cselect_b32 s8, -1, 0
	v_lshlrev_b32_e32 v16, 2, v19
	s_delay_alu instid0(VALU_DEP_3)
	v_dual_mov_b32 v0, 0 :: v_dual_lshlrev_b32 v7, 3, v7
	v_cndmask_b32_e64 v8, 0, 1, vcc_lo
	v_cmp_gt_u32_e32 vcc_lo, 30, v21
	v_add_lshl_u32 v22, v6, v21, 2
	v_ashrrev_i32_e32 v6, 31, v5
	v_add_lshl_u32 v23, v7, v21, 2
	v_lshlrev_b32_e32 v8, 2, v8
	v_cndmask_b32_e64 v9, 0, 1, vcc_lo
	v_cmp_ne_u32_e32 vcc_lo, 31, v21
	v_add_nc_u32_e32 v7, s11, v5
	v_lshlrev_b64 v[11:12], 1, v[5:6]
	v_add_lshl_u32 v24, v8, v21, 2
	v_lshlrev_b32_e32 v9, 1, v9
	v_add_co_ci_u32_e32 v10, vcc_lo, 0, v21, vcc_lo
	v_ashrrev_i32_e32 v8, 31, v7
	v_add_co_u32 v6, vcc_lo, s12, v11
	s_delay_alu instid0(VALU_DEP_4) | instskip(SKIP_4) | instid1(VALU_DEP_4)
	v_add_lshl_u32 v21, v9, v21, 2
	v_add_nc_u32_e32 v9, s11, v7
	v_lshlrev_b32_e32 v25, 2, v10
	v_lshlrev_b64 v[13:14], 1, v[7:8]
	v_add_co_ci_u32_e32 v7, vcc_lo, s13, v12, vcc_lo
	v_add_nc_u32_e32 v26, s11, v9
	v_ashrrev_i32_e32 v10, 31, v9
	v_cmp_eq_u32_e64 s3, 0, v19
	v_add_co_u32 v8, vcc_lo, s12, v13
	s_delay_alu instid0(VALU_DEP_4) | instskip(NEXT) | instid1(VALU_DEP_4)
	v_ashrrev_i32_e32 v27, 31, v26
	v_lshlrev_b64 v[10:11], 1, v[9:10]
	v_add_co_ci_u32_e32 v9, vcc_lo, s13, v14, vcc_lo
	v_and_b32_e32 v19, 28, v20
	s_delay_alu instid0(VALU_DEP_4) | instskip(SKIP_1) | instid1(VALU_DEP_4)
	v_lshlrev_b64 v[12:13], 1, v[26:27]
	s_lshl_b64 s[6:7], s[14:15], 2
	v_add_co_u32 v10, vcc_lo, s12, v10
	v_add_co_ci_u32_e32 v11, vcc_lo, s13, v11, vcc_lo
	s_delay_alu instid0(VALU_DEP_3) | instskip(NEXT) | instid1(VALU_DEP_4)
	v_add_co_u32 v12, vcc_lo, s12, v12
	v_add_co_ci_u32_e32 v13, vcc_lo, s13, v13, vcc_lo
	s_add_u32 s14, s30, s6
	s_addc_u32 s24, s31, s7
	s_mul_i32 s20, s19, s18
	s_branch .LBB603_65
.LBB603_64:                             ;   in Loop: Header=BB603_65 Depth=1
	s_or_b32 exec_lo, exec_lo, s6
	s_add_i32 s19, s19, 1
	s_add_i32 s20, s20, s18
	s_cmp_ge_i32 s19, s9
	s_cbranch_scc1 .LBB603_86
.LBB603_65:                             ; =>This Loop Header: Depth=1
                                        ;     Child Loop BB603_78 Depth 2
                                        ;     Child Loop BB603_81 Depth 2
	v_mov_b32_e32 v20, s15
	s_and_saveexec_b32 s6, s0
	s_delay_alu instid0(SALU_CYCLE_1)
	s_xor_b32 s6, exec_lo, s6
	s_cbranch_execnz .LBB603_74
; %bb.66:                               ;   in Loop: Header=BB603_65 Depth=1
	s_and_not1_saveexec_b32 s25, s6
	s_cbranch_execnz .LBB603_75
.LBB603_67:                             ;   in Loop: Header=BB603_65 Depth=1
	s_or_b32 exec_lo, exec_lo, s25
	s_and_saveexec_b32 s6, s2
	s_cbranch_execz .LBB603_69
.LBB603_68:                             ;   in Loop: Header=BB603_65 Depth=1
	ds_store_b32 v16, v0
.LBB603_69:                             ;   in Loop: Header=BB603_65 Depth=1
	s_or_b32 exec_lo, exec_lo, s6
	s_waitcnt lgkmcnt(0)
	ds_bpermute_b32 v14, v22, v20
	s_waitcnt lgkmcnt(0)
	s_waitcnt_vscnt null, 0x0
	s_barrier
	buffer_gl0_inv
	v_add_f32_e32 v14, v20, v14
	ds_bpermute_b32 v15, v23, v14
	s_waitcnt lgkmcnt(0)
	v_add_f32_e32 v14, v14, v15
	ds_bpermute_b32 v15, v24, v14
	s_waitcnt lgkmcnt(0)
	;; [unrolled: 3-line block ×3, first 2 shown]
	v_add_f32_e32 v14, v14, v15
	ds_bpermute_b32 v15, v25, v14
	s_and_saveexec_b32 s6, s3
	s_cbranch_execz .LBB603_71
; %bb.70:                               ;   in Loop: Header=BB603_65 Depth=1
	s_waitcnt lgkmcnt(0)
	v_add_f32_e32 v14, v14, v15
	ds_store_b32 v19, v14
.LBB603_71:                             ;   in Loop: Header=BB603_65 Depth=1
	s_or_b32 exec_lo, exec_lo, s6
	v_mov_b32_e32 v14, 0
	s_waitcnt lgkmcnt(0)
	s_barrier
	buffer_gl0_inv
	s_and_saveexec_b32 s6, s4
	s_cbranch_execnz .LBB603_83
; %bb.72:                               ;   in Loop: Header=BB603_65 Depth=1
	s_or_b32 exec_lo, exec_lo, s6
	s_and_saveexec_b32 s6, s2
	s_cbranch_execnz .LBB603_84
.LBB603_73:                             ;   in Loop: Header=BB603_65 Depth=1
	s_or_b32 exec_lo, exec_lo, s6
	s_and_saveexec_b32 s6, s5
	s_cbranch_execz .LBB603_64
	s_branch .LBB603_85
.LBB603_74:                             ;   in Loop: Header=BB603_65 Depth=1
	s_mul_i32 s22, s19, s18
	s_delay_alu instid0(SALU_CYCLE_1) | instskip(NEXT) | instid1(SALU_CYCLE_1)
	s_ashr_i32 s23, s22, 31
	s_lshl_b64 s[22:23], s[22:23], 1
	s_delay_alu instid0(SALU_CYCLE_1)
	v_add_co_u32 v1, vcc_lo, v17, s22
	v_add_co_ci_u32_e32 v2, vcc_lo, s23, v18, vcc_lo
	flat_load_u16 v3, v[6:7]
	s_waitcnt lgkmcnt(1)
	flat_load_b64 v[14:15], v[1:2]
	s_clause 0x2
	flat_load_u16 v2, v[8:9]
	flat_load_u16 v4, v[10:11]
	;; [unrolled: 1-line block ×3, first 2 shown]
	s_waitcnt vmcnt(2) lgkmcnt(2)
	v_lshlrev_b32_e32 v2, 16, v2
	v_lshlrev_b32_e32 v1, 16, v3
	v_lshlrev_b32_e32 v3, 16, v14
	v_and_b32_e32 v14, 0xffff0000, v14
	s_delay_alu instid0(VALU_DEP_2)
	v_fma_f32 v20, v1, v3, 0
	s_waitcnt vmcnt(1) lgkmcnt(1)
	v_lshlrev_b32_e32 v3, 16, v4
	s_waitcnt vmcnt(0) lgkmcnt(0)
	v_lshlrev_b32_e32 v4, 16, v26
	v_fmac_f32_e32 v20, v2, v14
	v_lshlrev_b32_e32 v14, 16, v15
	s_delay_alu instid0(VALU_DEP_1) | instskip(NEXT) | instid1(VALU_DEP_1)
	v_dual_fmac_f32 v20, v3, v14 :: v_dual_and_b32 v15, 0xffff0000, v15
	v_fmac_f32_e32 v20, v4, v15
	s_and_not1_saveexec_b32 s25, s6
	s_cbranch_execz .LBB603_67
.LBB603_75:                             ;   in Loop: Header=BB603_65 Depth=1
	s_and_saveexec_b32 s26, s1
	s_cbranch_execz .LBB603_82
; %bb.76:                               ;   in Loop: Header=BB603_65 Depth=1
	s_and_not1_b32 vcc_lo, exec_lo, s8
	s_cbranch_vccnz .LBB603_79
; %bb.77:                               ;   in Loop: Header=BB603_65 Depth=1
	s_waitcnt lgkmcnt(0)
	v_mov_b32_e32 v14, v5
	s_mov_b64 s[22:23], 0
	.p2align	6
.LBB603_78:                             ;   Parent Loop BB603_65 Depth=1
                                        ; =>  This Inner Loop Header: Depth=2
	s_delay_alu instid0(VALU_DEP_1) | instskip(SKIP_1) | instid1(VALU_DEP_1)
	v_ashrrev_i32_e32 v15, 31, v14
	s_cmp_eq_u32 s22, 3
	v_lshlrev_b64 v[26:27], 1, v[14:15]
	s_delay_alu instid0(VALU_DEP_1) | instskip(NEXT) | instid1(VALU_DEP_2)
	v_add_co_u32 v26, vcc_lo, s12, v26
	v_add_co_ci_u32_e32 v27, vcc_lo, s13, v27, vcc_lo
	s_cselect_b32 vcc_lo, -1, 0
	s_cmp_eq_u32 s22, 2
	s_cselect_b32 s6, -1, 0
	flat_load_u16 v15, v[26:27]
	s_cmp_eq_u32 s22, 1
	s_cselect_b32 s7, -1, 0
	s_cmp_eq_u32 s22, 0
	s_waitcnt vmcnt(0) lgkmcnt(0)
	v_lshlrev_b32_e32 v15, 16, v15
	s_delay_alu instid0(VALU_DEP_1)
	v_cndmask_b32_e32 v4, v4, v15, vcc_lo
	s_cselect_b32 vcc_lo, -1, 0
	v_dual_cndmask_b32 v1, v1, v15 :: v_dual_add_nc_u32 v14, s11, v14
	v_cndmask_b32_e64 v3, v3, v15, s6
	v_cndmask_b32_e64 v2, v2, v15, s7
	s_add_u32 s22, s22, 1
	s_addc_u32 s23, s23, 0
	s_cmp_eq_u32 s17, s22
	s_cbranch_scc0 .LBB603_78
.LBB603_79:                             ;   in Loop: Header=BB603_65 Depth=1
	s_and_not1_b32 vcc_lo, exec_lo, s8
	s_cbranch_vccnz .LBB603_82
; %bb.80:                               ;   in Loop: Header=BB603_65 Depth=1
	s_ashr_i32 s21, s20, 31
	s_delay_alu instid0(SALU_CYCLE_1)
	s_lshl_b64 s[6:7], s[20:21], 1
	s_waitcnt lgkmcnt(0)
	v_add_co_u32 v14, vcc_lo, v17, s6
	v_add_co_ci_u32_e32 v15, vcc_lo, s7, v18, vcc_lo
	s_mov_b64 s[6:7], 0
	.p2align	6
.LBB603_81:                             ;   Parent Loop BB603_65 Depth=1
                                        ; =>  This Inner Loop Header: Depth=2
	flat_load_u16 v26, v[14:15]
	s_cmp_eq_u32 s6, 1
	s_cselect_b32 vcc_lo, -1, 0
	s_cmp_eq_u32 s6, 2
	v_cndmask_b32_e32 v27, v1, v2, vcc_lo
	s_cselect_b32 vcc_lo, -1, 0
	s_cmp_eq_u32 s6, 3
	s_delay_alu instid0(VALU_DEP_1)
	v_cndmask_b32_e32 v27, v27, v3, vcc_lo
	s_cselect_b32 vcc_lo, -1, 0
	s_add_u32 s6, s6, 1
	s_addc_u32 s7, s7, 0
	s_cmp_lg_u32 s17, s6
	s_waitcnt vmcnt(0) lgkmcnt(0)
	v_dual_cndmask_b32 v27, v27, v4 :: v_dual_lshlrev_b32 v26, 16, v26
	v_add_co_u32 v14, vcc_lo, v14, 2
	v_add_co_ci_u32_e32 v15, vcc_lo, 0, v15, vcc_lo
	s_delay_alu instid0(VALU_DEP_3)
	v_fmac_f32_e32 v20, v27, v26
	s_cbranch_scc1 .LBB603_81
.LBB603_82:                             ;   in Loop: Header=BB603_65 Depth=1
	s_or_b32 exec_lo, exec_lo, s26
	s_delay_alu instid0(SALU_CYCLE_1)
	s_or_b32 exec_lo, exec_lo, s25
	s_and_saveexec_b32 s6, s2
	s_cbranch_execnz .LBB603_68
	s_branch .LBB603_69
.LBB603_83:                             ;   in Loop: Header=BB603_65 Depth=1
	ds_load_b32 v14, v16
	s_or_b32 exec_lo, exec_lo, s6
	s_and_saveexec_b32 s6, s2
	s_cbranch_execz .LBB603_73
.LBB603_84:                             ;   in Loop: Header=BB603_65 Depth=1
	s_waitcnt lgkmcnt(0)
	ds_bpermute_b32 v15, v24, v14
	s_waitcnt lgkmcnt(0)
	v_add_f32_e32 v14, v14, v15
	ds_bpermute_b32 v15, v21, v14
	s_waitcnt lgkmcnt(0)
	v_add_f32_e32 v14, v14, v15
	;; [unrolled: 3-line block ×3, first 2 shown]
	s_or_b32 exec_lo, exec_lo, s6
	s_and_saveexec_b32 s6, s5
	s_cbranch_execz .LBB603_64
.LBB603_85:                             ;   in Loop: Header=BB603_65 Depth=1
	s_mul_hi_u32 s23, s19, s16
	s_mul_i32 s22, s19, s16
	s_waitcnt lgkmcnt(0)
	v_mul_f32_e32 v14, s10, v14
	s_lshl_b64 s[22:23], s[22:23], 2
	s_delay_alu instid0(SALU_CYCLE_1)
	s_add_u32 s22, s14, s22
	s_addc_u32 s23, s24, s23
	global_store_b32 v0, v14, s[22:23]
	s_branch .LBB603_64
.LBB603_86:
	s_nop 0
	s_sendmsg sendmsg(MSG_DEALLOC_VGPRS)
	s_endpgm
	.section	.rodata,"a",@progbits
	.p2align	6, 0x0
	.amdhsa_kernel _ZL23rocblas_gemvt_sn_kernelILb0ELi256ELi4EiPK16rocblas_bfloat16ffEviiT4_lPKT3_lilS6_lilPT5_i
		.amdhsa_group_segment_fixed_size 128
		.amdhsa_private_segment_fixed_size 0
		.amdhsa_kernarg_size 360
		.amdhsa_user_sgpr_count 14
		.amdhsa_user_sgpr_dispatch_ptr 0
		.amdhsa_user_sgpr_queue_ptr 0
		.amdhsa_user_sgpr_kernarg_segment_ptr 1
		.amdhsa_user_sgpr_dispatch_id 0
		.amdhsa_user_sgpr_private_segment_size 0
		.amdhsa_wavefront_size32 1
		.amdhsa_uses_dynamic_stack 0
		.amdhsa_enable_private_segment 0
		.amdhsa_system_sgpr_workgroup_id_x 1
		.amdhsa_system_sgpr_workgroup_id_y 0
		.amdhsa_system_sgpr_workgroup_id_z 1
		.amdhsa_system_sgpr_workgroup_info 0
		.amdhsa_system_vgpr_workitem_id 0
		.amdhsa_next_free_vgpr 47
		.amdhsa_next_free_sgpr 42
		.amdhsa_reserve_vcc 1
		.amdhsa_float_round_mode_32 0
		.amdhsa_float_round_mode_16_64 0
		.amdhsa_float_denorm_mode_32 3
		.amdhsa_float_denorm_mode_16_64 3
		.amdhsa_dx10_clamp 1
		.amdhsa_ieee_mode 1
		.amdhsa_fp16_overflow 0
		.amdhsa_workgroup_processor_mode 1
		.amdhsa_memory_ordered 1
		.amdhsa_forward_progress 0
		.amdhsa_shared_vgpr_count 0
		.amdhsa_exception_fp_ieee_invalid_op 0
		.amdhsa_exception_fp_denorm_src 0
		.amdhsa_exception_fp_ieee_div_zero 0
		.amdhsa_exception_fp_ieee_overflow 0
		.amdhsa_exception_fp_ieee_underflow 0
		.amdhsa_exception_fp_ieee_inexact 0
		.amdhsa_exception_int_div_zero 0
	.end_amdhsa_kernel
	.section	.text._ZL23rocblas_gemvt_sn_kernelILb0ELi256ELi4EiPK16rocblas_bfloat16ffEviiT4_lPKT3_lilS6_lilPT5_i,"axG",@progbits,_ZL23rocblas_gemvt_sn_kernelILb0ELi256ELi4EiPK16rocblas_bfloat16ffEviiT4_lPKT3_lilS6_lilPT5_i,comdat
.Lfunc_end603:
	.size	_ZL23rocblas_gemvt_sn_kernelILb0ELi256ELi4EiPK16rocblas_bfloat16ffEviiT4_lPKT3_lilS6_lilPT5_i, .Lfunc_end603-_ZL23rocblas_gemvt_sn_kernelILb0ELi256ELi4EiPK16rocblas_bfloat16ffEviiT4_lPKT3_lilS6_lilPT5_i
                                        ; -- End function
	.section	.AMDGPU.csdata,"",@progbits
; Kernel info:
; codeLenInByte = 4300
; NumSgprs: 44
; NumVgprs: 47
; ScratchSize: 0
; MemoryBound: 0
; FloatMode: 240
; IeeeMode: 1
; LDSByteSize: 128 bytes/workgroup (compile time only)
; SGPRBlocks: 5
; VGPRBlocks: 5
; NumSGPRsForWavesPerEU: 44
; NumVGPRsForWavesPerEU: 47
; Occupancy: 16
; WaveLimiterHint : 0
; COMPUTE_PGM_RSRC2:SCRATCH_EN: 0
; COMPUTE_PGM_RSRC2:USER_SGPR: 14
; COMPUTE_PGM_RSRC2:TRAP_HANDLER: 0
; COMPUTE_PGM_RSRC2:TGID_X_EN: 1
; COMPUTE_PGM_RSRC2:TGID_Y_EN: 0
; COMPUTE_PGM_RSRC2:TGID_Z_EN: 1
; COMPUTE_PGM_RSRC2:TIDIG_COMP_CNT: 0
	.section	.text._ZL23rocblas_gemvt_sn_kernelILb0ELi256ELi4ElPK16rocblas_bfloat16ffEviiT4_lPKT3_lilS6_lilPT5_i,"axG",@progbits,_ZL23rocblas_gemvt_sn_kernelILb0ELi256ELi4ElPK16rocblas_bfloat16ffEviiT4_lPKT3_lilS6_lilPT5_i,comdat
	.globl	_ZL23rocblas_gemvt_sn_kernelILb0ELi256ELi4ElPK16rocblas_bfloat16ffEviiT4_lPKT3_lilS6_lilPT5_i ; -- Begin function _ZL23rocblas_gemvt_sn_kernelILb0ELi256ELi4ElPK16rocblas_bfloat16ffEviiT4_lPKT3_lilS6_lilPT5_i
	.p2align	8
	.type	_ZL23rocblas_gemvt_sn_kernelILb0ELi256ELi4ElPK16rocblas_bfloat16ffEviiT4_lPKT3_lilS6_lilPT5_i,@function
_ZL23rocblas_gemvt_sn_kernelILb0ELi256ELi4ElPK16rocblas_bfloat16ffEviiT4_lPKT3_lilS6_lilPT5_i: ; @_ZL23rocblas_gemvt_sn_kernelILb0ELi256ELi4ElPK16rocblas_bfloat16ffEviiT4_lPKT3_lilS6_lilPT5_i
; %bb.0:
	s_load_b128 s[8:11], s[0:1], 0x0
	s_mov_b32 s2, s15
	s_mov_b32 s3, 0
	s_waitcnt lgkmcnt(0)
	v_cmp_neq_f32_e64 s5, s10, 0
	v_cmp_eq_f32_e64 s4, s10, 0
	s_delay_alu instid0(VALU_DEP_2)
	s_and_b32 vcc_lo, exec_lo, s5
	s_cbranch_vccnz .LBB604_2
; %bb.1:
	s_mov_b64 s[18:19], 0
	s_and_not1_b32 vcc_lo, exec_lo, s3
	s_cbranch_vccz .LBB604_3
	s_branch .LBB604_4
.LBB604_2:
	s_mov_b32 s3, -1
                                        ; implicit-def: $sgpr18_sgpr19
.LBB604_3:
	s_load_b128 s[16:19], s[0:1], 0x18
	s_mov_b32 s3, 0
	s_delay_alu instid0(SALU_CYCLE_1)
	s_lshl_b64 s[6:7], s[2:3], 3
	s_waitcnt lgkmcnt(0)
	s_add_u32 s6, s16, s6
	s_addc_u32 s7, s17, s7
	s_lshl_b64 s[12:13], s[18:19], 1
	s_load_b64 s[6:7], s[6:7], 0x0
	s_waitcnt lgkmcnt(0)
	s_add_u32 s18, s6, s12
	s_addc_u32 s19, s7, s13
.LBB604_4:
	s_and_not1_b32 vcc_lo, exec_lo, s5
	s_cbranch_vccnz .LBB604_6
; %bb.5:
	s_load_b128 s[20:23], s[0:1], 0x38
	s_lshl_b64 s[6:7], s[2:3], 3
	s_waitcnt lgkmcnt(0)
	s_add_u32 s6, s20, s6
	s_addc_u32 s7, s21, s7
	s_lshl_b64 s[12:13], s[22:23], 1
	s_load_b64 s[6:7], s[6:7], 0x0
	s_waitcnt lgkmcnt(0)
	s_add_u32 s20, s6, s12
	s_addc_u32 s21, s7, s13
	s_branch .LBB604_7
.LBB604_6:
	s_mov_b64 s[20:21], 0
.LBB604_7:
	s_clause 0x1
	s_load_b32 s12, s[0:1], 0x68
	s_load_b64 s[16:17], s[0:1], 0x58
	s_ashr_i32 s6, s9, 31
	s_mul_hi_u32 s5, s2, s9
	s_mul_i32 s7, s2, s6
	s_mul_i32 s3, s3, s9
	s_add_i32 s5, s5, s7
	s_mul_i32 s2, s2, s9
	s_add_i32 s3, s5, s3
	s_mov_b32 s13, 0
	s_waitcnt lgkmcnt(0)
	s_mul_i32 s3, s3, s12
	s_mul_hi_u32 s5, s2, s12
	s_mul_i32 s2, s2, s12
	s_add_i32 s3, s5, s3
	s_delay_alu instid0(SALU_CYCLE_1) | instskip(NEXT) | instid1(SALU_CYCLE_1)
	s_lshl_b64 s[2:3], s[2:3], 2
	s_add_u32 s33, s16, s2
	s_addc_u32 s36, s17, s3
	s_and_not1_b32 vcc_lo, exec_lo, s4
	s_mov_b32 s2, -1
	s_cbranch_vccnz .LBB604_12
; %bb.8:
	v_cmp_eq_u32_e32 vcc_lo, 0, v0
	s_cmp_gt_i32 s9, 0
	s_cselect_b32 s2, -1, 0
	s_delay_alu instid0(SALU_CYCLE_1) | instskip(NEXT) | instid1(SALU_CYCLE_1)
	s_and_b32 s2, vcc_lo, s2
	s_and_saveexec_b32 s7, s2
	s_cbranch_execz .LBB604_11
; %bb.9:
	s_mov_b32 s15, 0
	v_mov_b32_e32 v1, 0
	s_lshl_b64 s[2:3], s[14:15], 2
	s_mov_b32 s11, s9
	s_add_u32 s2, s33, s2
	s_addc_u32 s3, s36, s3
	s_lshl_b64 s[4:5], s[12:13], 2
.LBB604_10:                             ; =>This Inner Loop Header: Depth=1
	s_add_i32 s11, s11, -1
	global_store_b32 v1, v1, s[2:3]
	s_add_u32 s2, s2, s4
	s_addc_u32 s3, s3, s5
	s_cmp_eq_u32 s11, 0
	s_cbranch_scc0 .LBB604_10
.LBB604_11:
	s_or_b32 exec_lo, exec_lo, s7
	s_mov_b32 s2, 0
.LBB604_12:
	s_delay_alu instid0(SALU_CYCLE_1)
	s_and_not1_b32 vcc_lo, exec_lo, s2
	s_cbranch_vccnz .LBB604_86
; %bb.13:
	s_lshl_b32 s2, s14, 10
	s_clause 0x1
	s_load_b32 s16, s[0:1], 0x28
	s_load_b32 s22, s[0:1], 0x48
	v_lshl_or_b32 v9, v0, 2, s2
	s_ashr_i32 s2, s8, 31
	s_lshr_b32 s1, s6, 30
	s_lshr_b32 s0, s2, 30
	s_add_i32 s1, s9, s1
	v_ashrrev_i32_e32 v10, 31, v9
	s_add_i32 s0, s8, s0
	s_and_b32 s13, s1, -4
	s_and_b32 s0, s0, -4
	v_add_nc_u32_e32 v28, 4, v9
	v_lshlrev_b64 v[7:8], 1, v[9:10]
	s_sub_i32 s11, s8, s0
	v_and_b32_e32 v25, 31, v0
	v_add_nc_u32_e32 v29, s11, v9
	v_cmp_gt_u32_e64 s0, 32, v0
	v_mbcnt_lo_u32_b32 v27, -1, 0
	v_add_co_u32 v5, vcc_lo, s18, v7
	v_add_co_ci_u32_e32 v6, vcc_lo, s19, v8, vcc_lo
	v_cmp_gt_u32_e64 s1, 8, v0
	v_lshrrev_b32_e32 v26, 3, v0
	v_cmp_eq_u32_e64 s2, 0, v0
	v_or_b32_e32 v24, 1, v9
	v_or_b32_e32 v23, 2, v9
	;; [unrolled: 1-line block ×3, first 2 shown]
	s_waitcnt lgkmcnt(0)
	s_ashr_i32 s17, s16, 31
	s_ashr_i32 s23, s22, 31
	s_cmp_lt_i32 s13, 1
	s_cbranch_scc1 .LBB604_61
; %bb.14:
	v_cmp_gt_u32_e32 vcc_lo, 16, v27
	v_mad_i64_i32 v[12:13], null, s22, v23, 0
	v_mad_i64_i32 v[14:15], null, s22, v22, 0
	v_cndmask_b32_e64 v1, 0, 1, vcc_lo
	v_cmp_gt_u32_e32 vcc_lo, 24, v27
	s_mov_b32 s15, 0
	s_cmp_gt_i32 s11, 0
	v_cmp_ge_i32_e64 s3, s8, v28
	v_lshlrev_b32_e32 v1, 4, v1
	v_cndmask_b32_e64 v2, 0, 1, vcc_lo
	v_cmp_gt_u32_e32 vcc_lo, 28, v27
	v_cmp_ge_i32_e64 s4, s8, v29
	s_cselect_b32 s37, -1, 0
	s_delay_alu instid0(VALU_DEP_3)
	v_dual_mov_b32 v37, 0 :: v_dual_lshlrev_b32 v2, 3, v2
	v_cndmask_b32_e64 v3, 0, 1, vcc_lo
	v_cmp_gt_u32_e32 vcc_lo, 30, v27
	v_cmp_eq_u32_e64 s5, 0, v25
	v_lshlrev_b32_e32 v35, 2, v25
	v_add_lshl_u32 v31, v2, v27, 2
	v_lshlrev_b32_e32 v3, 2, v3
	v_cndmask_b32_e64 v4, 0, 1, vcc_lo
	v_cmp_ne_u32_e32 vcc_lo, 31, v27
	v_dual_mov_b32 v19, v6 :: v_dual_mov_b32 v18, v5
	v_add_lshl_u32 v30, v1, v27, 2
	s_delay_alu instid0(VALU_DEP_4) | instskip(SKIP_3) | instid1(VALU_DEP_4)
	v_lshlrev_b32_e32 v4, 1, v4
	v_mad_i64_i32 v[1:2], null, s22, v9, 0
	v_add_lshl_u32 v32, v3, v27, 2
	v_add_co_ci_u32_e32 v10, vcc_lo, 0, v27, vcc_lo
	v_add_lshl_u32 v33, v4, v27, 2
	v_mad_i64_i32 v[3:4], null, s22, v24, 0
	v_lshlrev_b64 v[1:2], 1, v[1:2]
	s_delay_alu instid0(VALU_DEP_4) | instskip(SKIP_4) | instid1(VALU_DEP_4)
	v_lshlrev_b32_e32 v34, 2, v10
	s_lshl_b64 s[6:7], s[14:15], 2
	v_and_b32_e32 v36, 28, v26
	s_add_u32 s38, s33, s6
	s_addc_u32 s39, s36, s7
	v_lshlrev_b64 v[3:4], 1, v[3:4]
	v_add_co_u32 v10, vcc_lo, s20, v1
	v_add_co_ci_u32_e32 v11, vcc_lo, s21, v2, vcc_lo
	v_lshlrev_b64 v[1:2], 1, v[12:13]
	s_delay_alu instid0(VALU_DEP_4) | instskip(SKIP_2) | instid1(VALU_DEP_4)
	v_add_co_u32 v12, vcc_lo, s20, v3
	v_add_co_ci_u32_e32 v13, vcc_lo, s21, v4, vcc_lo
	v_lshlrev_b64 v[3:4], 1, v[14:15]
	v_add_co_u32 v14, vcc_lo, s20, v1
	v_add_co_ci_u32_e32 v15, vcc_lo, s21, v2, vcc_lo
	s_lshl_b64 s[24:25], s[22:23], 1
	s_delay_alu instid0(VALU_DEP_3) | instskip(NEXT) | instid1(VALU_DEP_4)
	v_add_co_u32 v16, vcc_lo, s20, v3
	v_add_co_ci_u32_e32 v17, vcc_lo, s21, v4, vcc_lo
	s_mul_hi_i32 s40, s16, 6
	s_mul_i32 s41, s16, 6
	s_lshl_b64 s[26:27], s[16:17], 3
	s_lshl_b64 s[28:29], s[16:17], 2
	;; [unrolled: 1-line block ×3, first 2 shown]
                                        ; implicit-def: $vgpr1_vgpr2_vgpr3_vgpr4
	s_branch .LBB604_16
.LBB604_15:                             ;   in Loop: Header=BB604_16 Depth=1
	s_or_b32 exec_lo, exec_lo, s6
	v_add_co_u32 v18, vcc_lo, v18, s26
	v_add_co_ci_u32_e32 v19, vcc_lo, s27, v19, vcc_lo
	s_add_i32 s15, s15, 4
	s_delay_alu instid0(SALU_CYCLE_1)
	s_cmp_ge_i32 s15, s13
	s_cbranch_scc1 .LBB604_62
.LBB604_16:                             ; =>This Loop Header: Depth=1
                                        ;     Child Loop BB604_47 Depth 2
                                        ;     Child Loop BB604_50 Depth 2
                                        ; implicit-def: $vgpr38
                                        ; implicit-def: $vgpr39
                                        ; implicit-def: $vgpr40
                                        ; implicit-def: $vgpr41
	s_and_saveexec_b32 s6, s3
	s_delay_alu instid0(SALU_CYCLE_1)
	s_xor_b32 s6, exec_lo, s6
	s_cbranch_execnz .LBB604_43
; %bb.17:                               ;   in Loop: Header=BB604_16 Depth=1
	s_and_not1_saveexec_b32 s42, s6
	s_cbranch_execnz .LBB604_44
.LBB604_18:                             ;   in Loop: Header=BB604_16 Depth=1
	s_or_b32 exec_lo, exec_lo, s42
	s_and_saveexec_b32 s6, s0
	s_cbranch_execz .LBB604_20
.LBB604_19:                             ;   in Loop: Header=BB604_16 Depth=1
	ds_store_b32 v35, v37
.LBB604_20:                             ;   in Loop: Header=BB604_16 Depth=1
	s_or_b32 exec_lo, exec_lo, s6
	ds_bpermute_b32 v20, v30, v41
	s_waitcnt lgkmcnt(0)
	s_waitcnt_vscnt null, 0x0
	s_barrier
	buffer_gl0_inv
	v_add_f32_e32 v20, v41, v20
	ds_bpermute_b32 v21, v31, v20
	s_waitcnt lgkmcnt(0)
	v_add_f32_e32 v20, v20, v21
	ds_bpermute_b32 v21, v32, v20
	s_waitcnt lgkmcnt(0)
	;; [unrolled: 3-line block ×3, first 2 shown]
	v_add_f32_e32 v20, v20, v21
	ds_bpermute_b32 v21, v34, v20
	s_and_saveexec_b32 s6, s5
	s_cbranch_execz .LBB604_22
; %bb.21:                               ;   in Loop: Header=BB604_16 Depth=1
	s_waitcnt lgkmcnt(0)
	v_add_f32_e32 v20, v20, v21
	ds_store_b32 v36, v20
.LBB604_22:                             ;   in Loop: Header=BB604_16 Depth=1
	s_or_b32 exec_lo, exec_lo, s6
	v_mov_b32_e32 v20, 0
	s_waitcnt lgkmcnt(0)
	s_barrier
	buffer_gl0_inv
	s_and_saveexec_b32 s6, s1
	s_cbranch_execnz .LBB604_52
; %bb.23:                               ;   in Loop: Header=BB604_16 Depth=1
	s_or_b32 exec_lo, exec_lo, s6
	s_and_saveexec_b32 s6, s0
	s_cbranch_execnz .LBB604_53
.LBB604_24:                             ;   in Loop: Header=BB604_16 Depth=1
	s_or_b32 exec_lo, exec_lo, s6
	s_and_saveexec_b32 s6, s0
	s_cbranch_execz .LBB604_26
.LBB604_25:                             ;   in Loop: Header=BB604_16 Depth=1
	ds_store_b32 v35, v37
.LBB604_26:                             ;   in Loop: Header=BB604_16 Depth=1
	s_or_b32 exec_lo, exec_lo, s6
	ds_bpermute_b32 v21, v30, v40
	s_waitcnt lgkmcnt(0)
	s_barrier
	buffer_gl0_inv
	v_add_f32_e32 v21, v40, v21
	ds_bpermute_b32 v40, v31, v21
	s_waitcnt lgkmcnt(0)
	v_add_f32_e32 v21, v21, v40
	ds_bpermute_b32 v40, v32, v21
	s_waitcnt lgkmcnt(0)
	;; [unrolled: 3-line block ×3, first 2 shown]
	v_add_f32_e32 v21, v21, v40
	ds_bpermute_b32 v40, v34, v21
	s_and_saveexec_b32 s6, s5
	s_cbranch_execz .LBB604_28
; %bb.27:                               ;   in Loop: Header=BB604_16 Depth=1
	s_waitcnt lgkmcnt(0)
	v_add_f32_e32 v21, v21, v40
	ds_store_b32 v36, v21
.LBB604_28:                             ;   in Loop: Header=BB604_16 Depth=1
	s_or_b32 exec_lo, exec_lo, s6
	v_mov_b32_e32 v21, 0
	s_waitcnt lgkmcnt(0)
	s_barrier
	buffer_gl0_inv
	s_and_saveexec_b32 s6, s1
	s_cbranch_execnz .LBB604_54
; %bb.29:                               ;   in Loop: Header=BB604_16 Depth=1
	s_or_b32 exec_lo, exec_lo, s6
	s_and_saveexec_b32 s6, s0
	s_cbranch_execnz .LBB604_55
.LBB604_30:                             ;   in Loop: Header=BB604_16 Depth=1
	s_or_b32 exec_lo, exec_lo, s6
	s_and_saveexec_b32 s6, s0
	s_cbranch_execz .LBB604_32
.LBB604_31:                             ;   in Loop: Header=BB604_16 Depth=1
	ds_store_b32 v35, v37
.LBB604_32:                             ;   in Loop: Header=BB604_16 Depth=1
	s_or_b32 exec_lo, exec_lo, s6
	ds_bpermute_b32 v40, v30, v39
	s_waitcnt lgkmcnt(0)
	s_barrier
	buffer_gl0_inv
	v_add_f32_e32 v39, v39, v40
	ds_bpermute_b32 v40, v31, v39
	s_waitcnt lgkmcnt(0)
	v_add_f32_e32 v39, v39, v40
	ds_bpermute_b32 v40, v32, v39
	s_waitcnt lgkmcnt(0)
	;; [unrolled: 3-line block ×3, first 2 shown]
	v_add_f32_e32 v39, v39, v40
	ds_bpermute_b32 v40, v34, v39
	s_and_saveexec_b32 s6, s5
	s_cbranch_execz .LBB604_34
; %bb.33:                               ;   in Loop: Header=BB604_16 Depth=1
	s_waitcnt lgkmcnt(0)
	v_add_f32_e32 v39, v39, v40
	ds_store_b32 v36, v39
.LBB604_34:                             ;   in Loop: Header=BB604_16 Depth=1
	s_or_b32 exec_lo, exec_lo, s6
	v_mov_b32_e32 v39, 0
	s_waitcnt lgkmcnt(0)
	s_barrier
	buffer_gl0_inv
	s_and_saveexec_b32 s6, s1
	s_cbranch_execnz .LBB604_56
; %bb.35:                               ;   in Loop: Header=BB604_16 Depth=1
	s_or_b32 exec_lo, exec_lo, s6
	s_and_saveexec_b32 s6, s0
	s_cbranch_execnz .LBB604_57
.LBB604_36:                             ;   in Loop: Header=BB604_16 Depth=1
	s_or_b32 exec_lo, exec_lo, s6
	s_and_saveexec_b32 s6, s0
	s_cbranch_execz .LBB604_38
.LBB604_37:                             ;   in Loop: Header=BB604_16 Depth=1
	ds_store_b32 v35, v37
.LBB604_38:                             ;   in Loop: Header=BB604_16 Depth=1
	s_or_b32 exec_lo, exec_lo, s6
	ds_bpermute_b32 v40, v30, v38
	s_waitcnt lgkmcnt(0)
	s_barrier
	buffer_gl0_inv
	v_add_f32_e32 v38, v38, v40
	ds_bpermute_b32 v40, v31, v38
	s_waitcnt lgkmcnt(0)
	v_add_f32_e32 v38, v38, v40
	ds_bpermute_b32 v40, v32, v38
	s_waitcnt lgkmcnt(0)
	;; [unrolled: 3-line block ×3, first 2 shown]
	v_add_f32_e32 v38, v38, v40
	ds_bpermute_b32 v40, v34, v38
	s_and_saveexec_b32 s6, s5
	s_cbranch_execz .LBB604_40
; %bb.39:                               ;   in Loop: Header=BB604_16 Depth=1
	s_waitcnt lgkmcnt(0)
	v_add_f32_e32 v38, v38, v40
	ds_store_b32 v36, v38
.LBB604_40:                             ;   in Loop: Header=BB604_16 Depth=1
	s_or_b32 exec_lo, exec_lo, s6
	v_mov_b32_e32 v38, 0
	s_waitcnt lgkmcnt(0)
	s_barrier
	buffer_gl0_inv
	s_and_saveexec_b32 s6, s1
	s_cbranch_execnz .LBB604_58
; %bb.41:                               ;   in Loop: Header=BB604_16 Depth=1
	s_or_b32 exec_lo, exec_lo, s6
	s_and_saveexec_b32 s6, s0
	s_cbranch_execnz .LBB604_59
.LBB604_42:                             ;   in Loop: Header=BB604_16 Depth=1
	s_or_b32 exec_lo, exec_lo, s6
	s_and_saveexec_b32 s6, s2
	s_cbranch_execz .LBB604_15
	s_branch .LBB604_60
.LBB604_43:                             ;   in Loop: Header=BB604_16 Depth=1
	s_mul_i32 s7, s15, s17
	s_mul_hi_u32 s35, s15, s16
	s_mul_i32 s34, s15, s16
	s_add_i32 s35, s35, s7
	s_or_b32 s7, s15, 1
	s_lshl_b64 s[34:35], s[34:35], 1
	s_delay_alu instid0(SALU_CYCLE_1) | instskip(SKIP_3) | instid1(SALU_CYCLE_1)
	v_add_co_u32 v1, vcc_lo, v5, s34
	v_add_co_ci_u32_e32 v2, vcc_lo, s35, v6, vcc_lo
	s_mul_i32 s34, s7, s17
	s_mul_hi_u32 s35, s7, s16
	s_add_i32 s35, s35, s34
	s_mul_i32 s34, s7, s16
	s_or_b32 s7, s15, 2
	s_lshl_b64 s[34:35], s[34:35], 1
	flat_load_b64 v[20:21], v[1:2]
	s_mul_i32 s42, s7, s17
	s_mul_hi_u32 s43, s7, s16
	v_add_co_u32 v1, vcc_lo, v5, s34
	v_add_co_ci_u32_e32 v2, vcc_lo, s35, v6, vcc_lo
	s_add_i32 s35, s43, s42
	s_or_b32 s42, s15, 3
	s_mul_i32 s34, s7, s16
	s_mul_i32 s7, s42, s17
	s_mul_hi_u32 s43, s42, s16
	s_lshl_b64 s[34:35], s[34:35], 1
	s_add_i32 s43, s43, s7
	s_mul_i32 s42, s42, s16
	v_add_co_u32 v3, vcc_lo, v5, s34
	v_add_co_ci_u32_e32 v4, vcc_lo, s35, v6, vcc_lo
	s_lshl_b64 s[34:35], s[42:43], 1
	s_clause 0x3
	flat_load_u16 v46, v[10:11]
	flat_load_u16 v47, v[12:13]
	;; [unrolled: 1-line block ×4, first 2 shown]
	s_waitcnt lgkmcnt(5)
	v_add_co_u32 v38, vcc_lo, v5, s34
	v_add_co_ci_u32_e32 v39, vcc_lo, s35, v6, vcc_lo
	s_clause 0x2
	flat_load_b64 v[40:41], v[1:2]
	flat_load_b64 v[42:43], v[3:4]
	;; [unrolled: 1-line block ×3, first 2 shown]
	s_waitcnt vmcnt(7) lgkmcnt(7)
	v_lshlrev_b32_e32 v38, 16, v20
	s_waitcnt vmcnt(2) lgkmcnt(2)
	v_lshlrev_b32_e32 v50, 16, v41
	;; [unrolled: 2-line block ×3, first 2 shown]
	v_and_b32_e32 v20, 0xffff0000, v20
	v_lshlrev_b32_e32 v4, 16, v49
	v_and_b32_e32 v49, 0xffff0000, v40
	v_and_b32_e32 v53, 0xffff0000, v41
	v_lshlrev_b32_e32 v3, 16, v48
	v_lshlrev_b32_e32 v2, 16, v47
	;; [unrolled: 1-line block ×4, first 2 shown]
	v_and_b32_e32 v43, 0xffff0000, v43
	s_waitcnt vmcnt(0) lgkmcnt(0)
	v_lshlrev_b32_e32 v52, 16, v45
	s_delay_alu instid0(VALU_DEP_3) | instskip(NEXT) | instid1(VALU_DEP_1)
	v_fma_f32 v40, v1, v39, 0
	v_fmac_f32_e32 v40, v2, v49
	v_fma_f32 v41, v1, v38, 0
	s_delay_alu instid0(VALU_DEP_1) | instskip(SKIP_2) | instid1(VALU_DEP_2)
	v_dual_fmac_f32 v40, v3, v50 :: v_dual_fmac_f32 v41, v2, v20
	v_lshlrev_b32_e32 v46, 16, v21
	v_and_b32_e32 v20, 0xffff0000, v45
	v_dual_fmac_f32 v40, v4, v53 :: v_dual_fmac_f32 v41, v3, v46
	v_lshlrev_b32_e32 v48, 16, v44
	v_and_b32_e32 v44, 0xffff0000, v44
	s_delay_alu instid0(VALU_DEP_2) | instskip(NEXT) | instid1(VALU_DEP_1)
	v_fma_f32 v38, v1, v48, 0
	v_dual_fmac_f32 v38, v2, v44 :: v_dual_and_b32 v21, 0xffff0000, v21
	v_lshlrev_b32_e32 v47, 16, v42
	s_delay_alu instid0(VALU_DEP_2) | instskip(NEXT) | instid1(VALU_DEP_3)
	v_dual_fmac_f32 v41, v4, v21 :: v_dual_and_b32 v42, 0xffff0000, v42
	v_fmac_f32_e32 v38, v3, v52
	s_delay_alu instid0(VALU_DEP_3) | instskip(NEXT) | instid1(VALU_DEP_1)
	v_fma_f32 v39, v1, v47, 0
	v_dual_fmac_f32 v38, v4, v20 :: v_dual_fmac_f32 v39, v2, v42
	s_delay_alu instid0(VALU_DEP_1) | instskip(NEXT) | instid1(VALU_DEP_1)
	v_fmac_f32_e32 v39, v3, v51
	v_fmac_f32_e32 v39, v4, v43
	s_and_not1_saveexec_b32 s42, s6
	s_cbranch_execz .LBB604_18
.LBB604_44:                             ;   in Loop: Header=BB604_16 Depth=1
	s_waitcnt lgkmcnt(0)
	v_dual_mov_b32 v38, 0 :: v_dual_mov_b32 v39, 0
	v_dual_mov_b32 v40, 0 :: v_dual_mov_b32 v41, 0
	s_and_saveexec_b32 s43, s4
	s_cbranch_execz .LBB604_51
; %bb.45:                               ;   in Loop: Header=BB604_16 Depth=1
	s_and_not1_b32 vcc_lo, exec_lo, s37
	s_cbranch_vccnz .LBB604_48
; %bb.46:                               ;   in Loop: Header=BB604_16 Depth=1
	v_dual_mov_b32 v21, v11 :: v_dual_mov_b32 v20, v10
	s_mov_b64 s[34:35], 0
	.p2align	6
.LBB604_47:                             ;   Parent Loop BB604_16 Depth=1
                                        ; =>  This Inner Loop Header: Depth=2
	flat_load_u16 v38, v[20:21]
	v_add_co_u32 v20, vcc_lo, v20, s24
	s_cmp_eq_u32 s34, 3
	v_add_co_ci_u32_e32 v21, vcc_lo, s25, v21, vcc_lo
	s_cselect_b32 vcc_lo, -1, 0
	s_cmp_eq_u32 s34, 2
	s_cselect_b32 s6, -1, 0
	s_cmp_eq_u32 s34, 1
	s_cselect_b32 s7, -1, 0
	s_cmp_eq_u32 s34, 0
	s_waitcnt vmcnt(0) lgkmcnt(0)
	v_lshlrev_b32_e32 v38, 16, v38
	s_delay_alu instid0(VALU_DEP_1)
	v_cndmask_b32_e32 v4, v4, v38, vcc_lo
	s_cselect_b32 vcc_lo, -1, 0
	v_cndmask_b32_e64 v3, v3, v38, s6
	v_cndmask_b32_e64 v2, v2, v38, s7
	v_cndmask_b32_e32 v1, v1, v38, vcc_lo
	s_add_u32 s34, s34, 1
	s_addc_u32 s35, s35, 0
	s_cmp_eq_u32 s11, s34
	s_cbranch_scc0 .LBB604_47
.LBB604_48:                             ;   in Loop: Header=BB604_16 Depth=1
	v_dual_mov_b32 v38, 0 :: v_dual_mov_b32 v39, 0
	v_dual_mov_b32 v40, 0 :: v_dual_mov_b32 v41, 0
	s_and_not1_b32 vcc_lo, exec_lo, s37
	s_cbranch_vccnz .LBB604_51
; %bb.49:                               ;   in Loop: Header=BB604_16 Depth=1
	v_dual_mov_b32 v21, v19 :: v_dual_mov_b32 v40, 0
	v_dual_mov_b32 v41, 0 :: v_dual_mov_b32 v20, v18
	;; [unrolled: 1-line block ×3, first 2 shown]
	s_mov_b64 s[34:35], 0
	s_set_inst_prefetch_distance 0x1
	.p2align	6
.LBB604_50:                             ;   Parent Loop BB604_16 Depth=1
                                        ; =>  This Inner Loop Header: Depth=2
	s_delay_alu instid0(VALU_DEP_2)
	v_add_co_u32 v42, vcc_lo, v20, s30
	v_add_co_ci_u32_e32 v43, vcc_lo, s31, v21, vcc_lo
	v_add_co_u32 v44, vcc_lo, v20, s28
	v_add_co_ci_u32_e32 v45, vcc_lo, s29, v21, vcc_lo
	;; [unrolled: 2-line block ×3, first 2 shown]
	s_clause 0x3
	flat_load_u16 v48, v[20:21]
	flat_load_u16 v42, v[42:43]
	;; [unrolled: 1-line block ×4, first 2 shown]
	s_cmp_eq_u32 s34, 1
	v_add_co_u32 v20, s6, v20, 2
	s_cselect_b32 vcc_lo, -1, 0
	s_cmp_eq_u32 s34, 2
	v_cndmask_b32_e32 v45, v1, v2, vcc_lo
	s_cselect_b32 vcc_lo, -1, 0
	s_cmp_eq_u32 s34, 3
	v_add_co_ci_u32_e64 v21, s6, 0, v21, s6
	s_waitcnt vmcnt(3) lgkmcnt(3)
	v_dual_cndmask_b32 v45, v45, v3 :: v_dual_lshlrev_b32 v46, 16, v48
	s_waitcnt vmcnt(2) lgkmcnt(2)
	v_lshlrev_b32_e32 v42, 16, v42
	s_cselect_b32 vcc_lo, -1, 0
	s_add_u32 s34, s34, 1
	s_addc_u32 s35, s35, 0
	v_cndmask_b32_e32 v45, v45, v4, vcc_lo
	s_waitcnt vmcnt(1) lgkmcnt(1)
	v_lshlrev_b32_e32 v43, 16, v43
	s_waitcnt vmcnt(0) lgkmcnt(0)
	v_lshlrev_b32_e32 v44, 16, v44
	s_cmp_lg_u32 s11, s34
	v_fmac_f32_e32 v41, v45, v46
	v_fmac_f32_e32 v40, v45, v42
	;; [unrolled: 1-line block ×4, first 2 shown]
	s_cbranch_scc1 .LBB604_50
.LBB604_51:                             ;   in Loop: Header=BB604_16 Depth=1
	s_set_inst_prefetch_distance 0x2
	s_or_b32 exec_lo, exec_lo, s43
	s_delay_alu instid0(SALU_CYCLE_1)
	s_or_b32 exec_lo, exec_lo, s42
	s_and_saveexec_b32 s6, s0
	s_cbranch_execnz .LBB604_19
	s_branch .LBB604_20
.LBB604_52:                             ;   in Loop: Header=BB604_16 Depth=1
	ds_load_b32 v20, v35
	s_or_b32 exec_lo, exec_lo, s6
	s_and_saveexec_b32 s6, s0
	s_cbranch_execz .LBB604_24
.LBB604_53:                             ;   in Loop: Header=BB604_16 Depth=1
	s_waitcnt lgkmcnt(0)
	ds_bpermute_b32 v21, v32, v20
	s_waitcnt lgkmcnt(0)
	v_add_f32_e32 v20, v20, v21
	ds_bpermute_b32 v21, v33, v20
	s_waitcnt lgkmcnt(0)
	v_add_f32_e32 v20, v20, v21
	;; [unrolled: 3-line block ×3, first 2 shown]
	s_or_b32 exec_lo, exec_lo, s6
	s_and_saveexec_b32 s6, s0
	s_cbranch_execnz .LBB604_25
	s_branch .LBB604_26
.LBB604_54:                             ;   in Loop: Header=BB604_16 Depth=1
	ds_load_b32 v21, v35
	s_or_b32 exec_lo, exec_lo, s6
	s_and_saveexec_b32 s6, s0
	s_cbranch_execz .LBB604_30
.LBB604_55:                             ;   in Loop: Header=BB604_16 Depth=1
	s_waitcnt lgkmcnt(0)
	ds_bpermute_b32 v40, v32, v21
	s_waitcnt lgkmcnt(0)
	v_add_f32_e32 v21, v21, v40
	ds_bpermute_b32 v40, v33, v21
	s_waitcnt lgkmcnt(0)
	v_add_f32_e32 v21, v21, v40
	;; [unrolled: 3-line block ×3, first 2 shown]
	s_or_b32 exec_lo, exec_lo, s6
	s_and_saveexec_b32 s6, s0
	s_cbranch_execnz .LBB604_31
	s_branch .LBB604_32
.LBB604_56:                             ;   in Loop: Header=BB604_16 Depth=1
	ds_load_b32 v39, v35
	s_or_b32 exec_lo, exec_lo, s6
	s_and_saveexec_b32 s6, s0
	s_cbranch_execz .LBB604_36
.LBB604_57:                             ;   in Loop: Header=BB604_16 Depth=1
	s_waitcnt lgkmcnt(0)
	ds_bpermute_b32 v40, v32, v39
	s_waitcnt lgkmcnt(0)
	v_add_f32_e32 v39, v39, v40
	ds_bpermute_b32 v40, v33, v39
	s_waitcnt lgkmcnt(0)
	v_add_f32_e32 v39, v39, v40
	;; [unrolled: 3-line block ×3, first 2 shown]
	s_or_b32 exec_lo, exec_lo, s6
	s_and_saveexec_b32 s6, s0
	s_cbranch_execnz .LBB604_37
	s_branch .LBB604_38
.LBB604_58:                             ;   in Loop: Header=BB604_16 Depth=1
	ds_load_b32 v38, v35
	s_or_b32 exec_lo, exec_lo, s6
	s_and_saveexec_b32 s6, s0
	s_cbranch_execz .LBB604_42
.LBB604_59:                             ;   in Loop: Header=BB604_16 Depth=1
	s_waitcnt lgkmcnt(0)
	ds_bpermute_b32 v40, v32, v38
	s_waitcnt lgkmcnt(0)
	v_add_f32_e32 v38, v38, v40
	ds_bpermute_b32 v40, v33, v38
	s_waitcnt lgkmcnt(0)
	v_add_f32_e32 v38, v38, v40
	;; [unrolled: 3-line block ×3, first 2 shown]
	s_or_b32 exec_lo, exec_lo, s6
	s_and_saveexec_b32 s6, s2
	s_cbranch_execz .LBB604_15
.LBB604_60:                             ;   in Loop: Header=BB604_16 Depth=1
	s_mul_hi_u32 s35, s15, s12
	s_mul_i32 s34, s15, s12
	v_dual_mul_f32 v20, s10, v20 :: v_dual_mul_f32 v21, s10, v21
	s_lshl_b64 s[34:35], s[34:35], 2
	s_waitcnt lgkmcnt(0)
	v_mul_f32_e32 v38, s10, v38
	s_add_u32 s34, s38, s34
	s_addc_u32 s35, s39, s35
	s_or_b32 s7, s15, 1
	global_store_b32 v37, v20, s[34:35]
	s_mul_hi_u32 s43, s7, s12
	s_mul_i32 s42, s7, s12
	v_mul_f32_e32 v20, s10, v39
	s_lshl_b64 s[42:43], s[42:43], 2
	s_delay_alu instid0(SALU_CYCLE_1)
	s_add_u32 s42, s38, s42
	s_addc_u32 s43, s39, s43
	s_or_b32 s7, s15, 2
	global_store_b32 v37, v21, s[42:43]
	s_mul_hi_u32 s45, s7, s12
	s_mul_i32 s44, s7, s12
	s_delay_alu instid0(SALU_CYCLE_1) | instskip(NEXT) | instid1(SALU_CYCLE_1)
	s_lshl_b64 s[44:45], s[44:45], 2
	s_add_u32 s34, s38, s44
	s_addc_u32 s35, s39, s45
	s_or_b32 s7, s15, 3
	s_delay_alu instid0(SALU_CYCLE_1) | instskip(SKIP_1) | instid1(SALU_CYCLE_1)
	s_mul_hi_u32 s45, s7, s12
	s_mul_i32 s44, s7, s12
	s_lshl_b64 s[44:45], s[44:45], 2
	s_delay_alu instid0(SALU_CYCLE_1)
	s_add_u32 s42, s38, s44
	s_addc_u32 s43, s39, s45
	s_clause 0x1
	global_store_b32 v37, v20, s[34:35]
	global_store_b32 v37, v38, s[42:43]
	s_branch .LBB604_15
.LBB604_61:
	s_mov_b32 s15, 0
                                        ; implicit-def: $vgpr1_vgpr2_vgpr3_vgpr4
.LBB604_62:
	s_delay_alu instid0(SALU_CYCLE_1)
	s_cmp_ge_i32 s15, s9
	s_cbranch_scc1 .LBB604_86
; %bb.63:
	v_cmp_gt_u32_e32 vcc_lo, 16, v27
	v_cmp_ge_i32_e64 s0, s8, v28
	v_cmp_ge_i32_e64 s1, s8, v29
	v_mad_i64_i32 v[16:17], null, s22, v22, 0
	v_cndmask_b32_e64 v10, 0, 1, vcc_lo
	v_cmp_gt_u32_e32 vcc_lo, 24, v27
	s_cmp_gt_i32 s11, 0
	s_mov_b32 s25, 0
	s_mov_b32 s24, s14
	v_lshlrev_b32_e32 v10, 4, v10
	v_cndmask_b32_e64 v11, 0, 1, vcc_lo
	v_cmp_gt_u32_e32 vcc_lo, 28, v27
	s_cselect_b32 s8, -1, 0
	s_lshl_b64 s[6:7], s[24:25], 2
	v_add_lshl_u32 v20, v10, v27, 2
	v_lshlrev_b32_e32 v11, 3, v11
	v_cndmask_b32_e64 v12, 0, 1, vcc_lo
	v_cmp_gt_u32_e32 vcc_lo, 30, v27
	s_add_u32 s13, s33, s6
	s_addc_u32 s14, s36, s7
	v_add_lshl_u32 v21, v11, v27, 2
	v_lshlrev_b32_e32 v12, 2, v12
	v_cndmask_b32_e64 v13, 0, 1, vcc_lo
	v_cmp_ne_u32_e32 vcc_lo, 31, v27
	v_mad_i64_i32 v[10:11], null, s22, v9, 0
	s_delay_alu instid0(VALU_DEP_4) | instskip(NEXT) | instid1(VALU_DEP_4)
	v_add_lshl_u32 v28, v12, v27, 2
	v_lshlrev_b32_e32 v13, 1, v13
	v_add_co_ci_u32_e32 v14, vcc_lo, 0, v27, vcc_lo
	s_mul_i32 s6, s17, s15
	s_mul_hi_u32 s7, s16, s15
	s_delay_alu instid0(VALU_DEP_2)
	v_add_lshl_u32 v27, v13, v27, 2
	v_mad_i64_i32 v[12:13], null, s22, v24, 0
	v_lshlrev_b32_e32 v29, 2, v14
	v_mad_i64_i32 v[14:15], null, s22, v23, 0
	v_lshlrev_b64 v[9:10], 1, v[10:11]
	s_add_i32 s7, s7, s6
	s_mul_i32 s6, s16, s15
	s_delay_alu instid0(VALU_DEP_4)
	v_lshlrev_b64 v[11:12], 1, v[12:13]
	s_lshl_b64 s[6:7], s[6:7], 1
	v_cmp_gt_u32_e64 s2, 32, v0
	v_add_co_u32 v9, vcc_lo, s20, v9
	v_lshlrev_b64 v[13:14], 1, v[14:15]
	v_add_co_ci_u32_e32 v10, vcc_lo, s21, v10, vcc_lo
	v_add_co_u32 v11, vcc_lo, s20, v11
	v_lshlrev_b64 v[15:16], 1, v[16:17]
	v_add_co_ci_u32_e32 v12, vcc_lo, s21, v12, vcc_lo
	v_add_co_u32 v13, vcc_lo, s20, v13
	v_add_co_ci_u32_e32 v14, vcc_lo, s21, v14, vcc_lo
	s_delay_alu instid0(VALU_DEP_4)
	v_add_co_u32 v15, vcc_lo, s20, v15
	v_add_co_ci_u32_e32 v16, vcc_lo, s21, v16, vcc_lo
	s_lshl_b64 s[20:21], s[22:23], 1
	s_add_u32 s6, s18, s6
	s_addc_u32 s7, s19, s7
	v_add_co_u32 v7, vcc_lo, s6, v7
	v_lshlrev_b32_e32 v19, 2, v25
	v_cmp_eq_u32_e64 s3, 0, v25
	v_and_b32_e32 v25, 28, v26
	v_cmp_gt_u32_e64 s4, 8, v0
	v_cmp_eq_u32_e64 s5, 0, v0
	v_mov_b32_e32 v0, 0
	v_add_co_ci_u32_e32 v8, vcc_lo, s7, v8, vcc_lo
	s_lshl_b64 s[18:19], s[16:17], 1
	s_branch .LBB604_65
.LBB604_64:                             ;   in Loop: Header=BB604_65 Depth=1
	s_or_b32 exec_lo, exec_lo, s6
	v_add_co_u32 v7, vcc_lo, v7, s18
	v_add_co_ci_u32_e32 v8, vcc_lo, s19, v8, vcc_lo
	s_add_i32 s15, s15, 1
	s_delay_alu instid0(SALU_CYCLE_1)
	s_cmp_ge_i32 s15, s9
	s_cbranch_scc1 .LBB604_86
.LBB604_65:                             ; =>This Loop Header: Depth=1
                                        ;     Child Loop BB604_78 Depth 2
                                        ;     Child Loop BB604_81 Depth 2
	v_mov_b32_e32 v22, s25
	s_and_saveexec_b32 s6, s0
	s_delay_alu instid0(SALU_CYCLE_1)
	s_xor_b32 s6, exec_lo, s6
	s_cbranch_execnz .LBB604_74
; %bb.66:                               ;   in Loop: Header=BB604_65 Depth=1
	s_and_not1_saveexec_b32 s24, s6
	s_cbranch_execnz .LBB604_75
.LBB604_67:                             ;   in Loop: Header=BB604_65 Depth=1
	s_or_b32 exec_lo, exec_lo, s24
	s_and_saveexec_b32 s6, s2
	s_cbranch_execz .LBB604_69
.LBB604_68:                             ;   in Loop: Header=BB604_65 Depth=1
	ds_store_b32 v19, v0
.LBB604_69:                             ;   in Loop: Header=BB604_65 Depth=1
	s_or_b32 exec_lo, exec_lo, s6
	s_waitcnt lgkmcnt(0)
	ds_bpermute_b32 v17, v20, v22
	s_waitcnt lgkmcnt(0)
	s_waitcnt_vscnt null, 0x0
	s_barrier
	buffer_gl0_inv
	v_add_f32_e32 v17, v22, v17
	ds_bpermute_b32 v18, v21, v17
	s_waitcnt lgkmcnt(0)
	v_add_f32_e32 v17, v17, v18
	ds_bpermute_b32 v18, v28, v17
	s_waitcnt lgkmcnt(0)
	;; [unrolled: 3-line block ×3, first 2 shown]
	v_add_f32_e32 v17, v17, v18
	ds_bpermute_b32 v18, v29, v17
	s_and_saveexec_b32 s6, s3
	s_cbranch_execz .LBB604_71
; %bb.70:                               ;   in Loop: Header=BB604_65 Depth=1
	s_waitcnt lgkmcnt(0)
	v_add_f32_e32 v17, v17, v18
	ds_store_b32 v25, v17
.LBB604_71:                             ;   in Loop: Header=BB604_65 Depth=1
	s_or_b32 exec_lo, exec_lo, s6
	v_mov_b32_e32 v17, 0
	s_waitcnt lgkmcnt(0)
	s_barrier
	buffer_gl0_inv
	s_and_saveexec_b32 s6, s4
	s_cbranch_execnz .LBB604_83
; %bb.72:                               ;   in Loop: Header=BB604_65 Depth=1
	s_or_b32 exec_lo, exec_lo, s6
	s_and_saveexec_b32 s6, s2
	s_cbranch_execnz .LBB604_84
.LBB604_73:                             ;   in Loop: Header=BB604_65 Depth=1
	s_or_b32 exec_lo, exec_lo, s6
	s_and_saveexec_b32 s6, s5
	s_cbranch_execz .LBB604_64
	s_branch .LBB604_85
.LBB604_74:                             ;   in Loop: Header=BB604_65 Depth=1
	s_mul_i32 s7, s15, s17
	s_mul_hi_u32 s23, s15, s16
	s_mul_i32 s22, s15, s16
	s_add_i32 s23, s23, s7
	s_delay_alu instid0(SALU_CYCLE_1) | instskip(NEXT) | instid1(SALU_CYCLE_1)
	s_lshl_b64 s[22:23], s[22:23], 1
	v_add_co_u32 v1, vcc_lo, v5, s22
	v_add_co_ci_u32_e32 v2, vcc_lo, s23, v6, vcc_lo
	flat_load_u16 v3, v[9:10]
	s_waitcnt lgkmcnt(1)
	flat_load_b64 v[17:18], v[1:2]
	s_clause 0x2
	flat_load_u16 v2, v[11:12]
	flat_load_u16 v4, v[13:14]
	;; [unrolled: 1-line block ×3, first 2 shown]
	s_waitcnt vmcnt(2) lgkmcnt(2)
	v_lshlrev_b32_e32 v2, 16, v2
	v_lshlrev_b32_e32 v1, 16, v3
	;; [unrolled: 1-line block ×3, first 2 shown]
	v_and_b32_e32 v17, 0xffff0000, v17
	s_delay_alu instid0(VALU_DEP_2)
	v_fma_f32 v22, v1, v3, 0
	s_waitcnt vmcnt(1) lgkmcnt(1)
	v_lshlrev_b32_e32 v3, 16, v4
	s_waitcnt vmcnt(0) lgkmcnt(0)
	v_lshlrev_b32_e32 v4, 16, v23
	v_dual_fmac_f32 v22, v2, v17 :: v_dual_lshlrev_b32 v17, 16, v18
	v_and_b32_e32 v18, 0xffff0000, v18
	s_delay_alu instid0(VALU_DEP_2) | instskip(NEXT) | instid1(VALU_DEP_1)
	v_fmac_f32_e32 v22, v3, v17
	v_fmac_f32_e32 v22, v4, v18
	s_and_not1_saveexec_b32 s24, s6
	s_cbranch_execz .LBB604_67
.LBB604_75:                             ;   in Loop: Header=BB604_65 Depth=1
	s_and_saveexec_b32 s26, s1
	s_cbranch_execz .LBB604_82
; %bb.76:                               ;   in Loop: Header=BB604_65 Depth=1
	s_and_not1_b32 vcc_lo, exec_lo, s8
	s_cbranch_vccnz .LBB604_79
; %bb.77:                               ;   in Loop: Header=BB604_65 Depth=1
	s_waitcnt lgkmcnt(0)
	v_dual_mov_b32 v18, v10 :: v_dual_mov_b32 v17, v9
	s_mov_b64 s[22:23], 0
	.p2align	6
.LBB604_78:                             ;   Parent Loop BB604_65 Depth=1
                                        ; =>  This Inner Loop Header: Depth=2
	flat_load_u16 v23, v[17:18]
	v_add_co_u32 v17, vcc_lo, v17, s20
	s_cmp_eq_u32 s22, 3
	v_add_co_ci_u32_e32 v18, vcc_lo, s21, v18, vcc_lo
	s_cselect_b32 vcc_lo, -1, 0
	s_cmp_eq_u32 s22, 2
	s_cselect_b32 s6, -1, 0
	s_cmp_eq_u32 s22, 1
	s_cselect_b32 s7, -1, 0
	s_cmp_eq_u32 s22, 0
	s_waitcnt vmcnt(0) lgkmcnt(0)
	v_lshlrev_b32_e32 v23, 16, v23
	s_delay_alu instid0(VALU_DEP_1)
	v_cndmask_b32_e32 v4, v4, v23, vcc_lo
	s_cselect_b32 vcc_lo, -1, 0
	v_cndmask_b32_e64 v3, v3, v23, s6
	v_cndmask_b32_e64 v2, v2, v23, s7
	v_cndmask_b32_e32 v1, v1, v23, vcc_lo
	s_add_u32 s22, s22, 1
	s_addc_u32 s23, s23, 0
	s_cmp_eq_u32 s11, s22
	s_cbranch_scc0 .LBB604_78
.LBB604_79:                             ;   in Loop: Header=BB604_65 Depth=1
	s_and_not1_b32 vcc_lo, exec_lo, s8
	s_cbranch_vccnz .LBB604_82
; %bb.80:                               ;   in Loop: Header=BB604_65 Depth=1
	s_waitcnt lgkmcnt(0)
	v_dual_mov_b32 v18, v8 :: v_dual_mov_b32 v17, v7
	s_mov_b64 s[6:7], 0
	.p2align	6
.LBB604_81:                             ;   Parent Loop BB604_65 Depth=1
                                        ; =>  This Inner Loop Header: Depth=2
	flat_load_u16 v23, v[17:18]
	s_cmp_eq_u32 s6, 1
	s_cselect_b32 vcc_lo, -1, 0
	s_cmp_eq_u32 s6, 2
	v_cndmask_b32_e32 v24, v1, v2, vcc_lo
	s_cselect_b32 vcc_lo, -1, 0
	s_cmp_eq_u32 s6, 3
	s_waitcnt vmcnt(0) lgkmcnt(0)
	v_lshlrev_b32_e32 v23, 16, v23
	v_cndmask_b32_e32 v24, v24, v3, vcc_lo
	s_cselect_b32 vcc_lo, -1, 0
	s_add_u32 s6, s6, 1
	s_addc_u32 s7, s7, 0
	s_cmp_lg_u32 s11, s6
	v_cndmask_b32_e32 v24, v24, v4, vcc_lo
	v_add_co_u32 v17, vcc_lo, v17, 2
	v_add_co_ci_u32_e32 v18, vcc_lo, 0, v18, vcc_lo
	s_delay_alu instid0(VALU_DEP_3)
	v_fmac_f32_e32 v22, v24, v23
	s_cbranch_scc1 .LBB604_81
.LBB604_82:                             ;   in Loop: Header=BB604_65 Depth=1
	s_or_b32 exec_lo, exec_lo, s26
	s_delay_alu instid0(SALU_CYCLE_1)
	s_or_b32 exec_lo, exec_lo, s24
	s_and_saveexec_b32 s6, s2
	s_cbranch_execnz .LBB604_68
	s_branch .LBB604_69
.LBB604_83:                             ;   in Loop: Header=BB604_65 Depth=1
	ds_load_b32 v17, v19
	s_or_b32 exec_lo, exec_lo, s6
	s_and_saveexec_b32 s6, s2
	s_cbranch_execz .LBB604_73
.LBB604_84:                             ;   in Loop: Header=BB604_65 Depth=1
	s_waitcnt lgkmcnt(0)
	ds_bpermute_b32 v18, v28, v17
	s_waitcnt lgkmcnt(0)
	v_add_f32_e32 v17, v17, v18
	ds_bpermute_b32 v18, v27, v17
	s_waitcnt lgkmcnt(0)
	v_add_f32_e32 v17, v17, v18
	;; [unrolled: 3-line block ×3, first 2 shown]
	s_or_b32 exec_lo, exec_lo, s6
	s_and_saveexec_b32 s6, s5
	s_cbranch_execz .LBB604_64
.LBB604_85:                             ;   in Loop: Header=BB604_65 Depth=1
	s_mul_hi_u32 s23, s15, s12
	s_mul_i32 s22, s15, s12
	s_waitcnt lgkmcnt(0)
	v_mul_f32_e32 v17, s10, v17
	s_lshl_b64 s[22:23], s[22:23], 2
	s_delay_alu instid0(SALU_CYCLE_1)
	s_add_u32 s22, s13, s22
	s_addc_u32 s23, s14, s23
	global_store_b32 v0, v17, s[22:23]
	s_branch .LBB604_64
.LBB604_86:
	s_nop 0
	s_sendmsg sendmsg(MSG_DEALLOC_VGPRS)
	s_endpgm
	.section	.rodata,"a",@progbits
	.p2align	6, 0x0
	.amdhsa_kernel _ZL23rocblas_gemvt_sn_kernelILb0ELi256ELi4ElPK16rocblas_bfloat16ffEviiT4_lPKT3_lilS6_lilPT5_i
		.amdhsa_group_segment_fixed_size 128
		.amdhsa_private_segment_fixed_size 0
		.amdhsa_kernarg_size 360
		.amdhsa_user_sgpr_count 14
		.amdhsa_user_sgpr_dispatch_ptr 0
		.amdhsa_user_sgpr_queue_ptr 0
		.amdhsa_user_sgpr_kernarg_segment_ptr 1
		.amdhsa_user_sgpr_dispatch_id 0
		.amdhsa_user_sgpr_private_segment_size 0
		.amdhsa_wavefront_size32 1
		.amdhsa_uses_dynamic_stack 0
		.amdhsa_enable_private_segment 0
		.amdhsa_system_sgpr_workgroup_id_x 1
		.amdhsa_system_sgpr_workgroup_id_y 0
		.amdhsa_system_sgpr_workgroup_id_z 1
		.amdhsa_system_sgpr_workgroup_info 0
		.amdhsa_system_vgpr_workitem_id 0
		.amdhsa_next_free_vgpr 54
		.amdhsa_next_free_sgpr 46
		.amdhsa_reserve_vcc 1
		.amdhsa_float_round_mode_32 0
		.amdhsa_float_round_mode_16_64 0
		.amdhsa_float_denorm_mode_32 3
		.amdhsa_float_denorm_mode_16_64 3
		.amdhsa_dx10_clamp 1
		.amdhsa_ieee_mode 1
		.amdhsa_fp16_overflow 0
		.amdhsa_workgroup_processor_mode 1
		.amdhsa_memory_ordered 1
		.amdhsa_forward_progress 0
		.amdhsa_shared_vgpr_count 0
		.amdhsa_exception_fp_ieee_invalid_op 0
		.amdhsa_exception_fp_denorm_src 0
		.amdhsa_exception_fp_ieee_div_zero 0
		.amdhsa_exception_fp_ieee_overflow 0
		.amdhsa_exception_fp_ieee_underflow 0
		.amdhsa_exception_fp_ieee_inexact 0
		.amdhsa_exception_int_div_zero 0
	.end_amdhsa_kernel
	.section	.text._ZL23rocblas_gemvt_sn_kernelILb0ELi256ELi4ElPK16rocblas_bfloat16ffEviiT4_lPKT3_lilS6_lilPT5_i,"axG",@progbits,_ZL23rocblas_gemvt_sn_kernelILb0ELi256ELi4ElPK16rocblas_bfloat16ffEviiT4_lPKT3_lilS6_lilPT5_i,comdat
.Lfunc_end604:
	.size	_ZL23rocblas_gemvt_sn_kernelILb0ELi256ELi4ElPK16rocblas_bfloat16ffEviiT4_lPKT3_lilS6_lilPT5_i, .Lfunc_end604-_ZL23rocblas_gemvt_sn_kernelILb0ELi256ELi4ElPK16rocblas_bfloat16ffEviiT4_lPKT3_lilS6_lilPT5_i
                                        ; -- End function
	.section	.AMDGPU.csdata,"",@progbits
; Kernel info:
; codeLenInByte = 4316
; NumSgprs: 48
; NumVgprs: 54
; ScratchSize: 0
; MemoryBound: 0
; FloatMode: 240
; IeeeMode: 1
; LDSByteSize: 128 bytes/workgroup (compile time only)
; SGPRBlocks: 5
; VGPRBlocks: 6
; NumSGPRsForWavesPerEU: 48
; NumVGPRsForWavesPerEU: 54
; Occupancy: 16
; WaveLimiterHint : 0
; COMPUTE_PGM_RSRC2:SCRATCH_EN: 0
; COMPUTE_PGM_RSRC2:USER_SGPR: 14
; COMPUTE_PGM_RSRC2:TRAP_HANDLER: 0
; COMPUTE_PGM_RSRC2:TGID_X_EN: 1
; COMPUTE_PGM_RSRC2:TGID_Y_EN: 0
; COMPUTE_PGM_RSRC2:TGID_Z_EN: 1
; COMPUTE_PGM_RSRC2:TIDIG_COMP_CNT: 0
	.section	.text._ZL23rocblas_gemvt_sn_reduceILi256ELi8EffKP16rocblas_bfloat16EviT2_lPT3_lilPT1_i,"axG",@progbits,_ZL23rocblas_gemvt_sn_reduceILi256ELi8EffKP16rocblas_bfloat16EviT2_lPT3_lilPT1_i,comdat
	.globl	_ZL23rocblas_gemvt_sn_reduceILi256ELi8EffKP16rocblas_bfloat16EviT2_lPT3_lilPT1_i ; -- Begin function _ZL23rocblas_gemvt_sn_reduceILi256ELi8EffKP16rocblas_bfloat16EviT2_lPT3_lilPT1_i
	.p2align	8
	.type	_ZL23rocblas_gemvt_sn_reduceILi256ELi8EffKP16rocblas_bfloat16EviT2_lPT3_lilPT1_i,@function
_ZL23rocblas_gemvt_sn_reduceILi256ELi8EffKP16rocblas_bfloat16EviT2_lPT3_lilPT1_i: ; @_ZL23rocblas_gemvt_sn_reduceILi256ELi8EffKP16rocblas_bfloat16EviT2_lPT3_lilPT1_i
; %bb.0:
	s_clause 0x2
	s_load_b128 s[4:7], s[0:1], 0x10
	s_load_b64 s[8:9], s[0:1], 0x0
	s_load_b32 s12, s[0:1], 0x44
	s_mov_b32 s2, s15
	s_mov_b32 s3, 0
	v_dual_mov_b32 v3, 0 :: v_dual_lshlrev_b32 v4, 3, v0
	s_lshl_b64 s[10:11], s[2:3], 3
	s_mov_b32 s18, exec_lo
	s_waitcnt lgkmcnt(0)
	s_add_u32 s4, s4, s10
	s_addc_u32 s5, s5, s11
	s_load_b64 s[10:11], s[0:1], 0x30
	s_load_b64 s[4:5], s[4:5], 0x0
	s_ashr_i32 s13, s8, 31
	s_add_u32 s16, s0, 64
	s_mul_i32 s2, s12, s15
	s_addc_u32 s17, s1, 0
	s_lshr_b32 s12, s13, 29
	s_add_i32 s2, s2, s14
	s_add_i32 s12, s8, s12
	s_mul_i32 s13, s2, s13
	s_and_b32 s15, s12, -8
	s_mul_hi_u32 s12, s2, s8
	s_delay_alu instid0(SALU_CYCLE_1)
	s_add_i32 s13, s12, s13
	s_mul_i32 s12, s2, s8
	v_cmpx_gt_i32_e64 s15, v4
	s_cbranch_execz .LBB605_4
; %bb.1:
	s_load_b32 s2, s[16:17], 0xc
	v_lshlrev_b32_e32 v1, 5, v0
	s_lshl_b64 s[20:21], s[12:13], 2
	v_mov_b32_e32 v3, 0
	s_waitcnt lgkmcnt(0)
	s_and_b32 s2, s2, 0xffff
	s_delay_alu instid0(SALU_CYCLE_1) | instskip(SKIP_3) | instid1(VALU_DEP_1)
	s_lshl_b32 s16, s2, 3
	s_add_u32 s17, s10, s20
	s_addc_u32 s19, s11, s21
	v_add_co_u32 v1, s17, s17, v1
	v_add_co_ci_u32_e64 v2, null, s19, 0, s17
	s_lshl_b32 s17, s2, 5
	s_delay_alu instid0(VALU_DEP_2) | instskip(NEXT) | instid1(VALU_DEP_2)
	v_add_co_u32 v1, vcc_lo, v1, 28
	v_add_co_ci_u32_e32 v2, vcc_lo, 0, v2, vcc_lo
	.p2align	6
.LBB605_2:                              ; =>This Inner Loop Header: Depth=1
	s_clause 0x1
	global_load_b128 v[5:8], v[1:2], off offset:-28
	global_load_b128 v[9:12], v[1:2], off offset:-12
	v_add_co_u32 v1, vcc_lo, v1, s17
	v_add_co_ci_u32_e32 v2, vcc_lo, 0, v2, vcc_lo
	v_add_nc_u32_e32 v4, s16, v4
	s_delay_alu instid0(VALU_DEP_1) | instskip(NEXT) | instid1(VALU_DEP_1)
	v_cmp_le_i32_e64 s2, s15, v4
	s_or_b32 s3, s2, s3
	s_waitcnt vmcnt(1)
	v_add_f32_e32 v3, v3, v5
	s_delay_alu instid0(VALU_DEP_1) | instskip(NEXT) | instid1(VALU_DEP_1)
	v_add_f32_e32 v3, v3, v6
	v_add_f32_e32 v3, v3, v7
	s_delay_alu instid0(VALU_DEP_1) | instskip(SKIP_1) | instid1(VALU_DEP_1)
	v_add_f32_e32 v3, v3, v8
	s_waitcnt vmcnt(0)
	v_add_f32_e32 v3, v3, v9
	s_delay_alu instid0(VALU_DEP_1) | instskip(NEXT) | instid1(VALU_DEP_1)
	v_add_f32_e32 v3, v3, v10
	v_add_f32_e32 v3, v3, v11
	s_delay_alu instid0(VALU_DEP_1)
	v_add_f32_e32 v3, v3, v12
	s_and_not1_b32 exec_lo, exec_lo, s3
	s_cbranch_execnz .LBB605_2
; %bb.3:
	s_or_b32 exec_lo, exec_lo, s3
.LBB605_4:
	s_delay_alu instid0(SALU_CYCLE_1) | instskip(SKIP_1) | instid1(SALU_CYCLE_1)
	s_or_b32 exec_lo, exec_lo, s18
	s_sub_i32 s2, s8, s15
	v_cmp_gt_u32_e32 vcc_lo, s2, v0
	s_and_saveexec_b32 s2, vcc_lo
	s_cbranch_execz .LBB605_6
; %bb.5:
	v_xad_u32 v1, v0, -1, s8
	v_mov_b32_e32 v2, 0
	s_lshl_b64 s[12:13], s[12:13], 2
	s_waitcnt lgkmcnt(0)
	s_add_u32 s3, s10, s12
	s_addc_u32 s8, s11, s13
	v_lshlrev_b64 v[1:2], 2, v[1:2]
	s_delay_alu instid0(VALU_DEP_1) | instskip(NEXT) | instid1(VALU_DEP_2)
	v_add_co_u32 v1, vcc_lo, s3, v1
	v_add_co_ci_u32_e32 v2, vcc_lo, s8, v2, vcc_lo
	global_load_b32 v1, v[1:2], off
	s_waitcnt vmcnt(0)
	v_add_f32_e32 v3, v3, v1
.LBB605_6:
	s_or_b32 exec_lo, exec_lo, s2
	v_and_b32_e32 v1, 31, v0
	v_cmp_gt_u32_e32 vcc_lo, 32, v0
	s_delay_alu instid0(VALU_DEP_2)
	v_lshlrev_b32_e32 v2, 2, v1
	s_and_saveexec_b32 s2, vcc_lo
	s_cbranch_execz .LBB605_8
; %bb.7:
	v_mov_b32_e32 v4, 0
	ds_store_b32 v2, v4
.LBB605_8:
	s_or_b32 exec_lo, exec_lo, s2
	v_mbcnt_lo_u32_b32 v5, -1, 0
	s_mov_b32 s3, exec_lo
	s_waitcnt lgkmcnt(0)
	s_barrier
	buffer_gl0_inv
	v_cmp_gt_u32_e64 s2, 16, v5
	s_delay_alu instid0(VALU_DEP_1) | instskip(SKIP_1) | instid1(VALU_DEP_2)
	v_cndmask_b32_e64 v4, 0, 1, s2
	v_cmp_gt_u32_e64 s2, 24, v5
	v_lshlrev_b32_e32 v4, 4, v4
	s_delay_alu instid0(VALU_DEP_2) | instskip(SKIP_1) | instid1(VALU_DEP_3)
	v_cndmask_b32_e64 v6, 0, 1, s2
	v_cmp_gt_u32_e64 s2, 28, v5
	v_add_lshl_u32 v4, v4, v5, 2
	s_delay_alu instid0(VALU_DEP_3)
	v_lshlrev_b32_e32 v6, 3, v6
	ds_bpermute_b32 v4, v4, v3
	v_add_lshl_u32 v6, v6, v5, 2
	s_waitcnt lgkmcnt(0)
	v_add_f32_e32 v4, v3, v4
	v_cndmask_b32_e64 v3, 0, 1, s2
	v_cmp_gt_u32_e64 s2, 30, v5
	s_delay_alu instid0(VALU_DEP_2)
	v_lshlrev_b32_e32 v3, 2, v3
	ds_bpermute_b32 v6, v6, v4
	v_add_lshl_u32 v3, v3, v5, 2
	s_waitcnt lgkmcnt(0)
	v_add_f32_e32 v6, v4, v6
	v_cndmask_b32_e64 v4, 0, 1, s2
	v_cmp_ne_u32_e64 s2, 31, v5
	s_delay_alu instid0(VALU_DEP_2) | instskip(NEXT) | instid1(VALU_DEP_1)
	v_lshlrev_b32_e32 v4, 1, v4
	v_add_lshl_u32 v4, v4, v5, 2
	s_delay_alu instid0(VALU_DEP_3) | instskip(NEXT) | instid1(VALU_DEP_1)
	v_add_co_ci_u32_e64 v5, s2, 0, v5, s2
	v_lshlrev_b32_e32 v5, 2, v5
	ds_bpermute_b32 v7, v3, v6
	s_waitcnt lgkmcnt(0)
	v_add_f32_e32 v6, v6, v7
	ds_bpermute_b32 v7, v4, v6
	s_waitcnt lgkmcnt(0)
	v_add_f32_e32 v6, v6, v7
	ds_bpermute_b32 v7, v5, v6
	v_cmpx_eq_u32_e32 0, v1
	s_cbranch_execz .LBB605_10
; %bb.9:
	v_lshrrev_b32_e32 v1, 3, v0
	s_waitcnt lgkmcnt(0)
	s_delay_alu instid0(VALU_DEP_1)
	v_dual_add_f32 v6, v6, v7 :: v_dual_and_b32 v1, 28, v1
	ds_store_b32 v1, v6
.LBB605_10:
	s_or_b32 exec_lo, exec_lo, s3
	v_mov_b32_e32 v1, 0
	s_mov_b32 s3, exec_lo
	s_waitcnt lgkmcnt(0)
	s_barrier
	buffer_gl0_inv
	v_cmpx_gt_u32_e32 8, v0
	s_cbranch_execz .LBB605_12
; %bb.11:
	ds_load_b32 v1, v2
.LBB605_12:
	s_or_b32 exec_lo, exec_lo, s3
	s_and_saveexec_b32 s2, vcc_lo
	s_cbranch_execz .LBB605_14
; %bb.13:
	s_waitcnt lgkmcnt(0)
	ds_bpermute_b32 v2, v3, v1
	s_waitcnt lgkmcnt(0)
	v_add_f32_e32 v1, v1, v2
	ds_bpermute_b32 v2, v4, v1
	s_waitcnt lgkmcnt(0)
	v_add_f32_e32 v1, v1, v2
	;; [unrolled: 3-line block ×3, first 2 shown]
.LBB605_14:
	s_or_b32 exec_lo, exec_lo, s2
	s_delay_alu instid0(SALU_CYCLE_1)
	s_mov_b32 s2, exec_lo
	v_cmpx_eq_u32_e32 0, v0
	s_cbranch_execz .LBB605_28
; %bb.15:
	s_load_b32 s8, s[0:1], 0x20
	v_cmp_eq_f32_e64 s10, s9, 0
	s_lshl_b64 s[0:1], s[6:7], 1
	s_delay_alu instid0(SALU_CYCLE_1) | instskip(SKIP_1) | instid1(VALU_DEP_1)
	s_add_u32 s2, s4, s0
	s_addc_u32 s3, s5, s1
	s_and_b32 vcc_lo, exec_lo, s10
	s_cbranch_vccz .LBB605_21
; %bb.16:
	s_waitcnt lgkmcnt(0)
	v_and_b32_e32 v0, 0x7f800000, v1
	s_delay_alu instid0(VALU_DEP_1) | instskip(SKIP_1) | instid1(SALU_CYCLE_1)
	v_cmp_ne_u32_e32 vcc_lo, 0x7f800000, v0
                                        ; implicit-def: $vgpr0
	s_and_saveexec_b32 s0, vcc_lo
	s_xor_b32 s0, exec_lo, s0
; %bb.17:
	v_bfe_u32 v0, v1, 16, 1
	s_delay_alu instid0(VALU_DEP_1)
	v_add3_u32 v0, v1, v0, 0x7fff
; %bb.18:
	s_and_not1_saveexec_b32 s0, s0
; %bb.19:
	v_and_b32_e32 v0, 0xffff, v1
	v_or_b32_e32 v2, 0x10000, v1
	s_delay_alu instid0(VALU_DEP_2) | instskip(NEXT) | instid1(VALU_DEP_2)
	v_cmp_eq_u32_e32 vcc_lo, 0, v0
	v_cndmask_b32_e32 v0, v2, v1, vcc_lo
; %bb.20:
	s_or_b32 exec_lo, exec_lo, s0
	s_mul_hi_u32 s4, s8, s14
	s_mul_i32 s0, s8, s14
	s_cbranch_execz .LBB605_22
	s_branch .LBB605_27
.LBB605_21:
                                        ; implicit-def: $vgpr0
	s_waitcnt lgkmcnt(0)
	s_mul_hi_u32 s4, s8, s14
	s_mul_i32 s0, s8, s14
.LBB605_22:
	s_ashr_i32 s1, s8, 31
	v_mov_b32_e32 v0, 0
	s_mul_i32 s1, s1, s14
	s_delay_alu instid0(SALU_CYCLE_1) | instskip(NEXT) | instid1(SALU_CYCLE_1)
	s_add_i32 s1, s4, s1
	s_lshl_b64 s[6:7], s[0:1], 1
	s_delay_alu instid0(SALU_CYCLE_1) | instskip(SKIP_4) | instid1(VALU_DEP_1)
	s_add_u32 s6, s2, s6
	s_addc_u32 s7, s3, s7
	global_load_u16 v0, v0, s[6:7]
	s_waitcnt vmcnt(0)
	v_lshlrev_b32_e32 v0, 16, v0
	v_fmac_f32_e32 v1, s9, v0
	s_delay_alu instid0(VALU_DEP_1) | instskip(NEXT) | instid1(VALU_DEP_1)
	v_and_b32_e32 v0, 0x7f800000, v1
	v_cmp_ne_u32_e32 vcc_lo, 0x7f800000, v0
                                        ; implicit-def: $vgpr0
	s_and_saveexec_b32 s1, vcc_lo
	s_delay_alu instid0(SALU_CYCLE_1)
	s_xor_b32 s1, exec_lo, s1
; %bb.23:
	v_bfe_u32 v0, v1, 16, 1
	s_delay_alu instid0(VALU_DEP_1)
	v_add3_u32 v0, v1, v0, 0x7fff
                                        ; implicit-def: $vgpr1
; %bb.24:
	s_and_not1_saveexec_b32 s1, s1
; %bb.25:
	v_and_b32_e32 v0, 0xffff, v1
	v_or_b32_e32 v2, 0x10000, v1
	s_delay_alu instid0(VALU_DEP_2) | instskip(NEXT) | instid1(VALU_DEP_2)
	v_cmp_eq_u32_e32 vcc_lo, 0, v0
	v_cndmask_b32_e32 v0, v2, v1, vcc_lo
; %bb.26:
	s_or_b32 exec_lo, exec_lo, s1
.LBB605_27:
	s_ashr_i32 s1, s8, 31
	v_mov_b32_e32 v1, 0
	s_mul_i32 s1, s1, s14
	s_delay_alu instid0(SALU_CYCLE_1) | instskip(NEXT) | instid1(SALU_CYCLE_1)
	s_add_i32 s1, s4, s1
	s_lshl_b64 s[0:1], s[0:1], 1
	s_delay_alu instid0(SALU_CYCLE_1)
	s_add_u32 s0, s2, s0
	s_addc_u32 s1, s3, s1
	global_store_d16_hi_b16 v1, v0, s[0:1]
.LBB605_28:
	s_nop 0
	s_sendmsg sendmsg(MSG_DEALLOC_VGPRS)
	s_endpgm
	.section	.rodata,"a",@progbits
	.p2align	6, 0x0
	.amdhsa_kernel _ZL23rocblas_gemvt_sn_reduceILi256ELi8EffKP16rocblas_bfloat16EviT2_lPT3_lilPT1_i
		.amdhsa_group_segment_fixed_size 128
		.amdhsa_private_segment_fixed_size 0
		.amdhsa_kernarg_size 320
		.amdhsa_user_sgpr_count 13
		.amdhsa_user_sgpr_dispatch_ptr 0
		.amdhsa_user_sgpr_queue_ptr 0
		.amdhsa_user_sgpr_kernarg_segment_ptr 1
		.amdhsa_user_sgpr_dispatch_id 0
		.amdhsa_user_sgpr_private_segment_size 0
		.amdhsa_wavefront_size32 1
		.amdhsa_uses_dynamic_stack 0
		.amdhsa_enable_private_segment 0
		.amdhsa_system_sgpr_workgroup_id_x 1
		.amdhsa_system_sgpr_workgroup_id_y 1
		.amdhsa_system_sgpr_workgroup_id_z 1
		.amdhsa_system_sgpr_workgroup_info 0
		.amdhsa_system_vgpr_workitem_id 0
		.amdhsa_next_free_vgpr 13
		.amdhsa_next_free_sgpr 22
		.amdhsa_reserve_vcc 1
		.amdhsa_float_round_mode_32 0
		.amdhsa_float_round_mode_16_64 0
		.amdhsa_float_denorm_mode_32 3
		.amdhsa_float_denorm_mode_16_64 3
		.amdhsa_dx10_clamp 1
		.amdhsa_ieee_mode 1
		.amdhsa_fp16_overflow 0
		.amdhsa_workgroup_processor_mode 1
		.amdhsa_memory_ordered 1
		.amdhsa_forward_progress 0
		.amdhsa_shared_vgpr_count 0
		.amdhsa_exception_fp_ieee_invalid_op 0
		.amdhsa_exception_fp_denorm_src 0
		.amdhsa_exception_fp_ieee_div_zero 0
		.amdhsa_exception_fp_ieee_overflow 0
		.amdhsa_exception_fp_ieee_underflow 0
		.amdhsa_exception_fp_ieee_inexact 0
		.amdhsa_exception_int_div_zero 0
	.end_amdhsa_kernel
	.section	.text._ZL23rocblas_gemvt_sn_reduceILi256ELi8EffKP16rocblas_bfloat16EviT2_lPT3_lilPT1_i,"axG",@progbits,_ZL23rocblas_gemvt_sn_reduceILi256ELi8EffKP16rocblas_bfloat16EviT2_lPT3_lilPT1_i,comdat
.Lfunc_end605:
	.size	_ZL23rocblas_gemvt_sn_reduceILi256ELi8EffKP16rocblas_bfloat16EviT2_lPT3_lilPT1_i, .Lfunc_end605-_ZL23rocblas_gemvt_sn_reduceILi256ELi8EffKP16rocblas_bfloat16EviT2_lPT3_lilPT1_i
                                        ; -- End function
	.section	.AMDGPU.csdata,"",@progbits
; Kernel info:
; codeLenInByte = 1268
; NumSgprs: 24
; NumVgprs: 13
; ScratchSize: 0
; MemoryBound: 0
; FloatMode: 240
; IeeeMode: 1
; LDSByteSize: 128 bytes/workgroup (compile time only)
; SGPRBlocks: 2
; VGPRBlocks: 1
; NumSGPRsForWavesPerEU: 24
; NumVGPRsForWavesPerEU: 13
; Occupancy: 16
; WaveLimiterHint : 1
; COMPUTE_PGM_RSRC2:SCRATCH_EN: 0
; COMPUTE_PGM_RSRC2:USER_SGPR: 13
; COMPUTE_PGM_RSRC2:TRAP_HANDLER: 0
; COMPUTE_PGM_RSRC2:TGID_X_EN: 1
; COMPUTE_PGM_RSRC2:TGID_Y_EN: 1
; COMPUTE_PGM_RSRC2:TGID_Z_EN: 1
; COMPUTE_PGM_RSRC2:TIDIG_COMP_CNT: 0
	.section	.text._ZL32rocblas_gemvt_warp_reduce_kernelILb0ELi256EiPK16rocblas_bfloat16PKfKPS0_EviiT3_lPKT2_lT1_lSA_lSB_lS7_lPT4_lSB_li,"axG",@progbits,_ZL32rocblas_gemvt_warp_reduce_kernelILb0ELi256EiPK16rocblas_bfloat16PKfKPS0_EviiT3_lPKT2_lT1_lSA_lSB_lS7_lPT4_lSB_li,comdat
	.globl	_ZL32rocblas_gemvt_warp_reduce_kernelILb0ELi256EiPK16rocblas_bfloat16PKfKPS0_EviiT3_lPKT2_lT1_lSA_lSB_lS7_lPT4_lSB_li ; -- Begin function _ZL32rocblas_gemvt_warp_reduce_kernelILb0ELi256EiPK16rocblas_bfloat16PKfKPS0_EviiT3_lPKT2_lT1_lSA_lSB_lS7_lPT4_lSB_li
	.p2align	8
	.type	_ZL32rocblas_gemvt_warp_reduce_kernelILb0ELi256EiPK16rocblas_bfloat16PKfKPS0_EviiT3_lPKT2_lT1_lSA_lSB_lS7_lPT4_lSB_li,@function
_ZL32rocblas_gemvt_warp_reduce_kernelILb0ELi256EiPK16rocblas_bfloat16PKfKPS0_EviiT3_lPKT2_lT1_lSA_lSB_lS7_lPT4_lSB_li: ; @_ZL32rocblas_gemvt_warp_reduce_kernelILb0ELi256EiPK16rocblas_bfloat16PKfKPS0_EviiT3_lPKT2_lT1_lSA_lSB_lS7_lPT4_lSB_li
; %bb.0:
	s_clause 0x1
	s_load_b256 s[16:23], s[0:1], 0x8
	s_load_b256 s[4:11], s[0:1], 0x58
	s_mov_b32 s2, s15
	s_waitcnt lgkmcnt(0)
	s_mul_i32 s3, s15, s19
	s_mul_hi_u32 s13, s15, s18
	s_mul_i32 s12, s15, s18
	s_add_i32 s13, s13, s3
	s_mul_i32 s3, s15, s7
	s_lshl_b64 s[12:13], s[12:13], 2
	s_mul_hi_u32 s7, s15, s6
	s_add_u32 s12, s16, s12
	s_addc_u32 s13, s17, s13
	s_add_i32 s7, s7, s3
	s_mul_i32 s6, s15, s6
	s_delay_alu instid0(SALU_CYCLE_1) | instskip(NEXT) | instid1(SALU_CYCLE_1)
	s_lshl_b64 s[6:7], s[6:7], 2
	s_add_u32 s4, s4, s6
	s_addc_u32 s5, s5, s7
	s_load_b32 s16, s[12:13], 0x0
	s_load_b32 s15, s[4:5], 0x0
	s_waitcnt lgkmcnt(0)
	v_cmp_eq_f32_e64 s6, s16, 0
	v_cmp_eq_f32_e64 s3, s15, 1.0
	s_delay_alu instid0(VALU_DEP_1) | instskip(NEXT) | instid1(SALU_CYCLE_1)
	s_and_b32 s3, s6, s3
	s_and_b32 vcc_lo, exec_lo, s3
	s_mov_b32 s3, 0
	s_cbranch_vccnz .LBB606_61
; %bb.1:
	v_cmp_neq_f32_e64 s7, s16, 0
	s_mov_b64 s[4:5], 0
	s_and_b32 vcc_lo, exec_lo, s6
	s_mov_b64 s[12:13], 0
	s_cbranch_vccnz .LBB606_3
; %bb.2:
	s_lshl_b64 s[12:13], s[2:3], 3
	s_delay_alu instid0(SALU_CYCLE_1)
	s_add_u32 s12, s20, s12
	s_addc_u32 s13, s21, s13
	s_lshl_b64 s[18:19], s[22:23], 1
	s_load_b64 s[12:13], s[12:13], 0x0
	s_waitcnt lgkmcnt(0)
	s_add_u32 s12, s12, s18
	s_addc_u32 s13, s13, s19
.LBB606_3:
	s_and_not1_b32 vcc_lo, exec_lo, s7
	s_cbranch_vccnz .LBB606_5
; %bb.4:
	s_load_b128 s[20:23], s[0:1], 0x38
	s_lshl_b64 s[4:5], s[2:3], 3
	s_waitcnt lgkmcnt(0)
	s_add_u32 s4, s20, s4
	s_addc_u32 s5, s21, s5
	s_lshl_b64 s[18:19], s[22:23], 1
	s_load_b64 s[4:5], s[4:5], 0x0
	s_waitcnt lgkmcnt(0)
	s_add_u32 s4, s4, s18
	s_addc_u32 s5, s5, s19
.LBB606_5:
	s_lshl_b64 s[2:3], s[2:3], 3
	s_delay_alu instid0(SALU_CYCLE_1)
	s_add_u32 s2, s8, s2
	s_addc_u32 s3, s9, s3
	s_lshl_b64 s[10:11], s[10:11], 1
	s_load_b64 s[8:9], s[2:3], 0x0
	s_load_b32 s17, s[0:1], 0x78
	v_cmp_eq_u32_e64 s2, 0, v0
	s_waitcnt lgkmcnt(0)
	s_add_u32 s8, s8, s10
	s_addc_u32 s9, s9, s11
	s_and_not1_b32 vcc_lo, exec_lo, s6
	s_cbranch_vccnz .LBB606_10
; %bb.6:
	s_mov_b32 s3, 0
	s_mov_b32 s10, 0
                                        ; implicit-def: $sgpr18
                                        ; implicit-def: $sgpr6_sgpr7
	s_and_saveexec_b32 s11, s2
	s_cbranch_execz .LBB606_11
; %bb.7:
	v_cmp_eq_f32_e64 s2, s15, 0
	s_mul_i32 s6, s14, s17
	s_mov_b32 s18, 0
	s_ashr_i32 s7, s6, 31
	s_delay_alu instid0(VALU_DEP_1)
	s_and_b32 vcc_lo, exec_lo, s2
	s_cbranch_vccnz .LBB606_17
; %bb.8:
	s_lshl_b64 s[18:19], s[6:7], 1
	v_mov_b32_e32 v1, 0
	s_add_u32 s18, s8, s18
	s_addc_u32 s19, s9, s19
	global_load_u16 v1, v1, s[18:19]
	s_waitcnt vmcnt(0)
	v_lshlrev_b32_e32 v1, 16, v1
	s_delay_alu instid0(VALU_DEP_1) | instskip(NEXT) | instid1(VALU_DEP_1)
	v_mul_f32_e32 v1, s15, v1
	v_and_b32_e32 v2, 0x7f800000, v1
	v_readfirstlane_b32 s2, v1
	s_delay_alu instid0(VALU_DEP_2)
	v_cmp_eq_u32_e32 vcc_lo, 0x7f800000, v2
	s_cbranch_vccnz .LBB606_13
; %bb.9:
	s_delay_alu instid0(VALU_DEP_2) | instskip(SKIP_2) | instid1(SALU_CYCLE_1)
	s_bfe_u32 s10, s2, 0x10010
	s_mov_b32 s18, 0
	s_add_i32 s10, s2, s10
	s_addk_i32 s10, 0x7fff
	s_branch .LBB606_14
.LBB606_10:
	s_mov_b32 s10, 0
                                        ; implicit-def: $sgpr18
                                        ; implicit-def: $sgpr6_sgpr7
	s_cbranch_execz .LBB606_12
	s_branch .LBB606_18
.LBB606_11:
	s_or_b32 exec_lo, exec_lo, s11
	s_delay_alu instid0(SALU_CYCLE_1)
	s_and_b32 vcc_lo, exec_lo, s3
	s_cbranch_vccnz .LBB606_18
.LBB606_12:
	v_mov_b32_e32 v1, s18
	s_and_saveexec_b32 s0, s10
	s_cbranch_execnz .LBB606_60
	s_branch .LBB606_61
.LBB606_13:
	s_mov_b32 s18, -1
                                        ; implicit-def: $sgpr10
.LBB606_14:
	s_delay_alu instid0(SALU_CYCLE_1)
	s_and_not1_b32 vcc_lo, exec_lo, s18
	s_cbranch_vccnz .LBB606_16
; %bb.15:
	s_and_b32 s10, s2, 0xffff
	s_or_b32 s18, s2, 0x10000
	s_cmp_eq_u32 s10, 0
	s_cselect_b32 s10, s2, s18
.LBB606_16:
	s_delay_alu instid0(SALU_CYCLE_1)
	s_lshr_b32 s18, s10, 16
.LBB606_17:
	s_mov_b32 s10, exec_lo
	s_or_b32 exec_lo, exec_lo, s11
	s_delay_alu instid0(SALU_CYCLE_1)
	s_and_b32 vcc_lo, exec_lo, s3
	s_cbranch_vccz .LBB606_12
.LBB606_18:
	s_clause 0x2
	s_load_b32 s2, s[0:1], 0x28
	s_load_b32 s3, s[0:1], 0x0
	;; [unrolled: 1-line block ×3, first 2 shown]
	v_mov_b32_e32 v7, 0
	s_waitcnt lgkmcnt(0)
	s_mul_i32 s6, s14, s2
	v_cmp_gt_i32_e32 vcc_lo, s3, v0
	s_ashr_i32 s7, s6, 31
	s_delay_alu instid0(SALU_CYCLE_1)
	s_lshl_b64 s[6:7], s[6:7], 1
	v_cndmask_b32_e32 v1, 0, v0, vcc_lo
	s_add_u32 s0, s6, s12
	s_addc_u32 s6, s7, s13
	s_ashr_i32 s2, s3, 31
	s_mov_b32 s7, 0
	v_lshlrev_b32_e32 v1, 1, v1
	s_lshr_b32 s2, s2, 24
	s_delay_alu instid0(SALU_CYCLE_1) | instskip(NEXT) | instid1(SALU_CYCLE_1)
	s_add_i32 s2, s3, s2
	s_and_b32 s2, s2, 0xffffff00
	s_delay_alu instid0(VALU_DEP_1) | instskip(NEXT) | instid1(VALU_DEP_1)
	v_add_co_u32 v1, s0, s0, v1
	v_add_co_ci_u32_e64 v2, null, s6, 0, s0
	s_mov_b32 s6, exec_lo
	v_cmpx_gt_i32_e64 s2, v0
	s_cbranch_execz .LBB606_26
; %bb.19:
	v_mul_lo_u32 v3, v0, s1
	v_dual_mov_b32 v7, 0 :: v_dual_mov_b32 v6, v2
	v_dual_mov_b32 v5, v1 :: v_dual_mov_b32 v8, v0
	s_lshl_b32 s11, s1, 8
	s_branch .LBB606_21
.LBB606_20:                             ;   in Loop: Header=BB606_21 Depth=1
	s_or_b32 exec_lo, exec_lo, s0
	v_add_nc_u32_e32 v8, 0x100, v8
	s_delay_alu instid0(VALU_DEP_2) | instskip(SKIP_1) | instid1(VALU_DEP_1)
	v_and_b32_e32 v4, 0xffff0000, v9
	v_add_co_u32 v5, s0, 0x200, v5
	v_add_co_ci_u32_e64 v6, s0, 0, v6, s0
	s_delay_alu instid0(VALU_DEP_4) | instskip(NEXT) | instid1(VALU_DEP_4)
	v_cmp_le_i32_e32 vcc_lo, s2, v8
	v_add_f32_e32 v7, v7, v4
	v_add_nc_u32_e32 v3, s11, v3
	s_or_b32 s7, vcc_lo, s7
	s_delay_alu instid0(SALU_CYCLE_1)
	s_and_not1_b32 exec_lo, exec_lo, s7
	s_cbranch_execz .LBB606_25
.LBB606_21:                             ; =>This Inner Loop Header: Depth=1
	s_delay_alu instid0(VALU_DEP_1) | instskip(NEXT) | instid1(VALU_DEP_1)
	v_ashrrev_i32_e32 v4, 31, v3
	v_lshlrev_b64 v[9:10], 1, v[3:4]
	s_delay_alu instid0(VALU_DEP_1) | instskip(NEXT) | instid1(VALU_DEP_2)
	v_add_co_u32 v9, vcc_lo, s4, v9
	v_add_co_ci_u32_e32 v10, vcc_lo, s5, v10, vcc_lo
	flat_load_u16 v4, v[5:6]
	flat_load_u16 v9, v[9:10]
	s_waitcnt vmcnt(1) lgkmcnt(1)
	v_lshlrev_b32_e32 v4, 16, v4
	s_waitcnt vmcnt(0) lgkmcnt(0)
	v_lshlrev_b32_e32 v9, 16, v9
	s_delay_alu instid0(VALU_DEP_1) | instskip(NEXT) | instid1(VALU_DEP_1)
	v_mul_f32_e32 v4, v4, v9
	v_and_b32_e32 v9, 0x7f800000, v4
	s_delay_alu instid0(VALU_DEP_1) | instskip(SKIP_1) | instid1(SALU_CYCLE_1)
	v_cmp_ne_u32_e32 vcc_lo, 0x7f800000, v9
                                        ; implicit-def: $vgpr9
	s_and_saveexec_b32 s0, vcc_lo
	s_xor_b32 s0, exec_lo, s0
; %bb.22:                               ;   in Loop: Header=BB606_21 Depth=1
	v_bfe_u32 v9, v4, 16, 1
	s_delay_alu instid0(VALU_DEP_1)
	v_add3_u32 v9, v4, v9, 0x7fff
                                        ; implicit-def: $vgpr4
; %bb.23:                               ;   in Loop: Header=BB606_21 Depth=1
	s_and_not1_saveexec_b32 s0, s0
	s_cbranch_execz .LBB606_20
; %bb.24:                               ;   in Loop: Header=BB606_21 Depth=1
	v_and_b32_e32 v9, 0xffff, v4
	v_or_b32_e32 v10, 0x10000, v4
	s_delay_alu instid0(VALU_DEP_2) | instskip(NEXT) | instid1(VALU_DEP_2)
	v_cmp_eq_u32_e32 vcc_lo, 0, v9
	v_cndmask_b32_e32 v9, v10, v4, vcc_lo
	s_branch .LBB606_20
.LBB606_25:
	s_or_b32 exec_lo, exec_lo, s7
.LBB606_26:
	s_delay_alu instid0(SALU_CYCLE_1) | instskip(SKIP_2) | instid1(VALU_DEP_1)
	s_or_b32 exec_lo, exec_lo, s6
	v_add_nc_u32_e32 v3, s2, v0
	s_mov_b32 s0, exec_lo
	v_cmpx_gt_i32_e64 s3, v3
	s_cbranch_execz .LBB606_32
; %bb.27:
	v_mul_lo_u32 v3, v3, s1
	s_ashr_i32 s3, s2, 31
	s_delay_alu instid0(SALU_CYCLE_1) | instskip(NEXT) | instid1(VALU_DEP_1)
	s_lshl_b64 s[2:3], s[2:3], 1
	v_ashrrev_i32_e32 v4, 31, v3
	s_delay_alu instid0(VALU_DEP_1) | instskip(NEXT) | instid1(VALU_DEP_1)
	v_lshlrev_b64 v[3:4], 1, v[3:4]
	v_add_co_u32 v3, vcc_lo, s4, v3
	s_delay_alu instid0(VALU_DEP_2)
	v_add_co_ci_u32_e32 v4, vcc_lo, s5, v4, vcc_lo
	v_add_co_u32 v1, vcc_lo, v1, s2
	v_add_co_ci_u32_e32 v2, vcc_lo, s3, v2, vcc_lo
	flat_load_u16 v3, v[3:4]
	flat_load_u16 v1, v[1:2]
	s_waitcnt vmcnt(1) lgkmcnt(1)
	v_lshlrev_b32_e32 v2, 16, v3
	s_waitcnt vmcnt(0) lgkmcnt(0)
	v_lshlrev_b32_e32 v1, 16, v1
	s_delay_alu instid0(VALU_DEP_1) | instskip(NEXT) | instid1(VALU_DEP_1)
	v_mul_f32_e32 v1, v1, v2
	v_and_b32_e32 v2, 0x7f800000, v1
	s_delay_alu instid0(VALU_DEP_1) | instskip(SKIP_1) | instid1(SALU_CYCLE_1)
	v_cmp_ne_u32_e32 vcc_lo, 0x7f800000, v2
                                        ; implicit-def: $vgpr2
	s_and_saveexec_b32 s1, vcc_lo
	s_xor_b32 s1, exec_lo, s1
; %bb.28:
	v_bfe_u32 v2, v1, 16, 1
	s_delay_alu instid0(VALU_DEP_1)
	v_add3_u32 v2, v1, v2, 0x7fff
                                        ; implicit-def: $vgpr1
; %bb.29:
	s_and_not1_saveexec_b32 s1, s1
; %bb.30:
	v_and_b32_e32 v2, 0xffff, v1
	v_or_b32_e32 v3, 0x10000, v1
	s_delay_alu instid0(VALU_DEP_2) | instskip(NEXT) | instid1(VALU_DEP_2)
	v_cmp_eq_u32_e32 vcc_lo, 0, v2
	v_cndmask_b32_e32 v2, v3, v1, vcc_lo
; %bb.31:
	s_or_b32 exec_lo, exec_lo, s1
	s_delay_alu instid0(VALU_DEP_1) | instskip(NEXT) | instid1(VALU_DEP_1)
	v_and_b32_e32 v1, 0xffff0000, v2
	v_add_f32_e32 v7, v7, v1
.LBB606_32:
	s_or_b32 exec_lo, exec_lo, s0
	v_and_b32_e32 v4, 31, v0
	v_cmp_gt_u32_e32 vcc_lo, 32, v0
	s_delay_alu instid0(VALU_DEP_2)
	v_lshlrev_b32_e32 v1, 2, v4
	s_and_saveexec_b32 s0, vcc_lo
	s_cbranch_execz .LBB606_34
; %bb.33:
	v_mov_b32_e32 v2, 0
	ds_store_b32 v1, v2
.LBB606_34:
	s_or_b32 exec_lo, exec_lo, s0
	v_mbcnt_lo_u32_b32 v5, -1, 0
	s_mov_b32 s1, exec_lo
	s_waitcnt lgkmcnt(0)
	s_barrier
	buffer_gl0_inv
	v_cmp_gt_u32_e64 s0, 16, v5
	s_delay_alu instid0(VALU_DEP_1) | instskip(SKIP_1) | instid1(VALU_DEP_2)
	v_cndmask_b32_e64 v2, 0, 1, s0
	v_cmp_gt_u32_e64 s0, 24, v5
	v_lshlrev_b32_e32 v2, 4, v2
	s_delay_alu instid0(VALU_DEP_2) | instskip(SKIP_1) | instid1(VALU_DEP_3)
	v_cndmask_b32_e64 v3, 0, 1, s0
	v_cmp_gt_u32_e64 s0, 28, v5
	v_add_lshl_u32 v2, v2, v5, 2
	ds_bpermute_b32 v2, v2, v7
	s_waitcnt lgkmcnt(0)
	v_dual_add_f32 v6, v7, v2 :: v_dual_lshlrev_b32 v3, 3, v3
	s_delay_alu instid0(VALU_DEP_1) | instskip(SKIP_4) | instid1(VALU_DEP_1)
	v_add_lshl_u32 v3, v3, v5, 2
	v_cndmask_b32_e64 v2, 0, 1, s0
	v_cmp_gt_u32_e64 s0, 30, v5
	ds_bpermute_b32 v3, v3, v6
	v_lshlrev_b32_e32 v2, 2, v2
	v_add_lshl_u32 v2, v2, v5, 2
	s_waitcnt lgkmcnt(0)
	v_add_f32_e32 v6, v6, v3
	v_cndmask_b32_e64 v3, 0, 1, s0
	v_cmp_ne_u32_e64 s0, 31, v5
	s_delay_alu instid0(VALU_DEP_2) | instskip(NEXT) | instid1(VALU_DEP_1)
	v_lshlrev_b32_e32 v3, 1, v3
	v_add_lshl_u32 v3, v3, v5, 2
	s_delay_alu instid0(VALU_DEP_3) | instskip(NEXT) | instid1(VALU_DEP_1)
	v_add_co_ci_u32_e64 v5, s0, 0, v5, s0
	v_lshlrev_b32_e32 v5, 2, v5
	ds_bpermute_b32 v7, v2, v6
	s_waitcnt lgkmcnt(0)
	v_add_f32_e32 v6, v6, v7
	ds_bpermute_b32 v7, v3, v6
	s_waitcnt lgkmcnt(0)
	v_add_f32_e32 v6, v6, v7
	ds_bpermute_b32 v7, v5, v6
	v_cmpx_eq_u32_e32 0, v4
	s_cbranch_execz .LBB606_36
; %bb.35:
	v_lshrrev_b32_e32 v4, 3, v0
	s_waitcnt lgkmcnt(0)
	v_add_f32_e32 v6, v6, v7
	s_delay_alu instid0(VALU_DEP_2)
	v_and_b32_e32 v4, 28, v4
	ds_store_b32 v4, v6
.LBB606_36:
	s_or_b32 exec_lo, exec_lo, s1
	v_mov_b32_e32 v4, 0
	s_mov_b32 s1, exec_lo
	s_waitcnt lgkmcnt(0)
	s_barrier
	buffer_gl0_inv
	v_cmpx_gt_u32_e32 8, v0
	s_cbranch_execz .LBB606_38
; %bb.37:
	ds_load_b32 v4, v1
.LBB606_38:
	s_or_b32 exec_lo, exec_lo, s1
	s_and_saveexec_b32 s0, vcc_lo
	s_cbranch_execz .LBB606_40
; %bb.39:
	s_waitcnt lgkmcnt(0)
	ds_bpermute_b32 v1, v2, v4
	s_waitcnt lgkmcnt(0)
	v_add_f32_e32 v1, v4, v1
	ds_bpermute_b32 v2, v3, v1
	s_waitcnt lgkmcnt(0)
	v_add_f32_e32 v1, v1, v2
	;; [unrolled: 3-line block ×3, first 2 shown]
.LBB606_40:
	s_or_b32 exec_lo, exec_lo, s0
	s_delay_alu instid0(SALU_CYCLE_1)
	s_mov_b32 s0, exec_lo
                                        ; implicit-def: $vgpr1
                                        ; implicit-def: $sgpr6_sgpr7
	v_cmpx_eq_u32_e32 0, v0
	s_cbranch_execz .LBB606_59
; %bb.41:
	v_cmp_eq_f32_e64 s1, s15, 0
	s_waitcnt lgkmcnt(0)
	v_mul_f32_e32 v0, s16, v4
	s_delay_alu instid0(VALU_DEP_2)
	s_and_b32 vcc_lo, exec_lo, s1
	s_cbranch_vccz .LBB606_47
; %bb.42:
	s_delay_alu instid0(VALU_DEP_1) | instskip(NEXT) | instid1(VALU_DEP_1)
	v_and_b32_e32 v1, 0x7f800000, v0
	v_cmp_ne_u32_e32 vcc_lo, 0x7f800000, v1
                                        ; implicit-def: $vgpr1
	s_and_saveexec_b32 s1, vcc_lo
	s_delay_alu instid0(SALU_CYCLE_1)
	s_xor_b32 s1, exec_lo, s1
; %bb.43:
	v_bfe_u32 v1, v0, 16, 1
	s_delay_alu instid0(VALU_DEP_1)
	v_add3_u32 v1, v0, v1, 0x7fff
; %bb.44:
	s_and_not1_saveexec_b32 s1, s1
; %bb.45:
	v_and_b32_e32 v1, 0xffff, v0
	v_or_b32_e32 v2, 0x10000, v0
	s_delay_alu instid0(VALU_DEP_2) | instskip(NEXT) | instid1(VALU_DEP_2)
	v_cmp_eq_u32_e32 vcc_lo, 0, v1
	v_cndmask_b32_e32 v1, v2, v0, vcc_lo
; %bb.46:
	s_or_b32 exec_lo, exec_lo, s1
	s_mul_i32 s6, s14, s17
	s_cbranch_execz .LBB606_48
	s_branch .LBB606_58
.LBB606_47:
                                        ; implicit-def: $vgpr1
	s_mul_i32 s6, s14, s17
.LBB606_48:
	s_delay_alu instid0(SALU_CYCLE_1) | instskip(SKIP_2) | instid1(SALU_CYCLE_1)
	s_ashr_i32 s7, s6, 31
	v_mov_b32_e32 v1, 0
	s_lshl_b64 s[2:3], s[6:7], 1
	s_add_u32 s2, s8, s2
	s_addc_u32 s3, s9, s3
	global_load_u16 v1, v1, s[2:3]
	s_waitcnt vmcnt(0)
	v_lshlrev_b32_e32 v1, 16, v1
	s_delay_alu instid0(VALU_DEP_1) | instskip(NEXT) | instid1(VALU_DEP_1)
	v_mul_f32_e32 v1, s15, v1
	v_and_b32_e32 v2, 0x7f800000, v1
	v_readfirstlane_b32 s1, v1
	s_delay_alu instid0(VALU_DEP_2)
	v_cmp_eq_u32_e32 vcc_lo, 0x7f800000, v2
	s_cbranch_vccnz .LBB606_50
; %bb.49:
	s_delay_alu instid0(VALU_DEP_2) | instskip(SKIP_2) | instid1(SALU_CYCLE_1)
	s_bfe_u32 s2, s1, 0x10010
	s_mov_b32 s3, 0
	s_add_i32 s2, s1, s2
	s_addk_i32 s2, 0x7fff
	s_branch .LBB606_51
.LBB606_50:
	s_mov_b32 s3, -1
                                        ; implicit-def: $sgpr2
.LBB606_51:
	s_delay_alu instid0(SALU_CYCLE_1)
	s_and_not1_b32 vcc_lo, exec_lo, s3
	s_cbranch_vccnz .LBB606_53
; %bb.52:
	s_and_b32 s2, s1, 0xffff
	s_or_b32 s3, s1, 0x10000
	s_cmp_eq_u32 s2, 0
	s_cselect_b32 s2, s1, s3
.LBB606_53:
	s_delay_alu instid0(SALU_CYCLE_1) | instskip(NEXT) | instid1(SALU_CYCLE_1)
	s_and_b32 s1, s2, 0xffff0000
	v_add_f32_e32 v0, s1, v0
	s_delay_alu instid0(VALU_DEP_1) | instskip(NEXT) | instid1(VALU_DEP_1)
	v_and_b32_e32 v1, 0x7f800000, v0
	v_cmp_ne_u32_e32 vcc_lo, 0x7f800000, v1
                                        ; implicit-def: $vgpr1
	s_and_saveexec_b32 s1, vcc_lo
	s_delay_alu instid0(SALU_CYCLE_1)
	s_xor_b32 s1, exec_lo, s1
; %bb.54:
	v_bfe_u32 v1, v0, 16, 1
	s_delay_alu instid0(VALU_DEP_1)
	v_add3_u32 v1, v0, v1, 0x7fff
                                        ; implicit-def: $vgpr0
; %bb.55:
	s_and_not1_saveexec_b32 s1, s1
; %bb.56:
	v_and_b32_e32 v1, 0xffff, v0
	v_or_b32_e32 v2, 0x10000, v0
	s_delay_alu instid0(VALU_DEP_2) | instskip(NEXT) | instid1(VALU_DEP_2)
	v_cmp_eq_u32_e32 vcc_lo, 0, v1
	v_cndmask_b32_e32 v1, v2, v0, vcc_lo
; %bb.57:
	s_or_b32 exec_lo, exec_lo, s1
.LBB606_58:
	s_delay_alu instid0(VALU_DEP_1)
	v_lshrrev_b32_e32 v1, 16, v1
	s_ashr_i32 s7, s6, 31
	s_or_b32 s10, s10, exec_lo
.LBB606_59:
	s_or_b32 exec_lo, exec_lo, s0
	s_and_saveexec_b32 s0, s10
	s_cbranch_execz .LBB606_61
.LBB606_60:
	s_lshl_b64 s[0:1], s[6:7], 1
	v_mov_b32_e32 v0, 0
	s_add_u32 s0, s8, s0
	s_addc_u32 s1, s9, s1
	global_store_b16 v0, v1, s[0:1]
.LBB606_61:
	s_nop 0
	s_sendmsg sendmsg(MSG_DEALLOC_VGPRS)
	s_endpgm
	.section	.rodata,"a",@progbits
	.p2align	6, 0x0
	.amdhsa_kernel _ZL32rocblas_gemvt_warp_reduce_kernelILb0ELi256EiPK16rocblas_bfloat16PKfKPS0_EviiT3_lPKT2_lT1_lSA_lSB_lS7_lPT4_lSB_li
		.amdhsa_group_segment_fixed_size 128
		.amdhsa_private_segment_fixed_size 0
		.amdhsa_kernarg_size 140
		.amdhsa_user_sgpr_count 14
		.amdhsa_user_sgpr_dispatch_ptr 0
		.amdhsa_user_sgpr_queue_ptr 0
		.amdhsa_user_sgpr_kernarg_segment_ptr 1
		.amdhsa_user_sgpr_dispatch_id 0
		.amdhsa_user_sgpr_private_segment_size 0
		.amdhsa_wavefront_size32 1
		.amdhsa_uses_dynamic_stack 0
		.amdhsa_enable_private_segment 0
		.amdhsa_system_sgpr_workgroup_id_x 1
		.amdhsa_system_sgpr_workgroup_id_y 0
		.amdhsa_system_sgpr_workgroup_id_z 1
		.amdhsa_system_sgpr_workgroup_info 0
		.amdhsa_system_vgpr_workitem_id 0
		.amdhsa_next_free_vgpr 11
		.amdhsa_next_free_sgpr 24
		.amdhsa_reserve_vcc 1
		.amdhsa_float_round_mode_32 0
		.amdhsa_float_round_mode_16_64 0
		.amdhsa_float_denorm_mode_32 3
		.amdhsa_float_denorm_mode_16_64 3
		.amdhsa_dx10_clamp 1
		.amdhsa_ieee_mode 1
		.amdhsa_fp16_overflow 0
		.amdhsa_workgroup_processor_mode 1
		.amdhsa_memory_ordered 1
		.amdhsa_forward_progress 0
		.amdhsa_shared_vgpr_count 0
		.amdhsa_exception_fp_ieee_invalid_op 0
		.amdhsa_exception_fp_denorm_src 0
		.amdhsa_exception_fp_ieee_div_zero 0
		.amdhsa_exception_fp_ieee_overflow 0
		.amdhsa_exception_fp_ieee_underflow 0
		.amdhsa_exception_fp_ieee_inexact 0
		.amdhsa_exception_int_div_zero 0
	.end_amdhsa_kernel
	.section	.text._ZL32rocblas_gemvt_warp_reduce_kernelILb0ELi256EiPK16rocblas_bfloat16PKfKPS0_EviiT3_lPKT2_lT1_lSA_lSB_lS7_lPT4_lSB_li,"axG",@progbits,_ZL32rocblas_gemvt_warp_reduce_kernelILb0ELi256EiPK16rocblas_bfloat16PKfKPS0_EviiT3_lPKT2_lT1_lSA_lSB_lS7_lPT4_lSB_li,comdat
.Lfunc_end606:
	.size	_ZL32rocblas_gemvt_warp_reduce_kernelILb0ELi256EiPK16rocblas_bfloat16PKfKPS0_EviiT3_lPKT2_lT1_lSA_lSB_lS7_lPT4_lSB_li, .Lfunc_end606-_ZL32rocblas_gemvt_warp_reduce_kernelILb0ELi256EiPK16rocblas_bfloat16PKfKPS0_EviiT3_lPKT2_lT1_lSA_lSB_lS7_lPT4_lSB_li
                                        ; -- End function
	.section	.AMDGPU.csdata,"",@progbits
; Kernel info:
; codeLenInByte = 2144
; NumSgprs: 26
; NumVgprs: 11
; ScratchSize: 0
; MemoryBound: 0
; FloatMode: 240
; IeeeMode: 1
; LDSByteSize: 128 bytes/workgroup (compile time only)
; SGPRBlocks: 3
; VGPRBlocks: 1
; NumSGPRsForWavesPerEU: 26
; NumVGPRsForWavesPerEU: 11
; Occupancy: 16
; WaveLimiterHint : 1
; COMPUTE_PGM_RSRC2:SCRATCH_EN: 0
; COMPUTE_PGM_RSRC2:USER_SGPR: 14
; COMPUTE_PGM_RSRC2:TRAP_HANDLER: 0
; COMPUTE_PGM_RSRC2:TGID_X_EN: 1
; COMPUTE_PGM_RSRC2:TGID_Y_EN: 0
; COMPUTE_PGM_RSRC2:TGID_Z_EN: 1
; COMPUTE_PGM_RSRC2:TIDIG_COMP_CNT: 0
	.section	.text._ZL32rocblas_gemvt_warp_reduce_kernelILb0ELi256ElPK16rocblas_bfloat16PKfKPS0_EviiT3_lPKT2_lT1_lSA_lSB_lS7_lPT4_lSB_li,"axG",@progbits,_ZL32rocblas_gemvt_warp_reduce_kernelILb0ELi256ElPK16rocblas_bfloat16PKfKPS0_EviiT3_lPKT2_lT1_lSA_lSB_lS7_lPT4_lSB_li,comdat
	.globl	_ZL32rocblas_gemvt_warp_reduce_kernelILb0ELi256ElPK16rocblas_bfloat16PKfKPS0_EviiT3_lPKT2_lT1_lSA_lSB_lS7_lPT4_lSB_li ; -- Begin function _ZL32rocblas_gemvt_warp_reduce_kernelILb0ELi256ElPK16rocblas_bfloat16PKfKPS0_EviiT3_lPKT2_lT1_lSA_lSB_lS7_lPT4_lSB_li
	.p2align	8
	.type	_ZL32rocblas_gemvt_warp_reduce_kernelILb0ELi256ElPK16rocblas_bfloat16PKfKPS0_EviiT3_lPKT2_lT1_lSA_lSB_lS7_lPT4_lSB_li,@function
_ZL32rocblas_gemvt_warp_reduce_kernelILb0ELi256ElPK16rocblas_bfloat16PKfKPS0_EviiT3_lPKT2_lT1_lSA_lSB_lS7_lPT4_lSB_li: ; @_ZL32rocblas_gemvt_warp_reduce_kernelILb0ELi256ElPK16rocblas_bfloat16PKfKPS0_EviiT3_lPKT2_lT1_lSA_lSB_lS7_lPT4_lSB_li
; %bb.0:
	s_clause 0x1
	s_load_b256 s[16:23], s[0:1], 0x8
	s_load_b256 s[4:11], s[0:1], 0x58
	s_mov_b32 s2, s15
	s_waitcnt lgkmcnt(0)
	s_mul_i32 s3, s15, s19
	s_mul_hi_u32 s13, s15, s18
	s_mul_i32 s12, s15, s18
	s_add_i32 s13, s13, s3
	s_mul_i32 s3, s15, s7
	s_lshl_b64 s[12:13], s[12:13], 2
	s_mul_hi_u32 s7, s15, s6
	s_add_u32 s12, s16, s12
	s_addc_u32 s13, s17, s13
	s_add_i32 s7, s7, s3
	s_mul_i32 s6, s15, s6
	s_delay_alu instid0(SALU_CYCLE_1) | instskip(NEXT) | instid1(SALU_CYCLE_1)
	s_lshl_b64 s[6:7], s[6:7], 2
	s_add_u32 s4, s4, s6
	s_addc_u32 s5, s5, s7
	s_load_b32 s28, s[12:13], 0x0
	s_load_b32 s15, s[4:5], 0x0
	s_waitcnt lgkmcnt(0)
	v_cmp_eq_f32_e64 s29, s28, 0
	v_cmp_eq_f32_e64 s3, s15, 1.0
	s_delay_alu instid0(VALU_DEP_1) | instskip(NEXT) | instid1(SALU_CYCLE_1)
	s_and_b32 s3, s29, s3
	s_and_b32 vcc_lo, exec_lo, s3
	s_mov_b32 s3, 0
	s_cbranch_vccnz .LBB607_62
; %bb.1:
	s_clause 0x1
	s_load_b64 s[24:25], s[0:1], 0x28
	s_load_b64 s[12:13], s[0:1], 0x78
	v_cmp_neq_f32_e64 s30, s28, 0
	s_mov_b64 s[16:17], 0
	s_and_b32 vcc_lo, exec_lo, s29
	s_mov_b64 s[26:27], 0
	s_cbranch_vccnz .LBB607_3
; %bb.2:
	s_lshl_b64 s[4:5], s[2:3], 3
	s_delay_alu instid0(SALU_CYCLE_1)
	s_add_u32 s4, s20, s4
	s_addc_u32 s5, s21, s5
	s_lshl_b64 s[6:7], s[22:23], 1
	s_load_b64 s[4:5], s[4:5], 0x0
	s_waitcnt lgkmcnt(0)
	s_add_u32 s26, s4, s6
	s_addc_u32 s27, s5, s7
.LBB607_3:
	s_clause 0x1
	s_load_b128 s[4:7], s[0:1], 0x38
	s_load_b64 s[18:19], s[0:1], 0x48
	s_and_not1_b32 vcc_lo, exec_lo, s30
	s_cbranch_vccnz .LBB607_5
; %bb.4:
	s_lshl_b64 s[16:17], s[2:3], 3
	s_waitcnt lgkmcnt(0)
	s_add_u32 s4, s4, s16
	s_addc_u32 s5, s5, s17
	s_lshl_b64 s[6:7], s[6:7], 1
	s_load_b64 s[4:5], s[4:5], 0x0
	s_waitcnt lgkmcnt(0)
	s_add_u32 s16, s4, s6
	s_addc_u32 s17, s5, s7
.LBB607_5:
	s_lshl_b64 s[2:3], s[2:3], 3
	s_delay_alu instid0(SALU_CYCLE_1)
	s_add_u32 s2, s8, s2
	s_addc_u32 s3, s9, s3
	s_waitcnt lgkmcnt(0)
	s_lshl_b64 s[6:7], s[10:11], 1
	s_load_b64 s[4:5], s[2:3], 0x0
	v_cmp_eq_u32_e64 s2, 0, v0
	s_waitcnt lgkmcnt(0)
	s_add_u32 s6, s4, s6
	s_addc_u32 s7, s5, s7
	s_and_not1_b32 vcc_lo, exec_lo, s29
	s_cbranch_vccnz .LBB607_10
; %bb.6:
	s_mov_b32 s3, 0
	s_mov_b32 s8, 0
                                        ; implicit-def: $sgpr10
                                        ; implicit-def: $sgpr4_sgpr5
	s_and_saveexec_b32 s9, s2
	s_cbranch_execz .LBB607_11
; %bb.7:
	v_cmp_eq_f32_e64 s2, s15, 0
	s_mul_i32 s4, s14, s13
	s_mul_hi_u32 s5, s14, s12
	s_ashr_i32 s8, s14, 31
	s_add_i32 s4, s5, s4
	s_mul_i32 s8, s8, s12
	s_mov_b32 s10, 0
	s_add_i32 s5, s4, s8
	s_and_b32 vcc_lo, exec_lo, s2
	s_mul_i32 s4, s14, s12
	s_cbranch_vccnz .LBB607_17
; %bb.8:
	s_lshl_b64 s[10:11], s[4:5], 1
	v_mov_b32_e32 v1, 0
	s_add_u32 s10, s6, s10
	s_addc_u32 s11, s7, s11
	global_load_u16 v1, v1, s[10:11]
	s_waitcnt vmcnt(0)
	v_lshlrev_b32_e32 v1, 16, v1
	s_delay_alu instid0(VALU_DEP_1) | instskip(NEXT) | instid1(VALU_DEP_1)
	v_mul_f32_e32 v1, s15, v1
	v_and_b32_e32 v2, 0x7f800000, v1
	v_readfirstlane_b32 s2, v1
	s_delay_alu instid0(VALU_DEP_2)
	v_cmp_eq_u32_e32 vcc_lo, 0x7f800000, v2
	s_cbranch_vccnz .LBB607_13
; %bb.9:
	s_delay_alu instid0(VALU_DEP_2) | instskip(SKIP_2) | instid1(SALU_CYCLE_1)
	s_bfe_u32 s8, s2, 0x10010
	s_mov_b32 s10, 0
	s_add_i32 s8, s2, s8
	s_addk_i32 s8, 0x7fff
	s_branch .LBB607_14
.LBB607_10:
	s_mov_b32 s8, 0
                                        ; implicit-def: $sgpr10
                                        ; implicit-def: $sgpr4_sgpr5
	s_cbranch_execz .LBB607_12
	s_branch .LBB607_18
.LBB607_11:
	s_or_b32 exec_lo, exec_lo, s9
	s_delay_alu instid0(SALU_CYCLE_1)
	s_and_b32 vcc_lo, exec_lo, s3
	s_cbranch_vccnz .LBB607_18
.LBB607_12:
	v_mov_b32_e32 v1, s10
	s_and_saveexec_b32 s0, s8
	s_cbranch_execnz .LBB607_61
	s_branch .LBB607_62
.LBB607_13:
	s_mov_b32 s10, -1
                                        ; implicit-def: $sgpr8
.LBB607_14:
	s_delay_alu instid0(SALU_CYCLE_1)
	s_and_not1_b32 vcc_lo, exec_lo, s10
	s_cbranch_vccnz .LBB607_16
; %bb.15:
	s_and_b32 s8, s2, 0xffff
	s_or_b32 s10, s2, 0x10000
	s_cmp_eq_u32 s8, 0
	s_cselect_b32 s8, s2, s10
.LBB607_16:
	s_delay_alu instid0(SALU_CYCLE_1)
	s_lshr_b32 s10, s8, 16
.LBB607_17:
	s_mov_b32 s8, exec_lo
	s_or_b32 exec_lo, exec_lo, s9
	s_delay_alu instid0(SALU_CYCLE_1)
	s_and_b32 vcc_lo, exec_lo, s3
	s_cbranch_vccz .LBB607_12
.LBB607_18:
	s_load_b32 s3, s[0:1], 0x0
	s_mul_i32 s0, s14, s25
	s_mul_hi_u32 s2, s14, s24
	s_ashr_i32 s1, s14, 31
	s_add_i32 s0, s2, s0
	s_mul_i32 s2, s1, s24
	s_mul_i32 s4, s14, s24
	s_add_i32 s5, s0, s2
	v_mov_b32_e32 v7, 0
	s_lshl_b64 s[4:5], s[4:5], 1
	s_mov_b32 s10, 0
	s_add_u32 s0, s4, s26
	s_addc_u32 s4, s5, s27
	s_mov_b32 s9, exec_lo
	s_waitcnt lgkmcnt(0)
	v_cmp_gt_i32_e32 vcc_lo, s3, v0
	s_ashr_i32 s2, s3, 31
	s_delay_alu instid0(SALU_CYCLE_1) | instskip(NEXT) | instid1(SALU_CYCLE_1)
	s_lshr_b32 s2, s2, 24
	s_add_i32 s2, s3, s2
	v_cndmask_b32_e32 v1, 0, v0, vcc_lo
	s_and_b32 s2, s2, 0xffffff00
	s_delay_alu instid0(VALU_DEP_1) | instskip(NEXT) | instid1(VALU_DEP_1)
	v_lshlrev_b32_e32 v1, 1, v1
	v_add_co_u32 v1, s0, s0, v1
	s_delay_alu instid0(VALU_DEP_1)
	v_add_co_ci_u32_e64 v2, null, s4, 0, s0
	v_cmpx_gt_i32_e64 s2, v0
	s_cbranch_execz .LBB607_26
; %bb.19:
	v_mad_u64_u32 v[3:4], null, s18, v0, 0
	v_mov_b32_e32 v8, v0
	s_lshl_b64 s[4:5], s[18:19], 9
	v_mov_b32_e32 v7, 0
	s_delay_alu instid0(VALU_DEP_3) | instskip(NEXT) | instid1(VALU_DEP_1)
	v_mad_u64_u32 v[5:6], null, s19, v0, v[4:5]
	v_mov_b32_e32 v4, v5
	s_delay_alu instid0(VALU_DEP_1) | instskip(SKIP_1) | instid1(VALU_DEP_2)
	v_lshlrev_b64 v[5:6], 1, v[3:4]
	v_dual_mov_b32 v4, v2 :: v_dual_mov_b32 v3, v1
	v_add_co_u32 v5, vcc_lo, s16, v5
	s_delay_alu instid0(VALU_DEP_3)
	v_add_co_ci_u32_e32 v6, vcc_lo, s17, v6, vcc_lo
	s_set_inst_prefetch_distance 0x1
	s_branch .LBB607_21
	.p2align	6
.LBB607_20:                             ;   in Loop: Header=BB607_21 Depth=1
	s_or_b32 exec_lo, exec_lo, s0
	s_delay_alu instid0(VALU_DEP_1) | instskip(SKIP_3) | instid1(VALU_DEP_4)
	v_and_b32_e32 v9, 0xffff0000, v10
	v_add_nc_u32_e32 v8, 0x100, v8
	v_add_co_u32 v3, vcc_lo, 0x200, v3
	v_add_co_ci_u32_e32 v4, vcc_lo, 0, v4, vcc_lo
	v_add_f32_e32 v7, v7, v9
	s_delay_alu instid0(VALU_DEP_4) | instskip(SKIP_1) | instid1(VALU_DEP_1)
	v_cmp_le_i32_e32 vcc_lo, s2, v8
	v_add_co_u32 v5, s0, v5, s4
	v_add_co_ci_u32_e64 v6, s0, s5, v6, s0
	s_or_b32 s10, vcc_lo, s10
	s_delay_alu instid0(SALU_CYCLE_1)
	s_and_not1_b32 exec_lo, exec_lo, s10
	s_cbranch_execz .LBB607_25
.LBB607_21:                             ; =>This Inner Loop Header: Depth=1
	flat_load_u16 v9, v[5:6]
	flat_load_u16 v10, v[3:4]
	s_waitcnt vmcnt(1) lgkmcnt(1)
	v_lshlrev_b32_e32 v9, 16, v9
	s_waitcnt vmcnt(0) lgkmcnt(0)
	v_lshlrev_b32_e32 v10, 16, v10
	s_delay_alu instid0(VALU_DEP_1) | instskip(NEXT) | instid1(VALU_DEP_1)
	v_mul_f32_e32 v9, v10, v9
	v_and_b32_e32 v10, 0x7f800000, v9
	s_delay_alu instid0(VALU_DEP_1) | instskip(SKIP_1) | instid1(SALU_CYCLE_1)
	v_cmp_ne_u32_e32 vcc_lo, 0x7f800000, v10
                                        ; implicit-def: $vgpr10
	s_and_saveexec_b32 s0, vcc_lo
	s_xor_b32 s0, exec_lo, s0
; %bb.22:                               ;   in Loop: Header=BB607_21 Depth=1
	v_bfe_u32 v10, v9, 16, 1
	s_delay_alu instid0(VALU_DEP_1)
	v_add3_u32 v10, v9, v10, 0x7fff
                                        ; implicit-def: $vgpr9
; %bb.23:                               ;   in Loop: Header=BB607_21 Depth=1
	s_and_not1_saveexec_b32 s0, s0
	s_cbranch_execz .LBB607_20
; %bb.24:                               ;   in Loop: Header=BB607_21 Depth=1
	v_and_b32_e32 v10, 0xffff, v9
	v_or_b32_e32 v11, 0x10000, v9
	s_delay_alu instid0(VALU_DEP_2) | instskip(NEXT) | instid1(VALU_DEP_2)
	v_cmp_eq_u32_e32 vcc_lo, 0, v10
	v_cndmask_b32_e32 v10, v11, v9, vcc_lo
	s_branch .LBB607_20
.LBB607_25:
	s_set_inst_prefetch_distance 0x2
	s_or_b32 exec_lo, exec_lo, s10
.LBB607_26:
	s_delay_alu instid0(SALU_CYCLE_1) | instskip(SKIP_2) | instid1(VALU_DEP_1)
	s_or_b32 exec_lo, exec_lo, s9
	v_add_nc_u32_e32 v3, s2, v0
	s_mov_b32 s0, exec_lo
	v_cmpx_gt_i32_e64 s3, v3
	s_cbranch_execz .LBB607_32
; %bb.27:
	v_ashrrev_i32_e32 v6, 31, v3
	v_mul_lo_u32 v8, v3, s19
	v_mad_u64_u32 v[4:5], null, v3, s18, 0
	s_ashr_i32 s3, s2, 31
	s_delay_alu instid0(VALU_DEP_3) | instskip(SKIP_1) | instid1(VALU_DEP_1)
	v_mul_lo_u32 v3, v6, s18
	s_lshl_b64 s[2:3], s[2:3], 1
	v_add3_u32 v5, v5, v8, v3
	s_delay_alu instid0(VALU_DEP_1) | instskip(NEXT) | instid1(VALU_DEP_1)
	v_lshlrev_b64 v[3:4], 1, v[4:5]
	v_add_co_u32 v3, vcc_lo, s16, v3
	s_delay_alu instid0(VALU_DEP_2)
	v_add_co_ci_u32_e32 v4, vcc_lo, s17, v4, vcc_lo
	v_add_co_u32 v1, vcc_lo, v1, s2
	v_add_co_ci_u32_e32 v2, vcc_lo, s3, v2, vcc_lo
	flat_load_u16 v3, v[3:4]
	flat_load_u16 v1, v[1:2]
	s_waitcnt vmcnt(1) lgkmcnt(1)
	v_lshlrev_b32_e32 v2, 16, v3
	s_waitcnt vmcnt(0) lgkmcnt(0)
	v_lshlrev_b32_e32 v1, 16, v1
	s_delay_alu instid0(VALU_DEP_1) | instskip(NEXT) | instid1(VALU_DEP_1)
	v_mul_f32_e32 v1, v1, v2
	v_and_b32_e32 v2, 0x7f800000, v1
	s_delay_alu instid0(VALU_DEP_1) | instskip(SKIP_1) | instid1(SALU_CYCLE_1)
	v_cmp_ne_u32_e32 vcc_lo, 0x7f800000, v2
                                        ; implicit-def: $vgpr2
	s_and_saveexec_b32 s2, vcc_lo
	s_xor_b32 s2, exec_lo, s2
; %bb.28:
	v_bfe_u32 v2, v1, 16, 1
	s_delay_alu instid0(VALU_DEP_1)
	v_add3_u32 v2, v1, v2, 0x7fff
                                        ; implicit-def: $vgpr1
; %bb.29:
	s_and_not1_saveexec_b32 s2, s2
; %bb.30:
	v_and_b32_e32 v2, 0xffff, v1
	v_or_b32_e32 v3, 0x10000, v1
	s_delay_alu instid0(VALU_DEP_2) | instskip(NEXT) | instid1(VALU_DEP_2)
	v_cmp_eq_u32_e32 vcc_lo, 0, v2
	v_cndmask_b32_e32 v2, v3, v1, vcc_lo
; %bb.31:
	s_or_b32 exec_lo, exec_lo, s2
	s_delay_alu instid0(VALU_DEP_1) | instskip(NEXT) | instid1(VALU_DEP_1)
	v_and_b32_e32 v1, 0xffff0000, v2
	v_add_f32_e32 v7, v7, v1
.LBB607_32:
	s_or_b32 exec_lo, exec_lo, s0
	v_and_b32_e32 v4, 31, v0
	v_cmp_gt_u32_e32 vcc_lo, 32, v0
	s_delay_alu instid0(VALU_DEP_2)
	v_lshlrev_b32_e32 v1, 2, v4
	s_and_saveexec_b32 s0, vcc_lo
	s_cbranch_execz .LBB607_34
; %bb.33:
	v_mov_b32_e32 v2, 0
	ds_store_b32 v1, v2
.LBB607_34:
	s_or_b32 exec_lo, exec_lo, s0
	v_mbcnt_lo_u32_b32 v5, -1, 0
	s_mov_b32 s2, exec_lo
	s_waitcnt lgkmcnt(0)
	s_barrier
	buffer_gl0_inv
	v_cmp_gt_u32_e64 s0, 16, v5
	s_delay_alu instid0(VALU_DEP_1) | instskip(SKIP_1) | instid1(VALU_DEP_2)
	v_cndmask_b32_e64 v2, 0, 1, s0
	v_cmp_gt_u32_e64 s0, 24, v5
	v_lshlrev_b32_e32 v2, 4, v2
	s_delay_alu instid0(VALU_DEP_2) | instskip(SKIP_1) | instid1(VALU_DEP_3)
	v_cndmask_b32_e64 v3, 0, 1, s0
	v_cmp_gt_u32_e64 s0, 28, v5
	v_add_lshl_u32 v2, v2, v5, 2
	ds_bpermute_b32 v2, v2, v7
	s_waitcnt lgkmcnt(0)
	v_dual_add_f32 v6, v7, v2 :: v_dual_lshlrev_b32 v3, 3, v3
	s_delay_alu instid0(VALU_DEP_1) | instskip(SKIP_4) | instid1(VALU_DEP_1)
	v_add_lshl_u32 v3, v3, v5, 2
	v_cndmask_b32_e64 v2, 0, 1, s0
	v_cmp_gt_u32_e64 s0, 30, v5
	ds_bpermute_b32 v3, v3, v6
	v_lshlrev_b32_e32 v2, 2, v2
	v_add_lshl_u32 v2, v2, v5, 2
	s_waitcnt lgkmcnt(0)
	v_add_f32_e32 v6, v6, v3
	v_cndmask_b32_e64 v3, 0, 1, s0
	v_cmp_ne_u32_e64 s0, 31, v5
	s_delay_alu instid0(VALU_DEP_2) | instskip(NEXT) | instid1(VALU_DEP_1)
	v_lshlrev_b32_e32 v3, 1, v3
	v_add_lshl_u32 v3, v3, v5, 2
	s_delay_alu instid0(VALU_DEP_3) | instskip(NEXT) | instid1(VALU_DEP_1)
	v_add_co_ci_u32_e64 v5, s0, 0, v5, s0
	v_lshlrev_b32_e32 v5, 2, v5
	ds_bpermute_b32 v7, v2, v6
	s_waitcnt lgkmcnt(0)
	v_add_f32_e32 v6, v6, v7
	ds_bpermute_b32 v7, v3, v6
	s_waitcnt lgkmcnt(0)
	v_add_f32_e32 v6, v6, v7
	ds_bpermute_b32 v7, v5, v6
	v_cmpx_eq_u32_e32 0, v4
	s_cbranch_execz .LBB607_36
; %bb.35:
	v_lshrrev_b32_e32 v4, 3, v0
	s_waitcnt lgkmcnt(0)
	v_add_f32_e32 v6, v6, v7
	s_delay_alu instid0(VALU_DEP_2)
	v_and_b32_e32 v4, 28, v4
	ds_store_b32 v4, v6
.LBB607_36:
	s_or_b32 exec_lo, exec_lo, s2
	v_mov_b32_e32 v4, 0
	s_mov_b32 s2, exec_lo
	s_waitcnt lgkmcnt(0)
	s_barrier
	buffer_gl0_inv
	v_cmpx_gt_u32_e32 8, v0
	s_cbranch_execz .LBB607_38
; %bb.37:
	ds_load_b32 v4, v1
.LBB607_38:
	s_or_b32 exec_lo, exec_lo, s2
	s_and_saveexec_b32 s0, vcc_lo
	s_cbranch_execz .LBB607_40
; %bb.39:
	s_waitcnt lgkmcnt(0)
	ds_bpermute_b32 v1, v2, v4
	s_waitcnt lgkmcnt(0)
	v_add_f32_e32 v1, v4, v1
	ds_bpermute_b32 v2, v3, v1
	s_waitcnt lgkmcnt(0)
	v_add_f32_e32 v1, v1, v2
	;; [unrolled: 3-line block ×3, first 2 shown]
.LBB607_40:
	s_or_b32 exec_lo, exec_lo, s0
	s_delay_alu instid0(SALU_CYCLE_1)
	s_mov_b32 s0, exec_lo
                                        ; implicit-def: $vgpr1
                                        ; implicit-def: $sgpr4_sgpr5
	v_cmpx_eq_u32_e32 0, v0
	s_cbranch_execz .LBB607_60
; %bb.41:
	v_cmp_eq_f32_e64 s2, s15, 0
	s_waitcnt lgkmcnt(0)
	v_mul_f32_e32 v0, s28, v4
	s_delay_alu instid0(VALU_DEP_2)
	s_and_b32 vcc_lo, exec_lo, s2
	s_cbranch_vccz .LBB607_47
; %bb.42:
	s_delay_alu instid0(VALU_DEP_1) | instskip(NEXT) | instid1(VALU_DEP_1)
	v_and_b32_e32 v1, 0x7f800000, v0
	v_cmp_ne_u32_e32 vcc_lo, 0x7f800000, v1
                                        ; implicit-def: $vgpr1
	s_and_saveexec_b32 s2, vcc_lo
	s_delay_alu instid0(SALU_CYCLE_1)
	s_xor_b32 s2, exec_lo, s2
; %bb.43:
	v_bfe_u32 v1, v0, 16, 1
	s_delay_alu instid0(VALU_DEP_1)
	v_add3_u32 v1, v0, v1, 0x7fff
; %bb.44:
	s_and_not1_saveexec_b32 s2, s2
; %bb.45:
	v_and_b32_e32 v1, 0xffff, v0
	v_or_b32_e32 v2, 0x10000, v0
	s_delay_alu instid0(VALU_DEP_2) | instskip(NEXT) | instid1(VALU_DEP_2)
	v_cmp_eq_u32_e32 vcc_lo, 0, v1
	v_cndmask_b32_e32 v1, v2, v0, vcc_lo
; %bb.46:
	s_or_b32 exec_lo, exec_lo, s2
	s_mov_b32 s4, 0
	s_branch .LBB607_48
.LBB607_47:
	s_mov_b32 s4, -1
                                        ; implicit-def: $vgpr1
.LBB607_48:
	s_mul_i32 s2, s14, s13
	s_mul_hi_u32 s3, s14, s12
	s_and_not1_b32 vcc_lo, exec_lo, s4
	s_mul_i32 s1, s1, s12
	s_mul_i32 s4, s14, s12
	s_cbranch_vccnz .LBB607_59
; %bb.49:
	s_add_i32 s5, s3, s2
	v_mov_b32_e32 v1, 0
	s_add_i32 s5, s5, s1
	s_delay_alu instid0(SALU_CYCLE_1) | instskip(NEXT) | instid1(SALU_CYCLE_1)
	s_lshl_b64 s[10:11], s[4:5], 1
	s_add_u32 s10, s6, s10
	s_addc_u32 s11, s7, s11
	global_load_u16 v1, v1, s[10:11]
	s_waitcnt vmcnt(0)
	v_lshlrev_b32_e32 v1, 16, v1
	s_delay_alu instid0(VALU_DEP_1) | instskip(NEXT) | instid1(VALU_DEP_1)
	v_mul_f32_e32 v1, s15, v1
	v_and_b32_e32 v2, 0x7f800000, v1
	v_readfirstlane_b32 s5, v1
	s_delay_alu instid0(VALU_DEP_2)
	v_cmp_eq_u32_e32 vcc_lo, 0x7f800000, v2
	s_cbranch_vccnz .LBB607_51
; %bb.50:
	s_delay_alu instid0(VALU_DEP_2) | instskip(SKIP_2) | instid1(SALU_CYCLE_1)
	s_bfe_u32 s9, s5, 0x10010
	s_mov_b32 s10, 0
	s_add_i32 s9, s5, s9
	s_addk_i32 s9, 0x7fff
	s_branch .LBB607_52
.LBB607_51:
	s_mov_b32 s10, -1
                                        ; implicit-def: $sgpr9
.LBB607_52:
	s_delay_alu instid0(SALU_CYCLE_1)
	s_and_not1_b32 vcc_lo, exec_lo, s10
	s_cbranch_vccnz .LBB607_54
; %bb.53:
	s_and_b32 s9, s5, 0xffff
	s_or_b32 s10, s5, 0x10000
	s_cmp_eq_u32 s9, 0
	s_cselect_b32 s9, s5, s10
.LBB607_54:
	s_delay_alu instid0(SALU_CYCLE_1) | instskip(NEXT) | instid1(SALU_CYCLE_1)
	s_and_b32 s5, s9, 0xffff0000
	v_add_f32_e32 v0, s5, v0
	s_delay_alu instid0(VALU_DEP_1) | instskip(NEXT) | instid1(VALU_DEP_1)
	v_and_b32_e32 v1, 0x7f800000, v0
	v_cmp_ne_u32_e32 vcc_lo, 0x7f800000, v1
                                        ; implicit-def: $vgpr1
	s_and_saveexec_b32 s5, vcc_lo
	s_delay_alu instid0(SALU_CYCLE_1)
	s_xor_b32 s5, exec_lo, s5
; %bb.55:
	v_bfe_u32 v1, v0, 16, 1
	s_delay_alu instid0(VALU_DEP_1)
	v_add3_u32 v1, v0, v1, 0x7fff
                                        ; implicit-def: $vgpr0
; %bb.56:
	s_and_not1_saveexec_b32 s5, s5
; %bb.57:
	v_and_b32_e32 v1, 0xffff, v0
	v_or_b32_e32 v2, 0x10000, v0
	s_delay_alu instid0(VALU_DEP_2) | instskip(NEXT) | instid1(VALU_DEP_2)
	v_cmp_eq_u32_e32 vcc_lo, 0, v1
	v_cndmask_b32_e32 v1, v2, v0, vcc_lo
; %bb.58:
	s_or_b32 exec_lo, exec_lo, s5
.LBB607_59:
	s_delay_alu instid0(VALU_DEP_1)
	v_lshrrev_b32_e32 v1, 16, v1
	s_add_i32 s2, s3, s2
	s_or_b32 s8, s8, exec_lo
	s_add_i32 s5, s2, s1
.LBB607_60:
	s_or_b32 exec_lo, exec_lo, s0
	s_and_saveexec_b32 s0, s8
	s_cbranch_execz .LBB607_62
.LBB607_61:
	s_lshl_b64 s[0:1], s[4:5], 1
	v_mov_b32_e32 v0, 0
	s_add_u32 s0, s6, s0
	s_addc_u32 s1, s7, s1
	global_store_b16 v0, v1, s[0:1]
.LBB607_62:
	s_nop 0
	s_sendmsg sendmsg(MSG_DEALLOC_VGPRS)
	s_endpgm
	.section	.rodata,"a",@progbits
	.p2align	6, 0x0
	.amdhsa_kernel _ZL32rocblas_gemvt_warp_reduce_kernelILb0ELi256ElPK16rocblas_bfloat16PKfKPS0_EviiT3_lPKT2_lT1_lSA_lSB_lS7_lPT4_lSB_li
		.amdhsa_group_segment_fixed_size 128
		.amdhsa_private_segment_fixed_size 0
		.amdhsa_kernarg_size 140
		.amdhsa_user_sgpr_count 14
		.amdhsa_user_sgpr_dispatch_ptr 0
		.amdhsa_user_sgpr_queue_ptr 0
		.amdhsa_user_sgpr_kernarg_segment_ptr 1
		.amdhsa_user_sgpr_dispatch_id 0
		.amdhsa_user_sgpr_private_segment_size 0
		.amdhsa_wavefront_size32 1
		.amdhsa_uses_dynamic_stack 0
		.amdhsa_enable_private_segment 0
		.amdhsa_system_sgpr_workgroup_id_x 1
		.amdhsa_system_sgpr_workgroup_id_y 0
		.amdhsa_system_sgpr_workgroup_id_z 1
		.amdhsa_system_sgpr_workgroup_info 0
		.amdhsa_system_vgpr_workitem_id 0
		.amdhsa_next_free_vgpr 12
		.amdhsa_next_free_sgpr 31
		.amdhsa_reserve_vcc 1
		.amdhsa_float_round_mode_32 0
		.amdhsa_float_round_mode_16_64 0
		.amdhsa_float_denorm_mode_32 3
		.amdhsa_float_denorm_mode_16_64 3
		.amdhsa_dx10_clamp 1
		.amdhsa_ieee_mode 1
		.amdhsa_fp16_overflow 0
		.amdhsa_workgroup_processor_mode 1
		.amdhsa_memory_ordered 1
		.amdhsa_forward_progress 0
		.amdhsa_shared_vgpr_count 0
		.amdhsa_exception_fp_ieee_invalid_op 0
		.amdhsa_exception_fp_denorm_src 0
		.amdhsa_exception_fp_ieee_div_zero 0
		.amdhsa_exception_fp_ieee_overflow 0
		.amdhsa_exception_fp_ieee_underflow 0
		.amdhsa_exception_fp_ieee_inexact 0
		.amdhsa_exception_int_div_zero 0
	.end_amdhsa_kernel
	.section	.text._ZL32rocblas_gemvt_warp_reduce_kernelILb0ELi256ElPK16rocblas_bfloat16PKfKPS0_EviiT3_lPKT2_lT1_lSA_lSB_lS7_lPT4_lSB_li,"axG",@progbits,_ZL32rocblas_gemvt_warp_reduce_kernelILb0ELi256ElPK16rocblas_bfloat16PKfKPS0_EviiT3_lPKT2_lT1_lSA_lSB_lS7_lPT4_lSB_li,comdat
.Lfunc_end607:
	.size	_ZL32rocblas_gemvt_warp_reduce_kernelILb0ELi256ElPK16rocblas_bfloat16PKfKPS0_EviiT3_lPKT2_lT1_lSA_lSB_lS7_lPT4_lSB_li, .Lfunc_end607-_ZL32rocblas_gemvt_warp_reduce_kernelILb0ELi256ElPK16rocblas_bfloat16PKfKPS0_EviiT3_lPKT2_lT1_lSA_lSB_lS7_lPT4_lSB_li
                                        ; -- End function
	.section	.AMDGPU.csdata,"",@progbits
; Kernel info:
; codeLenInByte = 2268
; NumSgprs: 33
; NumVgprs: 12
; ScratchSize: 0
; MemoryBound: 0
; FloatMode: 240
; IeeeMode: 1
; LDSByteSize: 128 bytes/workgroup (compile time only)
; SGPRBlocks: 4
; VGPRBlocks: 1
; NumSGPRsForWavesPerEU: 33
; NumVGPRsForWavesPerEU: 12
; Occupancy: 16
; WaveLimiterHint : 1
; COMPUTE_PGM_RSRC2:SCRATCH_EN: 0
; COMPUTE_PGM_RSRC2:USER_SGPR: 14
; COMPUTE_PGM_RSRC2:TRAP_HANDLER: 0
; COMPUTE_PGM_RSRC2:TGID_X_EN: 1
; COMPUTE_PGM_RSRC2:TGID_Y_EN: 0
; COMPUTE_PGM_RSRC2:TGID_Z_EN: 1
; COMPUTE_PGM_RSRC2:TIDIG_COMP_CNT: 0
	.section	.text._ZL32rocblas_gemvt_warp_reduce_kernelILb0ELi256EiPK16rocblas_bfloat16fKPS0_EviiT3_lPKT2_lT1_lS8_lS9_lS5_lPT4_lS9_li,"axG",@progbits,_ZL32rocblas_gemvt_warp_reduce_kernelILb0ELi256EiPK16rocblas_bfloat16fKPS0_EviiT3_lPKT2_lT1_lS8_lS9_lS5_lPT4_lS9_li,comdat
	.globl	_ZL32rocblas_gemvt_warp_reduce_kernelILb0ELi256EiPK16rocblas_bfloat16fKPS0_EviiT3_lPKT2_lT1_lS8_lS9_lS5_lPT4_lS9_li ; -- Begin function _ZL32rocblas_gemvt_warp_reduce_kernelILb0ELi256EiPK16rocblas_bfloat16fKPS0_EviiT3_lPKT2_lT1_lS8_lS9_lS5_lPT4_lS9_li
	.p2align	8
	.type	_ZL32rocblas_gemvt_warp_reduce_kernelILb0ELi256EiPK16rocblas_bfloat16fKPS0_EviiT3_lPKT2_lT1_lS8_lS9_lS5_lPT4_lS9_li,@function
_ZL32rocblas_gemvt_warp_reduce_kernelILb0ELi256EiPK16rocblas_bfloat16fKPS0_EviiT3_lPKT2_lT1_lS8_lS9_lS5_lPT4_lS9_li: ; @_ZL32rocblas_gemvt_warp_reduce_kernelILb0ELi256EiPK16rocblas_bfloat16fKPS0_EviiT3_lPKT2_lT1_lS8_lS9_lS5_lPT4_lS9_li
; %bb.0:
	s_clause 0x1
	s_load_b32 s13, s[0:1], 0x8
	s_load_b32 s12, s[0:1], 0x58
	s_waitcnt lgkmcnt(0)
	v_cmp_eq_f32_e64 s6, s13, 0
	v_cmp_eq_f32_e64 s3, s12, 1.0
	s_delay_alu instid0(VALU_DEP_1) | instskip(NEXT) | instid1(SALU_CYCLE_1)
	s_and_b32 s3, s6, s3
	s_and_b32 vcc_lo, exec_lo, s3
	s_cbranch_vccnz .LBB608_64
; %bb.1:
	v_cmp_neq_f32_e64 s4, s13, 0
	s_mov_b32 s2, s15
	s_delay_alu instid0(VALU_DEP_1)
	s_and_b32 vcc_lo, exec_lo, s4
	s_cbranch_vccnz .LBB608_3
; %bb.2:
	s_mov_b32 s3, 0
	s_mov_b64 s[8:9], 0
	s_cbranch_execz .LBB608_4
	s_branch .LBB608_5
.LBB608_3:
	s_mov_b32 s3, -1
                                        ; implicit-def: $sgpr8_sgpr9
.LBB608_4:
	s_load_b128 s[8:11], s[0:1], 0x18
	s_mov_b32 s3, 0
	s_delay_alu instid0(SALU_CYCLE_1)
	s_lshl_b64 s[16:17], s[2:3], 3
	s_waitcnt lgkmcnt(0)
	s_add_u32 s8, s8, s16
	s_addc_u32 s9, s9, s17
	s_lshl_b64 s[10:11], s[10:11], 1
	s_load_b64 s[8:9], s[8:9], 0x0
	s_waitcnt lgkmcnt(0)
	s_add_u32 s8, s8, s10
	s_addc_u32 s9, s9, s11
.LBB608_5:
	s_and_not1_b32 vcc_lo, exec_lo, s4
	s_cbranch_vccnz .LBB608_7
; %bb.6:
	s_load_b128 s[16:19], s[0:1], 0x38
	s_lshl_b64 s[4:5], s[2:3], 3
	s_waitcnt lgkmcnt(0)
	s_add_u32 s4, s16, s4
	s_addc_u32 s5, s17, s5
	s_lshl_b64 s[10:11], s[18:19], 1
	s_load_b64 s[4:5], s[4:5], 0x0
	s_waitcnt lgkmcnt(0)
	s_add_u32 s4, s4, s10
	s_addc_u32 s5, s5, s11
	s_branch .LBB608_8
.LBB608_7:
	s_mov_b64 s[4:5], 0
.LBB608_8:
	s_clause 0x1
	s_load_b128 s[20:23], s[0:1], 0x68
	s_load_b32 s16, s[0:1], 0x78
	s_lshl_b64 s[2:3], s[2:3], 3
	s_waitcnt lgkmcnt(0)
	s_add_u32 s2, s20, s2
	s_addc_u32 s3, s21, s3
	s_lshl_b64 s[18:19], s[22:23], 1
	s_load_b64 s[10:11], s[2:3], 0x0
	v_cmp_eq_u32_e64 s2, 0, v0
	s_waitcnt lgkmcnt(0)
	s_add_u32 s10, s10, s18
	s_addc_u32 s11, s11, s19
	s_and_not1_b32 vcc_lo, exec_lo, s6
	s_cbranch_vccnz .LBB608_13
; %bb.9:
	s_mov_b32 s3, 0
	s_mov_b32 s15, 0
                                        ; implicit-def: $sgpr18
                                        ; implicit-def: $sgpr6_sgpr7
	s_and_saveexec_b32 s17, s2
	s_cbranch_execz .LBB608_14
; %bb.10:
	v_cmp_eq_f32_e64 s2, s12, 0
	s_mul_i32 s6, s14, s16
	s_mov_b32 s18, 0
	s_ashr_i32 s7, s6, 31
	s_delay_alu instid0(VALU_DEP_1)
	s_and_b32 vcc_lo, exec_lo, s2
	s_cbranch_vccnz .LBB608_20
; %bb.11:
	s_lshl_b64 s[18:19], s[6:7], 1
	v_mov_b32_e32 v1, 0
	s_add_u32 s18, s10, s18
	s_addc_u32 s19, s11, s19
	global_load_u16 v1, v1, s[18:19]
	s_waitcnt vmcnt(0)
	v_lshlrev_b32_e32 v1, 16, v1
	s_delay_alu instid0(VALU_DEP_1) | instskip(NEXT) | instid1(VALU_DEP_1)
	v_mul_f32_e32 v1, s12, v1
	v_and_b32_e32 v2, 0x7f800000, v1
	v_readfirstlane_b32 s2, v1
	s_delay_alu instid0(VALU_DEP_2)
	v_cmp_eq_u32_e32 vcc_lo, 0x7f800000, v2
	s_cbranch_vccnz .LBB608_16
; %bb.12:
	s_delay_alu instid0(VALU_DEP_2) | instskip(SKIP_2) | instid1(SALU_CYCLE_1)
	s_bfe_u32 s15, s2, 0x10010
	s_mov_b32 s18, 0
	s_add_i32 s15, s2, s15
	s_addk_i32 s15, 0x7fff
	s_branch .LBB608_17
.LBB608_13:
	s_mov_b32 s15, 0
                                        ; implicit-def: $sgpr18
                                        ; implicit-def: $sgpr6_sgpr7
	s_cbranch_execz .LBB608_15
	s_branch .LBB608_21
.LBB608_14:
	s_or_b32 exec_lo, exec_lo, s17
	s_delay_alu instid0(SALU_CYCLE_1)
	s_and_b32 vcc_lo, exec_lo, s3
	s_cbranch_vccnz .LBB608_21
.LBB608_15:
	v_mov_b32_e32 v1, s18
	s_and_saveexec_b32 s0, s15
	s_cbranch_execnz .LBB608_63
	s_branch .LBB608_64
.LBB608_16:
	s_mov_b32 s18, -1
                                        ; implicit-def: $sgpr15
.LBB608_17:
	s_delay_alu instid0(SALU_CYCLE_1)
	s_and_not1_b32 vcc_lo, exec_lo, s18
	s_cbranch_vccnz .LBB608_19
; %bb.18:
	s_and_b32 s15, s2, 0xffff
	s_or_b32 s18, s2, 0x10000
	s_cmp_eq_u32 s15, 0
	s_cselect_b32 s15, s2, s18
.LBB608_19:
	s_delay_alu instid0(SALU_CYCLE_1)
	s_lshr_b32 s18, s15, 16
.LBB608_20:
	s_mov_b32 s15, exec_lo
	s_or_b32 exec_lo, exec_lo, s17
	s_delay_alu instid0(SALU_CYCLE_1)
	s_and_b32 vcc_lo, exec_lo, s3
	s_cbranch_vccz .LBB608_15
.LBB608_21:
	s_clause 0x2
	s_load_b32 s2, s[0:1], 0x28
	s_load_b32 s3, s[0:1], 0x0
	;; [unrolled: 1-line block ×3, first 2 shown]
	v_mov_b32_e32 v7, 0
	s_waitcnt lgkmcnt(0)
	s_mul_i32 s6, s14, s2
	v_cmp_gt_i32_e32 vcc_lo, s3, v0
	s_ashr_i32 s7, s6, 31
	s_delay_alu instid0(SALU_CYCLE_1)
	s_lshl_b64 s[6:7], s[6:7], 1
	v_cndmask_b32_e32 v1, 0, v0, vcc_lo
	s_add_u32 s0, s6, s8
	s_addc_u32 s6, s7, s9
	s_ashr_i32 s2, s3, 31
	s_mov_b32 s7, 0
	v_lshlrev_b32_e32 v1, 1, v1
	s_lshr_b32 s2, s2, 24
	s_delay_alu instid0(SALU_CYCLE_1) | instskip(NEXT) | instid1(SALU_CYCLE_1)
	s_add_i32 s2, s3, s2
	s_and_b32 s2, s2, 0xffffff00
	s_delay_alu instid0(VALU_DEP_1) | instskip(NEXT) | instid1(VALU_DEP_1)
	v_add_co_u32 v1, s0, s0, v1
	v_add_co_ci_u32_e64 v2, null, s6, 0, s0
	s_mov_b32 s6, exec_lo
	v_cmpx_gt_i32_e64 s2, v0
	s_cbranch_execz .LBB608_29
; %bb.22:
	v_mul_lo_u32 v3, v0, s1
	v_dual_mov_b32 v7, 0 :: v_dual_mov_b32 v6, v2
	v_dual_mov_b32 v5, v1 :: v_dual_mov_b32 v8, v0
	s_lshl_b32 s8, s1, 8
	s_branch .LBB608_24
.LBB608_23:                             ;   in Loop: Header=BB608_24 Depth=1
	s_or_b32 exec_lo, exec_lo, s0
	v_add_nc_u32_e32 v8, 0x100, v8
	s_delay_alu instid0(VALU_DEP_2) | instskip(SKIP_1) | instid1(VALU_DEP_1)
	v_and_b32_e32 v4, 0xffff0000, v9
	v_add_co_u32 v5, s0, 0x200, v5
	v_add_co_ci_u32_e64 v6, s0, 0, v6, s0
	s_delay_alu instid0(VALU_DEP_4) | instskip(NEXT) | instid1(VALU_DEP_4)
	v_cmp_le_i32_e32 vcc_lo, s2, v8
	v_add_f32_e32 v7, v7, v4
	v_add_nc_u32_e32 v3, s8, v3
	s_or_b32 s7, vcc_lo, s7
	s_delay_alu instid0(SALU_CYCLE_1)
	s_and_not1_b32 exec_lo, exec_lo, s7
	s_cbranch_execz .LBB608_28
.LBB608_24:                             ; =>This Inner Loop Header: Depth=1
	s_delay_alu instid0(VALU_DEP_1) | instskip(NEXT) | instid1(VALU_DEP_1)
	v_ashrrev_i32_e32 v4, 31, v3
	v_lshlrev_b64 v[9:10], 1, v[3:4]
	s_delay_alu instid0(VALU_DEP_1) | instskip(NEXT) | instid1(VALU_DEP_2)
	v_add_co_u32 v9, vcc_lo, s4, v9
	v_add_co_ci_u32_e32 v10, vcc_lo, s5, v10, vcc_lo
	flat_load_u16 v4, v[5:6]
	flat_load_u16 v9, v[9:10]
	s_waitcnt vmcnt(1) lgkmcnt(1)
	v_lshlrev_b32_e32 v4, 16, v4
	s_waitcnt vmcnt(0) lgkmcnt(0)
	v_lshlrev_b32_e32 v9, 16, v9
	s_delay_alu instid0(VALU_DEP_1) | instskip(NEXT) | instid1(VALU_DEP_1)
	v_mul_f32_e32 v4, v4, v9
	v_and_b32_e32 v9, 0x7f800000, v4
	s_delay_alu instid0(VALU_DEP_1) | instskip(SKIP_1) | instid1(SALU_CYCLE_1)
	v_cmp_ne_u32_e32 vcc_lo, 0x7f800000, v9
                                        ; implicit-def: $vgpr9
	s_and_saveexec_b32 s0, vcc_lo
	s_xor_b32 s0, exec_lo, s0
; %bb.25:                               ;   in Loop: Header=BB608_24 Depth=1
	v_bfe_u32 v9, v4, 16, 1
	s_delay_alu instid0(VALU_DEP_1)
	v_add3_u32 v9, v4, v9, 0x7fff
                                        ; implicit-def: $vgpr4
; %bb.26:                               ;   in Loop: Header=BB608_24 Depth=1
	s_and_not1_saveexec_b32 s0, s0
	s_cbranch_execz .LBB608_23
; %bb.27:                               ;   in Loop: Header=BB608_24 Depth=1
	v_and_b32_e32 v9, 0xffff, v4
	v_or_b32_e32 v10, 0x10000, v4
	s_delay_alu instid0(VALU_DEP_2) | instskip(NEXT) | instid1(VALU_DEP_2)
	v_cmp_eq_u32_e32 vcc_lo, 0, v9
	v_cndmask_b32_e32 v9, v10, v4, vcc_lo
	s_branch .LBB608_23
.LBB608_28:
	s_or_b32 exec_lo, exec_lo, s7
.LBB608_29:
	s_delay_alu instid0(SALU_CYCLE_1) | instskip(SKIP_2) | instid1(VALU_DEP_1)
	s_or_b32 exec_lo, exec_lo, s6
	v_add_nc_u32_e32 v3, s2, v0
	s_mov_b32 s0, exec_lo
	v_cmpx_gt_i32_e64 s3, v3
	s_cbranch_execz .LBB608_35
; %bb.30:
	v_mul_lo_u32 v3, v3, s1
	s_ashr_i32 s3, s2, 31
	s_delay_alu instid0(SALU_CYCLE_1) | instskip(NEXT) | instid1(VALU_DEP_1)
	s_lshl_b64 s[2:3], s[2:3], 1
	v_ashrrev_i32_e32 v4, 31, v3
	s_delay_alu instid0(VALU_DEP_1) | instskip(NEXT) | instid1(VALU_DEP_1)
	v_lshlrev_b64 v[3:4], 1, v[3:4]
	v_add_co_u32 v3, vcc_lo, s4, v3
	s_delay_alu instid0(VALU_DEP_2)
	v_add_co_ci_u32_e32 v4, vcc_lo, s5, v4, vcc_lo
	v_add_co_u32 v1, vcc_lo, v1, s2
	v_add_co_ci_u32_e32 v2, vcc_lo, s3, v2, vcc_lo
	flat_load_u16 v3, v[3:4]
	flat_load_u16 v1, v[1:2]
	s_waitcnt vmcnt(1) lgkmcnt(1)
	v_lshlrev_b32_e32 v2, 16, v3
	s_waitcnt vmcnt(0) lgkmcnt(0)
	v_lshlrev_b32_e32 v1, 16, v1
	s_delay_alu instid0(VALU_DEP_1) | instskip(NEXT) | instid1(VALU_DEP_1)
	v_mul_f32_e32 v1, v1, v2
	v_and_b32_e32 v2, 0x7f800000, v1
	s_delay_alu instid0(VALU_DEP_1) | instskip(SKIP_1) | instid1(SALU_CYCLE_1)
	v_cmp_ne_u32_e32 vcc_lo, 0x7f800000, v2
                                        ; implicit-def: $vgpr2
	s_and_saveexec_b32 s1, vcc_lo
	s_xor_b32 s1, exec_lo, s1
; %bb.31:
	v_bfe_u32 v2, v1, 16, 1
	s_delay_alu instid0(VALU_DEP_1)
	v_add3_u32 v2, v1, v2, 0x7fff
                                        ; implicit-def: $vgpr1
; %bb.32:
	s_and_not1_saveexec_b32 s1, s1
; %bb.33:
	v_and_b32_e32 v2, 0xffff, v1
	v_or_b32_e32 v3, 0x10000, v1
	s_delay_alu instid0(VALU_DEP_2) | instskip(NEXT) | instid1(VALU_DEP_2)
	v_cmp_eq_u32_e32 vcc_lo, 0, v2
	v_cndmask_b32_e32 v2, v3, v1, vcc_lo
; %bb.34:
	s_or_b32 exec_lo, exec_lo, s1
	s_delay_alu instid0(VALU_DEP_1) | instskip(NEXT) | instid1(VALU_DEP_1)
	v_and_b32_e32 v1, 0xffff0000, v2
	v_add_f32_e32 v7, v7, v1
.LBB608_35:
	s_or_b32 exec_lo, exec_lo, s0
	v_and_b32_e32 v4, 31, v0
	v_cmp_gt_u32_e32 vcc_lo, 32, v0
	s_delay_alu instid0(VALU_DEP_2)
	v_lshlrev_b32_e32 v1, 2, v4
	s_and_saveexec_b32 s0, vcc_lo
	s_cbranch_execz .LBB608_37
; %bb.36:
	v_mov_b32_e32 v2, 0
	ds_store_b32 v1, v2
.LBB608_37:
	s_or_b32 exec_lo, exec_lo, s0
	v_mbcnt_lo_u32_b32 v5, -1, 0
	s_mov_b32 s1, exec_lo
	s_waitcnt lgkmcnt(0)
	s_barrier
	buffer_gl0_inv
	v_cmp_gt_u32_e64 s0, 16, v5
	s_delay_alu instid0(VALU_DEP_1) | instskip(SKIP_1) | instid1(VALU_DEP_2)
	v_cndmask_b32_e64 v2, 0, 1, s0
	v_cmp_gt_u32_e64 s0, 24, v5
	v_lshlrev_b32_e32 v2, 4, v2
	s_delay_alu instid0(VALU_DEP_2) | instskip(SKIP_1) | instid1(VALU_DEP_3)
	v_cndmask_b32_e64 v3, 0, 1, s0
	v_cmp_gt_u32_e64 s0, 28, v5
	v_add_lshl_u32 v2, v2, v5, 2
	ds_bpermute_b32 v2, v2, v7
	s_waitcnt lgkmcnt(0)
	v_dual_add_f32 v6, v7, v2 :: v_dual_lshlrev_b32 v3, 3, v3
	s_delay_alu instid0(VALU_DEP_1) | instskip(SKIP_4) | instid1(VALU_DEP_1)
	v_add_lshl_u32 v3, v3, v5, 2
	v_cndmask_b32_e64 v2, 0, 1, s0
	v_cmp_gt_u32_e64 s0, 30, v5
	ds_bpermute_b32 v3, v3, v6
	v_lshlrev_b32_e32 v2, 2, v2
	v_add_lshl_u32 v2, v2, v5, 2
	s_waitcnt lgkmcnt(0)
	v_add_f32_e32 v6, v6, v3
	v_cndmask_b32_e64 v3, 0, 1, s0
	v_cmp_ne_u32_e64 s0, 31, v5
	s_delay_alu instid0(VALU_DEP_2) | instskip(NEXT) | instid1(VALU_DEP_1)
	v_lshlrev_b32_e32 v3, 1, v3
	v_add_lshl_u32 v3, v3, v5, 2
	s_delay_alu instid0(VALU_DEP_3) | instskip(NEXT) | instid1(VALU_DEP_1)
	v_add_co_ci_u32_e64 v5, s0, 0, v5, s0
	v_lshlrev_b32_e32 v5, 2, v5
	ds_bpermute_b32 v7, v2, v6
	s_waitcnt lgkmcnt(0)
	v_add_f32_e32 v6, v6, v7
	ds_bpermute_b32 v7, v3, v6
	s_waitcnt lgkmcnt(0)
	v_add_f32_e32 v6, v6, v7
	ds_bpermute_b32 v7, v5, v6
	v_cmpx_eq_u32_e32 0, v4
	s_cbranch_execz .LBB608_39
; %bb.38:
	v_lshrrev_b32_e32 v4, 3, v0
	s_waitcnt lgkmcnt(0)
	v_add_f32_e32 v6, v6, v7
	s_delay_alu instid0(VALU_DEP_2)
	v_and_b32_e32 v4, 28, v4
	ds_store_b32 v4, v6
.LBB608_39:
	s_or_b32 exec_lo, exec_lo, s1
	v_mov_b32_e32 v4, 0
	s_mov_b32 s1, exec_lo
	s_waitcnt lgkmcnt(0)
	s_barrier
	buffer_gl0_inv
	v_cmpx_gt_u32_e32 8, v0
	s_cbranch_execz .LBB608_41
; %bb.40:
	ds_load_b32 v4, v1
.LBB608_41:
	s_or_b32 exec_lo, exec_lo, s1
	s_and_saveexec_b32 s0, vcc_lo
	s_cbranch_execz .LBB608_43
; %bb.42:
	s_waitcnt lgkmcnt(0)
	ds_bpermute_b32 v1, v2, v4
	s_waitcnt lgkmcnt(0)
	v_add_f32_e32 v1, v4, v1
	ds_bpermute_b32 v2, v3, v1
	s_waitcnt lgkmcnt(0)
	v_add_f32_e32 v1, v1, v2
	ds_bpermute_b32 v2, v5, v1
	s_waitcnt lgkmcnt(0)
	v_add_f32_e32 v4, v1, v2
.LBB608_43:
	s_or_b32 exec_lo, exec_lo, s0
	s_delay_alu instid0(SALU_CYCLE_1)
	s_mov_b32 s0, exec_lo
                                        ; implicit-def: $vgpr1
                                        ; implicit-def: $sgpr6_sgpr7
	v_cmpx_eq_u32_e32 0, v0
	s_cbranch_execz .LBB608_62
; %bb.44:
	v_cmp_eq_f32_e64 s1, s12, 0
	s_waitcnt lgkmcnt(0)
	v_mul_f32_e32 v0, s13, v4
	s_delay_alu instid0(VALU_DEP_2)
	s_and_b32 vcc_lo, exec_lo, s1
	s_cbranch_vccz .LBB608_50
; %bb.45:
	s_delay_alu instid0(VALU_DEP_1) | instskip(NEXT) | instid1(VALU_DEP_1)
	v_and_b32_e32 v1, 0x7f800000, v0
	v_cmp_ne_u32_e32 vcc_lo, 0x7f800000, v1
                                        ; implicit-def: $vgpr1
	s_and_saveexec_b32 s1, vcc_lo
	s_delay_alu instid0(SALU_CYCLE_1)
	s_xor_b32 s1, exec_lo, s1
; %bb.46:
	v_bfe_u32 v1, v0, 16, 1
	s_delay_alu instid0(VALU_DEP_1)
	v_add3_u32 v1, v0, v1, 0x7fff
; %bb.47:
	s_and_not1_saveexec_b32 s1, s1
; %bb.48:
	v_and_b32_e32 v1, 0xffff, v0
	v_or_b32_e32 v2, 0x10000, v0
	s_delay_alu instid0(VALU_DEP_2) | instskip(NEXT) | instid1(VALU_DEP_2)
	v_cmp_eq_u32_e32 vcc_lo, 0, v1
	v_cndmask_b32_e32 v1, v2, v0, vcc_lo
; %bb.49:
	s_or_b32 exec_lo, exec_lo, s1
	s_mul_i32 s6, s14, s16
	s_cbranch_execz .LBB608_51
	s_branch .LBB608_61
.LBB608_50:
                                        ; implicit-def: $vgpr1
	s_mul_i32 s6, s14, s16
.LBB608_51:
	s_delay_alu instid0(SALU_CYCLE_1) | instskip(SKIP_2) | instid1(SALU_CYCLE_1)
	s_ashr_i32 s7, s6, 31
	v_mov_b32_e32 v1, 0
	s_lshl_b64 s[2:3], s[6:7], 1
	s_add_u32 s2, s10, s2
	s_addc_u32 s3, s11, s3
	global_load_u16 v1, v1, s[2:3]
	s_waitcnt vmcnt(0)
	v_lshlrev_b32_e32 v1, 16, v1
	s_delay_alu instid0(VALU_DEP_1) | instskip(NEXT) | instid1(VALU_DEP_1)
	v_mul_f32_e32 v1, s12, v1
	v_and_b32_e32 v2, 0x7f800000, v1
	v_readfirstlane_b32 s1, v1
	s_delay_alu instid0(VALU_DEP_2)
	v_cmp_eq_u32_e32 vcc_lo, 0x7f800000, v2
	s_cbranch_vccnz .LBB608_53
; %bb.52:
	s_delay_alu instid0(VALU_DEP_2) | instskip(SKIP_2) | instid1(SALU_CYCLE_1)
	s_bfe_u32 s2, s1, 0x10010
	s_mov_b32 s3, 0
	s_add_i32 s2, s1, s2
	s_addk_i32 s2, 0x7fff
	s_branch .LBB608_54
.LBB608_53:
	s_mov_b32 s3, -1
                                        ; implicit-def: $sgpr2
.LBB608_54:
	s_delay_alu instid0(SALU_CYCLE_1)
	s_and_not1_b32 vcc_lo, exec_lo, s3
	s_cbranch_vccnz .LBB608_56
; %bb.55:
	s_and_b32 s2, s1, 0xffff
	s_or_b32 s3, s1, 0x10000
	s_cmp_eq_u32 s2, 0
	s_cselect_b32 s2, s1, s3
.LBB608_56:
	s_delay_alu instid0(SALU_CYCLE_1) | instskip(NEXT) | instid1(SALU_CYCLE_1)
	s_and_b32 s1, s2, 0xffff0000
	v_add_f32_e32 v0, s1, v0
	s_delay_alu instid0(VALU_DEP_1) | instskip(NEXT) | instid1(VALU_DEP_1)
	v_and_b32_e32 v1, 0x7f800000, v0
	v_cmp_ne_u32_e32 vcc_lo, 0x7f800000, v1
                                        ; implicit-def: $vgpr1
	s_and_saveexec_b32 s1, vcc_lo
	s_delay_alu instid0(SALU_CYCLE_1)
	s_xor_b32 s1, exec_lo, s1
; %bb.57:
	v_bfe_u32 v1, v0, 16, 1
	s_delay_alu instid0(VALU_DEP_1)
	v_add3_u32 v1, v0, v1, 0x7fff
                                        ; implicit-def: $vgpr0
; %bb.58:
	s_and_not1_saveexec_b32 s1, s1
; %bb.59:
	v_and_b32_e32 v1, 0xffff, v0
	v_or_b32_e32 v2, 0x10000, v0
	s_delay_alu instid0(VALU_DEP_2) | instskip(NEXT) | instid1(VALU_DEP_2)
	v_cmp_eq_u32_e32 vcc_lo, 0, v1
	v_cndmask_b32_e32 v1, v2, v0, vcc_lo
; %bb.60:
	s_or_b32 exec_lo, exec_lo, s1
.LBB608_61:
	s_delay_alu instid0(VALU_DEP_1)
	v_lshrrev_b32_e32 v1, 16, v1
	s_ashr_i32 s7, s6, 31
	s_or_b32 s15, s15, exec_lo
.LBB608_62:
	s_or_b32 exec_lo, exec_lo, s0
	s_and_saveexec_b32 s0, s15
	s_cbranch_execz .LBB608_64
.LBB608_63:
	s_lshl_b64 s[0:1], s[6:7], 1
	v_mov_b32_e32 v0, 0
	s_add_u32 s0, s10, s0
	s_addc_u32 s1, s11, s1
	global_store_b16 v0, v1, s[0:1]
.LBB608_64:
	s_nop 0
	s_sendmsg sendmsg(MSG_DEALLOC_VGPRS)
	s_endpgm
	.section	.rodata,"a",@progbits
	.p2align	6, 0x0
	.amdhsa_kernel _ZL32rocblas_gemvt_warp_reduce_kernelILb0ELi256EiPK16rocblas_bfloat16fKPS0_EviiT3_lPKT2_lT1_lS8_lS9_lS5_lPT4_lS9_li
		.amdhsa_group_segment_fixed_size 128
		.amdhsa_private_segment_fixed_size 0
		.amdhsa_kernarg_size 140
		.amdhsa_user_sgpr_count 14
		.amdhsa_user_sgpr_dispatch_ptr 0
		.amdhsa_user_sgpr_queue_ptr 0
		.amdhsa_user_sgpr_kernarg_segment_ptr 1
		.amdhsa_user_sgpr_dispatch_id 0
		.amdhsa_user_sgpr_private_segment_size 0
		.amdhsa_wavefront_size32 1
		.amdhsa_uses_dynamic_stack 0
		.amdhsa_enable_private_segment 0
		.amdhsa_system_sgpr_workgroup_id_x 1
		.amdhsa_system_sgpr_workgroup_id_y 0
		.amdhsa_system_sgpr_workgroup_id_z 1
		.amdhsa_system_sgpr_workgroup_info 0
		.amdhsa_system_vgpr_workitem_id 0
		.amdhsa_next_free_vgpr 11
		.amdhsa_next_free_sgpr 24
		.amdhsa_reserve_vcc 1
		.amdhsa_float_round_mode_32 0
		.amdhsa_float_round_mode_16_64 0
		.amdhsa_float_denorm_mode_32 3
		.amdhsa_float_denorm_mode_16_64 3
		.amdhsa_dx10_clamp 1
		.amdhsa_ieee_mode 1
		.amdhsa_fp16_overflow 0
		.amdhsa_workgroup_processor_mode 1
		.amdhsa_memory_ordered 1
		.amdhsa_forward_progress 0
		.amdhsa_shared_vgpr_count 0
		.amdhsa_exception_fp_ieee_invalid_op 0
		.amdhsa_exception_fp_denorm_src 0
		.amdhsa_exception_fp_ieee_div_zero 0
		.amdhsa_exception_fp_ieee_overflow 0
		.amdhsa_exception_fp_ieee_underflow 0
		.amdhsa_exception_fp_ieee_inexact 0
		.amdhsa_exception_int_div_zero 0
	.end_amdhsa_kernel
	.section	.text._ZL32rocblas_gemvt_warp_reduce_kernelILb0ELi256EiPK16rocblas_bfloat16fKPS0_EviiT3_lPKT2_lT1_lS8_lS9_lS5_lPT4_lS9_li,"axG",@progbits,_ZL32rocblas_gemvt_warp_reduce_kernelILb0ELi256EiPK16rocblas_bfloat16fKPS0_EviiT3_lPKT2_lT1_lS8_lS9_lS5_lPT4_lS9_li,comdat
.Lfunc_end608:
	.size	_ZL32rocblas_gemvt_warp_reduce_kernelILb0ELi256EiPK16rocblas_bfloat16fKPS0_EviiT3_lPKT2_lT1_lS8_lS9_lS5_lPT4_lS9_li, .Lfunc_end608-_ZL32rocblas_gemvt_warp_reduce_kernelILb0ELi256EiPK16rocblas_bfloat16fKPS0_EviiT3_lPKT2_lT1_lS8_lS9_lS5_lPT4_lS9_li
                                        ; -- End function
	.section	.AMDGPU.csdata,"",@progbits
; Kernel info:
; codeLenInByte = 2112
; NumSgprs: 26
; NumVgprs: 11
; ScratchSize: 0
; MemoryBound: 0
; FloatMode: 240
; IeeeMode: 1
; LDSByteSize: 128 bytes/workgroup (compile time only)
; SGPRBlocks: 3
; VGPRBlocks: 1
; NumSGPRsForWavesPerEU: 26
; NumVGPRsForWavesPerEU: 11
; Occupancy: 16
; WaveLimiterHint : 1
; COMPUTE_PGM_RSRC2:SCRATCH_EN: 0
; COMPUTE_PGM_RSRC2:USER_SGPR: 14
; COMPUTE_PGM_RSRC2:TRAP_HANDLER: 0
; COMPUTE_PGM_RSRC2:TGID_X_EN: 1
; COMPUTE_PGM_RSRC2:TGID_Y_EN: 0
; COMPUTE_PGM_RSRC2:TGID_Z_EN: 1
; COMPUTE_PGM_RSRC2:TIDIG_COMP_CNT: 0
	.section	.text._ZL32rocblas_gemvt_warp_reduce_kernelILb0ELi256ElPK16rocblas_bfloat16fKPS0_EviiT3_lPKT2_lT1_lS8_lS9_lS5_lPT4_lS9_li,"axG",@progbits,_ZL32rocblas_gemvt_warp_reduce_kernelILb0ELi256ElPK16rocblas_bfloat16fKPS0_EviiT3_lPKT2_lT1_lS8_lS9_lS5_lPT4_lS9_li,comdat
	.globl	_ZL32rocblas_gemvt_warp_reduce_kernelILb0ELi256ElPK16rocblas_bfloat16fKPS0_EviiT3_lPKT2_lT1_lS8_lS9_lS5_lPT4_lS9_li ; -- Begin function _ZL32rocblas_gemvt_warp_reduce_kernelILb0ELi256ElPK16rocblas_bfloat16fKPS0_EviiT3_lPKT2_lT1_lS8_lS9_lS5_lPT4_lS9_li
	.p2align	8
	.type	_ZL32rocblas_gemvt_warp_reduce_kernelILb0ELi256ElPK16rocblas_bfloat16fKPS0_EviiT3_lPKT2_lT1_lS8_lS9_lS5_lPT4_lS9_li,@function
_ZL32rocblas_gemvt_warp_reduce_kernelILb0ELi256ElPK16rocblas_bfloat16fKPS0_EviiT3_lPKT2_lT1_lS8_lS9_lS5_lPT4_lS9_li: ; @_ZL32rocblas_gemvt_warp_reduce_kernelILb0ELi256ElPK16rocblas_bfloat16fKPS0_EviiT3_lPKT2_lT1_lS8_lS9_lS5_lPT4_lS9_li
; %bb.0:
	s_clause 0x1
	s_load_b32 s20, s[0:1], 0x8
	s_load_b32 s19, s[0:1], 0x58
	s_waitcnt lgkmcnt(0)
	v_cmp_eq_f32_e64 s12, s20, 0
	v_cmp_eq_f32_e64 s3, s19, 1.0
	s_delay_alu instid0(VALU_DEP_1) | instskip(NEXT) | instid1(SALU_CYCLE_1)
	s_and_b32 s3, s12, s3
	s_and_b32 vcc_lo, exec_lo, s3
	s_cbranch_vccnz .LBB609_65
; %bb.1:
	s_clause 0x1
	s_load_b128 s[4:7], s[0:1], 0x18
	s_load_b64 s[10:11], s[0:1], 0x28
	v_cmp_neq_f32_e64 s13, s20, 0
	s_mov_b32 s2, s15
	s_delay_alu instid0(VALU_DEP_1)
	s_and_b32 vcc_lo, exec_lo, s13
	s_cbranch_vccnz .LBB609_3
; %bb.2:
	s_mov_b32 s3, 0
	s_mov_b64 s[16:17], 0
	s_cbranch_execz .LBB609_4
	s_branch .LBB609_5
.LBB609_3:
	s_mov_b32 s3, -1
                                        ; implicit-def: $sgpr16_sgpr17
.LBB609_4:
	s_mov_b32 s3, 0
	s_delay_alu instid0(SALU_CYCLE_1)
	s_lshl_b64 s[8:9], s[2:3], 3
	s_waitcnt lgkmcnt(0)
	s_add_u32 s4, s4, s8
	s_addc_u32 s5, s5, s9
	s_lshl_b64 s[6:7], s[6:7], 1
	s_load_b64 s[4:5], s[4:5], 0x0
	s_waitcnt lgkmcnt(0)
	s_add_u32 s16, s4, s6
	s_addc_u32 s17, s5, s7
.LBB609_5:
	s_waitcnt lgkmcnt(0)
	s_clause 0x1
	s_load_b128 s[4:7], s[0:1], 0x38
	s_load_b64 s[8:9], s[0:1], 0x48
	s_and_not1_b32 vcc_lo, exec_lo, s13
	s_cbranch_vccnz .LBB609_7
; %bb.6:
	s_lshl_b64 s[22:23], s[2:3], 3
	s_waitcnt lgkmcnt(0)
	s_add_u32 s4, s4, s22
	s_addc_u32 s5, s5, s23
	s_lshl_b64 s[6:7], s[6:7], 1
	s_load_b64 s[4:5], s[4:5], 0x0
	s_waitcnt lgkmcnt(0)
	s_add_u32 s6, s4, s6
	s_addc_u32 s7, s5, s7
	s_branch .LBB609_8
.LBB609_7:
	s_waitcnt lgkmcnt(0)
	s_mov_b64 s[6:7], 0
.LBB609_8:
	s_clause 0x1
	s_load_b128 s[24:27], s[0:1], 0x68
	s_load_b64 s[4:5], s[0:1], 0x78
	s_lshl_b64 s[2:3], s[2:3], 3
	s_waitcnt lgkmcnt(0)
	s_add_u32 s2, s24, s2
	s_addc_u32 s3, s25, s3
	s_lshl_b64 s[24:25], s[26:27], 1
	s_load_b64 s[22:23], s[2:3], 0x0
	v_cmp_eq_u32_e64 s2, 0, v0
	s_waitcnt lgkmcnt(0)
	s_add_u32 s15, s22, s24
	s_addc_u32 s18, s23, s25
	s_and_not1_b32 vcc_lo, exec_lo, s12
	s_cbranch_vccnz .LBB609_13
; %bb.9:
	s_mov_b32 s3, 0
	s_mov_b32 s21, 0
                                        ; implicit-def: $sgpr23
                                        ; implicit-def: $sgpr12_sgpr13
	s_and_saveexec_b32 s22, s2
	s_cbranch_execz .LBB609_14
; %bb.10:
	v_cmp_eq_f32_e64 s2, s19, 0
	s_mul_i32 s12, s14, s5
	s_mul_hi_u32 s13, s14, s4
	s_ashr_i32 s21, s14, 31
	s_add_i32 s12, s13, s12
	s_mul_i32 s21, s21, s4
	s_mov_b32 s23, 0
	s_add_i32 s13, s12, s21
	s_and_b32 vcc_lo, exec_lo, s2
	s_mul_i32 s12, s14, s4
	s_cbranch_vccnz .LBB609_20
; %bb.11:
	s_lshl_b64 s[24:25], s[12:13], 1
	v_mov_b32_e32 v1, 0
	s_add_u32 s24, s15, s24
	s_addc_u32 s25, s18, s25
	global_load_u16 v1, v1, s[24:25]
	s_waitcnt vmcnt(0)
	v_lshlrev_b32_e32 v1, 16, v1
	s_delay_alu instid0(VALU_DEP_1) | instskip(NEXT) | instid1(VALU_DEP_1)
	v_mul_f32_e32 v1, s19, v1
	v_and_b32_e32 v2, 0x7f800000, v1
	v_readfirstlane_b32 s2, v1
	s_delay_alu instid0(VALU_DEP_2)
	v_cmp_eq_u32_e32 vcc_lo, 0x7f800000, v2
	s_cbranch_vccnz .LBB609_16
; %bb.12:
	s_delay_alu instid0(VALU_DEP_2) | instskip(NEXT) | instid1(SALU_CYCLE_1)
	s_bfe_u32 s21, s2, 0x10010
	s_add_i32 s21, s2, s21
	s_delay_alu instid0(SALU_CYCLE_1)
	s_addk_i32 s21, 0x7fff
	s_branch .LBB609_17
.LBB609_13:
	s_mov_b32 s21, 0
                                        ; implicit-def: $sgpr23
                                        ; implicit-def: $sgpr12_sgpr13
	s_cbranch_execz .LBB609_15
	s_branch .LBB609_21
.LBB609_14:
	s_or_b32 exec_lo, exec_lo, s22
	s_delay_alu instid0(SALU_CYCLE_1)
	s_and_b32 vcc_lo, exec_lo, s3
	s_cbranch_vccnz .LBB609_21
.LBB609_15:
	v_mov_b32_e32 v1, s23
	s_and_saveexec_b32 s0, s21
	s_cbranch_execnz .LBB609_64
	s_branch .LBB609_65
.LBB609_16:
	s_mov_b32 s23, -1
                                        ; implicit-def: $sgpr21
.LBB609_17:
	s_delay_alu instid0(SALU_CYCLE_1)
	s_and_not1_b32 vcc_lo, exec_lo, s23
	s_cbranch_vccnz .LBB609_19
; %bb.18:
	s_and_b32 s21, s2, 0xffff
	s_or_b32 s23, s2, 0x10000
	s_cmp_eq_u32 s21, 0
	s_cselect_b32 s21, s2, s23
.LBB609_19:
	s_delay_alu instid0(SALU_CYCLE_1)
	s_lshr_b32 s23, s21, 16
.LBB609_20:
	s_mov_b32 s21, exec_lo
	s_or_b32 exec_lo, exec_lo, s22
	s_delay_alu instid0(SALU_CYCLE_1)
	s_and_b32 vcc_lo, exec_lo, s3
	s_cbranch_vccz .LBB609_15
.LBB609_21:
	s_load_b32 s3, s[0:1], 0x0
	s_mul_i32 s0, s14, s11
	s_mul_hi_u32 s2, s14, s10
	s_ashr_i32 s1, s14, 31
	s_add_i32 s0, s2, s0
	s_mul_i32 s2, s1, s10
	s_mul_i32 s10, s14, s10
	s_add_i32 s11, s0, s2
	v_mov_b32_e32 v7, 0
	s_lshl_b64 s[10:11], s[10:11], 1
	s_mov_b32 s13, 0
	s_add_u32 s0, s10, s16
	s_addc_u32 s10, s11, s17
	s_mov_b32 s12, exec_lo
	s_waitcnt lgkmcnt(0)
	v_cmp_gt_i32_e32 vcc_lo, s3, v0
	s_ashr_i32 s2, s3, 31
	s_delay_alu instid0(SALU_CYCLE_1) | instskip(NEXT) | instid1(SALU_CYCLE_1)
	s_lshr_b32 s2, s2, 24
	s_add_i32 s2, s3, s2
	v_cndmask_b32_e32 v1, 0, v0, vcc_lo
	s_and_b32 s2, s2, 0xffffff00
	s_delay_alu instid0(VALU_DEP_1) | instskip(NEXT) | instid1(VALU_DEP_1)
	v_lshlrev_b32_e32 v1, 1, v1
	v_add_co_u32 v1, s0, s0, v1
	s_delay_alu instid0(VALU_DEP_1)
	v_add_co_ci_u32_e64 v2, null, s10, 0, s0
	v_cmpx_gt_i32_e64 s2, v0
	s_cbranch_execz .LBB609_29
; %bb.22:
	v_mad_u64_u32 v[3:4], null, s8, v0, 0
	v_mov_b32_e32 v8, v0
	s_lshl_b64 s[10:11], s[8:9], 9
	v_mov_b32_e32 v7, 0
	s_delay_alu instid0(VALU_DEP_3) | instskip(NEXT) | instid1(VALU_DEP_1)
	v_mad_u64_u32 v[5:6], null, s9, v0, v[4:5]
	v_mov_b32_e32 v4, v5
	s_delay_alu instid0(VALU_DEP_1) | instskip(SKIP_1) | instid1(VALU_DEP_2)
	v_lshlrev_b64 v[5:6], 1, v[3:4]
	v_dual_mov_b32 v4, v2 :: v_dual_mov_b32 v3, v1
	v_add_co_u32 v5, vcc_lo, s6, v5
	s_delay_alu instid0(VALU_DEP_3)
	v_add_co_ci_u32_e32 v6, vcc_lo, s7, v6, vcc_lo
	s_set_inst_prefetch_distance 0x1
	s_branch .LBB609_24
	.p2align	6
.LBB609_23:                             ;   in Loop: Header=BB609_24 Depth=1
	s_or_b32 exec_lo, exec_lo, s0
	s_delay_alu instid0(VALU_DEP_1) | instskip(SKIP_3) | instid1(VALU_DEP_4)
	v_and_b32_e32 v9, 0xffff0000, v10
	v_add_nc_u32_e32 v8, 0x100, v8
	v_add_co_u32 v3, vcc_lo, 0x200, v3
	v_add_co_ci_u32_e32 v4, vcc_lo, 0, v4, vcc_lo
	v_add_f32_e32 v7, v7, v9
	s_delay_alu instid0(VALU_DEP_4) | instskip(SKIP_1) | instid1(VALU_DEP_1)
	v_cmp_le_i32_e32 vcc_lo, s2, v8
	v_add_co_u32 v5, s0, v5, s10
	v_add_co_ci_u32_e64 v6, s0, s11, v6, s0
	s_or_b32 s13, vcc_lo, s13
	s_delay_alu instid0(SALU_CYCLE_1)
	s_and_not1_b32 exec_lo, exec_lo, s13
	s_cbranch_execz .LBB609_28
.LBB609_24:                             ; =>This Inner Loop Header: Depth=1
	flat_load_u16 v9, v[5:6]
	flat_load_u16 v10, v[3:4]
	s_waitcnt vmcnt(1) lgkmcnt(1)
	v_lshlrev_b32_e32 v9, 16, v9
	s_waitcnt vmcnt(0) lgkmcnt(0)
	v_lshlrev_b32_e32 v10, 16, v10
	s_delay_alu instid0(VALU_DEP_1) | instskip(NEXT) | instid1(VALU_DEP_1)
	v_mul_f32_e32 v9, v10, v9
	v_and_b32_e32 v10, 0x7f800000, v9
	s_delay_alu instid0(VALU_DEP_1) | instskip(SKIP_1) | instid1(SALU_CYCLE_1)
	v_cmp_ne_u32_e32 vcc_lo, 0x7f800000, v10
                                        ; implicit-def: $vgpr10
	s_and_saveexec_b32 s0, vcc_lo
	s_xor_b32 s0, exec_lo, s0
; %bb.25:                               ;   in Loop: Header=BB609_24 Depth=1
	v_bfe_u32 v10, v9, 16, 1
	s_delay_alu instid0(VALU_DEP_1)
	v_add3_u32 v10, v9, v10, 0x7fff
                                        ; implicit-def: $vgpr9
; %bb.26:                               ;   in Loop: Header=BB609_24 Depth=1
	s_and_not1_saveexec_b32 s0, s0
	s_cbranch_execz .LBB609_23
; %bb.27:                               ;   in Loop: Header=BB609_24 Depth=1
	v_and_b32_e32 v10, 0xffff, v9
	v_or_b32_e32 v11, 0x10000, v9
	s_delay_alu instid0(VALU_DEP_2) | instskip(NEXT) | instid1(VALU_DEP_2)
	v_cmp_eq_u32_e32 vcc_lo, 0, v10
	v_cndmask_b32_e32 v10, v11, v9, vcc_lo
	s_branch .LBB609_23
.LBB609_28:
	s_set_inst_prefetch_distance 0x2
	s_or_b32 exec_lo, exec_lo, s13
.LBB609_29:
	s_delay_alu instid0(SALU_CYCLE_1) | instskip(SKIP_2) | instid1(VALU_DEP_1)
	s_or_b32 exec_lo, exec_lo, s12
	v_add_nc_u32_e32 v3, s2, v0
	s_mov_b32 s0, exec_lo
	v_cmpx_gt_i32_e64 s3, v3
	s_cbranch_execz .LBB609_35
; %bb.30:
	v_ashrrev_i32_e32 v6, 31, v3
	v_mul_lo_u32 v8, v3, s9
	v_mad_u64_u32 v[4:5], null, v3, s8, 0
	s_ashr_i32 s3, s2, 31
	s_delay_alu instid0(VALU_DEP_3) | instskip(SKIP_1) | instid1(VALU_DEP_1)
	v_mul_lo_u32 v3, v6, s8
	s_lshl_b64 s[2:3], s[2:3], 1
	v_add3_u32 v5, v5, v8, v3
	s_delay_alu instid0(VALU_DEP_1) | instskip(NEXT) | instid1(VALU_DEP_1)
	v_lshlrev_b64 v[3:4], 1, v[4:5]
	v_add_co_u32 v3, vcc_lo, s6, v3
	s_delay_alu instid0(VALU_DEP_2)
	v_add_co_ci_u32_e32 v4, vcc_lo, s7, v4, vcc_lo
	v_add_co_u32 v1, vcc_lo, v1, s2
	v_add_co_ci_u32_e32 v2, vcc_lo, s3, v2, vcc_lo
	flat_load_u16 v3, v[3:4]
	flat_load_u16 v1, v[1:2]
	s_waitcnt vmcnt(1) lgkmcnt(1)
	v_lshlrev_b32_e32 v2, 16, v3
	s_waitcnt vmcnt(0) lgkmcnt(0)
	v_lshlrev_b32_e32 v1, 16, v1
	s_delay_alu instid0(VALU_DEP_1) | instskip(NEXT) | instid1(VALU_DEP_1)
	v_mul_f32_e32 v1, v1, v2
	v_and_b32_e32 v2, 0x7f800000, v1
	s_delay_alu instid0(VALU_DEP_1) | instskip(SKIP_1) | instid1(SALU_CYCLE_1)
	v_cmp_ne_u32_e32 vcc_lo, 0x7f800000, v2
                                        ; implicit-def: $vgpr2
	s_and_saveexec_b32 s2, vcc_lo
	s_xor_b32 s2, exec_lo, s2
; %bb.31:
	v_bfe_u32 v2, v1, 16, 1
	s_delay_alu instid0(VALU_DEP_1)
	v_add3_u32 v2, v1, v2, 0x7fff
                                        ; implicit-def: $vgpr1
; %bb.32:
	s_and_not1_saveexec_b32 s2, s2
; %bb.33:
	v_and_b32_e32 v2, 0xffff, v1
	v_or_b32_e32 v3, 0x10000, v1
	s_delay_alu instid0(VALU_DEP_2) | instskip(NEXT) | instid1(VALU_DEP_2)
	v_cmp_eq_u32_e32 vcc_lo, 0, v2
	v_cndmask_b32_e32 v2, v3, v1, vcc_lo
; %bb.34:
	s_or_b32 exec_lo, exec_lo, s2
	s_delay_alu instid0(VALU_DEP_1) | instskip(NEXT) | instid1(VALU_DEP_1)
	v_and_b32_e32 v1, 0xffff0000, v2
	v_add_f32_e32 v7, v7, v1
.LBB609_35:
	s_or_b32 exec_lo, exec_lo, s0
	v_and_b32_e32 v4, 31, v0
	v_cmp_gt_u32_e32 vcc_lo, 32, v0
	s_delay_alu instid0(VALU_DEP_2)
	v_lshlrev_b32_e32 v1, 2, v4
	s_and_saveexec_b32 s0, vcc_lo
	s_cbranch_execz .LBB609_37
; %bb.36:
	v_mov_b32_e32 v2, 0
	ds_store_b32 v1, v2
.LBB609_37:
	s_or_b32 exec_lo, exec_lo, s0
	v_mbcnt_lo_u32_b32 v5, -1, 0
	s_mov_b32 s2, exec_lo
	s_waitcnt lgkmcnt(0)
	s_barrier
	buffer_gl0_inv
	v_cmp_gt_u32_e64 s0, 16, v5
	s_delay_alu instid0(VALU_DEP_1) | instskip(SKIP_1) | instid1(VALU_DEP_2)
	v_cndmask_b32_e64 v2, 0, 1, s0
	v_cmp_gt_u32_e64 s0, 24, v5
	v_lshlrev_b32_e32 v2, 4, v2
	s_delay_alu instid0(VALU_DEP_2) | instskip(SKIP_1) | instid1(VALU_DEP_3)
	v_cndmask_b32_e64 v3, 0, 1, s0
	v_cmp_gt_u32_e64 s0, 28, v5
	v_add_lshl_u32 v2, v2, v5, 2
	ds_bpermute_b32 v2, v2, v7
	s_waitcnt lgkmcnt(0)
	v_dual_add_f32 v6, v7, v2 :: v_dual_lshlrev_b32 v3, 3, v3
	s_delay_alu instid0(VALU_DEP_1) | instskip(SKIP_4) | instid1(VALU_DEP_1)
	v_add_lshl_u32 v3, v3, v5, 2
	v_cndmask_b32_e64 v2, 0, 1, s0
	v_cmp_gt_u32_e64 s0, 30, v5
	ds_bpermute_b32 v3, v3, v6
	v_lshlrev_b32_e32 v2, 2, v2
	v_add_lshl_u32 v2, v2, v5, 2
	s_waitcnt lgkmcnt(0)
	v_add_f32_e32 v6, v6, v3
	v_cndmask_b32_e64 v3, 0, 1, s0
	v_cmp_ne_u32_e64 s0, 31, v5
	s_delay_alu instid0(VALU_DEP_2) | instskip(NEXT) | instid1(VALU_DEP_1)
	v_lshlrev_b32_e32 v3, 1, v3
	v_add_lshl_u32 v3, v3, v5, 2
	s_delay_alu instid0(VALU_DEP_3) | instskip(NEXT) | instid1(VALU_DEP_1)
	v_add_co_ci_u32_e64 v5, s0, 0, v5, s0
	v_lshlrev_b32_e32 v5, 2, v5
	ds_bpermute_b32 v7, v2, v6
	s_waitcnt lgkmcnt(0)
	v_add_f32_e32 v6, v6, v7
	ds_bpermute_b32 v7, v3, v6
	s_waitcnt lgkmcnt(0)
	v_add_f32_e32 v6, v6, v7
	ds_bpermute_b32 v7, v5, v6
	v_cmpx_eq_u32_e32 0, v4
	s_cbranch_execz .LBB609_39
; %bb.38:
	v_lshrrev_b32_e32 v4, 3, v0
	s_waitcnt lgkmcnt(0)
	v_add_f32_e32 v6, v6, v7
	s_delay_alu instid0(VALU_DEP_2)
	v_and_b32_e32 v4, 28, v4
	ds_store_b32 v4, v6
.LBB609_39:
	s_or_b32 exec_lo, exec_lo, s2
	v_mov_b32_e32 v4, 0
	s_mov_b32 s2, exec_lo
	s_waitcnt lgkmcnt(0)
	s_barrier
	buffer_gl0_inv
	v_cmpx_gt_u32_e32 8, v0
	s_cbranch_execz .LBB609_41
; %bb.40:
	ds_load_b32 v4, v1
.LBB609_41:
	s_or_b32 exec_lo, exec_lo, s2
	s_and_saveexec_b32 s0, vcc_lo
	s_cbranch_execz .LBB609_43
; %bb.42:
	s_waitcnt lgkmcnt(0)
	ds_bpermute_b32 v1, v2, v4
	s_waitcnt lgkmcnt(0)
	v_add_f32_e32 v1, v4, v1
	ds_bpermute_b32 v2, v3, v1
	s_waitcnt lgkmcnt(0)
	v_add_f32_e32 v1, v1, v2
	;; [unrolled: 3-line block ×3, first 2 shown]
.LBB609_43:
	s_or_b32 exec_lo, exec_lo, s0
	s_delay_alu instid0(SALU_CYCLE_1)
	s_mov_b32 s0, exec_lo
                                        ; implicit-def: $vgpr1
                                        ; implicit-def: $sgpr12_sgpr13
	v_cmpx_eq_u32_e32 0, v0
	s_cbranch_execz .LBB609_63
; %bb.44:
	v_cmp_eq_f32_e64 s2, s19, 0
	s_waitcnt lgkmcnt(0)
	v_mul_f32_e32 v0, s20, v4
	s_delay_alu instid0(VALU_DEP_2)
	s_and_b32 vcc_lo, exec_lo, s2
	s_cbranch_vccz .LBB609_50
; %bb.45:
	s_delay_alu instid0(VALU_DEP_1) | instskip(NEXT) | instid1(VALU_DEP_1)
	v_and_b32_e32 v1, 0x7f800000, v0
	v_cmp_ne_u32_e32 vcc_lo, 0x7f800000, v1
                                        ; implicit-def: $vgpr1
	s_and_saveexec_b32 s2, vcc_lo
	s_delay_alu instid0(SALU_CYCLE_1)
	s_xor_b32 s2, exec_lo, s2
; %bb.46:
	v_bfe_u32 v1, v0, 16, 1
	s_delay_alu instid0(VALU_DEP_1)
	v_add3_u32 v1, v0, v1, 0x7fff
; %bb.47:
	s_and_not1_saveexec_b32 s2, s2
; %bb.48:
	v_and_b32_e32 v1, 0xffff, v0
	v_or_b32_e32 v2, 0x10000, v0
	s_delay_alu instid0(VALU_DEP_2) | instskip(NEXT) | instid1(VALU_DEP_2)
	v_cmp_eq_u32_e32 vcc_lo, 0, v1
	v_cndmask_b32_e32 v1, v2, v0, vcc_lo
; %bb.49:
	s_or_b32 exec_lo, exec_lo, s2
	s_mov_b32 s6, 0
	s_branch .LBB609_51
.LBB609_50:
	s_mov_b32 s6, -1
                                        ; implicit-def: $vgpr1
.LBB609_51:
	s_mul_i32 s2, s14, s5
	s_mul_hi_u32 s3, s14, s4
	s_and_not1_b32 vcc_lo, exec_lo, s6
	s_mul_i32 s1, s1, s4
	s_mul_i32 s12, s14, s4
	s_cbranch_vccnz .LBB609_62
; %bb.52:
	s_add_i32 s4, s3, s2
	v_mov_b32_e32 v1, 0
	s_add_i32 s13, s4, s1
	s_delay_alu instid0(SALU_CYCLE_1) | instskip(NEXT) | instid1(SALU_CYCLE_1)
	s_lshl_b64 s[4:5], s[12:13], 1
	s_add_u32 s4, s15, s4
	s_addc_u32 s5, s18, s5
	global_load_u16 v1, v1, s[4:5]
	s_waitcnt vmcnt(0)
	v_lshlrev_b32_e32 v1, 16, v1
	s_delay_alu instid0(VALU_DEP_1) | instskip(NEXT) | instid1(VALU_DEP_1)
	v_mul_f32_e32 v1, s19, v1
	v_and_b32_e32 v2, 0x7f800000, v1
	v_readfirstlane_b32 s4, v1
	s_delay_alu instid0(VALU_DEP_2)
	v_cmp_eq_u32_e32 vcc_lo, 0x7f800000, v2
	s_cbranch_vccnz .LBB609_54
; %bb.53:
	s_delay_alu instid0(VALU_DEP_2) | instskip(SKIP_2) | instid1(SALU_CYCLE_1)
	s_bfe_u32 s5, s4, 0x10010
	s_mov_b32 s6, 0
	s_add_i32 s5, s4, s5
	s_addk_i32 s5, 0x7fff
	s_branch .LBB609_55
.LBB609_54:
	s_mov_b32 s6, -1
                                        ; implicit-def: $sgpr5
.LBB609_55:
	s_delay_alu instid0(SALU_CYCLE_1)
	s_and_not1_b32 vcc_lo, exec_lo, s6
	s_cbranch_vccnz .LBB609_57
; %bb.56:
	s_and_b32 s5, s4, 0xffff
	s_or_b32 s6, s4, 0x10000
	s_cmp_eq_u32 s5, 0
	s_cselect_b32 s5, s4, s6
.LBB609_57:
	s_delay_alu instid0(SALU_CYCLE_1) | instskip(NEXT) | instid1(SALU_CYCLE_1)
	s_and_b32 s4, s5, 0xffff0000
	v_add_f32_e32 v0, s4, v0
	s_delay_alu instid0(VALU_DEP_1) | instskip(NEXT) | instid1(VALU_DEP_1)
	v_and_b32_e32 v1, 0x7f800000, v0
	v_cmp_ne_u32_e32 vcc_lo, 0x7f800000, v1
                                        ; implicit-def: $vgpr1
	s_and_saveexec_b32 s4, vcc_lo
	s_delay_alu instid0(SALU_CYCLE_1)
	s_xor_b32 s4, exec_lo, s4
; %bb.58:
	v_bfe_u32 v1, v0, 16, 1
	s_delay_alu instid0(VALU_DEP_1)
	v_add3_u32 v1, v0, v1, 0x7fff
                                        ; implicit-def: $vgpr0
; %bb.59:
	s_and_not1_saveexec_b32 s4, s4
; %bb.60:
	v_and_b32_e32 v1, 0xffff, v0
	v_or_b32_e32 v2, 0x10000, v0
	s_delay_alu instid0(VALU_DEP_2) | instskip(NEXT) | instid1(VALU_DEP_2)
	v_cmp_eq_u32_e32 vcc_lo, 0, v1
	v_cndmask_b32_e32 v1, v2, v0, vcc_lo
; %bb.61:
	s_or_b32 exec_lo, exec_lo, s4
.LBB609_62:
	s_delay_alu instid0(VALU_DEP_1)
	v_lshrrev_b32_e32 v1, 16, v1
	s_add_i32 s2, s3, s2
	s_or_b32 s21, s21, exec_lo
	s_add_i32 s13, s2, s1
.LBB609_63:
	s_or_b32 exec_lo, exec_lo, s0
	s_and_saveexec_b32 s0, s21
	s_cbranch_execz .LBB609_65
.LBB609_64:
	s_lshl_b64 s[0:1], s[12:13], 1
	v_mov_b32_e32 v0, 0
	s_add_u32 s0, s15, s0
	s_addc_u32 s1, s18, s1
	global_store_b16 v0, v1, s[0:1]
.LBB609_65:
	s_nop 0
	s_sendmsg sendmsg(MSG_DEALLOC_VGPRS)
	s_endpgm
	.section	.rodata,"a",@progbits
	.p2align	6, 0x0
	.amdhsa_kernel _ZL32rocblas_gemvt_warp_reduce_kernelILb0ELi256ElPK16rocblas_bfloat16fKPS0_EviiT3_lPKT2_lT1_lS8_lS9_lS5_lPT4_lS9_li
		.amdhsa_group_segment_fixed_size 128
		.amdhsa_private_segment_fixed_size 0
		.amdhsa_kernarg_size 140
		.amdhsa_user_sgpr_count 14
		.amdhsa_user_sgpr_dispatch_ptr 0
		.amdhsa_user_sgpr_queue_ptr 0
		.amdhsa_user_sgpr_kernarg_segment_ptr 1
		.amdhsa_user_sgpr_dispatch_id 0
		.amdhsa_user_sgpr_private_segment_size 0
		.amdhsa_wavefront_size32 1
		.amdhsa_uses_dynamic_stack 0
		.amdhsa_enable_private_segment 0
		.amdhsa_system_sgpr_workgroup_id_x 1
		.amdhsa_system_sgpr_workgroup_id_y 0
		.amdhsa_system_sgpr_workgroup_id_z 1
		.amdhsa_system_sgpr_workgroup_info 0
		.amdhsa_system_vgpr_workitem_id 0
		.amdhsa_next_free_vgpr 12
		.amdhsa_next_free_sgpr 28
		.amdhsa_reserve_vcc 1
		.amdhsa_float_round_mode_32 0
		.amdhsa_float_round_mode_16_64 0
		.amdhsa_float_denorm_mode_32 3
		.amdhsa_float_denorm_mode_16_64 3
		.amdhsa_dx10_clamp 1
		.amdhsa_ieee_mode 1
		.amdhsa_fp16_overflow 0
		.amdhsa_workgroup_processor_mode 1
		.amdhsa_memory_ordered 1
		.amdhsa_forward_progress 0
		.amdhsa_shared_vgpr_count 0
		.amdhsa_exception_fp_ieee_invalid_op 0
		.amdhsa_exception_fp_denorm_src 0
		.amdhsa_exception_fp_ieee_div_zero 0
		.amdhsa_exception_fp_ieee_overflow 0
		.amdhsa_exception_fp_ieee_underflow 0
		.amdhsa_exception_fp_ieee_inexact 0
		.amdhsa_exception_int_div_zero 0
	.end_amdhsa_kernel
	.section	.text._ZL32rocblas_gemvt_warp_reduce_kernelILb0ELi256ElPK16rocblas_bfloat16fKPS0_EviiT3_lPKT2_lT1_lS8_lS9_lS5_lPT4_lS9_li,"axG",@progbits,_ZL32rocblas_gemvt_warp_reduce_kernelILb0ELi256ElPK16rocblas_bfloat16fKPS0_EviiT3_lPKT2_lT1_lS8_lS9_lS5_lPT4_lS9_li,comdat
.Lfunc_end609:
	.size	_ZL32rocblas_gemvt_warp_reduce_kernelILb0ELi256ElPK16rocblas_bfloat16fKPS0_EviiT3_lPKT2_lT1_lS8_lS9_lS5_lPT4_lS9_li, .Lfunc_end609-_ZL32rocblas_gemvt_warp_reduce_kernelILb0ELi256ElPK16rocblas_bfloat16fKPS0_EviiT3_lPKT2_lT1_lS8_lS9_lS5_lPT4_lS9_li
                                        ; -- End function
	.section	.AMDGPU.csdata,"",@progbits
; Kernel info:
; codeLenInByte = 2240
; NumSgprs: 30
; NumVgprs: 12
; ScratchSize: 0
; MemoryBound: 0
; FloatMode: 240
; IeeeMode: 1
; LDSByteSize: 128 bytes/workgroup (compile time only)
; SGPRBlocks: 3
; VGPRBlocks: 1
; NumSGPRsForWavesPerEU: 30
; NumVGPRsForWavesPerEU: 12
; Occupancy: 16
; WaveLimiterHint : 1
; COMPUTE_PGM_RSRC2:SCRATCH_EN: 0
; COMPUTE_PGM_RSRC2:USER_SGPR: 14
; COMPUTE_PGM_RSRC2:TRAP_HANDLER: 0
; COMPUTE_PGM_RSRC2:TGID_X_EN: 1
; COMPUTE_PGM_RSRC2:TGID_Y_EN: 0
; COMPUTE_PGM_RSRC2:TGID_Z_EN: 1
; COMPUTE_PGM_RSRC2:TIDIG_COMP_CNT: 0
	.section	.text._ZL20rocblas_gemvt_kernelILb0ELi256EPK16rocblas_bfloat16PKfKPS0_EviiT2_lPKT1_lilSA_lilS7_lPT3_lili,"axG",@progbits,_ZL20rocblas_gemvt_kernelILb0ELi256EPK16rocblas_bfloat16PKfKPS0_EviiT2_lPKT1_lilSA_lilS7_lPT3_lili,comdat
	.globl	_ZL20rocblas_gemvt_kernelILb0ELi256EPK16rocblas_bfloat16PKfKPS0_EviiT2_lPKT1_lilSA_lilS7_lPT3_lili ; -- Begin function _ZL20rocblas_gemvt_kernelILb0ELi256EPK16rocblas_bfloat16PKfKPS0_EviiT2_lPKT1_lilSA_lilS7_lPT3_lili
	.p2align	8
	.type	_ZL20rocblas_gemvt_kernelILb0ELi256EPK16rocblas_bfloat16PKfKPS0_EviiT2_lPKT1_lilSA_lilS7_lPT3_lili,@function
_ZL20rocblas_gemvt_kernelILb0ELi256EPK16rocblas_bfloat16PKfKPS0_EviiT2_lPKT1_lilSA_lilS7_lPT3_lili: ; @_ZL20rocblas_gemvt_kernelILb0ELi256EPK16rocblas_bfloat16PKfKPS0_EviiT2_lPKT1_lilSA_lilS7_lPT3_lili
; %bb.0:
	s_clause 0x1
	s_load_b256 s[16:23], s[0:1], 0x8
	s_load_b256 s[4:11], s[0:1], 0x58
	s_mov_b32 s2, s15
	s_waitcnt lgkmcnt(0)
	s_mul_i32 s3, s15, s19
	s_mul_hi_u32 s13, s15, s18
	s_mul_i32 s12, s15, s18
	s_add_i32 s13, s13, s3
	s_mul_i32 s3, s15, s7
	s_lshl_b64 s[12:13], s[12:13], 2
	s_mul_hi_u32 s7, s15, s6
	s_add_u32 s12, s16, s12
	s_addc_u32 s13, s17, s13
	s_add_i32 s7, s7, s3
	s_mul_i32 s6, s15, s6
	s_delay_alu instid0(SALU_CYCLE_1) | instskip(NEXT) | instid1(SALU_CYCLE_1)
	s_lshl_b64 s[6:7], s[6:7], 2
	s_add_u32 s4, s4, s6
	s_addc_u32 s5, s5, s7
	s_load_b32 s16, s[12:13], 0x0
	s_load_b32 s15, s[4:5], 0x0
	s_waitcnt lgkmcnt(0)
	v_cmp_eq_f32_e64 s6, s16, 0
	v_cmp_eq_f32_e64 s3, s15, 1.0
	s_delay_alu instid0(VALU_DEP_1) | instskip(NEXT) | instid1(SALU_CYCLE_1)
	s_and_b32 s3, s6, s3
	s_and_b32 vcc_lo, exec_lo, s3
	s_mov_b32 s3, 0
	s_cbranch_vccnz .LBB610_69
; %bb.1:
	v_cmp_neq_f32_e64 s7, s16, 0
	s_mov_b64 s[4:5], 0
	s_and_b32 vcc_lo, exec_lo, s6
	s_mov_b64 s[12:13], 0
	s_cbranch_vccnz .LBB610_3
; %bb.2:
	s_lshl_b64 s[12:13], s[2:3], 3
	s_delay_alu instid0(SALU_CYCLE_1)
	s_add_u32 s12, s20, s12
	s_addc_u32 s13, s21, s13
	s_lshl_b64 s[18:19], s[22:23], 1
	s_load_b64 s[12:13], s[12:13], 0x0
	s_waitcnt lgkmcnt(0)
	s_add_u32 s12, s12, s18
	s_addc_u32 s13, s13, s19
.LBB610_3:
	s_and_not1_b32 vcc_lo, exec_lo, s7
	s_cbranch_vccnz .LBB610_5
; %bb.4:
	s_load_b128 s[20:23], s[0:1], 0x38
	s_lshl_b64 s[4:5], s[2:3], 3
	s_waitcnt lgkmcnt(0)
	s_add_u32 s4, s20, s4
	s_addc_u32 s5, s21, s5
	s_lshl_b64 s[18:19], s[22:23], 1
	s_load_b64 s[4:5], s[4:5], 0x0
	s_waitcnt lgkmcnt(0)
	s_add_u32 s4, s4, s18
	s_addc_u32 s5, s5, s19
.LBB610_5:
	s_lshl_b64 s[2:3], s[2:3], 3
	s_delay_alu instid0(SALU_CYCLE_1)
	s_add_u32 s2, s8, s2
	s_addc_u32 s3, s9, s3
	s_lshl_b64 s[10:11], s[10:11], 1
	s_load_b64 s[8:9], s[2:3], 0x0
	s_load_b32 s17, s[0:1], 0x78
	v_cmp_eq_u32_e64 s2, 0, v0
	s_waitcnt lgkmcnt(0)
	s_add_u32 s8, s8, s10
	s_addc_u32 s9, s9, s11
	s_and_not1_b32 vcc_lo, exec_lo, s6
	s_cbranch_vccnz .LBB610_10
; %bb.6:
	s_mov_b32 s3, 0
	s_mov_b32 s10, 0
                                        ; implicit-def: $sgpr11
                                        ; implicit-def: $sgpr6_sgpr7
	s_and_saveexec_b32 s18, s2
	s_cbranch_execz .LBB610_11
; %bb.7:
	v_cmp_eq_f32_e64 s2, s15, 0
	s_mov_b32 s11, 0
	s_mul_hi_i32 s7, s17, s14
	s_mul_i32 s6, s17, s14
	s_delay_alu instid0(VALU_DEP_1)
	s_and_b32 vcc_lo, exec_lo, s2
	s_cbranch_vccnz .LBB610_16
; %bb.8:
	s_lshl_b64 s[10:11], s[6:7], 1
	v_mov_b32_e32 v1, 0
	s_add_u32 s10, s8, s10
	s_addc_u32 s11, s9, s11
	global_load_u16 v1, v1, s[10:11]
	s_waitcnt vmcnt(0)
	v_lshlrev_b32_e32 v1, 16, v1
	s_delay_alu instid0(VALU_DEP_1) | instskip(NEXT) | instid1(VALU_DEP_1)
	v_mul_f32_e32 v1, s15, v1
	v_and_b32_e32 v2, 0x7f800000, v1
	v_readfirstlane_b32 s2, v1
	s_delay_alu instid0(VALU_DEP_2)
	v_cmp_eq_u32_e32 vcc_lo, 0x7f800000, v2
	s_cbranch_vccnz .LBB610_12
; %bb.9:
	s_delay_alu instid0(VALU_DEP_2) | instskip(SKIP_2) | instid1(SALU_CYCLE_1)
	s_bfe_u32 s10, s2, 0x10010
	s_mov_b32 s11, 0
	s_add_i32 s10, s2, s10
	s_addk_i32 s10, 0x7fff
	s_branch .LBB610_13
.LBB610_10:
	s_mov_b32 s10, 0
                                        ; implicit-def: $sgpr11
                                        ; implicit-def: $sgpr6_sgpr7
	s_cbranch_execnz .LBB610_17
	s_branch .LBB610_67
.LBB610_11:
	s_or_b32 exec_lo, exec_lo, s18
	s_delay_alu instid0(SALU_CYCLE_1)
	s_and_b32 vcc_lo, exec_lo, s3
	s_cbranch_vccnz .LBB610_17
	s_branch .LBB610_67
.LBB610_12:
	s_mov_b32 s11, -1
                                        ; implicit-def: $sgpr10
.LBB610_13:
	s_delay_alu instid0(SALU_CYCLE_1)
	s_and_not1_b32 vcc_lo, exec_lo, s11
	s_cbranch_vccnz .LBB610_15
; %bb.14:
	s_and_b32 s10, s2, 0xffff
	s_or_b32 s11, s2, 0x10000
	s_cmp_eq_u32 s10, 0
	s_cselect_b32 s10, s2, s11
.LBB610_15:
	s_delay_alu instid0(SALU_CYCLE_1)
	s_lshr_b32 s11, s10, 16
.LBB610_16:
	s_mov_b32 s10, exec_lo
	s_or_b32 exec_lo, exec_lo, s18
	s_delay_alu instid0(SALU_CYCLE_1)
	s_and_b32 vcc_lo, exec_lo, s3
	s_cbranch_vccz .LBB610_67
.LBB610_17:
	s_clause 0x2
	s_load_b32 s2, s[0:1], 0x28
	s_load_b32 s3, s[0:1], 0x0
	;; [unrolled: 1-line block ×3, first 2 shown]
	v_mov_b32_e32 v7, 0
	s_mov_b32 s11, 0
	s_waitcnt lgkmcnt(0)
	s_mul_hi_i32 s7, s2, s14
	v_cmp_gt_i32_e32 vcc_lo, s3, v0
	s_mul_i32 s6, s2, s14
	s_delay_alu instid0(SALU_CYCLE_1) | instskip(NEXT) | instid1(SALU_CYCLE_1)
	s_lshl_b64 s[6:7], s[6:7], 1
	s_add_u32 s1, s6, s12
	v_cndmask_b32_e32 v1, 0, v0, vcc_lo
	s_addc_u32 s2, s7, s13
	s_ashr_i32 s6, s3, 31
	s_delay_alu instid0(SALU_CYCLE_1) | instskip(NEXT) | instid1(VALU_DEP_1)
	s_lshr_b32 s6, s6, 24
	v_lshlrev_b32_e32 v1, 1, v1
	s_add_i32 s6, s3, s6
	s_delay_alu instid0(VALU_DEP_1) | instskip(NEXT) | instid1(VALU_DEP_1)
	v_add_co_u32 v1, s1, s1, v1
	v_add_co_ci_u32_e64 v2, null, s2, 0, s1
	s_and_b32 s2, s6, 0xffffff00
	s_cmpk_lt_i32 s3, 0x100
	s_cbranch_scc1 .LBB610_24
; %bb.18:
	v_mad_i64_i32 v[3:4], null, s0, v0, 0
	v_dual_mov_b32 v7, 0 :: v_dual_mov_b32 v6, v2
	v_mov_b32_e32 v5, v1
	s_ashr_i32 s1, s0, 31
	s_delay_alu instid0(SALU_CYCLE_1) | instskip(NEXT) | instid1(VALU_DEP_3)
	s_lshl_b64 s[6:7], s[0:1], 9
	v_lshlrev_b64 v[3:4], 1, v[3:4]
	s_delay_alu instid0(VALU_DEP_1) | instskip(NEXT) | instid1(VALU_DEP_2)
	v_add_co_u32 v3, vcc_lo, s4, v3
	v_add_co_ci_u32_e32 v4, vcc_lo, s5, v4, vcc_lo
	s_set_inst_prefetch_distance 0x1
	s_branch .LBB610_20
	.p2align	6
.LBB610_19:                             ;   in Loop: Header=BB610_20 Depth=1
	s_or_b32 exec_lo, exec_lo, s1
	s_delay_alu instid0(VALU_DEP_1) | instskip(SKIP_3) | instid1(VALU_DEP_4)
	v_and_b32_e32 v8, 0xffff0000, v9
	v_add_co_u32 v3, vcc_lo, v3, s6
	v_add_co_ci_u32_e32 v4, vcc_lo, s7, v4, vcc_lo
	v_add_co_u32 v5, vcc_lo, 0x200, v5
	v_add_f32_e32 v7, v7, v8
	v_add_co_ci_u32_e32 v6, vcc_lo, 0, v6, vcc_lo
	s_addk_i32 s11, 0x100
	s_delay_alu instid0(SALU_CYCLE_1)
	s_cmp_ge_i32 s11, s2
	s_cbranch_scc1 .LBB610_24
.LBB610_20:                             ; =>This Inner Loop Header: Depth=1
	flat_load_u16 v8, v[3:4]
	flat_load_u16 v9, v[5:6]
	s_waitcnt vmcnt(1) lgkmcnt(1)
	v_lshlrev_b32_e32 v8, 16, v8
	s_waitcnt vmcnt(0) lgkmcnt(0)
	v_lshlrev_b32_e32 v9, 16, v9
	s_delay_alu instid0(VALU_DEP_1) | instskip(NEXT) | instid1(VALU_DEP_1)
	v_mul_f32_e32 v8, v9, v8
	v_and_b32_e32 v9, 0x7f800000, v8
	s_delay_alu instid0(VALU_DEP_1) | instskip(SKIP_1) | instid1(SALU_CYCLE_1)
	v_cmp_ne_u32_e32 vcc_lo, 0x7f800000, v9
                                        ; implicit-def: $vgpr9
	s_and_saveexec_b32 s1, vcc_lo
	s_xor_b32 s1, exec_lo, s1
; %bb.21:                               ;   in Loop: Header=BB610_20 Depth=1
	v_bfe_u32 v9, v8, 16, 1
	s_delay_alu instid0(VALU_DEP_1)
	v_add3_u32 v9, v8, v9, 0x7fff
                                        ; implicit-def: $vgpr8
; %bb.22:                               ;   in Loop: Header=BB610_20 Depth=1
	s_and_not1_saveexec_b32 s1, s1
	s_cbranch_execz .LBB610_19
; %bb.23:                               ;   in Loop: Header=BB610_20 Depth=1
	v_and_b32_e32 v9, 0xffff, v8
	v_or_b32_e32 v10, 0x10000, v8
	s_delay_alu instid0(VALU_DEP_2) | instskip(NEXT) | instid1(VALU_DEP_2)
	v_cmp_eq_u32_e32 vcc_lo, 0, v9
	v_cndmask_b32_e32 v9, v10, v8, vcc_lo
	s_branch .LBB610_19
.LBB610_24:
	s_set_inst_prefetch_distance 0x2
	v_add_nc_u32_e32 v3, s2, v0
	s_mov_b32 s1, exec_lo
	s_delay_alu instid0(VALU_DEP_1)
	v_cmpx_gt_i32_e64 s3, v3
	s_cbranch_execz .LBB610_30
; %bb.25:
	v_mad_i64_i32 v[4:5], null, s0, v3, 0
	s_ashr_i32 s3, s2, 31
	s_delay_alu instid0(SALU_CYCLE_1) | instskip(NEXT) | instid1(VALU_DEP_1)
	s_lshl_b64 s[2:3], s[2:3], 1
	v_lshlrev_b64 v[3:4], 1, v[4:5]
	s_delay_alu instid0(VALU_DEP_1) | instskip(NEXT) | instid1(VALU_DEP_2)
	v_add_co_u32 v3, vcc_lo, s4, v3
	v_add_co_ci_u32_e32 v4, vcc_lo, s5, v4, vcc_lo
	v_add_co_u32 v1, vcc_lo, v1, s2
	v_add_co_ci_u32_e32 v2, vcc_lo, s3, v2, vcc_lo
	flat_load_u16 v3, v[3:4]
	flat_load_u16 v1, v[1:2]
	s_waitcnt vmcnt(1) lgkmcnt(1)
	v_lshlrev_b32_e32 v2, 16, v3
	s_waitcnt vmcnt(0) lgkmcnt(0)
	v_lshlrev_b32_e32 v1, 16, v1
	s_delay_alu instid0(VALU_DEP_1) | instskip(NEXT) | instid1(VALU_DEP_1)
	v_mul_f32_e32 v1, v1, v2
	v_and_b32_e32 v2, 0x7f800000, v1
	s_delay_alu instid0(VALU_DEP_1) | instskip(SKIP_1) | instid1(SALU_CYCLE_1)
	v_cmp_ne_u32_e32 vcc_lo, 0x7f800000, v2
                                        ; implicit-def: $vgpr2
	s_and_saveexec_b32 s0, vcc_lo
	s_xor_b32 s0, exec_lo, s0
; %bb.26:
	v_bfe_u32 v2, v1, 16, 1
	s_delay_alu instid0(VALU_DEP_1)
	v_add3_u32 v2, v1, v2, 0x7fff
                                        ; implicit-def: $vgpr1
; %bb.27:
	s_and_not1_saveexec_b32 s0, s0
; %bb.28:
	v_and_b32_e32 v2, 0xffff, v1
	v_or_b32_e32 v3, 0x10000, v1
	s_delay_alu instid0(VALU_DEP_2) | instskip(NEXT) | instid1(VALU_DEP_2)
	v_cmp_eq_u32_e32 vcc_lo, 0, v2
	v_cndmask_b32_e32 v2, v3, v1, vcc_lo
; %bb.29:
	s_or_b32 exec_lo, exec_lo, s0
	s_delay_alu instid0(VALU_DEP_1) | instskip(NEXT) | instid1(VALU_DEP_1)
	v_and_b32_e32 v1, 0xffff0000, v2
	v_add_f32_e32 v7, v7, v1
.LBB610_30:
	s_or_b32 exec_lo, exec_lo, s1
	v_lshlrev_b32_e32 v1, 2, v0
	s_mov_b32 s0, exec_lo
	ds_store_b32 v1, v7
	s_waitcnt lgkmcnt(0)
	s_barrier
	buffer_gl0_inv
	v_cmpx_gt_u32_e32 0x80, v0
	s_cbranch_execz .LBB610_32
; %bb.31:
	ds_load_2addr_stride64_b32 v[2:3], v1 offset1:2
	s_waitcnt lgkmcnt(0)
	v_add_f32_e32 v2, v3, v2
	ds_store_b32 v1, v2
.LBB610_32:
	s_or_b32 exec_lo, exec_lo, s0
	s_delay_alu instid0(SALU_CYCLE_1)
	s_mov_b32 s0, exec_lo
	s_waitcnt lgkmcnt(0)
	s_barrier
	buffer_gl0_inv
	v_cmpx_gt_u32_e32 64, v0
	s_cbranch_execz .LBB610_34
; %bb.33:
	ds_load_2addr_stride64_b32 v[2:3], v1 offset1:1
	s_waitcnt lgkmcnt(0)
	v_add_f32_e32 v2, v3, v2
	ds_store_b32 v1, v2
.LBB610_34:
	s_or_b32 exec_lo, exec_lo, s0
	s_delay_alu instid0(SALU_CYCLE_1)
	s_mov_b32 s0, exec_lo
	s_waitcnt lgkmcnt(0)
	s_barrier
	buffer_gl0_inv
	v_cmpx_gt_u32_e32 32, v0
	s_cbranch_execz .LBB610_36
; %bb.35:
	ds_load_2addr_b32 v[2:3], v1 offset1:32
	s_waitcnt lgkmcnt(0)
	v_add_f32_e32 v2, v3, v2
	ds_store_b32 v1, v2
.LBB610_36:
	s_or_b32 exec_lo, exec_lo, s0
	s_delay_alu instid0(SALU_CYCLE_1)
	s_mov_b32 s0, exec_lo
	s_waitcnt lgkmcnt(0)
	s_barrier
	buffer_gl0_inv
	v_cmpx_gt_u32_e32 16, v0
	s_cbranch_execz .LBB610_38
; %bb.37:
	ds_load_2addr_b32 v[2:3], v1 offset1:16
	s_waitcnt lgkmcnt(0)
	v_add_f32_e32 v2, v3, v2
	ds_store_b32 v1, v2
.LBB610_38:
	;; [unrolled: 14-line block ×5, first 2 shown]
	s_or_b32 exec_lo, exec_lo, s0
	v_cmp_eq_u32_e32 vcc_lo, 0, v0
	s_waitcnt lgkmcnt(0)
	s_barrier
	buffer_gl0_inv
	s_and_saveexec_b32 s0, vcc_lo
	s_cbranch_execz .LBB610_46
; %bb.45:
	v_mov_b32_e32 v2, 0
	ds_load_b64 v[0:1], v2
	s_waitcnt lgkmcnt(0)
	v_add_f32_e32 v0, v1, v0
	ds_store_b32 v2, v0
.LBB610_46:
	s_or_b32 exec_lo, exec_lo, s0
	s_waitcnt lgkmcnt(0)
	s_barrier
	buffer_gl0_inv
                                        ; implicit-def: $sgpr11
                                        ; implicit-def: $sgpr6_sgpr7
	s_and_saveexec_b32 s0, vcc_lo
	s_cbranch_execz .LBB610_66
; %bb.47:
	v_mov_b32_e32 v0, 0
	v_cmp_eq_f32_e64 s2, s15, 0
	ds_load_b32 v0, v0
	s_and_b32 vcc_lo, exec_lo, s2
	s_waitcnt lgkmcnt(0)
	v_mul_f32_e32 v0, s16, v0
	s_delay_alu instid0(VALU_DEP_1)
	v_readfirstlane_b32 s1, v0
	s_cbranch_vccz .LBB610_50
; %bb.48:
	s_delay_alu instid0(VALU_DEP_1) | instskip(NEXT) | instid1(SALU_CYCLE_1)
	s_and_b32 s2, s1, 0x7f800000
	s_cmp_eq_u32 s2, 0x7f800000
	s_cbranch_scc1 .LBB610_51
; %bb.49:
	s_bfe_u32 s2, s1, 0x10010
	s_mov_b32 s3, 0
	s_add_i32 s2, s1, s2
	s_delay_alu instid0(SALU_CYCLE_1)
	s_addk_i32 s2, 0x7fff
	s_branch .LBB610_52
.LBB610_50:
                                        ; implicit-def: $sgpr2
	s_mul_hi_i32 s7, s17, s14
	s_mul_i32 s6, s17, s14
	s_branch .LBB610_55
.LBB610_51:
	s_mov_b32 s3, -1
                                        ; implicit-def: $sgpr2
.LBB610_52:
	s_delay_alu instid0(SALU_CYCLE_1)
	s_and_not1_b32 vcc_lo, exec_lo, s3
	s_cbranch_vccnz .LBB610_54
; %bb.53:
	s_and_b32 s2, s1, 0xffff
	s_or_b32 s3, s1, 0x10000
	s_cmp_eq_u32 s2, 0
	s_cselect_b32 s2, s1, s3
.LBB610_54:
	s_mul_hi_i32 s7, s17, s14
	s_mul_i32 s6, s17, s14
	s_cbranch_execnz .LBB610_65
.LBB610_55:
	s_lshl_b64 s[2:3], s[6:7], 1
	v_mov_b32_e32 v0, 0
	s_add_u32 s2, s8, s2
	s_addc_u32 s3, s9, s3
	global_load_u16 v0, v0, s[2:3]
	s_waitcnt vmcnt(0)
	v_lshlrev_b32_e32 v0, 16, v0
	s_delay_alu instid0(VALU_DEP_1) | instskip(NEXT) | instid1(VALU_DEP_1)
	v_mul_f32_e32 v0, s15, v0
	v_and_b32_e32 v1, 0x7f800000, v0
	v_readfirstlane_b32 s2, v0
	s_delay_alu instid0(VALU_DEP_2)
	v_cmp_eq_u32_e32 vcc_lo, 0x7f800000, v1
	s_cbranch_vccnz .LBB610_57
; %bb.56:
	s_delay_alu instid0(VALU_DEP_2) | instskip(SKIP_2) | instid1(SALU_CYCLE_1)
	s_bfe_u32 s3, s2, 0x10010
	s_mov_b32 s4, 0
	s_add_i32 s3, s2, s3
	s_addk_i32 s3, 0x7fff
	s_branch .LBB610_58
.LBB610_57:
	s_mov_b32 s4, -1
                                        ; implicit-def: $sgpr3
.LBB610_58:
	s_delay_alu instid0(SALU_CYCLE_1)
	s_and_not1_b32 vcc_lo, exec_lo, s4
	s_cbranch_vccnz .LBB610_60
; %bb.59:
	s_and_b32 s3, s2, 0xffff
	s_or_b32 s4, s2, 0x10000
	s_cmp_eq_u32 s3, 0
	s_cselect_b32 s3, s2, s4
.LBB610_60:
	s_delay_alu instid0(SALU_CYCLE_1) | instskip(NEXT) | instid1(SALU_CYCLE_1)
	s_and_b32 s2, s3, 0xffff0000
	v_add_f32_e64 v0, s1, s2
	s_delay_alu instid0(VALU_DEP_1) | instskip(SKIP_1) | instid1(VALU_DEP_2)
	v_and_b32_e32 v1, 0x7f800000, v0
	v_readfirstlane_b32 s1, v0
	v_cmp_eq_u32_e32 vcc_lo, 0x7f800000, v1
	s_cbranch_vccnz .LBB610_62
; %bb.61:
	s_delay_alu instid0(VALU_DEP_2) | instskip(SKIP_2) | instid1(SALU_CYCLE_1)
	s_bfe_u32 s2, s1, 0x10010
	s_mov_b32 s3, 0
	s_add_i32 s2, s1, s2
	s_addk_i32 s2, 0x7fff
	s_branch .LBB610_63
.LBB610_62:
	s_mov_b32 s3, -1
                                        ; implicit-def: $sgpr2
.LBB610_63:
	s_delay_alu instid0(SALU_CYCLE_1)
	s_and_not1_b32 vcc_lo, exec_lo, s3
	s_cbranch_vccnz .LBB610_65
; %bb.64:
	s_and_b32 s2, s1, 0xffff
	s_or_b32 s3, s1, 0x10000
	s_cmp_eq_u32 s2, 0
	s_cselect_b32 s2, s1, s3
.LBB610_65:
	s_delay_alu instid0(SALU_CYCLE_1)
	s_lshr_b32 s11, s2, 16
	s_or_b32 s10, s10, exec_lo
.LBB610_66:
	s_or_b32 exec_lo, exec_lo, s0
.LBB610_67:
	s_and_saveexec_b32 s0, s10
	s_cbranch_execz .LBB610_69
; %bb.68:
	s_lshl_b64 s[0:1], s[6:7], 1
	v_dual_mov_b32 v0, 0 :: v_dual_mov_b32 v1, s11
	s_add_u32 s0, s8, s0
	s_addc_u32 s1, s9, s1
	global_store_b16 v0, v1, s[0:1]
.LBB610_69:
	s_nop 0
	s_sendmsg sendmsg(MSG_DEALLOC_VGPRS)
	s_endpgm
	.section	.rodata,"a",@progbits
	.p2align	6, 0x0
	.amdhsa_kernel _ZL20rocblas_gemvt_kernelILb0ELi256EPK16rocblas_bfloat16PKfKPS0_EviiT2_lPKT1_lilSA_lilS7_lPT3_lili
		.amdhsa_group_segment_fixed_size 1024
		.amdhsa_private_segment_fixed_size 0
		.amdhsa_kernarg_size 140
		.amdhsa_user_sgpr_count 14
		.amdhsa_user_sgpr_dispatch_ptr 0
		.amdhsa_user_sgpr_queue_ptr 0
		.amdhsa_user_sgpr_kernarg_segment_ptr 1
		.amdhsa_user_sgpr_dispatch_id 0
		.amdhsa_user_sgpr_private_segment_size 0
		.amdhsa_wavefront_size32 1
		.amdhsa_uses_dynamic_stack 0
		.amdhsa_enable_private_segment 0
		.amdhsa_system_sgpr_workgroup_id_x 1
		.amdhsa_system_sgpr_workgroup_id_y 0
		.amdhsa_system_sgpr_workgroup_id_z 1
		.amdhsa_system_sgpr_workgroup_info 0
		.amdhsa_system_vgpr_workitem_id 0
		.amdhsa_next_free_vgpr 11
		.amdhsa_next_free_sgpr 24
		.amdhsa_reserve_vcc 1
		.amdhsa_float_round_mode_32 0
		.amdhsa_float_round_mode_16_64 0
		.amdhsa_float_denorm_mode_32 3
		.amdhsa_float_denorm_mode_16_64 3
		.amdhsa_dx10_clamp 1
		.amdhsa_ieee_mode 1
		.amdhsa_fp16_overflow 0
		.amdhsa_workgroup_processor_mode 1
		.amdhsa_memory_ordered 1
		.amdhsa_forward_progress 0
		.amdhsa_shared_vgpr_count 0
		.amdhsa_exception_fp_ieee_invalid_op 0
		.amdhsa_exception_fp_denorm_src 0
		.amdhsa_exception_fp_ieee_div_zero 0
		.amdhsa_exception_fp_ieee_overflow 0
		.amdhsa_exception_fp_ieee_underflow 0
		.amdhsa_exception_fp_ieee_inexact 0
		.amdhsa_exception_int_div_zero 0
	.end_amdhsa_kernel
	.section	.text._ZL20rocblas_gemvt_kernelILb0ELi256EPK16rocblas_bfloat16PKfKPS0_EviiT2_lPKT1_lilSA_lilS7_lPT3_lili,"axG",@progbits,_ZL20rocblas_gemvt_kernelILb0ELi256EPK16rocblas_bfloat16PKfKPS0_EviiT2_lPKT1_lilSA_lilS7_lPT3_lili,comdat
.Lfunc_end610:
	.size	_ZL20rocblas_gemvt_kernelILb0ELi256EPK16rocblas_bfloat16PKfKPS0_EviiT2_lPKT1_lilSA_lilS7_lPT3_lili, .Lfunc_end610-_ZL20rocblas_gemvt_kernelILb0ELi256EPK16rocblas_bfloat16PKfKPS0_EviiT2_lPKT1_lilSA_lilS7_lPT3_lili
                                        ; -- End function
	.section	.AMDGPU.csdata,"",@progbits
; Kernel info:
; codeLenInByte = 2184
; NumSgprs: 26
; NumVgprs: 11
; ScratchSize: 0
; MemoryBound: 0
; FloatMode: 240
; IeeeMode: 1
; LDSByteSize: 1024 bytes/workgroup (compile time only)
; SGPRBlocks: 3
; VGPRBlocks: 1
; NumSGPRsForWavesPerEU: 26
; NumVGPRsForWavesPerEU: 11
; Occupancy: 16
; WaveLimiterHint : 1
; COMPUTE_PGM_RSRC2:SCRATCH_EN: 0
; COMPUTE_PGM_RSRC2:USER_SGPR: 14
; COMPUTE_PGM_RSRC2:TRAP_HANDLER: 0
; COMPUTE_PGM_RSRC2:TGID_X_EN: 1
; COMPUTE_PGM_RSRC2:TGID_Y_EN: 0
; COMPUTE_PGM_RSRC2:TGID_Z_EN: 1
; COMPUTE_PGM_RSRC2:TIDIG_COMP_CNT: 0
	.section	.text._ZL20rocblas_gemvt_kernelILb0ELi256EPK16rocblas_bfloat16fKPS0_EviiT2_lPKT1_lilS8_lilS5_lPT3_lili,"axG",@progbits,_ZL20rocblas_gemvt_kernelILb0ELi256EPK16rocblas_bfloat16fKPS0_EviiT2_lPKT1_lilS8_lilS5_lPT3_lili,comdat
	.globl	_ZL20rocblas_gemvt_kernelILb0ELi256EPK16rocblas_bfloat16fKPS0_EviiT2_lPKT1_lilS8_lilS5_lPT3_lili ; -- Begin function _ZL20rocblas_gemvt_kernelILb0ELi256EPK16rocblas_bfloat16fKPS0_EviiT2_lPKT1_lilS8_lilS5_lPT3_lili
	.p2align	8
	.type	_ZL20rocblas_gemvt_kernelILb0ELi256EPK16rocblas_bfloat16fKPS0_EviiT2_lPKT1_lilS8_lilS5_lPT3_lili,@function
_ZL20rocblas_gemvt_kernelILb0ELi256EPK16rocblas_bfloat16fKPS0_EviiT2_lPKT1_lilS8_lilS5_lPT3_lili: ; @_ZL20rocblas_gemvt_kernelILb0ELi256EPK16rocblas_bfloat16fKPS0_EviiT2_lPKT1_lilS8_lilS5_lPT3_lili
; %bb.0:
	s_clause 0x1
	s_load_b32 s13, s[0:1], 0x8
	s_load_b32 s12, s[0:1], 0x58
	s_waitcnt lgkmcnt(0)
	v_cmp_eq_f32_e64 s6, s13, 0
	v_cmp_eq_f32_e64 s3, s12, 1.0
	s_delay_alu instid0(VALU_DEP_1) | instskip(NEXT) | instid1(SALU_CYCLE_1)
	s_and_b32 s3, s6, s3
	s_and_b32 vcc_lo, exec_lo, s3
	s_cbranch_vccnz .LBB611_72
; %bb.1:
	v_cmp_neq_f32_e64 s4, s13, 0
	s_mov_b32 s2, s15
	s_delay_alu instid0(VALU_DEP_1)
	s_and_b32 vcc_lo, exec_lo, s4
	s_cbranch_vccnz .LBB611_3
; %bb.2:
	s_mov_b32 s3, 0
	s_mov_b64 s[8:9], 0
	s_cbranch_execz .LBB611_4
	s_branch .LBB611_5
.LBB611_3:
	s_mov_b32 s3, -1
                                        ; implicit-def: $sgpr8_sgpr9
.LBB611_4:
	s_load_b128 s[8:11], s[0:1], 0x18
	s_mov_b32 s3, 0
	s_delay_alu instid0(SALU_CYCLE_1)
	s_lshl_b64 s[16:17], s[2:3], 3
	s_waitcnt lgkmcnt(0)
	s_add_u32 s8, s8, s16
	s_addc_u32 s9, s9, s17
	s_lshl_b64 s[10:11], s[10:11], 1
	s_load_b64 s[8:9], s[8:9], 0x0
	s_waitcnt lgkmcnt(0)
	s_add_u32 s8, s8, s10
	s_addc_u32 s9, s9, s11
.LBB611_5:
	s_and_not1_b32 vcc_lo, exec_lo, s4
	s_cbranch_vccnz .LBB611_7
; %bb.6:
	s_load_b128 s[16:19], s[0:1], 0x38
	s_lshl_b64 s[4:5], s[2:3], 3
	s_waitcnt lgkmcnt(0)
	s_add_u32 s4, s16, s4
	s_addc_u32 s5, s17, s5
	s_lshl_b64 s[10:11], s[18:19], 1
	s_load_b64 s[4:5], s[4:5], 0x0
	s_waitcnt lgkmcnt(0)
	s_add_u32 s4, s4, s10
	s_addc_u32 s5, s5, s11
	s_branch .LBB611_8
.LBB611_7:
	s_mov_b64 s[4:5], 0
.LBB611_8:
	s_clause 0x1
	s_load_b128 s[20:23], s[0:1], 0x68
	s_load_b32 s16, s[0:1], 0x78
	s_lshl_b64 s[2:3], s[2:3], 3
	s_waitcnt lgkmcnt(0)
	s_add_u32 s2, s20, s2
	s_addc_u32 s3, s21, s3
	s_lshl_b64 s[18:19], s[22:23], 1
	s_load_b64 s[10:11], s[2:3], 0x0
	v_cmp_eq_u32_e64 s2, 0, v0
	s_waitcnt lgkmcnt(0)
	s_add_u32 s10, s10, s18
	s_addc_u32 s11, s11, s19
	s_and_not1_b32 vcc_lo, exec_lo, s6
	s_cbranch_vccnz .LBB611_13
; %bb.9:
	s_mov_b32 s3, 0
	s_mov_b32 s15, 0
                                        ; implicit-def: $sgpr17
                                        ; implicit-def: $sgpr6_sgpr7
	s_and_saveexec_b32 s18, s2
	s_cbranch_execz .LBB611_14
; %bb.10:
	v_cmp_eq_f32_e64 s2, s12, 0
	s_mov_b32 s17, 0
	s_mul_hi_i32 s7, s16, s14
	s_mul_i32 s6, s16, s14
	s_delay_alu instid0(VALU_DEP_1)
	s_and_b32 vcc_lo, exec_lo, s2
	s_cbranch_vccnz .LBB611_19
; %bb.11:
	s_lshl_b64 s[20:21], s[6:7], 1
	v_mov_b32_e32 v1, 0
	s_add_u32 s20, s10, s20
	s_addc_u32 s21, s11, s21
	global_load_u16 v1, v1, s[20:21]
	s_waitcnt vmcnt(0)
	v_lshlrev_b32_e32 v1, 16, v1
	s_delay_alu instid0(VALU_DEP_1) | instskip(NEXT) | instid1(VALU_DEP_1)
	v_mul_f32_e32 v1, s12, v1
	v_and_b32_e32 v2, 0x7f800000, v1
	v_readfirstlane_b32 s2, v1
	s_delay_alu instid0(VALU_DEP_2)
	v_cmp_eq_u32_e32 vcc_lo, 0x7f800000, v2
	s_cbranch_vccnz .LBB611_15
; %bb.12:
	s_delay_alu instid0(VALU_DEP_2) | instskip(NEXT) | instid1(SALU_CYCLE_1)
	s_bfe_u32 s15, s2, 0x10010
	s_add_i32 s15, s2, s15
	s_delay_alu instid0(SALU_CYCLE_1)
	s_addk_i32 s15, 0x7fff
	s_branch .LBB611_16
.LBB611_13:
	s_mov_b32 s15, 0
                                        ; implicit-def: $sgpr17
                                        ; implicit-def: $sgpr6_sgpr7
	s_cbranch_execnz .LBB611_20
	s_branch .LBB611_70
.LBB611_14:
	s_or_b32 exec_lo, exec_lo, s18
	s_delay_alu instid0(SALU_CYCLE_1)
	s_and_b32 vcc_lo, exec_lo, s3
	s_cbranch_vccnz .LBB611_20
	s_branch .LBB611_70
.LBB611_15:
	s_mov_b32 s17, -1
                                        ; implicit-def: $sgpr15
.LBB611_16:
	s_delay_alu instid0(SALU_CYCLE_1)
	s_and_not1_b32 vcc_lo, exec_lo, s17
	s_cbranch_vccnz .LBB611_18
; %bb.17:
	s_and_b32 s15, s2, 0xffff
	s_or_b32 s17, s2, 0x10000
	s_cmp_eq_u32 s15, 0
	s_cselect_b32 s15, s2, s17
.LBB611_18:
	s_delay_alu instid0(SALU_CYCLE_1)
	s_lshr_b32 s17, s15, 16
.LBB611_19:
	s_mov_b32 s15, exec_lo
	s_or_b32 exec_lo, exec_lo, s18
	s_delay_alu instid0(SALU_CYCLE_1)
	s_and_b32 vcc_lo, exec_lo, s3
	s_cbranch_vccz .LBB611_70
.LBB611_20:
	s_clause 0x2
	s_load_b32 s2, s[0:1], 0x28
	s_load_b32 s3, s[0:1], 0x0
	s_load_b32 s0, s[0:1], 0x48
	v_mov_b32_e32 v7, 0
	s_waitcnt lgkmcnt(0)
	s_mul_hi_i32 s7, s2, s14
	v_cmp_gt_i32_e32 vcc_lo, s3, v0
	s_mul_i32 s6, s2, s14
	s_delay_alu instid0(SALU_CYCLE_1) | instskip(NEXT) | instid1(SALU_CYCLE_1)
	s_lshl_b64 s[6:7], s[6:7], 1
	s_add_u32 s1, s6, s8
	v_cndmask_b32_e32 v1, 0, v0, vcc_lo
	s_addc_u32 s2, s7, s9
	s_ashr_i32 s6, s3, 31
	s_mov_b32 s8, 0
	s_lshr_b32 s6, s6, 24
	v_lshlrev_b32_e32 v1, 1, v1
	s_add_i32 s6, s3, s6
	s_delay_alu instid0(VALU_DEP_1) | instskip(NEXT) | instid1(VALU_DEP_1)
	v_add_co_u32 v1, s1, s1, v1
	v_add_co_ci_u32_e64 v2, null, s2, 0, s1
	s_and_b32 s2, s6, 0xffffff00
	s_cmpk_lt_i32 s3, 0x100
	s_cbranch_scc1 .LBB611_27
; %bb.21:
	v_mad_i64_i32 v[3:4], null, s0, v0, 0
	v_dual_mov_b32 v7, 0 :: v_dual_mov_b32 v6, v2
	v_mov_b32_e32 v5, v1
	s_ashr_i32 s1, s0, 31
	s_delay_alu instid0(SALU_CYCLE_1) | instskip(NEXT) | instid1(VALU_DEP_3)
	s_lshl_b64 s[6:7], s[0:1], 9
	v_lshlrev_b64 v[3:4], 1, v[3:4]
	s_delay_alu instid0(VALU_DEP_1) | instskip(NEXT) | instid1(VALU_DEP_2)
	v_add_co_u32 v3, vcc_lo, s4, v3
	v_add_co_ci_u32_e32 v4, vcc_lo, s5, v4, vcc_lo
	s_set_inst_prefetch_distance 0x1
	s_branch .LBB611_23
	.p2align	6
.LBB611_22:                             ;   in Loop: Header=BB611_23 Depth=1
	s_or_b32 exec_lo, exec_lo, s1
	s_delay_alu instid0(VALU_DEP_1) | instskip(SKIP_3) | instid1(VALU_DEP_4)
	v_and_b32_e32 v8, 0xffff0000, v9
	v_add_co_u32 v3, vcc_lo, v3, s6
	v_add_co_ci_u32_e32 v4, vcc_lo, s7, v4, vcc_lo
	v_add_co_u32 v5, vcc_lo, 0x200, v5
	v_add_f32_e32 v7, v7, v8
	v_add_co_ci_u32_e32 v6, vcc_lo, 0, v6, vcc_lo
	s_addk_i32 s8, 0x100
	s_delay_alu instid0(SALU_CYCLE_1)
	s_cmp_ge_i32 s8, s2
	s_cbranch_scc1 .LBB611_27
.LBB611_23:                             ; =>This Inner Loop Header: Depth=1
	flat_load_u16 v8, v[3:4]
	flat_load_u16 v9, v[5:6]
	s_waitcnt vmcnt(1) lgkmcnt(1)
	v_lshlrev_b32_e32 v8, 16, v8
	s_waitcnt vmcnt(0) lgkmcnt(0)
	v_lshlrev_b32_e32 v9, 16, v9
	s_delay_alu instid0(VALU_DEP_1) | instskip(NEXT) | instid1(VALU_DEP_1)
	v_mul_f32_e32 v8, v9, v8
	v_and_b32_e32 v9, 0x7f800000, v8
	s_delay_alu instid0(VALU_DEP_1) | instskip(SKIP_1) | instid1(SALU_CYCLE_1)
	v_cmp_ne_u32_e32 vcc_lo, 0x7f800000, v9
                                        ; implicit-def: $vgpr9
	s_and_saveexec_b32 s1, vcc_lo
	s_xor_b32 s1, exec_lo, s1
; %bb.24:                               ;   in Loop: Header=BB611_23 Depth=1
	v_bfe_u32 v9, v8, 16, 1
	s_delay_alu instid0(VALU_DEP_1)
	v_add3_u32 v9, v8, v9, 0x7fff
                                        ; implicit-def: $vgpr8
; %bb.25:                               ;   in Loop: Header=BB611_23 Depth=1
	s_and_not1_saveexec_b32 s1, s1
	s_cbranch_execz .LBB611_22
; %bb.26:                               ;   in Loop: Header=BB611_23 Depth=1
	v_and_b32_e32 v9, 0xffff, v8
	v_or_b32_e32 v10, 0x10000, v8
	s_delay_alu instid0(VALU_DEP_2) | instskip(NEXT) | instid1(VALU_DEP_2)
	v_cmp_eq_u32_e32 vcc_lo, 0, v9
	v_cndmask_b32_e32 v9, v10, v8, vcc_lo
	s_branch .LBB611_22
.LBB611_27:
	s_set_inst_prefetch_distance 0x2
	v_add_nc_u32_e32 v3, s2, v0
	s_mov_b32 s1, exec_lo
	s_delay_alu instid0(VALU_DEP_1)
	v_cmpx_gt_i32_e64 s3, v3
	s_cbranch_execz .LBB611_33
; %bb.28:
	v_mad_i64_i32 v[4:5], null, s0, v3, 0
	s_ashr_i32 s3, s2, 31
	s_delay_alu instid0(SALU_CYCLE_1) | instskip(NEXT) | instid1(VALU_DEP_1)
	s_lshl_b64 s[2:3], s[2:3], 1
	v_lshlrev_b64 v[3:4], 1, v[4:5]
	s_delay_alu instid0(VALU_DEP_1) | instskip(NEXT) | instid1(VALU_DEP_2)
	v_add_co_u32 v3, vcc_lo, s4, v3
	v_add_co_ci_u32_e32 v4, vcc_lo, s5, v4, vcc_lo
	v_add_co_u32 v1, vcc_lo, v1, s2
	v_add_co_ci_u32_e32 v2, vcc_lo, s3, v2, vcc_lo
	flat_load_u16 v3, v[3:4]
	flat_load_u16 v1, v[1:2]
	s_waitcnt vmcnt(1) lgkmcnt(1)
	v_lshlrev_b32_e32 v2, 16, v3
	s_waitcnt vmcnt(0) lgkmcnt(0)
	v_lshlrev_b32_e32 v1, 16, v1
	s_delay_alu instid0(VALU_DEP_1) | instskip(NEXT) | instid1(VALU_DEP_1)
	v_mul_f32_e32 v1, v1, v2
	v_and_b32_e32 v2, 0x7f800000, v1
	s_delay_alu instid0(VALU_DEP_1) | instskip(SKIP_1) | instid1(SALU_CYCLE_1)
	v_cmp_ne_u32_e32 vcc_lo, 0x7f800000, v2
                                        ; implicit-def: $vgpr2
	s_and_saveexec_b32 s0, vcc_lo
	s_xor_b32 s0, exec_lo, s0
; %bb.29:
	v_bfe_u32 v2, v1, 16, 1
	s_delay_alu instid0(VALU_DEP_1)
	v_add3_u32 v2, v1, v2, 0x7fff
                                        ; implicit-def: $vgpr1
; %bb.30:
	s_and_not1_saveexec_b32 s0, s0
; %bb.31:
	v_and_b32_e32 v2, 0xffff, v1
	v_or_b32_e32 v3, 0x10000, v1
	s_delay_alu instid0(VALU_DEP_2) | instskip(NEXT) | instid1(VALU_DEP_2)
	v_cmp_eq_u32_e32 vcc_lo, 0, v2
	v_cndmask_b32_e32 v2, v3, v1, vcc_lo
; %bb.32:
	s_or_b32 exec_lo, exec_lo, s0
	s_delay_alu instid0(VALU_DEP_1) | instskip(NEXT) | instid1(VALU_DEP_1)
	v_and_b32_e32 v1, 0xffff0000, v2
	v_add_f32_e32 v7, v7, v1
.LBB611_33:
	s_or_b32 exec_lo, exec_lo, s1
	v_lshlrev_b32_e32 v1, 2, v0
	s_mov_b32 s0, exec_lo
	ds_store_b32 v1, v7
	s_waitcnt lgkmcnt(0)
	s_barrier
	buffer_gl0_inv
	v_cmpx_gt_u32_e32 0x80, v0
	s_cbranch_execz .LBB611_35
; %bb.34:
	ds_load_2addr_stride64_b32 v[2:3], v1 offset1:2
	s_waitcnt lgkmcnt(0)
	v_add_f32_e32 v2, v3, v2
	ds_store_b32 v1, v2
.LBB611_35:
	s_or_b32 exec_lo, exec_lo, s0
	s_delay_alu instid0(SALU_CYCLE_1)
	s_mov_b32 s0, exec_lo
	s_waitcnt lgkmcnt(0)
	s_barrier
	buffer_gl0_inv
	v_cmpx_gt_u32_e32 64, v0
	s_cbranch_execz .LBB611_37
; %bb.36:
	ds_load_2addr_stride64_b32 v[2:3], v1 offset1:1
	s_waitcnt lgkmcnt(0)
	v_add_f32_e32 v2, v3, v2
	ds_store_b32 v1, v2
.LBB611_37:
	s_or_b32 exec_lo, exec_lo, s0
	s_delay_alu instid0(SALU_CYCLE_1)
	s_mov_b32 s0, exec_lo
	s_waitcnt lgkmcnt(0)
	s_barrier
	buffer_gl0_inv
	v_cmpx_gt_u32_e32 32, v0
	s_cbranch_execz .LBB611_39
; %bb.38:
	ds_load_2addr_b32 v[2:3], v1 offset1:32
	s_waitcnt lgkmcnt(0)
	v_add_f32_e32 v2, v3, v2
	ds_store_b32 v1, v2
.LBB611_39:
	s_or_b32 exec_lo, exec_lo, s0
	s_delay_alu instid0(SALU_CYCLE_1)
	s_mov_b32 s0, exec_lo
	s_waitcnt lgkmcnt(0)
	s_barrier
	buffer_gl0_inv
	v_cmpx_gt_u32_e32 16, v0
	s_cbranch_execz .LBB611_41
; %bb.40:
	ds_load_2addr_b32 v[2:3], v1 offset1:16
	s_waitcnt lgkmcnt(0)
	v_add_f32_e32 v2, v3, v2
	ds_store_b32 v1, v2
.LBB611_41:
	;; [unrolled: 14-line block ×5, first 2 shown]
	s_or_b32 exec_lo, exec_lo, s0
	v_cmp_eq_u32_e32 vcc_lo, 0, v0
	s_waitcnt lgkmcnt(0)
	s_barrier
	buffer_gl0_inv
	s_and_saveexec_b32 s0, vcc_lo
	s_cbranch_execz .LBB611_49
; %bb.48:
	v_mov_b32_e32 v2, 0
	ds_load_b64 v[0:1], v2
	s_waitcnt lgkmcnt(0)
	v_add_f32_e32 v0, v1, v0
	ds_store_b32 v2, v0
.LBB611_49:
	s_or_b32 exec_lo, exec_lo, s0
	s_waitcnt lgkmcnt(0)
	s_barrier
	buffer_gl0_inv
                                        ; implicit-def: $sgpr17
                                        ; implicit-def: $sgpr6_sgpr7
	s_and_saveexec_b32 s0, vcc_lo
	s_cbranch_execz .LBB611_69
; %bb.50:
	v_mov_b32_e32 v0, 0
	v_cmp_eq_f32_e64 s2, s12, 0
	ds_load_b32 v0, v0
	s_and_b32 vcc_lo, exec_lo, s2
	s_waitcnt lgkmcnt(0)
	v_mul_f32_e32 v0, s13, v0
	s_delay_alu instid0(VALU_DEP_1)
	v_readfirstlane_b32 s1, v0
	s_cbranch_vccz .LBB611_53
; %bb.51:
	s_delay_alu instid0(VALU_DEP_1) | instskip(NEXT) | instid1(SALU_CYCLE_1)
	s_and_b32 s2, s1, 0x7f800000
	s_cmp_eq_u32 s2, 0x7f800000
	s_cbranch_scc1 .LBB611_54
; %bb.52:
	s_bfe_u32 s2, s1, 0x10010
	s_mov_b32 s3, 0
	s_add_i32 s2, s1, s2
	s_delay_alu instid0(SALU_CYCLE_1)
	s_addk_i32 s2, 0x7fff
	s_branch .LBB611_55
.LBB611_53:
                                        ; implicit-def: $sgpr2
	s_mul_hi_i32 s7, s16, s14
	s_mul_i32 s6, s16, s14
	s_branch .LBB611_58
.LBB611_54:
	s_mov_b32 s3, -1
                                        ; implicit-def: $sgpr2
.LBB611_55:
	s_delay_alu instid0(SALU_CYCLE_1)
	s_and_not1_b32 vcc_lo, exec_lo, s3
	s_cbranch_vccnz .LBB611_57
; %bb.56:
	s_and_b32 s2, s1, 0xffff
	s_or_b32 s3, s1, 0x10000
	s_cmp_eq_u32 s2, 0
	s_cselect_b32 s2, s1, s3
.LBB611_57:
	s_mul_hi_i32 s7, s16, s14
	s_mul_i32 s6, s16, s14
	s_cbranch_execnz .LBB611_68
.LBB611_58:
	s_lshl_b64 s[2:3], s[6:7], 1
	v_mov_b32_e32 v0, 0
	s_add_u32 s2, s10, s2
	s_addc_u32 s3, s11, s3
	global_load_u16 v0, v0, s[2:3]
	s_waitcnt vmcnt(0)
	v_lshlrev_b32_e32 v0, 16, v0
	s_delay_alu instid0(VALU_DEP_1) | instskip(NEXT) | instid1(VALU_DEP_1)
	v_mul_f32_e32 v0, s12, v0
	v_and_b32_e32 v1, 0x7f800000, v0
	v_readfirstlane_b32 s2, v0
	s_delay_alu instid0(VALU_DEP_2)
	v_cmp_eq_u32_e32 vcc_lo, 0x7f800000, v1
	s_cbranch_vccnz .LBB611_60
; %bb.59:
	s_delay_alu instid0(VALU_DEP_2) | instskip(SKIP_2) | instid1(SALU_CYCLE_1)
	s_bfe_u32 s3, s2, 0x10010
	s_mov_b32 s4, 0
	s_add_i32 s3, s2, s3
	s_addk_i32 s3, 0x7fff
	s_branch .LBB611_61
.LBB611_60:
	s_mov_b32 s4, -1
                                        ; implicit-def: $sgpr3
.LBB611_61:
	s_delay_alu instid0(SALU_CYCLE_1)
	s_and_not1_b32 vcc_lo, exec_lo, s4
	s_cbranch_vccnz .LBB611_63
; %bb.62:
	s_and_b32 s3, s2, 0xffff
	s_or_b32 s4, s2, 0x10000
	s_cmp_eq_u32 s3, 0
	s_cselect_b32 s3, s2, s4
.LBB611_63:
	s_delay_alu instid0(SALU_CYCLE_1) | instskip(NEXT) | instid1(SALU_CYCLE_1)
	s_and_b32 s2, s3, 0xffff0000
	v_add_f32_e64 v0, s1, s2
	s_delay_alu instid0(VALU_DEP_1) | instskip(SKIP_1) | instid1(VALU_DEP_2)
	v_and_b32_e32 v1, 0x7f800000, v0
	v_readfirstlane_b32 s1, v0
	v_cmp_eq_u32_e32 vcc_lo, 0x7f800000, v1
	s_cbranch_vccnz .LBB611_65
; %bb.64:
	s_delay_alu instid0(VALU_DEP_2) | instskip(SKIP_2) | instid1(SALU_CYCLE_1)
	s_bfe_u32 s2, s1, 0x10010
	s_mov_b32 s3, 0
	s_add_i32 s2, s1, s2
	s_addk_i32 s2, 0x7fff
	s_branch .LBB611_66
.LBB611_65:
	s_mov_b32 s3, -1
                                        ; implicit-def: $sgpr2
.LBB611_66:
	s_delay_alu instid0(SALU_CYCLE_1)
	s_and_not1_b32 vcc_lo, exec_lo, s3
	s_cbranch_vccnz .LBB611_68
; %bb.67:
	s_and_b32 s2, s1, 0xffff
	s_or_b32 s3, s1, 0x10000
	s_cmp_eq_u32 s2, 0
	s_cselect_b32 s2, s1, s3
.LBB611_68:
	s_delay_alu instid0(SALU_CYCLE_1)
	s_lshr_b32 s17, s2, 16
	s_or_b32 s15, s15, exec_lo
.LBB611_69:
	s_or_b32 exec_lo, exec_lo, s0
.LBB611_70:
	s_and_saveexec_b32 s0, s15
	s_cbranch_execz .LBB611_72
; %bb.71:
	s_lshl_b64 s[0:1], s[6:7], 1
	v_dual_mov_b32 v0, 0 :: v_dual_mov_b32 v1, s17
	s_add_u32 s0, s10, s0
	s_addc_u32 s1, s11, s1
	global_store_b16 v0, v1, s[0:1]
.LBB611_72:
	s_nop 0
	s_sendmsg sendmsg(MSG_DEALLOC_VGPRS)
	s_endpgm
	.section	.rodata,"a",@progbits
	.p2align	6, 0x0
	.amdhsa_kernel _ZL20rocblas_gemvt_kernelILb0ELi256EPK16rocblas_bfloat16fKPS0_EviiT2_lPKT1_lilS8_lilS5_lPT3_lili
		.amdhsa_group_segment_fixed_size 1024
		.amdhsa_private_segment_fixed_size 0
		.amdhsa_kernarg_size 140
		.amdhsa_user_sgpr_count 14
		.amdhsa_user_sgpr_dispatch_ptr 0
		.amdhsa_user_sgpr_queue_ptr 0
		.amdhsa_user_sgpr_kernarg_segment_ptr 1
		.amdhsa_user_sgpr_dispatch_id 0
		.amdhsa_user_sgpr_private_segment_size 0
		.amdhsa_wavefront_size32 1
		.amdhsa_uses_dynamic_stack 0
		.amdhsa_enable_private_segment 0
		.amdhsa_system_sgpr_workgroup_id_x 1
		.amdhsa_system_sgpr_workgroup_id_y 0
		.amdhsa_system_sgpr_workgroup_id_z 1
		.amdhsa_system_sgpr_workgroup_info 0
		.amdhsa_system_vgpr_workitem_id 0
		.amdhsa_next_free_vgpr 11
		.amdhsa_next_free_sgpr 24
		.amdhsa_reserve_vcc 1
		.amdhsa_float_round_mode_32 0
		.amdhsa_float_round_mode_16_64 0
		.amdhsa_float_denorm_mode_32 3
		.amdhsa_float_denorm_mode_16_64 3
		.amdhsa_dx10_clamp 1
		.amdhsa_ieee_mode 1
		.amdhsa_fp16_overflow 0
		.amdhsa_workgroup_processor_mode 1
		.amdhsa_memory_ordered 1
		.amdhsa_forward_progress 0
		.amdhsa_shared_vgpr_count 0
		.amdhsa_exception_fp_ieee_invalid_op 0
		.amdhsa_exception_fp_denorm_src 0
		.amdhsa_exception_fp_ieee_div_zero 0
		.amdhsa_exception_fp_ieee_overflow 0
		.amdhsa_exception_fp_ieee_underflow 0
		.amdhsa_exception_fp_ieee_inexact 0
		.amdhsa_exception_int_div_zero 0
	.end_amdhsa_kernel
	.section	.text._ZL20rocblas_gemvt_kernelILb0ELi256EPK16rocblas_bfloat16fKPS0_EviiT2_lPKT1_lilS8_lilS5_lPT3_lili,"axG",@progbits,_ZL20rocblas_gemvt_kernelILb0ELi256EPK16rocblas_bfloat16fKPS0_EviiT2_lPKT1_lilS8_lilS5_lPT3_lili,comdat
.Lfunc_end611:
	.size	_ZL20rocblas_gemvt_kernelILb0ELi256EPK16rocblas_bfloat16fKPS0_EviiT2_lPKT1_lilS8_lilS5_lPT3_lili, .Lfunc_end611-_ZL20rocblas_gemvt_kernelILb0ELi256EPK16rocblas_bfloat16fKPS0_EviiT2_lPKT1_lilS8_lilS5_lPT3_lili
                                        ; -- End function
	.section	.AMDGPU.csdata,"",@progbits
; Kernel info:
; codeLenInByte = 2148
; NumSgprs: 26
; NumVgprs: 11
; ScratchSize: 0
; MemoryBound: 0
; FloatMode: 240
; IeeeMode: 1
; LDSByteSize: 1024 bytes/workgroup (compile time only)
; SGPRBlocks: 3
; VGPRBlocks: 1
; NumSGPRsForWavesPerEU: 26
; NumVGPRsForWavesPerEU: 11
; Occupancy: 16
; WaveLimiterHint : 1
; COMPUTE_PGM_RSRC2:SCRATCH_EN: 0
; COMPUTE_PGM_RSRC2:USER_SGPR: 14
; COMPUTE_PGM_RSRC2:TRAP_HANDLER: 0
; COMPUTE_PGM_RSRC2:TGID_X_EN: 1
; COMPUTE_PGM_RSRC2:TGID_Y_EN: 0
; COMPUTE_PGM_RSRC2:TGID_Z_EN: 1
; COMPUTE_PGM_RSRC2:TIDIG_COMP_CNT: 0
	.section	.text._ZL32rocblas_gemvt_warp_reduce_kernelILb0ELi1024EiPK16rocblas_bfloat16PKfKPS0_EviiT3_lPKT2_lT1_lSA_lSB_lS7_lPT4_lSB_li,"axG",@progbits,_ZL32rocblas_gemvt_warp_reduce_kernelILb0ELi1024EiPK16rocblas_bfloat16PKfKPS0_EviiT3_lPKT2_lT1_lSA_lSB_lS7_lPT4_lSB_li,comdat
	.globl	_ZL32rocblas_gemvt_warp_reduce_kernelILb0ELi1024EiPK16rocblas_bfloat16PKfKPS0_EviiT3_lPKT2_lT1_lSA_lSB_lS7_lPT4_lSB_li ; -- Begin function _ZL32rocblas_gemvt_warp_reduce_kernelILb0ELi1024EiPK16rocblas_bfloat16PKfKPS0_EviiT3_lPKT2_lT1_lSA_lSB_lS7_lPT4_lSB_li
	.p2align	8
	.type	_ZL32rocblas_gemvt_warp_reduce_kernelILb0ELi1024EiPK16rocblas_bfloat16PKfKPS0_EviiT3_lPKT2_lT1_lSA_lSB_lS7_lPT4_lSB_li,@function
_ZL32rocblas_gemvt_warp_reduce_kernelILb0ELi1024EiPK16rocblas_bfloat16PKfKPS0_EviiT3_lPKT2_lT1_lSA_lSB_lS7_lPT4_lSB_li: ; @_ZL32rocblas_gemvt_warp_reduce_kernelILb0ELi1024EiPK16rocblas_bfloat16PKfKPS0_EviiT3_lPKT2_lT1_lSA_lSB_lS7_lPT4_lSB_li
; %bb.0:
	s_clause 0x1
	s_load_b256 s[16:23], s[0:1], 0x8
	s_load_b256 s[4:11], s[0:1], 0x58
	s_mov_b32 s2, s15
	s_waitcnt lgkmcnt(0)
	s_mul_i32 s3, s15, s19
	s_mul_hi_u32 s13, s15, s18
	s_mul_i32 s12, s15, s18
	s_add_i32 s13, s13, s3
	s_mul_i32 s3, s15, s7
	s_lshl_b64 s[12:13], s[12:13], 2
	s_mul_hi_u32 s7, s15, s6
	s_add_u32 s12, s16, s12
	s_addc_u32 s13, s17, s13
	s_add_i32 s7, s7, s3
	s_mul_i32 s6, s15, s6
	s_delay_alu instid0(SALU_CYCLE_1) | instskip(NEXT) | instid1(SALU_CYCLE_1)
	s_lshl_b64 s[6:7], s[6:7], 2
	s_add_u32 s4, s4, s6
	s_addc_u32 s5, s5, s7
	s_load_b32 s16, s[12:13], 0x0
	s_load_b32 s15, s[4:5], 0x0
	s_waitcnt lgkmcnt(0)
	v_cmp_eq_f32_e64 s6, s16, 0
	v_cmp_eq_f32_e64 s3, s15, 1.0
	s_delay_alu instid0(VALU_DEP_1) | instskip(NEXT) | instid1(SALU_CYCLE_1)
	s_and_b32 s3, s6, s3
	s_and_b32 vcc_lo, exec_lo, s3
	s_mov_b32 s3, 0
	s_cbranch_vccnz .LBB612_61
; %bb.1:
	v_cmp_neq_f32_e64 s7, s16, 0
	s_mov_b64 s[4:5], 0
	s_and_b32 vcc_lo, exec_lo, s6
	s_mov_b64 s[12:13], 0
	s_cbranch_vccnz .LBB612_3
; %bb.2:
	s_lshl_b64 s[12:13], s[2:3], 3
	s_delay_alu instid0(SALU_CYCLE_1)
	s_add_u32 s12, s20, s12
	s_addc_u32 s13, s21, s13
	s_lshl_b64 s[18:19], s[22:23], 1
	s_load_b64 s[12:13], s[12:13], 0x0
	s_waitcnt lgkmcnt(0)
	s_add_u32 s12, s12, s18
	s_addc_u32 s13, s13, s19
.LBB612_3:
	s_and_not1_b32 vcc_lo, exec_lo, s7
	s_cbranch_vccnz .LBB612_5
; %bb.4:
	s_load_b128 s[20:23], s[0:1], 0x38
	s_lshl_b64 s[4:5], s[2:3], 3
	s_waitcnt lgkmcnt(0)
	s_add_u32 s4, s20, s4
	s_addc_u32 s5, s21, s5
	s_lshl_b64 s[18:19], s[22:23], 1
	s_load_b64 s[4:5], s[4:5], 0x0
	s_waitcnt lgkmcnt(0)
	s_add_u32 s4, s4, s18
	s_addc_u32 s5, s5, s19
.LBB612_5:
	s_lshl_b64 s[2:3], s[2:3], 3
	s_delay_alu instid0(SALU_CYCLE_1)
	s_add_u32 s2, s8, s2
	s_addc_u32 s3, s9, s3
	s_lshl_b64 s[10:11], s[10:11], 1
	s_load_b64 s[8:9], s[2:3], 0x0
	s_load_b32 s17, s[0:1], 0x78
	v_cmp_eq_u32_e64 s2, 0, v0
	s_waitcnt lgkmcnt(0)
	s_add_u32 s8, s8, s10
	s_addc_u32 s9, s9, s11
	s_and_not1_b32 vcc_lo, exec_lo, s6
	s_cbranch_vccnz .LBB612_10
; %bb.6:
	s_mov_b32 s3, 0
	s_mov_b32 s10, 0
                                        ; implicit-def: $sgpr18
                                        ; implicit-def: $sgpr6_sgpr7
	s_and_saveexec_b32 s11, s2
	s_cbranch_execz .LBB612_11
; %bb.7:
	v_cmp_eq_f32_e64 s2, s15, 0
	s_mul_i32 s6, s14, s17
	s_mov_b32 s18, 0
	s_ashr_i32 s7, s6, 31
	s_delay_alu instid0(VALU_DEP_1)
	s_and_b32 vcc_lo, exec_lo, s2
	s_cbranch_vccnz .LBB612_17
; %bb.8:
	s_lshl_b64 s[18:19], s[6:7], 1
	v_mov_b32_e32 v1, 0
	s_add_u32 s18, s8, s18
	s_addc_u32 s19, s9, s19
	global_load_u16 v1, v1, s[18:19]
	s_waitcnt vmcnt(0)
	v_lshlrev_b32_e32 v1, 16, v1
	s_delay_alu instid0(VALU_DEP_1) | instskip(NEXT) | instid1(VALU_DEP_1)
	v_mul_f32_e32 v1, s15, v1
	v_and_b32_e32 v2, 0x7f800000, v1
	v_readfirstlane_b32 s2, v1
	s_delay_alu instid0(VALU_DEP_2)
	v_cmp_eq_u32_e32 vcc_lo, 0x7f800000, v2
	s_cbranch_vccnz .LBB612_13
; %bb.9:
	s_delay_alu instid0(VALU_DEP_2) | instskip(SKIP_2) | instid1(SALU_CYCLE_1)
	s_bfe_u32 s10, s2, 0x10010
	s_mov_b32 s18, 0
	s_add_i32 s10, s2, s10
	s_addk_i32 s10, 0x7fff
	s_branch .LBB612_14
.LBB612_10:
	s_mov_b32 s10, 0
                                        ; implicit-def: $sgpr18
                                        ; implicit-def: $sgpr6_sgpr7
	s_cbranch_execz .LBB612_12
	s_branch .LBB612_18
.LBB612_11:
	s_or_b32 exec_lo, exec_lo, s11
	s_delay_alu instid0(SALU_CYCLE_1)
	s_and_b32 vcc_lo, exec_lo, s3
	s_cbranch_vccnz .LBB612_18
.LBB612_12:
	v_mov_b32_e32 v1, s18
	s_and_saveexec_b32 s0, s10
	s_cbranch_execnz .LBB612_60
	s_branch .LBB612_61
.LBB612_13:
	s_mov_b32 s18, -1
                                        ; implicit-def: $sgpr10
.LBB612_14:
	s_delay_alu instid0(SALU_CYCLE_1)
	s_and_not1_b32 vcc_lo, exec_lo, s18
	s_cbranch_vccnz .LBB612_16
; %bb.15:
	s_and_b32 s10, s2, 0xffff
	s_or_b32 s18, s2, 0x10000
	s_cmp_eq_u32 s10, 0
	s_cselect_b32 s10, s2, s18
.LBB612_16:
	s_delay_alu instid0(SALU_CYCLE_1)
	s_lshr_b32 s18, s10, 16
.LBB612_17:
	s_mov_b32 s10, exec_lo
	s_or_b32 exec_lo, exec_lo, s11
	s_delay_alu instid0(SALU_CYCLE_1)
	s_and_b32 vcc_lo, exec_lo, s3
	s_cbranch_vccz .LBB612_12
.LBB612_18:
	s_clause 0x2
	s_load_b32 s2, s[0:1], 0x28
	s_load_b32 s3, s[0:1], 0x0
	;; [unrolled: 1-line block ×3, first 2 shown]
	v_mov_b32_e32 v7, 0
	s_waitcnt lgkmcnt(0)
	s_mul_i32 s6, s14, s2
	v_cmp_gt_i32_e32 vcc_lo, s3, v0
	s_ashr_i32 s7, s6, 31
	s_delay_alu instid0(SALU_CYCLE_1)
	s_lshl_b64 s[6:7], s[6:7], 1
	v_cndmask_b32_e32 v1, 0, v0, vcc_lo
	s_add_u32 s0, s6, s12
	s_addc_u32 s6, s7, s13
	s_ashr_i32 s2, s3, 31
	s_mov_b32 s7, 0
	v_lshlrev_b32_e32 v1, 1, v1
	s_lshr_b32 s2, s2, 22
	s_delay_alu instid0(SALU_CYCLE_1) | instskip(NEXT) | instid1(SALU_CYCLE_1)
	s_add_i32 s2, s3, s2
	s_and_b32 s2, s2, 0xfffffc00
	s_delay_alu instid0(VALU_DEP_1) | instskip(NEXT) | instid1(VALU_DEP_1)
	v_add_co_u32 v1, s0, s0, v1
	v_add_co_ci_u32_e64 v2, null, s6, 0, s0
	s_mov_b32 s6, exec_lo
	v_cmpx_gt_i32_e64 s2, v0
	s_cbranch_execz .LBB612_26
; %bb.19:
	v_mul_lo_u32 v3, v0, s1
	v_dual_mov_b32 v7, 0 :: v_dual_mov_b32 v6, v2
	v_dual_mov_b32 v5, v1 :: v_dual_mov_b32 v8, v0
	s_lshl_b32 s11, s1, 10
	s_branch .LBB612_21
.LBB612_20:                             ;   in Loop: Header=BB612_21 Depth=1
	s_or_b32 exec_lo, exec_lo, s0
	v_add_nc_u32_e32 v8, 0x400, v8
	s_delay_alu instid0(VALU_DEP_2) | instskip(SKIP_2) | instid1(VALU_DEP_4)
	v_and_b32_e32 v4, 0xffff0000, v9
	v_add_co_u32 v5, s0, 0x800, v5
	v_add_nc_u32_e32 v3, s11, v3
	v_cmp_le_i32_e32 vcc_lo, s2, v8
	s_delay_alu instid0(VALU_DEP_4) | instskip(SKIP_2) | instid1(SALU_CYCLE_1)
	v_add_f32_e32 v7, v7, v4
	v_add_co_ci_u32_e64 v6, s0, 0, v6, s0
	s_or_b32 s7, vcc_lo, s7
	s_and_not1_b32 exec_lo, exec_lo, s7
	s_cbranch_execz .LBB612_25
.LBB612_21:                             ; =>This Inner Loop Header: Depth=1
	s_delay_alu instid0(VALU_DEP_3) | instskip(NEXT) | instid1(VALU_DEP_1)
	v_ashrrev_i32_e32 v4, 31, v3
	v_lshlrev_b64 v[9:10], 1, v[3:4]
	s_delay_alu instid0(VALU_DEP_1) | instskip(NEXT) | instid1(VALU_DEP_2)
	v_add_co_u32 v9, vcc_lo, s4, v9
	v_add_co_ci_u32_e32 v10, vcc_lo, s5, v10, vcc_lo
	flat_load_u16 v4, v[5:6]
	flat_load_u16 v9, v[9:10]
	s_waitcnt vmcnt(1) lgkmcnt(1)
	v_lshlrev_b32_e32 v4, 16, v4
	s_waitcnt vmcnt(0) lgkmcnt(0)
	v_lshlrev_b32_e32 v9, 16, v9
	s_delay_alu instid0(VALU_DEP_1) | instskip(NEXT) | instid1(VALU_DEP_1)
	v_mul_f32_e32 v4, v4, v9
	v_and_b32_e32 v9, 0x7f800000, v4
	s_delay_alu instid0(VALU_DEP_1) | instskip(SKIP_1) | instid1(SALU_CYCLE_1)
	v_cmp_ne_u32_e32 vcc_lo, 0x7f800000, v9
                                        ; implicit-def: $vgpr9
	s_and_saveexec_b32 s0, vcc_lo
	s_xor_b32 s0, exec_lo, s0
; %bb.22:                               ;   in Loop: Header=BB612_21 Depth=1
	v_bfe_u32 v9, v4, 16, 1
	s_delay_alu instid0(VALU_DEP_1)
	v_add3_u32 v9, v4, v9, 0x7fff
                                        ; implicit-def: $vgpr4
; %bb.23:                               ;   in Loop: Header=BB612_21 Depth=1
	s_and_not1_saveexec_b32 s0, s0
	s_cbranch_execz .LBB612_20
; %bb.24:                               ;   in Loop: Header=BB612_21 Depth=1
	v_and_b32_e32 v9, 0xffff, v4
	v_or_b32_e32 v10, 0x10000, v4
	s_delay_alu instid0(VALU_DEP_2) | instskip(NEXT) | instid1(VALU_DEP_2)
	v_cmp_eq_u32_e32 vcc_lo, 0, v9
	v_cndmask_b32_e32 v9, v10, v4, vcc_lo
	s_branch .LBB612_20
.LBB612_25:
	s_or_b32 exec_lo, exec_lo, s7
.LBB612_26:
	s_delay_alu instid0(SALU_CYCLE_1) | instskip(SKIP_2) | instid1(VALU_DEP_1)
	s_or_b32 exec_lo, exec_lo, s6
	v_or_b32_e32 v3, s2, v0
	s_mov_b32 s0, exec_lo
	v_cmpx_gt_i32_e64 s3, v3
	s_cbranch_execz .LBB612_32
; %bb.27:
	v_mul_lo_u32 v3, v3, s1
	s_ashr_i32 s3, s2, 31
	s_delay_alu instid0(SALU_CYCLE_1) | instskip(NEXT) | instid1(VALU_DEP_1)
	s_lshl_b64 s[2:3], s[2:3], 1
	v_ashrrev_i32_e32 v4, 31, v3
	s_delay_alu instid0(VALU_DEP_1) | instskip(NEXT) | instid1(VALU_DEP_1)
	v_lshlrev_b64 v[3:4], 1, v[3:4]
	v_add_co_u32 v3, vcc_lo, s4, v3
	s_delay_alu instid0(VALU_DEP_2)
	v_add_co_ci_u32_e32 v4, vcc_lo, s5, v4, vcc_lo
	v_add_co_u32 v1, vcc_lo, v1, s2
	v_add_co_ci_u32_e32 v2, vcc_lo, s3, v2, vcc_lo
	flat_load_u16 v3, v[3:4]
	flat_load_u16 v1, v[1:2]
	s_waitcnt vmcnt(1) lgkmcnt(1)
	v_lshlrev_b32_e32 v2, 16, v3
	s_waitcnt vmcnt(0) lgkmcnt(0)
	v_lshlrev_b32_e32 v1, 16, v1
	s_delay_alu instid0(VALU_DEP_1) | instskip(NEXT) | instid1(VALU_DEP_1)
	v_mul_f32_e32 v1, v1, v2
	v_and_b32_e32 v2, 0x7f800000, v1
	s_delay_alu instid0(VALU_DEP_1) | instskip(SKIP_1) | instid1(SALU_CYCLE_1)
	v_cmp_ne_u32_e32 vcc_lo, 0x7f800000, v2
                                        ; implicit-def: $vgpr2
	s_and_saveexec_b32 s1, vcc_lo
	s_xor_b32 s1, exec_lo, s1
; %bb.28:
	v_bfe_u32 v2, v1, 16, 1
	s_delay_alu instid0(VALU_DEP_1)
	v_add3_u32 v2, v1, v2, 0x7fff
                                        ; implicit-def: $vgpr1
; %bb.29:
	s_and_not1_saveexec_b32 s1, s1
; %bb.30:
	v_and_b32_e32 v2, 0xffff, v1
	v_or_b32_e32 v3, 0x10000, v1
	s_delay_alu instid0(VALU_DEP_2) | instskip(NEXT) | instid1(VALU_DEP_2)
	v_cmp_eq_u32_e32 vcc_lo, 0, v2
	v_cndmask_b32_e32 v2, v3, v1, vcc_lo
; %bb.31:
	s_or_b32 exec_lo, exec_lo, s1
	s_delay_alu instid0(VALU_DEP_1) | instskip(NEXT) | instid1(VALU_DEP_1)
	v_and_b32_e32 v1, 0xffff0000, v2
	v_add_f32_e32 v7, v7, v1
.LBB612_32:
	s_or_b32 exec_lo, exec_lo, s0
	v_and_b32_e32 v6, 31, v0
	v_cmp_gt_u32_e32 vcc_lo, 32, v0
	s_delay_alu instid0(VALU_DEP_2)
	v_lshlrev_b32_e32 v1, 2, v6
	s_and_saveexec_b32 s0, vcc_lo
	s_cbranch_execz .LBB612_34
; %bb.33:
	v_mov_b32_e32 v2, 0
	ds_store_b32 v1, v2
.LBB612_34:
	s_or_b32 exec_lo, exec_lo, s0
	v_mbcnt_lo_u32_b32 v8, -1, 0
	s_mov_b32 s1, exec_lo
	s_waitcnt lgkmcnt(0)
	s_barrier
	buffer_gl0_inv
	v_cmp_gt_u32_e64 s0, 16, v8
	s_delay_alu instid0(VALU_DEP_1) | instskip(SKIP_1) | instid1(VALU_DEP_2)
	v_cndmask_b32_e64 v2, 0, 1, s0
	v_cmp_gt_u32_e64 s0, 24, v8
	v_lshlrev_b32_e32 v2, 4, v2
	s_delay_alu instid0(VALU_DEP_2) | instskip(SKIP_1) | instid1(VALU_DEP_3)
	v_cndmask_b32_e64 v3, 0, 1, s0
	v_cmp_gt_u32_e64 s0, 28, v8
	v_add_lshl_u32 v2, v2, v8, 2
	s_delay_alu instid0(VALU_DEP_3)
	v_lshlrev_b32_e32 v3, 3, v3
	ds_bpermute_b32 v4, v2, v7
	v_add_lshl_u32 v3, v3, v8, 2
	s_waitcnt lgkmcnt(0)
	v_add_f32_e32 v5, v7, v4
	v_cndmask_b32_e64 v4, 0, 1, s0
	v_cmp_gt_u32_e64 s0, 30, v8
	ds_bpermute_b32 v7, v3, v5
	s_waitcnt lgkmcnt(0)
	v_dual_add_f32 v7, v5, v7 :: v_dual_lshlrev_b32 v4, 2, v4
	s_delay_alu instid0(VALU_DEP_1)
	v_add_lshl_u32 v4, v4, v8, 2
	v_cndmask_b32_e64 v5, 0, 1, s0
	v_cmp_ne_u32_e64 s0, 31, v8
	ds_bpermute_b32 v9, v4, v7
	v_lshlrev_b32_e32 v5, 1, v5
	v_add_co_ci_u32_e64 v10, s0, 0, v8, s0
	s_delay_alu instid0(VALU_DEP_2)
	v_add_lshl_u32 v5, v5, v8, 2
	s_waitcnt lgkmcnt(0)
	v_add_f32_e32 v7, v7, v9
	ds_bpermute_b32 v9, v5, v7
	s_waitcnt lgkmcnt(0)
	v_dual_add_f32 v8, v7, v9 :: v_dual_lshlrev_b32 v7, 2, v10
	ds_bpermute_b32 v9, v7, v8
	v_cmpx_eq_u32_e32 0, v6
	s_cbranch_execz .LBB612_36
; %bb.35:
	v_lshrrev_b32_e32 v6, 3, v0
	s_waitcnt lgkmcnt(0)
	v_add_f32_e32 v8, v8, v9
	s_delay_alu instid0(VALU_DEP_2)
	v_and_b32_e32 v6, 0x7c, v6
	ds_store_b32 v6, v8
.LBB612_36:
	s_or_b32 exec_lo, exec_lo, s1
	v_mov_b32_e32 v6, 0
	s_waitcnt lgkmcnt(0)
	s_barrier
	buffer_gl0_inv
	s_and_saveexec_b32 s0, vcc_lo
	s_cbranch_execz .LBB612_38
; %bb.37:
	ds_load_b32 v6, v1
.LBB612_38:
	s_or_b32 exec_lo, exec_lo, s0
	s_and_saveexec_b32 s0, vcc_lo
	s_cbranch_execz .LBB612_40
; %bb.39:
	s_waitcnt lgkmcnt(0)
	ds_bpermute_b32 v1, v2, v6
	s_waitcnt lgkmcnt(0)
	v_add_f32_e32 v1, v6, v1
	ds_bpermute_b32 v2, v3, v1
	s_waitcnt lgkmcnt(0)
	v_add_f32_e32 v1, v1, v2
	;; [unrolled: 3-line block ×5, first 2 shown]
.LBB612_40:
	s_or_b32 exec_lo, exec_lo, s0
	s_delay_alu instid0(SALU_CYCLE_1)
	s_mov_b32 s0, exec_lo
                                        ; implicit-def: $vgpr1
                                        ; implicit-def: $sgpr6_sgpr7
	v_cmpx_eq_u32_e32 0, v0
	s_cbranch_execz .LBB612_59
; %bb.41:
	v_cmp_eq_f32_e64 s1, s15, 0
	s_waitcnt lgkmcnt(0)
	v_mul_f32_e32 v0, s16, v6
	s_delay_alu instid0(VALU_DEP_2)
	s_and_b32 vcc_lo, exec_lo, s1
	s_cbranch_vccz .LBB612_47
; %bb.42:
	s_delay_alu instid0(VALU_DEP_1) | instskip(NEXT) | instid1(VALU_DEP_1)
	v_and_b32_e32 v1, 0x7f800000, v0
	v_cmp_ne_u32_e32 vcc_lo, 0x7f800000, v1
                                        ; implicit-def: $vgpr1
	s_and_saveexec_b32 s1, vcc_lo
	s_delay_alu instid0(SALU_CYCLE_1)
	s_xor_b32 s1, exec_lo, s1
; %bb.43:
	v_bfe_u32 v1, v0, 16, 1
	s_delay_alu instid0(VALU_DEP_1)
	v_add3_u32 v1, v0, v1, 0x7fff
; %bb.44:
	s_and_not1_saveexec_b32 s1, s1
; %bb.45:
	v_and_b32_e32 v1, 0xffff, v0
	v_or_b32_e32 v2, 0x10000, v0
	s_delay_alu instid0(VALU_DEP_2) | instskip(NEXT) | instid1(VALU_DEP_2)
	v_cmp_eq_u32_e32 vcc_lo, 0, v1
	v_cndmask_b32_e32 v1, v2, v0, vcc_lo
; %bb.46:
	s_or_b32 exec_lo, exec_lo, s1
	s_mul_i32 s6, s14, s17
	s_cbranch_execz .LBB612_48
	s_branch .LBB612_58
.LBB612_47:
                                        ; implicit-def: $vgpr1
	s_mul_i32 s6, s14, s17
.LBB612_48:
	s_delay_alu instid0(SALU_CYCLE_1) | instskip(SKIP_2) | instid1(SALU_CYCLE_1)
	s_ashr_i32 s7, s6, 31
	v_mov_b32_e32 v1, 0
	s_lshl_b64 s[2:3], s[6:7], 1
	s_add_u32 s2, s8, s2
	s_addc_u32 s3, s9, s3
	global_load_u16 v1, v1, s[2:3]
	s_waitcnt vmcnt(0)
	v_lshlrev_b32_e32 v1, 16, v1
	s_delay_alu instid0(VALU_DEP_1) | instskip(NEXT) | instid1(VALU_DEP_1)
	v_mul_f32_e32 v1, s15, v1
	v_and_b32_e32 v2, 0x7f800000, v1
	v_readfirstlane_b32 s1, v1
	s_delay_alu instid0(VALU_DEP_2)
	v_cmp_eq_u32_e32 vcc_lo, 0x7f800000, v2
	s_cbranch_vccnz .LBB612_50
; %bb.49:
	s_delay_alu instid0(VALU_DEP_2) | instskip(SKIP_2) | instid1(SALU_CYCLE_1)
	s_bfe_u32 s2, s1, 0x10010
	s_mov_b32 s3, 0
	s_add_i32 s2, s1, s2
	s_addk_i32 s2, 0x7fff
	s_branch .LBB612_51
.LBB612_50:
	s_mov_b32 s3, -1
                                        ; implicit-def: $sgpr2
.LBB612_51:
	s_delay_alu instid0(SALU_CYCLE_1)
	s_and_not1_b32 vcc_lo, exec_lo, s3
	s_cbranch_vccnz .LBB612_53
; %bb.52:
	s_and_b32 s2, s1, 0xffff
	s_or_b32 s3, s1, 0x10000
	s_cmp_eq_u32 s2, 0
	s_cselect_b32 s2, s1, s3
.LBB612_53:
	s_delay_alu instid0(SALU_CYCLE_1) | instskip(NEXT) | instid1(SALU_CYCLE_1)
	s_and_b32 s1, s2, 0xffff0000
	v_add_f32_e32 v0, s1, v0
	s_delay_alu instid0(VALU_DEP_1) | instskip(NEXT) | instid1(VALU_DEP_1)
	v_and_b32_e32 v1, 0x7f800000, v0
	v_cmp_ne_u32_e32 vcc_lo, 0x7f800000, v1
                                        ; implicit-def: $vgpr1
	s_and_saveexec_b32 s1, vcc_lo
	s_delay_alu instid0(SALU_CYCLE_1)
	s_xor_b32 s1, exec_lo, s1
; %bb.54:
	v_bfe_u32 v1, v0, 16, 1
	s_delay_alu instid0(VALU_DEP_1)
	v_add3_u32 v1, v0, v1, 0x7fff
                                        ; implicit-def: $vgpr0
; %bb.55:
	s_and_not1_saveexec_b32 s1, s1
; %bb.56:
	v_and_b32_e32 v1, 0xffff, v0
	v_or_b32_e32 v2, 0x10000, v0
	s_delay_alu instid0(VALU_DEP_2) | instskip(NEXT) | instid1(VALU_DEP_2)
	v_cmp_eq_u32_e32 vcc_lo, 0, v1
	v_cndmask_b32_e32 v1, v2, v0, vcc_lo
; %bb.57:
	s_or_b32 exec_lo, exec_lo, s1
.LBB612_58:
	s_delay_alu instid0(VALU_DEP_1)
	v_lshrrev_b32_e32 v1, 16, v1
	s_ashr_i32 s7, s6, 31
	s_or_b32 s10, s10, exec_lo
.LBB612_59:
	s_or_b32 exec_lo, exec_lo, s0
	s_and_saveexec_b32 s0, s10
	s_cbranch_execz .LBB612_61
.LBB612_60:
	s_lshl_b64 s[0:1], s[6:7], 1
	v_mov_b32_e32 v0, 0
	s_add_u32 s0, s8, s0
	s_addc_u32 s1, s9, s1
	global_store_b16 v0, v1, s[0:1]
.LBB612_61:
	s_nop 0
	s_sendmsg sendmsg(MSG_DEALLOC_VGPRS)
	s_endpgm
	.section	.rodata,"a",@progbits
	.p2align	6, 0x0
	.amdhsa_kernel _ZL32rocblas_gemvt_warp_reduce_kernelILb0ELi1024EiPK16rocblas_bfloat16PKfKPS0_EviiT3_lPKT2_lT1_lSA_lSB_lS7_lPT4_lSB_li
		.amdhsa_group_segment_fixed_size 128
		.amdhsa_private_segment_fixed_size 0
		.amdhsa_kernarg_size 140
		.amdhsa_user_sgpr_count 14
		.amdhsa_user_sgpr_dispatch_ptr 0
		.amdhsa_user_sgpr_queue_ptr 0
		.amdhsa_user_sgpr_kernarg_segment_ptr 1
		.amdhsa_user_sgpr_dispatch_id 0
		.amdhsa_user_sgpr_private_segment_size 0
		.amdhsa_wavefront_size32 1
		.amdhsa_uses_dynamic_stack 0
		.amdhsa_enable_private_segment 0
		.amdhsa_system_sgpr_workgroup_id_x 1
		.amdhsa_system_sgpr_workgroup_id_y 0
		.amdhsa_system_sgpr_workgroup_id_z 1
		.amdhsa_system_sgpr_workgroup_info 0
		.amdhsa_system_vgpr_workitem_id 0
		.amdhsa_next_free_vgpr 11
		.amdhsa_next_free_sgpr 24
		.amdhsa_reserve_vcc 1
		.amdhsa_float_round_mode_32 0
		.amdhsa_float_round_mode_16_64 0
		.amdhsa_float_denorm_mode_32 3
		.amdhsa_float_denorm_mode_16_64 3
		.amdhsa_dx10_clamp 1
		.amdhsa_ieee_mode 1
		.amdhsa_fp16_overflow 0
		.amdhsa_workgroup_processor_mode 1
		.amdhsa_memory_ordered 1
		.amdhsa_forward_progress 0
		.amdhsa_shared_vgpr_count 0
		.amdhsa_exception_fp_ieee_invalid_op 0
		.amdhsa_exception_fp_denorm_src 0
		.amdhsa_exception_fp_ieee_div_zero 0
		.amdhsa_exception_fp_ieee_overflow 0
		.amdhsa_exception_fp_ieee_underflow 0
		.amdhsa_exception_fp_ieee_inexact 0
		.amdhsa_exception_int_div_zero 0
	.end_amdhsa_kernel
	.section	.text._ZL32rocblas_gemvt_warp_reduce_kernelILb0ELi1024EiPK16rocblas_bfloat16PKfKPS0_EviiT3_lPKT2_lT1_lSA_lSB_lS7_lPT4_lSB_li,"axG",@progbits,_ZL32rocblas_gemvt_warp_reduce_kernelILb0ELi1024EiPK16rocblas_bfloat16PKfKPS0_EviiT3_lPKT2_lT1_lSA_lSB_lS7_lPT4_lSB_li,comdat
.Lfunc_end612:
	.size	_ZL32rocblas_gemvt_warp_reduce_kernelILb0ELi1024EiPK16rocblas_bfloat16PKfKPS0_EviiT3_lPKT2_lT1_lSA_lSB_lS7_lPT4_lSB_li, .Lfunc_end612-_ZL32rocblas_gemvt_warp_reduce_kernelILb0ELi1024EiPK16rocblas_bfloat16PKfKPS0_EviiT3_lPKT2_lT1_lSA_lSB_lS7_lPT4_lSB_li
                                        ; -- End function
	.section	.AMDGPU.csdata,"",@progbits
; Kernel info:
; codeLenInByte = 2172
; NumSgprs: 26
; NumVgprs: 11
; ScratchSize: 0
; MemoryBound: 0
; FloatMode: 240
; IeeeMode: 1
; LDSByteSize: 128 bytes/workgroup (compile time only)
; SGPRBlocks: 3
; VGPRBlocks: 1
; NumSGPRsForWavesPerEU: 26
; NumVGPRsForWavesPerEU: 11
; Occupancy: 16
; WaveLimiterHint : 1
; COMPUTE_PGM_RSRC2:SCRATCH_EN: 0
; COMPUTE_PGM_RSRC2:USER_SGPR: 14
; COMPUTE_PGM_RSRC2:TRAP_HANDLER: 0
; COMPUTE_PGM_RSRC2:TGID_X_EN: 1
; COMPUTE_PGM_RSRC2:TGID_Y_EN: 0
; COMPUTE_PGM_RSRC2:TGID_Z_EN: 1
; COMPUTE_PGM_RSRC2:TIDIG_COMP_CNT: 0
	.section	.text._ZL32rocblas_gemvt_warp_reduce_kernelILb0ELi1024ElPK16rocblas_bfloat16PKfKPS0_EviiT3_lPKT2_lT1_lSA_lSB_lS7_lPT4_lSB_li,"axG",@progbits,_ZL32rocblas_gemvt_warp_reduce_kernelILb0ELi1024ElPK16rocblas_bfloat16PKfKPS0_EviiT3_lPKT2_lT1_lSA_lSB_lS7_lPT4_lSB_li,comdat
	.globl	_ZL32rocblas_gemvt_warp_reduce_kernelILb0ELi1024ElPK16rocblas_bfloat16PKfKPS0_EviiT3_lPKT2_lT1_lSA_lSB_lS7_lPT4_lSB_li ; -- Begin function _ZL32rocblas_gemvt_warp_reduce_kernelILb0ELi1024ElPK16rocblas_bfloat16PKfKPS0_EviiT3_lPKT2_lT1_lSA_lSB_lS7_lPT4_lSB_li
	.p2align	8
	.type	_ZL32rocblas_gemvt_warp_reduce_kernelILb0ELi1024ElPK16rocblas_bfloat16PKfKPS0_EviiT3_lPKT2_lT1_lSA_lSB_lS7_lPT4_lSB_li,@function
_ZL32rocblas_gemvt_warp_reduce_kernelILb0ELi1024ElPK16rocblas_bfloat16PKfKPS0_EviiT3_lPKT2_lT1_lSA_lSB_lS7_lPT4_lSB_li: ; @_ZL32rocblas_gemvt_warp_reduce_kernelILb0ELi1024ElPK16rocblas_bfloat16PKfKPS0_EviiT3_lPKT2_lT1_lSA_lSB_lS7_lPT4_lSB_li
; %bb.0:
	s_clause 0x1
	s_load_b256 s[16:23], s[0:1], 0x8
	s_load_b256 s[4:11], s[0:1], 0x58
	s_mov_b32 s2, s15
	s_waitcnt lgkmcnt(0)
	s_mul_i32 s3, s15, s19
	s_mul_hi_u32 s13, s15, s18
	s_mul_i32 s12, s15, s18
	s_add_i32 s13, s13, s3
	s_mul_i32 s3, s15, s7
	s_lshl_b64 s[12:13], s[12:13], 2
	s_mul_hi_u32 s7, s15, s6
	s_add_u32 s12, s16, s12
	s_addc_u32 s13, s17, s13
	s_add_i32 s7, s7, s3
	s_mul_i32 s6, s15, s6
	s_delay_alu instid0(SALU_CYCLE_1) | instskip(NEXT) | instid1(SALU_CYCLE_1)
	s_lshl_b64 s[6:7], s[6:7], 2
	s_add_u32 s4, s4, s6
	s_addc_u32 s5, s5, s7
	s_load_b32 s28, s[12:13], 0x0
	s_load_b32 s15, s[4:5], 0x0
	s_waitcnt lgkmcnt(0)
	v_cmp_eq_f32_e64 s29, s28, 0
	v_cmp_eq_f32_e64 s3, s15, 1.0
	s_delay_alu instid0(VALU_DEP_1) | instskip(NEXT) | instid1(SALU_CYCLE_1)
	s_and_b32 s3, s29, s3
	s_and_b32 vcc_lo, exec_lo, s3
	s_mov_b32 s3, 0
	s_cbranch_vccnz .LBB613_62
; %bb.1:
	s_clause 0x1
	s_load_b64 s[24:25], s[0:1], 0x28
	s_load_b64 s[12:13], s[0:1], 0x78
	v_cmp_neq_f32_e64 s30, s28, 0
	s_mov_b64 s[16:17], 0
	s_and_b32 vcc_lo, exec_lo, s29
	s_mov_b64 s[26:27], 0
	s_cbranch_vccnz .LBB613_3
; %bb.2:
	s_lshl_b64 s[4:5], s[2:3], 3
	s_delay_alu instid0(SALU_CYCLE_1)
	s_add_u32 s4, s20, s4
	s_addc_u32 s5, s21, s5
	s_lshl_b64 s[6:7], s[22:23], 1
	s_load_b64 s[4:5], s[4:5], 0x0
	s_waitcnt lgkmcnt(0)
	s_add_u32 s26, s4, s6
	s_addc_u32 s27, s5, s7
.LBB613_3:
	s_clause 0x1
	s_load_b128 s[4:7], s[0:1], 0x38
	s_load_b64 s[18:19], s[0:1], 0x48
	s_and_not1_b32 vcc_lo, exec_lo, s30
	s_cbranch_vccnz .LBB613_5
; %bb.4:
	s_lshl_b64 s[16:17], s[2:3], 3
	s_waitcnt lgkmcnt(0)
	s_add_u32 s4, s4, s16
	s_addc_u32 s5, s5, s17
	s_lshl_b64 s[6:7], s[6:7], 1
	s_load_b64 s[4:5], s[4:5], 0x0
	s_waitcnt lgkmcnt(0)
	s_add_u32 s16, s4, s6
	s_addc_u32 s17, s5, s7
.LBB613_5:
	s_lshl_b64 s[2:3], s[2:3], 3
	s_delay_alu instid0(SALU_CYCLE_1)
	s_add_u32 s2, s8, s2
	s_addc_u32 s3, s9, s3
	s_waitcnt lgkmcnt(0)
	s_lshl_b64 s[6:7], s[10:11], 1
	s_load_b64 s[4:5], s[2:3], 0x0
	v_cmp_eq_u32_e64 s2, 0, v0
	s_waitcnt lgkmcnt(0)
	s_add_u32 s6, s4, s6
	s_addc_u32 s7, s5, s7
	s_and_not1_b32 vcc_lo, exec_lo, s29
	s_cbranch_vccnz .LBB613_10
; %bb.6:
	s_mov_b32 s3, 0
	s_mov_b32 s8, 0
                                        ; implicit-def: $sgpr10
                                        ; implicit-def: $sgpr4_sgpr5
	s_and_saveexec_b32 s9, s2
	s_cbranch_execz .LBB613_11
; %bb.7:
	v_cmp_eq_f32_e64 s2, s15, 0
	s_mul_i32 s4, s14, s13
	s_mul_hi_u32 s5, s14, s12
	s_ashr_i32 s8, s14, 31
	s_add_i32 s4, s5, s4
	s_mul_i32 s8, s8, s12
	s_mov_b32 s10, 0
	s_add_i32 s5, s4, s8
	s_and_b32 vcc_lo, exec_lo, s2
	s_mul_i32 s4, s14, s12
	s_cbranch_vccnz .LBB613_17
; %bb.8:
	s_lshl_b64 s[10:11], s[4:5], 1
	v_mov_b32_e32 v1, 0
	s_add_u32 s10, s6, s10
	s_addc_u32 s11, s7, s11
	global_load_u16 v1, v1, s[10:11]
	s_waitcnt vmcnt(0)
	v_lshlrev_b32_e32 v1, 16, v1
	s_delay_alu instid0(VALU_DEP_1) | instskip(NEXT) | instid1(VALU_DEP_1)
	v_mul_f32_e32 v1, s15, v1
	v_and_b32_e32 v2, 0x7f800000, v1
	v_readfirstlane_b32 s2, v1
	s_delay_alu instid0(VALU_DEP_2)
	v_cmp_eq_u32_e32 vcc_lo, 0x7f800000, v2
	s_cbranch_vccnz .LBB613_13
; %bb.9:
	s_delay_alu instid0(VALU_DEP_2) | instskip(SKIP_2) | instid1(SALU_CYCLE_1)
	s_bfe_u32 s8, s2, 0x10010
	s_mov_b32 s10, 0
	s_add_i32 s8, s2, s8
	s_addk_i32 s8, 0x7fff
	s_branch .LBB613_14
.LBB613_10:
	s_mov_b32 s8, 0
                                        ; implicit-def: $sgpr10
                                        ; implicit-def: $sgpr4_sgpr5
	s_cbranch_execz .LBB613_12
	s_branch .LBB613_18
.LBB613_11:
	s_or_b32 exec_lo, exec_lo, s9
	s_delay_alu instid0(SALU_CYCLE_1)
	s_and_b32 vcc_lo, exec_lo, s3
	s_cbranch_vccnz .LBB613_18
.LBB613_12:
	v_mov_b32_e32 v1, s10
	s_and_saveexec_b32 s0, s8
	s_cbranch_execnz .LBB613_61
	s_branch .LBB613_62
.LBB613_13:
	s_mov_b32 s10, -1
                                        ; implicit-def: $sgpr8
.LBB613_14:
	s_delay_alu instid0(SALU_CYCLE_1)
	s_and_not1_b32 vcc_lo, exec_lo, s10
	s_cbranch_vccnz .LBB613_16
; %bb.15:
	s_and_b32 s8, s2, 0xffff
	s_or_b32 s10, s2, 0x10000
	s_cmp_eq_u32 s8, 0
	s_cselect_b32 s8, s2, s10
.LBB613_16:
	s_delay_alu instid0(SALU_CYCLE_1)
	s_lshr_b32 s10, s8, 16
.LBB613_17:
	s_mov_b32 s8, exec_lo
	s_or_b32 exec_lo, exec_lo, s9
	s_delay_alu instid0(SALU_CYCLE_1)
	s_and_b32 vcc_lo, exec_lo, s3
	s_cbranch_vccz .LBB613_12
.LBB613_18:
	s_load_b32 s3, s[0:1], 0x0
	s_mul_i32 s0, s14, s25
	s_mul_hi_u32 s2, s14, s24
	s_ashr_i32 s1, s14, 31
	s_add_i32 s0, s2, s0
	s_mul_i32 s2, s1, s24
	s_mul_i32 s4, s14, s24
	s_add_i32 s5, s0, s2
	v_mov_b32_e32 v7, 0
	s_lshl_b64 s[4:5], s[4:5], 1
	s_mov_b32 s10, 0
	s_add_u32 s0, s4, s26
	s_addc_u32 s4, s5, s27
	s_mov_b32 s9, exec_lo
	s_waitcnt lgkmcnt(0)
	v_cmp_gt_i32_e32 vcc_lo, s3, v0
	s_ashr_i32 s2, s3, 31
	s_delay_alu instid0(SALU_CYCLE_1) | instskip(NEXT) | instid1(SALU_CYCLE_1)
	s_lshr_b32 s2, s2, 22
	s_add_i32 s2, s3, s2
	v_cndmask_b32_e32 v1, 0, v0, vcc_lo
	s_and_b32 s2, s2, 0xfffffc00
	s_delay_alu instid0(VALU_DEP_1) | instskip(NEXT) | instid1(VALU_DEP_1)
	v_lshlrev_b32_e32 v1, 1, v1
	v_add_co_u32 v1, s0, s0, v1
	s_delay_alu instid0(VALU_DEP_1)
	v_add_co_ci_u32_e64 v2, null, s4, 0, s0
	v_cmpx_gt_i32_e64 s2, v0
	s_cbranch_execz .LBB613_26
; %bb.19:
	v_mad_u64_u32 v[3:4], null, s18, v0, 0
	v_mov_b32_e32 v8, v0
	s_lshl_b64 s[4:5], s[18:19], 11
	v_mov_b32_e32 v7, 0
	s_delay_alu instid0(VALU_DEP_3) | instskip(NEXT) | instid1(VALU_DEP_1)
	v_mad_u64_u32 v[5:6], null, s19, v0, v[4:5]
	v_mov_b32_e32 v4, v5
	s_delay_alu instid0(VALU_DEP_1) | instskip(SKIP_1) | instid1(VALU_DEP_2)
	v_lshlrev_b64 v[5:6], 1, v[3:4]
	v_dual_mov_b32 v4, v2 :: v_dual_mov_b32 v3, v1
	v_add_co_u32 v5, vcc_lo, s16, v5
	s_delay_alu instid0(VALU_DEP_3)
	v_add_co_ci_u32_e32 v6, vcc_lo, s17, v6, vcc_lo
	s_set_inst_prefetch_distance 0x1
	s_branch .LBB613_21
	.p2align	6
.LBB613_20:                             ;   in Loop: Header=BB613_21 Depth=1
	s_or_b32 exec_lo, exec_lo, s0
	s_delay_alu instid0(VALU_DEP_1) | instskip(SKIP_3) | instid1(VALU_DEP_4)
	v_and_b32_e32 v9, 0xffff0000, v10
	v_add_nc_u32_e32 v8, 0x400, v8
	v_add_co_u32 v3, vcc_lo, 0x800, v3
	v_add_co_ci_u32_e32 v4, vcc_lo, 0, v4, vcc_lo
	v_add_f32_e32 v7, v7, v9
	s_delay_alu instid0(VALU_DEP_4) | instskip(SKIP_1) | instid1(VALU_DEP_1)
	v_cmp_le_i32_e32 vcc_lo, s2, v8
	v_add_co_u32 v5, s0, v5, s4
	v_add_co_ci_u32_e64 v6, s0, s5, v6, s0
	s_or_b32 s10, vcc_lo, s10
	s_delay_alu instid0(SALU_CYCLE_1)
	s_and_not1_b32 exec_lo, exec_lo, s10
	s_cbranch_execz .LBB613_25
.LBB613_21:                             ; =>This Inner Loop Header: Depth=1
	flat_load_u16 v9, v[5:6]
	flat_load_u16 v10, v[3:4]
	s_waitcnt vmcnt(1) lgkmcnt(1)
	v_lshlrev_b32_e32 v9, 16, v9
	s_waitcnt vmcnt(0) lgkmcnt(0)
	v_lshlrev_b32_e32 v10, 16, v10
	s_delay_alu instid0(VALU_DEP_1) | instskip(NEXT) | instid1(VALU_DEP_1)
	v_mul_f32_e32 v9, v10, v9
	v_and_b32_e32 v10, 0x7f800000, v9
	s_delay_alu instid0(VALU_DEP_1) | instskip(SKIP_1) | instid1(SALU_CYCLE_1)
	v_cmp_ne_u32_e32 vcc_lo, 0x7f800000, v10
                                        ; implicit-def: $vgpr10
	s_and_saveexec_b32 s0, vcc_lo
	s_xor_b32 s0, exec_lo, s0
; %bb.22:                               ;   in Loop: Header=BB613_21 Depth=1
	v_bfe_u32 v10, v9, 16, 1
	s_delay_alu instid0(VALU_DEP_1)
	v_add3_u32 v10, v9, v10, 0x7fff
                                        ; implicit-def: $vgpr9
; %bb.23:                               ;   in Loop: Header=BB613_21 Depth=1
	s_and_not1_saveexec_b32 s0, s0
	s_cbranch_execz .LBB613_20
; %bb.24:                               ;   in Loop: Header=BB613_21 Depth=1
	v_and_b32_e32 v10, 0xffff, v9
	v_or_b32_e32 v11, 0x10000, v9
	s_delay_alu instid0(VALU_DEP_2) | instskip(NEXT) | instid1(VALU_DEP_2)
	v_cmp_eq_u32_e32 vcc_lo, 0, v10
	v_cndmask_b32_e32 v10, v11, v9, vcc_lo
	s_branch .LBB613_20
.LBB613_25:
	s_set_inst_prefetch_distance 0x2
	s_or_b32 exec_lo, exec_lo, s10
.LBB613_26:
	s_delay_alu instid0(SALU_CYCLE_1) | instskip(SKIP_2) | instid1(VALU_DEP_1)
	s_or_b32 exec_lo, exec_lo, s9
	v_or_b32_e32 v3, s2, v0
	s_mov_b32 s0, exec_lo
	v_cmpx_gt_i32_e64 s3, v3
	s_cbranch_execz .LBB613_32
; %bb.27:
	v_ashrrev_i32_e32 v6, 31, v3
	v_mul_lo_u32 v8, v3, s19
	v_mad_u64_u32 v[4:5], null, v3, s18, 0
	s_ashr_i32 s3, s2, 31
	s_delay_alu instid0(VALU_DEP_3) | instskip(SKIP_1) | instid1(VALU_DEP_1)
	v_mul_lo_u32 v3, v6, s18
	s_lshl_b64 s[2:3], s[2:3], 1
	v_add3_u32 v5, v5, v8, v3
	s_delay_alu instid0(VALU_DEP_1) | instskip(NEXT) | instid1(VALU_DEP_1)
	v_lshlrev_b64 v[3:4], 1, v[4:5]
	v_add_co_u32 v3, vcc_lo, s16, v3
	s_delay_alu instid0(VALU_DEP_2)
	v_add_co_ci_u32_e32 v4, vcc_lo, s17, v4, vcc_lo
	v_add_co_u32 v1, vcc_lo, v1, s2
	v_add_co_ci_u32_e32 v2, vcc_lo, s3, v2, vcc_lo
	flat_load_u16 v3, v[3:4]
	flat_load_u16 v1, v[1:2]
	s_waitcnt vmcnt(1) lgkmcnt(1)
	v_lshlrev_b32_e32 v2, 16, v3
	s_waitcnt vmcnt(0) lgkmcnt(0)
	v_lshlrev_b32_e32 v1, 16, v1
	s_delay_alu instid0(VALU_DEP_1) | instskip(NEXT) | instid1(VALU_DEP_1)
	v_mul_f32_e32 v1, v1, v2
	v_and_b32_e32 v2, 0x7f800000, v1
	s_delay_alu instid0(VALU_DEP_1) | instskip(SKIP_1) | instid1(SALU_CYCLE_1)
	v_cmp_ne_u32_e32 vcc_lo, 0x7f800000, v2
                                        ; implicit-def: $vgpr2
	s_and_saveexec_b32 s2, vcc_lo
	s_xor_b32 s2, exec_lo, s2
; %bb.28:
	v_bfe_u32 v2, v1, 16, 1
	s_delay_alu instid0(VALU_DEP_1)
	v_add3_u32 v2, v1, v2, 0x7fff
                                        ; implicit-def: $vgpr1
; %bb.29:
	s_and_not1_saveexec_b32 s2, s2
; %bb.30:
	v_and_b32_e32 v2, 0xffff, v1
	v_or_b32_e32 v3, 0x10000, v1
	s_delay_alu instid0(VALU_DEP_2) | instskip(NEXT) | instid1(VALU_DEP_2)
	v_cmp_eq_u32_e32 vcc_lo, 0, v2
	v_cndmask_b32_e32 v2, v3, v1, vcc_lo
; %bb.31:
	s_or_b32 exec_lo, exec_lo, s2
	s_delay_alu instid0(VALU_DEP_1) | instskip(NEXT) | instid1(VALU_DEP_1)
	v_and_b32_e32 v1, 0xffff0000, v2
	v_add_f32_e32 v7, v7, v1
.LBB613_32:
	s_or_b32 exec_lo, exec_lo, s0
	v_and_b32_e32 v6, 31, v0
	v_cmp_gt_u32_e32 vcc_lo, 32, v0
	s_delay_alu instid0(VALU_DEP_2)
	v_lshlrev_b32_e32 v1, 2, v6
	s_and_saveexec_b32 s0, vcc_lo
	s_cbranch_execz .LBB613_34
; %bb.33:
	v_mov_b32_e32 v2, 0
	ds_store_b32 v1, v2
.LBB613_34:
	s_or_b32 exec_lo, exec_lo, s0
	v_mbcnt_lo_u32_b32 v8, -1, 0
	s_mov_b32 s2, exec_lo
	s_waitcnt lgkmcnt(0)
	s_barrier
	buffer_gl0_inv
	v_cmp_gt_u32_e64 s0, 16, v8
	s_delay_alu instid0(VALU_DEP_1) | instskip(SKIP_1) | instid1(VALU_DEP_2)
	v_cndmask_b32_e64 v2, 0, 1, s0
	v_cmp_gt_u32_e64 s0, 24, v8
	v_lshlrev_b32_e32 v2, 4, v2
	s_delay_alu instid0(VALU_DEP_2) | instskip(SKIP_1) | instid1(VALU_DEP_3)
	v_cndmask_b32_e64 v3, 0, 1, s0
	v_cmp_gt_u32_e64 s0, 28, v8
	v_add_lshl_u32 v2, v2, v8, 2
	s_delay_alu instid0(VALU_DEP_3)
	v_lshlrev_b32_e32 v3, 3, v3
	ds_bpermute_b32 v4, v2, v7
	v_add_lshl_u32 v3, v3, v8, 2
	s_waitcnt lgkmcnt(0)
	v_add_f32_e32 v5, v7, v4
	v_cndmask_b32_e64 v4, 0, 1, s0
	v_cmp_gt_u32_e64 s0, 30, v8
	ds_bpermute_b32 v7, v3, v5
	s_waitcnt lgkmcnt(0)
	v_dual_add_f32 v7, v5, v7 :: v_dual_lshlrev_b32 v4, 2, v4
	s_delay_alu instid0(VALU_DEP_1)
	v_add_lshl_u32 v4, v4, v8, 2
	v_cndmask_b32_e64 v5, 0, 1, s0
	v_cmp_ne_u32_e64 s0, 31, v8
	ds_bpermute_b32 v9, v4, v7
	v_lshlrev_b32_e32 v5, 1, v5
	v_add_co_ci_u32_e64 v10, s0, 0, v8, s0
	s_delay_alu instid0(VALU_DEP_2)
	v_add_lshl_u32 v5, v5, v8, 2
	s_waitcnt lgkmcnt(0)
	v_add_f32_e32 v7, v7, v9
	ds_bpermute_b32 v9, v5, v7
	s_waitcnt lgkmcnt(0)
	v_dual_add_f32 v8, v7, v9 :: v_dual_lshlrev_b32 v7, 2, v10
	ds_bpermute_b32 v9, v7, v8
	v_cmpx_eq_u32_e32 0, v6
	s_cbranch_execz .LBB613_36
; %bb.35:
	v_lshrrev_b32_e32 v6, 3, v0
	s_waitcnt lgkmcnt(0)
	v_add_f32_e32 v8, v8, v9
	s_delay_alu instid0(VALU_DEP_2)
	v_and_b32_e32 v6, 0x7c, v6
	ds_store_b32 v6, v8
.LBB613_36:
	s_or_b32 exec_lo, exec_lo, s2
	v_mov_b32_e32 v6, 0
	s_waitcnt lgkmcnt(0)
	s_barrier
	buffer_gl0_inv
	s_and_saveexec_b32 s0, vcc_lo
	s_cbranch_execz .LBB613_38
; %bb.37:
	ds_load_b32 v6, v1
.LBB613_38:
	s_or_b32 exec_lo, exec_lo, s0
	s_and_saveexec_b32 s0, vcc_lo
	s_cbranch_execz .LBB613_40
; %bb.39:
	s_waitcnt lgkmcnt(0)
	ds_bpermute_b32 v1, v2, v6
	s_waitcnt lgkmcnt(0)
	v_add_f32_e32 v1, v6, v1
	ds_bpermute_b32 v2, v3, v1
	s_waitcnt lgkmcnt(0)
	v_add_f32_e32 v1, v1, v2
	;; [unrolled: 3-line block ×5, first 2 shown]
.LBB613_40:
	s_or_b32 exec_lo, exec_lo, s0
	s_delay_alu instid0(SALU_CYCLE_1)
	s_mov_b32 s0, exec_lo
                                        ; implicit-def: $vgpr1
                                        ; implicit-def: $sgpr4_sgpr5
	v_cmpx_eq_u32_e32 0, v0
	s_cbranch_execz .LBB613_60
; %bb.41:
	v_cmp_eq_f32_e64 s2, s15, 0
	s_waitcnt lgkmcnt(0)
	v_mul_f32_e32 v0, s28, v6
	s_delay_alu instid0(VALU_DEP_2)
	s_and_b32 vcc_lo, exec_lo, s2
	s_cbranch_vccz .LBB613_47
; %bb.42:
	s_delay_alu instid0(VALU_DEP_1) | instskip(NEXT) | instid1(VALU_DEP_1)
	v_and_b32_e32 v1, 0x7f800000, v0
	v_cmp_ne_u32_e32 vcc_lo, 0x7f800000, v1
                                        ; implicit-def: $vgpr1
	s_and_saveexec_b32 s2, vcc_lo
	s_delay_alu instid0(SALU_CYCLE_1)
	s_xor_b32 s2, exec_lo, s2
; %bb.43:
	v_bfe_u32 v1, v0, 16, 1
	s_delay_alu instid0(VALU_DEP_1)
	v_add3_u32 v1, v0, v1, 0x7fff
; %bb.44:
	s_and_not1_saveexec_b32 s2, s2
; %bb.45:
	v_and_b32_e32 v1, 0xffff, v0
	v_or_b32_e32 v2, 0x10000, v0
	s_delay_alu instid0(VALU_DEP_2) | instskip(NEXT) | instid1(VALU_DEP_2)
	v_cmp_eq_u32_e32 vcc_lo, 0, v1
	v_cndmask_b32_e32 v1, v2, v0, vcc_lo
; %bb.46:
	s_or_b32 exec_lo, exec_lo, s2
	s_mov_b32 s4, 0
	s_branch .LBB613_48
.LBB613_47:
	s_mov_b32 s4, -1
                                        ; implicit-def: $vgpr1
.LBB613_48:
	s_mul_i32 s2, s14, s13
	s_mul_hi_u32 s3, s14, s12
	s_and_not1_b32 vcc_lo, exec_lo, s4
	s_mul_i32 s1, s1, s12
	s_mul_i32 s4, s14, s12
	s_cbranch_vccnz .LBB613_59
; %bb.49:
	s_add_i32 s5, s3, s2
	v_mov_b32_e32 v1, 0
	s_add_i32 s5, s5, s1
	s_delay_alu instid0(SALU_CYCLE_1) | instskip(NEXT) | instid1(SALU_CYCLE_1)
	s_lshl_b64 s[10:11], s[4:5], 1
	s_add_u32 s10, s6, s10
	s_addc_u32 s11, s7, s11
	global_load_u16 v1, v1, s[10:11]
	s_waitcnt vmcnt(0)
	v_lshlrev_b32_e32 v1, 16, v1
	s_delay_alu instid0(VALU_DEP_1) | instskip(NEXT) | instid1(VALU_DEP_1)
	v_mul_f32_e32 v1, s15, v1
	v_and_b32_e32 v2, 0x7f800000, v1
	v_readfirstlane_b32 s5, v1
	s_delay_alu instid0(VALU_DEP_2)
	v_cmp_eq_u32_e32 vcc_lo, 0x7f800000, v2
	s_cbranch_vccnz .LBB613_51
; %bb.50:
	s_delay_alu instid0(VALU_DEP_2) | instskip(SKIP_2) | instid1(SALU_CYCLE_1)
	s_bfe_u32 s9, s5, 0x10010
	s_mov_b32 s10, 0
	s_add_i32 s9, s5, s9
	s_addk_i32 s9, 0x7fff
	s_branch .LBB613_52
.LBB613_51:
	s_mov_b32 s10, -1
                                        ; implicit-def: $sgpr9
.LBB613_52:
	s_delay_alu instid0(SALU_CYCLE_1)
	s_and_not1_b32 vcc_lo, exec_lo, s10
	s_cbranch_vccnz .LBB613_54
; %bb.53:
	s_and_b32 s9, s5, 0xffff
	s_or_b32 s10, s5, 0x10000
	s_cmp_eq_u32 s9, 0
	s_cselect_b32 s9, s5, s10
.LBB613_54:
	s_delay_alu instid0(SALU_CYCLE_1) | instskip(NEXT) | instid1(SALU_CYCLE_1)
	s_and_b32 s5, s9, 0xffff0000
	v_add_f32_e32 v0, s5, v0
	s_delay_alu instid0(VALU_DEP_1) | instskip(NEXT) | instid1(VALU_DEP_1)
	v_and_b32_e32 v1, 0x7f800000, v0
	v_cmp_ne_u32_e32 vcc_lo, 0x7f800000, v1
                                        ; implicit-def: $vgpr1
	s_and_saveexec_b32 s5, vcc_lo
	s_delay_alu instid0(SALU_CYCLE_1)
	s_xor_b32 s5, exec_lo, s5
; %bb.55:
	v_bfe_u32 v1, v0, 16, 1
	s_delay_alu instid0(VALU_DEP_1)
	v_add3_u32 v1, v0, v1, 0x7fff
                                        ; implicit-def: $vgpr0
; %bb.56:
	s_and_not1_saveexec_b32 s5, s5
; %bb.57:
	v_and_b32_e32 v1, 0xffff, v0
	v_or_b32_e32 v2, 0x10000, v0
	s_delay_alu instid0(VALU_DEP_2) | instskip(NEXT) | instid1(VALU_DEP_2)
	v_cmp_eq_u32_e32 vcc_lo, 0, v1
	v_cndmask_b32_e32 v1, v2, v0, vcc_lo
; %bb.58:
	s_or_b32 exec_lo, exec_lo, s5
.LBB613_59:
	s_delay_alu instid0(VALU_DEP_1)
	v_lshrrev_b32_e32 v1, 16, v1
	s_add_i32 s2, s3, s2
	s_or_b32 s8, s8, exec_lo
	s_add_i32 s5, s2, s1
.LBB613_60:
	s_or_b32 exec_lo, exec_lo, s0
	s_and_saveexec_b32 s0, s8
	s_cbranch_execz .LBB613_62
.LBB613_61:
	s_lshl_b64 s[0:1], s[4:5], 1
	v_mov_b32_e32 v0, 0
	s_add_u32 s0, s6, s0
	s_addc_u32 s1, s7, s1
	global_store_b16 v0, v1, s[0:1]
.LBB613_62:
	s_nop 0
	s_sendmsg sendmsg(MSG_DEALLOC_VGPRS)
	s_endpgm
	.section	.rodata,"a",@progbits
	.p2align	6, 0x0
	.amdhsa_kernel _ZL32rocblas_gemvt_warp_reduce_kernelILb0ELi1024ElPK16rocblas_bfloat16PKfKPS0_EviiT3_lPKT2_lT1_lSA_lSB_lS7_lPT4_lSB_li
		.amdhsa_group_segment_fixed_size 128
		.amdhsa_private_segment_fixed_size 0
		.amdhsa_kernarg_size 140
		.amdhsa_user_sgpr_count 14
		.amdhsa_user_sgpr_dispatch_ptr 0
		.amdhsa_user_sgpr_queue_ptr 0
		.amdhsa_user_sgpr_kernarg_segment_ptr 1
		.amdhsa_user_sgpr_dispatch_id 0
		.amdhsa_user_sgpr_private_segment_size 0
		.amdhsa_wavefront_size32 1
		.amdhsa_uses_dynamic_stack 0
		.amdhsa_enable_private_segment 0
		.amdhsa_system_sgpr_workgroup_id_x 1
		.amdhsa_system_sgpr_workgroup_id_y 0
		.amdhsa_system_sgpr_workgroup_id_z 1
		.amdhsa_system_sgpr_workgroup_info 0
		.amdhsa_system_vgpr_workitem_id 0
		.amdhsa_next_free_vgpr 12
		.amdhsa_next_free_sgpr 31
		.amdhsa_reserve_vcc 1
		.amdhsa_float_round_mode_32 0
		.amdhsa_float_round_mode_16_64 0
		.amdhsa_float_denorm_mode_32 3
		.amdhsa_float_denorm_mode_16_64 3
		.amdhsa_dx10_clamp 1
		.amdhsa_ieee_mode 1
		.amdhsa_fp16_overflow 0
		.amdhsa_workgroup_processor_mode 1
		.amdhsa_memory_ordered 1
		.amdhsa_forward_progress 0
		.amdhsa_shared_vgpr_count 0
		.amdhsa_exception_fp_ieee_invalid_op 0
		.amdhsa_exception_fp_denorm_src 0
		.amdhsa_exception_fp_ieee_div_zero 0
		.amdhsa_exception_fp_ieee_overflow 0
		.amdhsa_exception_fp_ieee_underflow 0
		.amdhsa_exception_fp_ieee_inexact 0
		.amdhsa_exception_int_div_zero 0
	.end_amdhsa_kernel
	.section	.text._ZL32rocblas_gemvt_warp_reduce_kernelILb0ELi1024ElPK16rocblas_bfloat16PKfKPS0_EviiT3_lPKT2_lT1_lSA_lSB_lS7_lPT4_lSB_li,"axG",@progbits,_ZL32rocblas_gemvt_warp_reduce_kernelILb0ELi1024ElPK16rocblas_bfloat16PKfKPS0_EviiT3_lPKT2_lT1_lSA_lSB_lS7_lPT4_lSB_li,comdat
.Lfunc_end613:
	.size	_ZL32rocblas_gemvt_warp_reduce_kernelILb0ELi1024ElPK16rocblas_bfloat16PKfKPS0_EviiT3_lPKT2_lT1_lSA_lSB_lS7_lPT4_lSB_li, .Lfunc_end613-_ZL32rocblas_gemvt_warp_reduce_kernelILb0ELi1024ElPK16rocblas_bfloat16PKfKPS0_EviiT3_lPKT2_lT1_lSA_lSB_lS7_lPT4_lSB_li
                                        ; -- End function
	.section	.AMDGPU.csdata,"",@progbits
; Kernel info:
; codeLenInByte = 2300
; NumSgprs: 33
; NumVgprs: 12
; ScratchSize: 0
; MemoryBound: 0
; FloatMode: 240
; IeeeMode: 1
; LDSByteSize: 128 bytes/workgroup (compile time only)
; SGPRBlocks: 4
; VGPRBlocks: 1
; NumSGPRsForWavesPerEU: 33
; NumVGPRsForWavesPerEU: 12
; Occupancy: 16
; WaveLimiterHint : 1
; COMPUTE_PGM_RSRC2:SCRATCH_EN: 0
; COMPUTE_PGM_RSRC2:USER_SGPR: 14
; COMPUTE_PGM_RSRC2:TRAP_HANDLER: 0
; COMPUTE_PGM_RSRC2:TGID_X_EN: 1
; COMPUTE_PGM_RSRC2:TGID_Y_EN: 0
; COMPUTE_PGM_RSRC2:TGID_Z_EN: 1
; COMPUTE_PGM_RSRC2:TIDIG_COMP_CNT: 0
	.section	.text._ZL32rocblas_gemvt_warp_reduce_kernelILb0ELi1024EiPK16rocblas_bfloat16fKPS0_EviiT3_lPKT2_lT1_lS8_lS9_lS5_lPT4_lS9_li,"axG",@progbits,_ZL32rocblas_gemvt_warp_reduce_kernelILb0ELi1024EiPK16rocblas_bfloat16fKPS0_EviiT3_lPKT2_lT1_lS8_lS9_lS5_lPT4_lS9_li,comdat
	.globl	_ZL32rocblas_gemvt_warp_reduce_kernelILb0ELi1024EiPK16rocblas_bfloat16fKPS0_EviiT3_lPKT2_lT1_lS8_lS9_lS5_lPT4_lS9_li ; -- Begin function _ZL32rocblas_gemvt_warp_reduce_kernelILb0ELi1024EiPK16rocblas_bfloat16fKPS0_EviiT3_lPKT2_lT1_lS8_lS9_lS5_lPT4_lS9_li
	.p2align	8
	.type	_ZL32rocblas_gemvt_warp_reduce_kernelILb0ELi1024EiPK16rocblas_bfloat16fKPS0_EviiT3_lPKT2_lT1_lS8_lS9_lS5_lPT4_lS9_li,@function
_ZL32rocblas_gemvt_warp_reduce_kernelILb0ELi1024EiPK16rocblas_bfloat16fKPS0_EviiT3_lPKT2_lT1_lS8_lS9_lS5_lPT4_lS9_li: ; @_ZL32rocblas_gemvt_warp_reduce_kernelILb0ELi1024EiPK16rocblas_bfloat16fKPS0_EviiT3_lPKT2_lT1_lS8_lS9_lS5_lPT4_lS9_li
; %bb.0:
	s_clause 0x1
	s_load_b32 s13, s[0:1], 0x8
	s_load_b32 s12, s[0:1], 0x58
	s_waitcnt lgkmcnt(0)
	v_cmp_eq_f32_e64 s6, s13, 0
	v_cmp_eq_f32_e64 s3, s12, 1.0
	s_delay_alu instid0(VALU_DEP_1) | instskip(NEXT) | instid1(SALU_CYCLE_1)
	s_and_b32 s3, s6, s3
	s_and_b32 vcc_lo, exec_lo, s3
	s_cbranch_vccnz .LBB614_64
; %bb.1:
	v_cmp_neq_f32_e64 s4, s13, 0
	s_mov_b32 s2, s15
	s_delay_alu instid0(VALU_DEP_1)
	s_and_b32 vcc_lo, exec_lo, s4
	s_cbranch_vccnz .LBB614_3
; %bb.2:
	s_mov_b32 s3, 0
	s_mov_b64 s[8:9], 0
	s_cbranch_execz .LBB614_4
	s_branch .LBB614_5
.LBB614_3:
	s_mov_b32 s3, -1
                                        ; implicit-def: $sgpr8_sgpr9
.LBB614_4:
	s_load_b128 s[8:11], s[0:1], 0x18
	s_mov_b32 s3, 0
	s_delay_alu instid0(SALU_CYCLE_1)
	s_lshl_b64 s[16:17], s[2:3], 3
	s_waitcnt lgkmcnt(0)
	s_add_u32 s8, s8, s16
	s_addc_u32 s9, s9, s17
	s_lshl_b64 s[10:11], s[10:11], 1
	s_load_b64 s[8:9], s[8:9], 0x0
	s_waitcnt lgkmcnt(0)
	s_add_u32 s8, s8, s10
	s_addc_u32 s9, s9, s11
.LBB614_5:
	s_and_not1_b32 vcc_lo, exec_lo, s4
	s_cbranch_vccnz .LBB614_7
; %bb.6:
	s_load_b128 s[16:19], s[0:1], 0x38
	s_lshl_b64 s[4:5], s[2:3], 3
	s_waitcnt lgkmcnt(0)
	s_add_u32 s4, s16, s4
	s_addc_u32 s5, s17, s5
	s_lshl_b64 s[10:11], s[18:19], 1
	s_load_b64 s[4:5], s[4:5], 0x0
	s_waitcnt lgkmcnt(0)
	s_add_u32 s4, s4, s10
	s_addc_u32 s5, s5, s11
	s_branch .LBB614_8
.LBB614_7:
	s_mov_b64 s[4:5], 0
.LBB614_8:
	s_clause 0x1
	s_load_b128 s[20:23], s[0:1], 0x68
	s_load_b32 s16, s[0:1], 0x78
	s_lshl_b64 s[2:3], s[2:3], 3
	s_waitcnt lgkmcnt(0)
	s_add_u32 s2, s20, s2
	s_addc_u32 s3, s21, s3
	s_lshl_b64 s[18:19], s[22:23], 1
	s_load_b64 s[10:11], s[2:3], 0x0
	v_cmp_eq_u32_e64 s2, 0, v0
	s_waitcnt lgkmcnt(0)
	s_add_u32 s10, s10, s18
	s_addc_u32 s11, s11, s19
	s_and_not1_b32 vcc_lo, exec_lo, s6
	s_cbranch_vccnz .LBB614_13
; %bb.9:
	s_mov_b32 s3, 0
	s_mov_b32 s15, 0
                                        ; implicit-def: $sgpr18
                                        ; implicit-def: $sgpr6_sgpr7
	s_and_saveexec_b32 s17, s2
	s_cbranch_execz .LBB614_14
; %bb.10:
	v_cmp_eq_f32_e64 s2, s12, 0
	s_mul_i32 s6, s14, s16
	s_mov_b32 s18, 0
	s_ashr_i32 s7, s6, 31
	s_delay_alu instid0(VALU_DEP_1)
	s_and_b32 vcc_lo, exec_lo, s2
	s_cbranch_vccnz .LBB614_20
; %bb.11:
	s_lshl_b64 s[18:19], s[6:7], 1
	v_mov_b32_e32 v1, 0
	s_add_u32 s18, s10, s18
	s_addc_u32 s19, s11, s19
	global_load_u16 v1, v1, s[18:19]
	s_waitcnt vmcnt(0)
	v_lshlrev_b32_e32 v1, 16, v1
	s_delay_alu instid0(VALU_DEP_1) | instskip(NEXT) | instid1(VALU_DEP_1)
	v_mul_f32_e32 v1, s12, v1
	v_and_b32_e32 v2, 0x7f800000, v1
	v_readfirstlane_b32 s2, v1
	s_delay_alu instid0(VALU_DEP_2)
	v_cmp_eq_u32_e32 vcc_lo, 0x7f800000, v2
	s_cbranch_vccnz .LBB614_16
; %bb.12:
	s_delay_alu instid0(VALU_DEP_2) | instskip(SKIP_2) | instid1(SALU_CYCLE_1)
	s_bfe_u32 s15, s2, 0x10010
	s_mov_b32 s18, 0
	s_add_i32 s15, s2, s15
	s_addk_i32 s15, 0x7fff
	s_branch .LBB614_17
.LBB614_13:
	s_mov_b32 s15, 0
                                        ; implicit-def: $sgpr18
                                        ; implicit-def: $sgpr6_sgpr7
	s_cbranch_execz .LBB614_15
	s_branch .LBB614_21
.LBB614_14:
	s_or_b32 exec_lo, exec_lo, s17
	s_delay_alu instid0(SALU_CYCLE_1)
	s_and_b32 vcc_lo, exec_lo, s3
	s_cbranch_vccnz .LBB614_21
.LBB614_15:
	v_mov_b32_e32 v1, s18
	s_and_saveexec_b32 s0, s15
	s_cbranch_execnz .LBB614_63
	s_branch .LBB614_64
.LBB614_16:
	s_mov_b32 s18, -1
                                        ; implicit-def: $sgpr15
.LBB614_17:
	s_delay_alu instid0(SALU_CYCLE_1)
	s_and_not1_b32 vcc_lo, exec_lo, s18
	s_cbranch_vccnz .LBB614_19
; %bb.18:
	s_and_b32 s15, s2, 0xffff
	s_or_b32 s18, s2, 0x10000
	s_cmp_eq_u32 s15, 0
	s_cselect_b32 s15, s2, s18
.LBB614_19:
	s_delay_alu instid0(SALU_CYCLE_1)
	s_lshr_b32 s18, s15, 16
.LBB614_20:
	s_mov_b32 s15, exec_lo
	s_or_b32 exec_lo, exec_lo, s17
	s_delay_alu instid0(SALU_CYCLE_1)
	s_and_b32 vcc_lo, exec_lo, s3
	s_cbranch_vccz .LBB614_15
.LBB614_21:
	s_clause 0x2
	s_load_b32 s2, s[0:1], 0x28
	s_load_b32 s3, s[0:1], 0x0
	;; [unrolled: 1-line block ×3, first 2 shown]
	v_mov_b32_e32 v7, 0
	s_waitcnt lgkmcnt(0)
	s_mul_i32 s6, s14, s2
	v_cmp_gt_i32_e32 vcc_lo, s3, v0
	s_ashr_i32 s7, s6, 31
	s_delay_alu instid0(SALU_CYCLE_1)
	s_lshl_b64 s[6:7], s[6:7], 1
	v_cndmask_b32_e32 v1, 0, v0, vcc_lo
	s_add_u32 s0, s6, s8
	s_addc_u32 s6, s7, s9
	s_ashr_i32 s2, s3, 31
	s_mov_b32 s7, 0
	v_lshlrev_b32_e32 v1, 1, v1
	s_lshr_b32 s2, s2, 22
	s_delay_alu instid0(SALU_CYCLE_1) | instskip(NEXT) | instid1(SALU_CYCLE_1)
	s_add_i32 s2, s3, s2
	s_and_b32 s2, s2, 0xfffffc00
	s_delay_alu instid0(VALU_DEP_1) | instskip(NEXT) | instid1(VALU_DEP_1)
	v_add_co_u32 v1, s0, s0, v1
	v_add_co_ci_u32_e64 v2, null, s6, 0, s0
	s_mov_b32 s6, exec_lo
	v_cmpx_gt_i32_e64 s2, v0
	s_cbranch_execz .LBB614_29
; %bb.22:
	v_mul_lo_u32 v3, v0, s1
	v_dual_mov_b32 v7, 0 :: v_dual_mov_b32 v6, v2
	v_dual_mov_b32 v5, v1 :: v_dual_mov_b32 v8, v0
	s_lshl_b32 s8, s1, 10
	s_branch .LBB614_24
.LBB614_23:                             ;   in Loop: Header=BB614_24 Depth=1
	s_or_b32 exec_lo, exec_lo, s0
	v_add_nc_u32_e32 v8, 0x400, v8
	s_delay_alu instid0(VALU_DEP_2) | instskip(SKIP_2) | instid1(VALU_DEP_4)
	v_and_b32_e32 v4, 0xffff0000, v9
	v_add_co_u32 v5, s0, 0x800, v5
	v_add_nc_u32_e32 v3, s8, v3
	v_cmp_le_i32_e32 vcc_lo, s2, v8
	s_delay_alu instid0(VALU_DEP_4) | instskip(SKIP_2) | instid1(SALU_CYCLE_1)
	v_add_f32_e32 v7, v7, v4
	v_add_co_ci_u32_e64 v6, s0, 0, v6, s0
	s_or_b32 s7, vcc_lo, s7
	s_and_not1_b32 exec_lo, exec_lo, s7
	s_cbranch_execz .LBB614_28
.LBB614_24:                             ; =>This Inner Loop Header: Depth=1
	s_delay_alu instid0(VALU_DEP_3) | instskip(NEXT) | instid1(VALU_DEP_1)
	v_ashrrev_i32_e32 v4, 31, v3
	v_lshlrev_b64 v[9:10], 1, v[3:4]
	s_delay_alu instid0(VALU_DEP_1) | instskip(NEXT) | instid1(VALU_DEP_2)
	v_add_co_u32 v9, vcc_lo, s4, v9
	v_add_co_ci_u32_e32 v10, vcc_lo, s5, v10, vcc_lo
	flat_load_u16 v4, v[5:6]
	flat_load_u16 v9, v[9:10]
	s_waitcnt vmcnt(1) lgkmcnt(1)
	v_lshlrev_b32_e32 v4, 16, v4
	s_waitcnt vmcnt(0) lgkmcnt(0)
	v_lshlrev_b32_e32 v9, 16, v9
	s_delay_alu instid0(VALU_DEP_1) | instskip(NEXT) | instid1(VALU_DEP_1)
	v_mul_f32_e32 v4, v4, v9
	v_and_b32_e32 v9, 0x7f800000, v4
	s_delay_alu instid0(VALU_DEP_1) | instskip(SKIP_1) | instid1(SALU_CYCLE_1)
	v_cmp_ne_u32_e32 vcc_lo, 0x7f800000, v9
                                        ; implicit-def: $vgpr9
	s_and_saveexec_b32 s0, vcc_lo
	s_xor_b32 s0, exec_lo, s0
; %bb.25:                               ;   in Loop: Header=BB614_24 Depth=1
	v_bfe_u32 v9, v4, 16, 1
	s_delay_alu instid0(VALU_DEP_1)
	v_add3_u32 v9, v4, v9, 0x7fff
                                        ; implicit-def: $vgpr4
; %bb.26:                               ;   in Loop: Header=BB614_24 Depth=1
	s_and_not1_saveexec_b32 s0, s0
	s_cbranch_execz .LBB614_23
; %bb.27:                               ;   in Loop: Header=BB614_24 Depth=1
	v_and_b32_e32 v9, 0xffff, v4
	v_or_b32_e32 v10, 0x10000, v4
	s_delay_alu instid0(VALU_DEP_2) | instskip(NEXT) | instid1(VALU_DEP_2)
	v_cmp_eq_u32_e32 vcc_lo, 0, v9
	v_cndmask_b32_e32 v9, v10, v4, vcc_lo
	s_branch .LBB614_23
.LBB614_28:
	s_or_b32 exec_lo, exec_lo, s7
.LBB614_29:
	s_delay_alu instid0(SALU_CYCLE_1) | instskip(SKIP_2) | instid1(VALU_DEP_1)
	s_or_b32 exec_lo, exec_lo, s6
	v_or_b32_e32 v3, s2, v0
	s_mov_b32 s0, exec_lo
	v_cmpx_gt_i32_e64 s3, v3
	s_cbranch_execz .LBB614_35
; %bb.30:
	v_mul_lo_u32 v3, v3, s1
	s_ashr_i32 s3, s2, 31
	s_delay_alu instid0(SALU_CYCLE_1) | instskip(NEXT) | instid1(VALU_DEP_1)
	s_lshl_b64 s[2:3], s[2:3], 1
	v_ashrrev_i32_e32 v4, 31, v3
	s_delay_alu instid0(VALU_DEP_1) | instskip(NEXT) | instid1(VALU_DEP_1)
	v_lshlrev_b64 v[3:4], 1, v[3:4]
	v_add_co_u32 v3, vcc_lo, s4, v3
	s_delay_alu instid0(VALU_DEP_2)
	v_add_co_ci_u32_e32 v4, vcc_lo, s5, v4, vcc_lo
	v_add_co_u32 v1, vcc_lo, v1, s2
	v_add_co_ci_u32_e32 v2, vcc_lo, s3, v2, vcc_lo
	flat_load_u16 v3, v[3:4]
	flat_load_u16 v1, v[1:2]
	s_waitcnt vmcnt(1) lgkmcnt(1)
	v_lshlrev_b32_e32 v2, 16, v3
	s_waitcnt vmcnt(0) lgkmcnt(0)
	v_lshlrev_b32_e32 v1, 16, v1
	s_delay_alu instid0(VALU_DEP_1) | instskip(NEXT) | instid1(VALU_DEP_1)
	v_mul_f32_e32 v1, v1, v2
	v_and_b32_e32 v2, 0x7f800000, v1
	s_delay_alu instid0(VALU_DEP_1) | instskip(SKIP_1) | instid1(SALU_CYCLE_1)
	v_cmp_ne_u32_e32 vcc_lo, 0x7f800000, v2
                                        ; implicit-def: $vgpr2
	s_and_saveexec_b32 s1, vcc_lo
	s_xor_b32 s1, exec_lo, s1
; %bb.31:
	v_bfe_u32 v2, v1, 16, 1
	s_delay_alu instid0(VALU_DEP_1)
	v_add3_u32 v2, v1, v2, 0x7fff
                                        ; implicit-def: $vgpr1
; %bb.32:
	s_and_not1_saveexec_b32 s1, s1
; %bb.33:
	v_and_b32_e32 v2, 0xffff, v1
	v_or_b32_e32 v3, 0x10000, v1
	s_delay_alu instid0(VALU_DEP_2) | instskip(NEXT) | instid1(VALU_DEP_2)
	v_cmp_eq_u32_e32 vcc_lo, 0, v2
	v_cndmask_b32_e32 v2, v3, v1, vcc_lo
; %bb.34:
	s_or_b32 exec_lo, exec_lo, s1
	s_delay_alu instid0(VALU_DEP_1) | instskip(NEXT) | instid1(VALU_DEP_1)
	v_and_b32_e32 v1, 0xffff0000, v2
	v_add_f32_e32 v7, v7, v1
.LBB614_35:
	s_or_b32 exec_lo, exec_lo, s0
	v_and_b32_e32 v6, 31, v0
	v_cmp_gt_u32_e32 vcc_lo, 32, v0
	s_delay_alu instid0(VALU_DEP_2)
	v_lshlrev_b32_e32 v1, 2, v6
	s_and_saveexec_b32 s0, vcc_lo
	s_cbranch_execz .LBB614_37
; %bb.36:
	v_mov_b32_e32 v2, 0
	ds_store_b32 v1, v2
.LBB614_37:
	s_or_b32 exec_lo, exec_lo, s0
	v_mbcnt_lo_u32_b32 v8, -1, 0
	s_mov_b32 s1, exec_lo
	s_waitcnt lgkmcnt(0)
	s_barrier
	buffer_gl0_inv
	v_cmp_gt_u32_e64 s0, 16, v8
	s_delay_alu instid0(VALU_DEP_1) | instskip(SKIP_1) | instid1(VALU_DEP_2)
	v_cndmask_b32_e64 v2, 0, 1, s0
	v_cmp_gt_u32_e64 s0, 24, v8
	v_lshlrev_b32_e32 v2, 4, v2
	s_delay_alu instid0(VALU_DEP_2) | instskip(SKIP_1) | instid1(VALU_DEP_3)
	v_cndmask_b32_e64 v3, 0, 1, s0
	v_cmp_gt_u32_e64 s0, 28, v8
	v_add_lshl_u32 v2, v2, v8, 2
	s_delay_alu instid0(VALU_DEP_3)
	v_lshlrev_b32_e32 v3, 3, v3
	ds_bpermute_b32 v4, v2, v7
	v_add_lshl_u32 v3, v3, v8, 2
	s_waitcnt lgkmcnt(0)
	v_add_f32_e32 v5, v7, v4
	v_cndmask_b32_e64 v4, 0, 1, s0
	v_cmp_gt_u32_e64 s0, 30, v8
	ds_bpermute_b32 v7, v3, v5
	s_waitcnt lgkmcnt(0)
	v_dual_add_f32 v7, v5, v7 :: v_dual_lshlrev_b32 v4, 2, v4
	s_delay_alu instid0(VALU_DEP_1)
	v_add_lshl_u32 v4, v4, v8, 2
	v_cndmask_b32_e64 v5, 0, 1, s0
	v_cmp_ne_u32_e64 s0, 31, v8
	ds_bpermute_b32 v9, v4, v7
	v_lshlrev_b32_e32 v5, 1, v5
	v_add_co_ci_u32_e64 v10, s0, 0, v8, s0
	s_delay_alu instid0(VALU_DEP_2)
	v_add_lshl_u32 v5, v5, v8, 2
	s_waitcnt lgkmcnt(0)
	v_add_f32_e32 v7, v7, v9
	ds_bpermute_b32 v9, v5, v7
	s_waitcnt lgkmcnt(0)
	v_dual_add_f32 v8, v7, v9 :: v_dual_lshlrev_b32 v7, 2, v10
	ds_bpermute_b32 v9, v7, v8
	v_cmpx_eq_u32_e32 0, v6
	s_cbranch_execz .LBB614_39
; %bb.38:
	v_lshrrev_b32_e32 v6, 3, v0
	s_waitcnt lgkmcnt(0)
	v_add_f32_e32 v8, v8, v9
	s_delay_alu instid0(VALU_DEP_2)
	v_and_b32_e32 v6, 0x7c, v6
	ds_store_b32 v6, v8
.LBB614_39:
	s_or_b32 exec_lo, exec_lo, s1
	v_mov_b32_e32 v6, 0
	s_waitcnt lgkmcnt(0)
	s_barrier
	buffer_gl0_inv
	s_and_saveexec_b32 s0, vcc_lo
	s_cbranch_execz .LBB614_41
; %bb.40:
	ds_load_b32 v6, v1
.LBB614_41:
	s_or_b32 exec_lo, exec_lo, s0
	s_and_saveexec_b32 s0, vcc_lo
	s_cbranch_execz .LBB614_43
; %bb.42:
	s_waitcnt lgkmcnt(0)
	ds_bpermute_b32 v1, v2, v6
	s_waitcnt lgkmcnt(0)
	v_add_f32_e32 v1, v6, v1
	ds_bpermute_b32 v2, v3, v1
	s_waitcnt lgkmcnt(0)
	v_add_f32_e32 v1, v1, v2
	;; [unrolled: 3-line block ×5, first 2 shown]
.LBB614_43:
	s_or_b32 exec_lo, exec_lo, s0
	s_delay_alu instid0(SALU_CYCLE_1)
	s_mov_b32 s0, exec_lo
                                        ; implicit-def: $vgpr1
                                        ; implicit-def: $sgpr6_sgpr7
	v_cmpx_eq_u32_e32 0, v0
	s_cbranch_execz .LBB614_62
; %bb.44:
	v_cmp_eq_f32_e64 s1, s12, 0
	s_waitcnt lgkmcnt(0)
	v_mul_f32_e32 v0, s13, v6
	s_delay_alu instid0(VALU_DEP_2)
	s_and_b32 vcc_lo, exec_lo, s1
	s_cbranch_vccz .LBB614_50
; %bb.45:
	s_delay_alu instid0(VALU_DEP_1) | instskip(NEXT) | instid1(VALU_DEP_1)
	v_and_b32_e32 v1, 0x7f800000, v0
	v_cmp_ne_u32_e32 vcc_lo, 0x7f800000, v1
                                        ; implicit-def: $vgpr1
	s_and_saveexec_b32 s1, vcc_lo
	s_delay_alu instid0(SALU_CYCLE_1)
	s_xor_b32 s1, exec_lo, s1
; %bb.46:
	v_bfe_u32 v1, v0, 16, 1
	s_delay_alu instid0(VALU_DEP_1)
	v_add3_u32 v1, v0, v1, 0x7fff
; %bb.47:
	s_and_not1_saveexec_b32 s1, s1
; %bb.48:
	v_and_b32_e32 v1, 0xffff, v0
	v_or_b32_e32 v2, 0x10000, v0
	s_delay_alu instid0(VALU_DEP_2) | instskip(NEXT) | instid1(VALU_DEP_2)
	v_cmp_eq_u32_e32 vcc_lo, 0, v1
	v_cndmask_b32_e32 v1, v2, v0, vcc_lo
; %bb.49:
	s_or_b32 exec_lo, exec_lo, s1
	s_mul_i32 s6, s14, s16
	s_cbranch_execz .LBB614_51
	s_branch .LBB614_61
.LBB614_50:
                                        ; implicit-def: $vgpr1
	s_mul_i32 s6, s14, s16
.LBB614_51:
	s_delay_alu instid0(SALU_CYCLE_1) | instskip(SKIP_2) | instid1(SALU_CYCLE_1)
	s_ashr_i32 s7, s6, 31
	v_mov_b32_e32 v1, 0
	s_lshl_b64 s[2:3], s[6:7], 1
	s_add_u32 s2, s10, s2
	s_addc_u32 s3, s11, s3
	global_load_u16 v1, v1, s[2:3]
	s_waitcnt vmcnt(0)
	v_lshlrev_b32_e32 v1, 16, v1
	s_delay_alu instid0(VALU_DEP_1) | instskip(NEXT) | instid1(VALU_DEP_1)
	v_mul_f32_e32 v1, s12, v1
	v_and_b32_e32 v2, 0x7f800000, v1
	v_readfirstlane_b32 s1, v1
	s_delay_alu instid0(VALU_DEP_2)
	v_cmp_eq_u32_e32 vcc_lo, 0x7f800000, v2
	s_cbranch_vccnz .LBB614_53
; %bb.52:
	s_delay_alu instid0(VALU_DEP_2) | instskip(SKIP_2) | instid1(SALU_CYCLE_1)
	s_bfe_u32 s2, s1, 0x10010
	s_mov_b32 s3, 0
	s_add_i32 s2, s1, s2
	s_addk_i32 s2, 0x7fff
	s_branch .LBB614_54
.LBB614_53:
	s_mov_b32 s3, -1
                                        ; implicit-def: $sgpr2
.LBB614_54:
	s_delay_alu instid0(SALU_CYCLE_1)
	s_and_not1_b32 vcc_lo, exec_lo, s3
	s_cbranch_vccnz .LBB614_56
; %bb.55:
	s_and_b32 s2, s1, 0xffff
	s_or_b32 s3, s1, 0x10000
	s_cmp_eq_u32 s2, 0
	s_cselect_b32 s2, s1, s3
.LBB614_56:
	s_delay_alu instid0(SALU_CYCLE_1) | instskip(NEXT) | instid1(SALU_CYCLE_1)
	s_and_b32 s1, s2, 0xffff0000
	v_add_f32_e32 v0, s1, v0
	s_delay_alu instid0(VALU_DEP_1) | instskip(NEXT) | instid1(VALU_DEP_1)
	v_and_b32_e32 v1, 0x7f800000, v0
	v_cmp_ne_u32_e32 vcc_lo, 0x7f800000, v1
                                        ; implicit-def: $vgpr1
	s_and_saveexec_b32 s1, vcc_lo
	s_delay_alu instid0(SALU_CYCLE_1)
	s_xor_b32 s1, exec_lo, s1
; %bb.57:
	v_bfe_u32 v1, v0, 16, 1
	s_delay_alu instid0(VALU_DEP_1)
	v_add3_u32 v1, v0, v1, 0x7fff
                                        ; implicit-def: $vgpr0
; %bb.58:
	s_and_not1_saveexec_b32 s1, s1
; %bb.59:
	v_and_b32_e32 v1, 0xffff, v0
	v_or_b32_e32 v2, 0x10000, v0
	s_delay_alu instid0(VALU_DEP_2) | instskip(NEXT) | instid1(VALU_DEP_2)
	v_cmp_eq_u32_e32 vcc_lo, 0, v1
	v_cndmask_b32_e32 v1, v2, v0, vcc_lo
; %bb.60:
	s_or_b32 exec_lo, exec_lo, s1
.LBB614_61:
	s_delay_alu instid0(VALU_DEP_1)
	v_lshrrev_b32_e32 v1, 16, v1
	s_ashr_i32 s7, s6, 31
	s_or_b32 s15, s15, exec_lo
.LBB614_62:
	s_or_b32 exec_lo, exec_lo, s0
	s_and_saveexec_b32 s0, s15
	s_cbranch_execz .LBB614_64
.LBB614_63:
	s_lshl_b64 s[0:1], s[6:7], 1
	v_mov_b32_e32 v0, 0
	s_add_u32 s0, s10, s0
	s_addc_u32 s1, s11, s1
	global_store_b16 v0, v1, s[0:1]
.LBB614_64:
	s_nop 0
	s_sendmsg sendmsg(MSG_DEALLOC_VGPRS)
	s_endpgm
	.section	.rodata,"a",@progbits
	.p2align	6, 0x0
	.amdhsa_kernel _ZL32rocblas_gemvt_warp_reduce_kernelILb0ELi1024EiPK16rocblas_bfloat16fKPS0_EviiT3_lPKT2_lT1_lS8_lS9_lS5_lPT4_lS9_li
		.amdhsa_group_segment_fixed_size 128
		.amdhsa_private_segment_fixed_size 0
		.amdhsa_kernarg_size 140
		.amdhsa_user_sgpr_count 14
		.amdhsa_user_sgpr_dispatch_ptr 0
		.amdhsa_user_sgpr_queue_ptr 0
		.amdhsa_user_sgpr_kernarg_segment_ptr 1
		.amdhsa_user_sgpr_dispatch_id 0
		.amdhsa_user_sgpr_private_segment_size 0
		.amdhsa_wavefront_size32 1
		.amdhsa_uses_dynamic_stack 0
		.amdhsa_enable_private_segment 0
		.amdhsa_system_sgpr_workgroup_id_x 1
		.amdhsa_system_sgpr_workgroup_id_y 0
		.amdhsa_system_sgpr_workgroup_id_z 1
		.amdhsa_system_sgpr_workgroup_info 0
		.amdhsa_system_vgpr_workitem_id 0
		.amdhsa_next_free_vgpr 11
		.amdhsa_next_free_sgpr 24
		.amdhsa_reserve_vcc 1
		.amdhsa_float_round_mode_32 0
		.amdhsa_float_round_mode_16_64 0
		.amdhsa_float_denorm_mode_32 3
		.amdhsa_float_denorm_mode_16_64 3
		.amdhsa_dx10_clamp 1
		.amdhsa_ieee_mode 1
		.amdhsa_fp16_overflow 0
		.amdhsa_workgroup_processor_mode 1
		.amdhsa_memory_ordered 1
		.amdhsa_forward_progress 0
		.amdhsa_shared_vgpr_count 0
		.amdhsa_exception_fp_ieee_invalid_op 0
		.amdhsa_exception_fp_denorm_src 0
		.amdhsa_exception_fp_ieee_div_zero 0
		.amdhsa_exception_fp_ieee_overflow 0
		.amdhsa_exception_fp_ieee_underflow 0
		.amdhsa_exception_fp_ieee_inexact 0
		.amdhsa_exception_int_div_zero 0
	.end_amdhsa_kernel
	.section	.text._ZL32rocblas_gemvt_warp_reduce_kernelILb0ELi1024EiPK16rocblas_bfloat16fKPS0_EviiT3_lPKT2_lT1_lS8_lS9_lS5_lPT4_lS9_li,"axG",@progbits,_ZL32rocblas_gemvt_warp_reduce_kernelILb0ELi1024EiPK16rocblas_bfloat16fKPS0_EviiT3_lPKT2_lT1_lS8_lS9_lS5_lPT4_lS9_li,comdat
.Lfunc_end614:
	.size	_ZL32rocblas_gemvt_warp_reduce_kernelILb0ELi1024EiPK16rocblas_bfloat16fKPS0_EviiT3_lPKT2_lT1_lS8_lS9_lS5_lPT4_lS9_li, .Lfunc_end614-_ZL32rocblas_gemvt_warp_reduce_kernelILb0ELi1024EiPK16rocblas_bfloat16fKPS0_EviiT3_lPKT2_lT1_lS8_lS9_lS5_lPT4_lS9_li
                                        ; -- End function
	.section	.AMDGPU.csdata,"",@progbits
; Kernel info:
; codeLenInByte = 2140
; NumSgprs: 26
; NumVgprs: 11
; ScratchSize: 0
; MemoryBound: 0
; FloatMode: 240
; IeeeMode: 1
; LDSByteSize: 128 bytes/workgroup (compile time only)
; SGPRBlocks: 3
; VGPRBlocks: 1
; NumSGPRsForWavesPerEU: 26
; NumVGPRsForWavesPerEU: 11
; Occupancy: 16
; WaveLimiterHint : 1
; COMPUTE_PGM_RSRC2:SCRATCH_EN: 0
; COMPUTE_PGM_RSRC2:USER_SGPR: 14
; COMPUTE_PGM_RSRC2:TRAP_HANDLER: 0
; COMPUTE_PGM_RSRC2:TGID_X_EN: 1
; COMPUTE_PGM_RSRC2:TGID_Y_EN: 0
; COMPUTE_PGM_RSRC2:TGID_Z_EN: 1
; COMPUTE_PGM_RSRC2:TIDIG_COMP_CNT: 0
	.section	.text._ZL32rocblas_gemvt_warp_reduce_kernelILb0ELi1024ElPK16rocblas_bfloat16fKPS0_EviiT3_lPKT2_lT1_lS8_lS9_lS5_lPT4_lS9_li,"axG",@progbits,_ZL32rocblas_gemvt_warp_reduce_kernelILb0ELi1024ElPK16rocblas_bfloat16fKPS0_EviiT3_lPKT2_lT1_lS8_lS9_lS5_lPT4_lS9_li,comdat
	.globl	_ZL32rocblas_gemvt_warp_reduce_kernelILb0ELi1024ElPK16rocblas_bfloat16fKPS0_EviiT3_lPKT2_lT1_lS8_lS9_lS5_lPT4_lS9_li ; -- Begin function _ZL32rocblas_gemvt_warp_reduce_kernelILb0ELi1024ElPK16rocblas_bfloat16fKPS0_EviiT3_lPKT2_lT1_lS8_lS9_lS5_lPT4_lS9_li
	.p2align	8
	.type	_ZL32rocblas_gemvt_warp_reduce_kernelILb0ELi1024ElPK16rocblas_bfloat16fKPS0_EviiT3_lPKT2_lT1_lS8_lS9_lS5_lPT4_lS9_li,@function
_ZL32rocblas_gemvt_warp_reduce_kernelILb0ELi1024ElPK16rocblas_bfloat16fKPS0_EviiT3_lPKT2_lT1_lS8_lS9_lS5_lPT4_lS9_li: ; @_ZL32rocblas_gemvt_warp_reduce_kernelILb0ELi1024ElPK16rocblas_bfloat16fKPS0_EviiT3_lPKT2_lT1_lS8_lS9_lS5_lPT4_lS9_li
; %bb.0:
	s_clause 0x1
	s_load_b32 s20, s[0:1], 0x8
	s_load_b32 s19, s[0:1], 0x58
	s_waitcnt lgkmcnt(0)
	v_cmp_eq_f32_e64 s12, s20, 0
	v_cmp_eq_f32_e64 s3, s19, 1.0
	s_delay_alu instid0(VALU_DEP_1) | instskip(NEXT) | instid1(SALU_CYCLE_1)
	s_and_b32 s3, s12, s3
	s_and_b32 vcc_lo, exec_lo, s3
	s_cbranch_vccnz .LBB615_65
; %bb.1:
	s_clause 0x1
	s_load_b128 s[4:7], s[0:1], 0x18
	s_load_b64 s[10:11], s[0:1], 0x28
	v_cmp_neq_f32_e64 s13, s20, 0
	s_mov_b32 s2, s15
	s_delay_alu instid0(VALU_DEP_1)
	s_and_b32 vcc_lo, exec_lo, s13
	s_cbranch_vccnz .LBB615_3
; %bb.2:
	s_mov_b32 s3, 0
	s_mov_b64 s[16:17], 0
	s_cbranch_execz .LBB615_4
	s_branch .LBB615_5
.LBB615_3:
	s_mov_b32 s3, -1
                                        ; implicit-def: $sgpr16_sgpr17
.LBB615_4:
	s_mov_b32 s3, 0
	s_delay_alu instid0(SALU_CYCLE_1)
	s_lshl_b64 s[8:9], s[2:3], 3
	s_waitcnt lgkmcnt(0)
	s_add_u32 s4, s4, s8
	s_addc_u32 s5, s5, s9
	s_lshl_b64 s[6:7], s[6:7], 1
	s_load_b64 s[4:5], s[4:5], 0x0
	s_waitcnt lgkmcnt(0)
	s_add_u32 s16, s4, s6
	s_addc_u32 s17, s5, s7
.LBB615_5:
	s_waitcnt lgkmcnt(0)
	s_clause 0x1
	s_load_b128 s[4:7], s[0:1], 0x38
	s_load_b64 s[8:9], s[0:1], 0x48
	s_and_not1_b32 vcc_lo, exec_lo, s13
	s_cbranch_vccnz .LBB615_7
; %bb.6:
	s_lshl_b64 s[22:23], s[2:3], 3
	s_waitcnt lgkmcnt(0)
	s_add_u32 s4, s4, s22
	s_addc_u32 s5, s5, s23
	s_lshl_b64 s[6:7], s[6:7], 1
	s_load_b64 s[4:5], s[4:5], 0x0
	s_waitcnt lgkmcnt(0)
	s_add_u32 s6, s4, s6
	s_addc_u32 s7, s5, s7
	s_branch .LBB615_8
.LBB615_7:
	s_waitcnt lgkmcnt(0)
	s_mov_b64 s[6:7], 0
.LBB615_8:
	s_clause 0x1
	s_load_b128 s[24:27], s[0:1], 0x68
	s_load_b64 s[4:5], s[0:1], 0x78
	s_lshl_b64 s[2:3], s[2:3], 3
	s_waitcnt lgkmcnt(0)
	s_add_u32 s2, s24, s2
	s_addc_u32 s3, s25, s3
	s_lshl_b64 s[24:25], s[26:27], 1
	s_load_b64 s[22:23], s[2:3], 0x0
	v_cmp_eq_u32_e64 s2, 0, v0
	s_waitcnt lgkmcnt(0)
	s_add_u32 s15, s22, s24
	s_addc_u32 s18, s23, s25
	s_and_not1_b32 vcc_lo, exec_lo, s12
	s_cbranch_vccnz .LBB615_13
; %bb.9:
	s_mov_b32 s3, 0
	s_mov_b32 s21, 0
                                        ; implicit-def: $sgpr23
                                        ; implicit-def: $sgpr12_sgpr13
	s_and_saveexec_b32 s22, s2
	s_cbranch_execz .LBB615_14
; %bb.10:
	v_cmp_eq_f32_e64 s2, s19, 0
	s_mul_i32 s12, s14, s5
	s_mul_hi_u32 s13, s14, s4
	s_ashr_i32 s21, s14, 31
	s_add_i32 s12, s13, s12
	s_mul_i32 s21, s21, s4
	s_mov_b32 s23, 0
	s_add_i32 s13, s12, s21
	s_and_b32 vcc_lo, exec_lo, s2
	s_mul_i32 s12, s14, s4
	s_cbranch_vccnz .LBB615_20
; %bb.11:
	s_lshl_b64 s[24:25], s[12:13], 1
	v_mov_b32_e32 v1, 0
	s_add_u32 s24, s15, s24
	s_addc_u32 s25, s18, s25
	global_load_u16 v1, v1, s[24:25]
	s_waitcnt vmcnt(0)
	v_lshlrev_b32_e32 v1, 16, v1
	s_delay_alu instid0(VALU_DEP_1) | instskip(NEXT) | instid1(VALU_DEP_1)
	v_mul_f32_e32 v1, s19, v1
	v_and_b32_e32 v2, 0x7f800000, v1
	v_readfirstlane_b32 s2, v1
	s_delay_alu instid0(VALU_DEP_2)
	v_cmp_eq_u32_e32 vcc_lo, 0x7f800000, v2
	s_cbranch_vccnz .LBB615_16
; %bb.12:
	s_delay_alu instid0(VALU_DEP_2) | instskip(NEXT) | instid1(SALU_CYCLE_1)
	s_bfe_u32 s21, s2, 0x10010
	s_add_i32 s21, s2, s21
	s_delay_alu instid0(SALU_CYCLE_1)
	s_addk_i32 s21, 0x7fff
	s_branch .LBB615_17
.LBB615_13:
	s_mov_b32 s21, 0
                                        ; implicit-def: $sgpr23
                                        ; implicit-def: $sgpr12_sgpr13
	s_cbranch_execz .LBB615_15
	s_branch .LBB615_21
.LBB615_14:
	s_or_b32 exec_lo, exec_lo, s22
	s_delay_alu instid0(SALU_CYCLE_1)
	s_and_b32 vcc_lo, exec_lo, s3
	s_cbranch_vccnz .LBB615_21
.LBB615_15:
	v_mov_b32_e32 v1, s23
	s_and_saveexec_b32 s0, s21
	s_cbranch_execnz .LBB615_64
	s_branch .LBB615_65
.LBB615_16:
	s_mov_b32 s23, -1
                                        ; implicit-def: $sgpr21
.LBB615_17:
	s_delay_alu instid0(SALU_CYCLE_1)
	s_and_not1_b32 vcc_lo, exec_lo, s23
	s_cbranch_vccnz .LBB615_19
; %bb.18:
	s_and_b32 s21, s2, 0xffff
	s_or_b32 s23, s2, 0x10000
	s_cmp_eq_u32 s21, 0
	s_cselect_b32 s21, s2, s23
.LBB615_19:
	s_delay_alu instid0(SALU_CYCLE_1)
	s_lshr_b32 s23, s21, 16
.LBB615_20:
	s_mov_b32 s21, exec_lo
	s_or_b32 exec_lo, exec_lo, s22
	s_delay_alu instid0(SALU_CYCLE_1)
	s_and_b32 vcc_lo, exec_lo, s3
	s_cbranch_vccz .LBB615_15
.LBB615_21:
	s_load_b32 s3, s[0:1], 0x0
	s_mul_i32 s0, s14, s11
	s_mul_hi_u32 s2, s14, s10
	s_ashr_i32 s1, s14, 31
	s_add_i32 s0, s2, s0
	s_mul_i32 s2, s1, s10
	s_mul_i32 s10, s14, s10
	s_add_i32 s11, s0, s2
	v_mov_b32_e32 v7, 0
	s_lshl_b64 s[10:11], s[10:11], 1
	s_mov_b32 s13, 0
	s_add_u32 s0, s10, s16
	s_addc_u32 s10, s11, s17
	s_mov_b32 s12, exec_lo
	s_waitcnt lgkmcnt(0)
	v_cmp_gt_i32_e32 vcc_lo, s3, v0
	s_ashr_i32 s2, s3, 31
	s_delay_alu instid0(SALU_CYCLE_1) | instskip(NEXT) | instid1(SALU_CYCLE_1)
	s_lshr_b32 s2, s2, 22
	s_add_i32 s2, s3, s2
	v_cndmask_b32_e32 v1, 0, v0, vcc_lo
	s_and_b32 s2, s2, 0xfffffc00
	s_delay_alu instid0(VALU_DEP_1) | instskip(NEXT) | instid1(VALU_DEP_1)
	v_lshlrev_b32_e32 v1, 1, v1
	v_add_co_u32 v1, s0, s0, v1
	s_delay_alu instid0(VALU_DEP_1)
	v_add_co_ci_u32_e64 v2, null, s10, 0, s0
	v_cmpx_gt_i32_e64 s2, v0
	s_cbranch_execz .LBB615_29
; %bb.22:
	v_mad_u64_u32 v[3:4], null, s8, v0, 0
	v_mov_b32_e32 v8, v0
	s_lshl_b64 s[10:11], s[8:9], 11
	v_mov_b32_e32 v7, 0
	s_delay_alu instid0(VALU_DEP_3) | instskip(NEXT) | instid1(VALU_DEP_1)
	v_mad_u64_u32 v[5:6], null, s9, v0, v[4:5]
	v_mov_b32_e32 v4, v5
	s_delay_alu instid0(VALU_DEP_1) | instskip(SKIP_1) | instid1(VALU_DEP_2)
	v_lshlrev_b64 v[5:6], 1, v[3:4]
	v_dual_mov_b32 v4, v2 :: v_dual_mov_b32 v3, v1
	v_add_co_u32 v5, vcc_lo, s6, v5
	s_delay_alu instid0(VALU_DEP_3)
	v_add_co_ci_u32_e32 v6, vcc_lo, s7, v6, vcc_lo
	s_set_inst_prefetch_distance 0x1
	s_branch .LBB615_24
	.p2align	6
.LBB615_23:                             ;   in Loop: Header=BB615_24 Depth=1
	s_or_b32 exec_lo, exec_lo, s0
	s_delay_alu instid0(VALU_DEP_1) | instskip(SKIP_3) | instid1(VALU_DEP_4)
	v_and_b32_e32 v9, 0xffff0000, v10
	v_add_nc_u32_e32 v8, 0x400, v8
	v_add_co_u32 v3, vcc_lo, 0x800, v3
	v_add_co_ci_u32_e32 v4, vcc_lo, 0, v4, vcc_lo
	v_add_f32_e32 v7, v7, v9
	s_delay_alu instid0(VALU_DEP_4) | instskip(SKIP_1) | instid1(VALU_DEP_1)
	v_cmp_le_i32_e32 vcc_lo, s2, v8
	v_add_co_u32 v5, s0, v5, s10
	v_add_co_ci_u32_e64 v6, s0, s11, v6, s0
	s_or_b32 s13, vcc_lo, s13
	s_delay_alu instid0(SALU_CYCLE_1)
	s_and_not1_b32 exec_lo, exec_lo, s13
	s_cbranch_execz .LBB615_28
.LBB615_24:                             ; =>This Inner Loop Header: Depth=1
	flat_load_u16 v9, v[5:6]
	flat_load_u16 v10, v[3:4]
	s_waitcnt vmcnt(1) lgkmcnt(1)
	v_lshlrev_b32_e32 v9, 16, v9
	s_waitcnt vmcnt(0) lgkmcnt(0)
	v_lshlrev_b32_e32 v10, 16, v10
	s_delay_alu instid0(VALU_DEP_1) | instskip(NEXT) | instid1(VALU_DEP_1)
	v_mul_f32_e32 v9, v10, v9
	v_and_b32_e32 v10, 0x7f800000, v9
	s_delay_alu instid0(VALU_DEP_1) | instskip(SKIP_1) | instid1(SALU_CYCLE_1)
	v_cmp_ne_u32_e32 vcc_lo, 0x7f800000, v10
                                        ; implicit-def: $vgpr10
	s_and_saveexec_b32 s0, vcc_lo
	s_xor_b32 s0, exec_lo, s0
; %bb.25:                               ;   in Loop: Header=BB615_24 Depth=1
	v_bfe_u32 v10, v9, 16, 1
	s_delay_alu instid0(VALU_DEP_1)
	v_add3_u32 v10, v9, v10, 0x7fff
                                        ; implicit-def: $vgpr9
; %bb.26:                               ;   in Loop: Header=BB615_24 Depth=1
	s_and_not1_saveexec_b32 s0, s0
	s_cbranch_execz .LBB615_23
; %bb.27:                               ;   in Loop: Header=BB615_24 Depth=1
	v_and_b32_e32 v10, 0xffff, v9
	v_or_b32_e32 v11, 0x10000, v9
	s_delay_alu instid0(VALU_DEP_2) | instskip(NEXT) | instid1(VALU_DEP_2)
	v_cmp_eq_u32_e32 vcc_lo, 0, v10
	v_cndmask_b32_e32 v10, v11, v9, vcc_lo
	s_branch .LBB615_23
.LBB615_28:
	s_set_inst_prefetch_distance 0x2
	s_or_b32 exec_lo, exec_lo, s13
.LBB615_29:
	s_delay_alu instid0(SALU_CYCLE_1) | instskip(SKIP_2) | instid1(VALU_DEP_1)
	s_or_b32 exec_lo, exec_lo, s12
	v_or_b32_e32 v3, s2, v0
	s_mov_b32 s0, exec_lo
	v_cmpx_gt_i32_e64 s3, v3
	s_cbranch_execz .LBB615_35
; %bb.30:
	v_ashrrev_i32_e32 v6, 31, v3
	v_mul_lo_u32 v8, v3, s9
	v_mad_u64_u32 v[4:5], null, v3, s8, 0
	s_ashr_i32 s3, s2, 31
	s_delay_alu instid0(VALU_DEP_3) | instskip(SKIP_1) | instid1(VALU_DEP_1)
	v_mul_lo_u32 v3, v6, s8
	s_lshl_b64 s[2:3], s[2:3], 1
	v_add3_u32 v5, v5, v8, v3
	s_delay_alu instid0(VALU_DEP_1) | instskip(NEXT) | instid1(VALU_DEP_1)
	v_lshlrev_b64 v[3:4], 1, v[4:5]
	v_add_co_u32 v3, vcc_lo, s6, v3
	s_delay_alu instid0(VALU_DEP_2)
	v_add_co_ci_u32_e32 v4, vcc_lo, s7, v4, vcc_lo
	v_add_co_u32 v1, vcc_lo, v1, s2
	v_add_co_ci_u32_e32 v2, vcc_lo, s3, v2, vcc_lo
	flat_load_u16 v3, v[3:4]
	flat_load_u16 v1, v[1:2]
	s_waitcnt vmcnt(1) lgkmcnt(1)
	v_lshlrev_b32_e32 v2, 16, v3
	s_waitcnt vmcnt(0) lgkmcnt(0)
	v_lshlrev_b32_e32 v1, 16, v1
	s_delay_alu instid0(VALU_DEP_1) | instskip(NEXT) | instid1(VALU_DEP_1)
	v_mul_f32_e32 v1, v1, v2
	v_and_b32_e32 v2, 0x7f800000, v1
	s_delay_alu instid0(VALU_DEP_1) | instskip(SKIP_1) | instid1(SALU_CYCLE_1)
	v_cmp_ne_u32_e32 vcc_lo, 0x7f800000, v2
                                        ; implicit-def: $vgpr2
	s_and_saveexec_b32 s2, vcc_lo
	s_xor_b32 s2, exec_lo, s2
; %bb.31:
	v_bfe_u32 v2, v1, 16, 1
	s_delay_alu instid0(VALU_DEP_1)
	v_add3_u32 v2, v1, v2, 0x7fff
                                        ; implicit-def: $vgpr1
; %bb.32:
	s_and_not1_saveexec_b32 s2, s2
; %bb.33:
	v_and_b32_e32 v2, 0xffff, v1
	v_or_b32_e32 v3, 0x10000, v1
	s_delay_alu instid0(VALU_DEP_2) | instskip(NEXT) | instid1(VALU_DEP_2)
	v_cmp_eq_u32_e32 vcc_lo, 0, v2
	v_cndmask_b32_e32 v2, v3, v1, vcc_lo
; %bb.34:
	s_or_b32 exec_lo, exec_lo, s2
	s_delay_alu instid0(VALU_DEP_1) | instskip(NEXT) | instid1(VALU_DEP_1)
	v_and_b32_e32 v1, 0xffff0000, v2
	v_add_f32_e32 v7, v7, v1
.LBB615_35:
	s_or_b32 exec_lo, exec_lo, s0
	v_and_b32_e32 v6, 31, v0
	v_cmp_gt_u32_e32 vcc_lo, 32, v0
	s_delay_alu instid0(VALU_DEP_2)
	v_lshlrev_b32_e32 v1, 2, v6
	s_and_saveexec_b32 s0, vcc_lo
	s_cbranch_execz .LBB615_37
; %bb.36:
	v_mov_b32_e32 v2, 0
	ds_store_b32 v1, v2
.LBB615_37:
	s_or_b32 exec_lo, exec_lo, s0
	v_mbcnt_lo_u32_b32 v8, -1, 0
	s_mov_b32 s2, exec_lo
	s_waitcnt lgkmcnt(0)
	s_barrier
	buffer_gl0_inv
	v_cmp_gt_u32_e64 s0, 16, v8
	s_delay_alu instid0(VALU_DEP_1) | instskip(SKIP_1) | instid1(VALU_DEP_2)
	v_cndmask_b32_e64 v2, 0, 1, s0
	v_cmp_gt_u32_e64 s0, 24, v8
	v_lshlrev_b32_e32 v2, 4, v2
	s_delay_alu instid0(VALU_DEP_2) | instskip(SKIP_1) | instid1(VALU_DEP_3)
	v_cndmask_b32_e64 v3, 0, 1, s0
	v_cmp_gt_u32_e64 s0, 28, v8
	v_add_lshl_u32 v2, v2, v8, 2
	s_delay_alu instid0(VALU_DEP_3)
	v_lshlrev_b32_e32 v3, 3, v3
	ds_bpermute_b32 v4, v2, v7
	v_add_lshl_u32 v3, v3, v8, 2
	s_waitcnt lgkmcnt(0)
	v_add_f32_e32 v5, v7, v4
	v_cndmask_b32_e64 v4, 0, 1, s0
	v_cmp_gt_u32_e64 s0, 30, v8
	ds_bpermute_b32 v7, v3, v5
	s_waitcnt lgkmcnt(0)
	v_dual_add_f32 v7, v5, v7 :: v_dual_lshlrev_b32 v4, 2, v4
	s_delay_alu instid0(VALU_DEP_1)
	v_add_lshl_u32 v4, v4, v8, 2
	v_cndmask_b32_e64 v5, 0, 1, s0
	v_cmp_ne_u32_e64 s0, 31, v8
	ds_bpermute_b32 v9, v4, v7
	v_lshlrev_b32_e32 v5, 1, v5
	v_add_co_ci_u32_e64 v10, s0, 0, v8, s0
	s_delay_alu instid0(VALU_DEP_2)
	v_add_lshl_u32 v5, v5, v8, 2
	s_waitcnt lgkmcnt(0)
	v_add_f32_e32 v7, v7, v9
	ds_bpermute_b32 v9, v5, v7
	s_waitcnt lgkmcnt(0)
	v_dual_add_f32 v8, v7, v9 :: v_dual_lshlrev_b32 v7, 2, v10
	ds_bpermute_b32 v9, v7, v8
	v_cmpx_eq_u32_e32 0, v6
	s_cbranch_execz .LBB615_39
; %bb.38:
	v_lshrrev_b32_e32 v6, 3, v0
	s_waitcnt lgkmcnt(0)
	v_add_f32_e32 v8, v8, v9
	s_delay_alu instid0(VALU_DEP_2)
	v_and_b32_e32 v6, 0x7c, v6
	ds_store_b32 v6, v8
.LBB615_39:
	s_or_b32 exec_lo, exec_lo, s2
	v_mov_b32_e32 v6, 0
	s_waitcnt lgkmcnt(0)
	s_barrier
	buffer_gl0_inv
	s_and_saveexec_b32 s0, vcc_lo
	s_cbranch_execz .LBB615_41
; %bb.40:
	ds_load_b32 v6, v1
.LBB615_41:
	s_or_b32 exec_lo, exec_lo, s0
	s_and_saveexec_b32 s0, vcc_lo
	s_cbranch_execz .LBB615_43
; %bb.42:
	s_waitcnt lgkmcnt(0)
	ds_bpermute_b32 v1, v2, v6
	s_waitcnt lgkmcnt(0)
	v_add_f32_e32 v1, v6, v1
	ds_bpermute_b32 v2, v3, v1
	s_waitcnt lgkmcnt(0)
	v_add_f32_e32 v1, v1, v2
	;; [unrolled: 3-line block ×5, first 2 shown]
.LBB615_43:
	s_or_b32 exec_lo, exec_lo, s0
	s_delay_alu instid0(SALU_CYCLE_1)
	s_mov_b32 s0, exec_lo
                                        ; implicit-def: $vgpr1
                                        ; implicit-def: $sgpr12_sgpr13
	v_cmpx_eq_u32_e32 0, v0
	s_cbranch_execz .LBB615_63
; %bb.44:
	v_cmp_eq_f32_e64 s2, s19, 0
	s_waitcnt lgkmcnt(0)
	v_mul_f32_e32 v0, s20, v6
	s_delay_alu instid0(VALU_DEP_2)
	s_and_b32 vcc_lo, exec_lo, s2
	s_cbranch_vccz .LBB615_50
; %bb.45:
	s_delay_alu instid0(VALU_DEP_1) | instskip(NEXT) | instid1(VALU_DEP_1)
	v_and_b32_e32 v1, 0x7f800000, v0
	v_cmp_ne_u32_e32 vcc_lo, 0x7f800000, v1
                                        ; implicit-def: $vgpr1
	s_and_saveexec_b32 s2, vcc_lo
	s_delay_alu instid0(SALU_CYCLE_1)
	s_xor_b32 s2, exec_lo, s2
; %bb.46:
	v_bfe_u32 v1, v0, 16, 1
	s_delay_alu instid0(VALU_DEP_1)
	v_add3_u32 v1, v0, v1, 0x7fff
; %bb.47:
	s_and_not1_saveexec_b32 s2, s2
; %bb.48:
	v_and_b32_e32 v1, 0xffff, v0
	v_or_b32_e32 v2, 0x10000, v0
	s_delay_alu instid0(VALU_DEP_2) | instskip(NEXT) | instid1(VALU_DEP_2)
	v_cmp_eq_u32_e32 vcc_lo, 0, v1
	v_cndmask_b32_e32 v1, v2, v0, vcc_lo
; %bb.49:
	s_or_b32 exec_lo, exec_lo, s2
	s_mov_b32 s6, 0
	s_branch .LBB615_51
.LBB615_50:
	s_mov_b32 s6, -1
                                        ; implicit-def: $vgpr1
.LBB615_51:
	s_mul_i32 s2, s14, s5
	s_mul_hi_u32 s3, s14, s4
	s_and_not1_b32 vcc_lo, exec_lo, s6
	s_mul_i32 s1, s1, s4
	s_mul_i32 s12, s14, s4
	s_cbranch_vccnz .LBB615_62
; %bb.52:
	s_add_i32 s4, s3, s2
	v_mov_b32_e32 v1, 0
	s_add_i32 s13, s4, s1
	s_delay_alu instid0(SALU_CYCLE_1) | instskip(NEXT) | instid1(SALU_CYCLE_1)
	s_lshl_b64 s[4:5], s[12:13], 1
	s_add_u32 s4, s15, s4
	s_addc_u32 s5, s18, s5
	global_load_u16 v1, v1, s[4:5]
	s_waitcnt vmcnt(0)
	v_lshlrev_b32_e32 v1, 16, v1
	s_delay_alu instid0(VALU_DEP_1) | instskip(NEXT) | instid1(VALU_DEP_1)
	v_mul_f32_e32 v1, s19, v1
	v_and_b32_e32 v2, 0x7f800000, v1
	v_readfirstlane_b32 s4, v1
	s_delay_alu instid0(VALU_DEP_2)
	v_cmp_eq_u32_e32 vcc_lo, 0x7f800000, v2
	s_cbranch_vccnz .LBB615_54
; %bb.53:
	s_delay_alu instid0(VALU_DEP_2) | instskip(SKIP_2) | instid1(SALU_CYCLE_1)
	s_bfe_u32 s5, s4, 0x10010
	s_mov_b32 s6, 0
	s_add_i32 s5, s4, s5
	s_addk_i32 s5, 0x7fff
	s_branch .LBB615_55
.LBB615_54:
	s_mov_b32 s6, -1
                                        ; implicit-def: $sgpr5
.LBB615_55:
	s_delay_alu instid0(SALU_CYCLE_1)
	s_and_not1_b32 vcc_lo, exec_lo, s6
	s_cbranch_vccnz .LBB615_57
; %bb.56:
	s_and_b32 s5, s4, 0xffff
	s_or_b32 s6, s4, 0x10000
	s_cmp_eq_u32 s5, 0
	s_cselect_b32 s5, s4, s6
.LBB615_57:
	s_delay_alu instid0(SALU_CYCLE_1) | instskip(NEXT) | instid1(SALU_CYCLE_1)
	s_and_b32 s4, s5, 0xffff0000
	v_add_f32_e32 v0, s4, v0
	s_delay_alu instid0(VALU_DEP_1) | instskip(NEXT) | instid1(VALU_DEP_1)
	v_and_b32_e32 v1, 0x7f800000, v0
	v_cmp_ne_u32_e32 vcc_lo, 0x7f800000, v1
                                        ; implicit-def: $vgpr1
	s_and_saveexec_b32 s4, vcc_lo
	s_delay_alu instid0(SALU_CYCLE_1)
	s_xor_b32 s4, exec_lo, s4
; %bb.58:
	v_bfe_u32 v1, v0, 16, 1
	s_delay_alu instid0(VALU_DEP_1)
	v_add3_u32 v1, v0, v1, 0x7fff
                                        ; implicit-def: $vgpr0
; %bb.59:
	s_and_not1_saveexec_b32 s4, s4
; %bb.60:
	v_and_b32_e32 v1, 0xffff, v0
	v_or_b32_e32 v2, 0x10000, v0
	s_delay_alu instid0(VALU_DEP_2) | instskip(NEXT) | instid1(VALU_DEP_2)
	v_cmp_eq_u32_e32 vcc_lo, 0, v1
	v_cndmask_b32_e32 v1, v2, v0, vcc_lo
; %bb.61:
	s_or_b32 exec_lo, exec_lo, s4
.LBB615_62:
	s_delay_alu instid0(VALU_DEP_1)
	v_lshrrev_b32_e32 v1, 16, v1
	s_add_i32 s2, s3, s2
	s_or_b32 s21, s21, exec_lo
	s_add_i32 s13, s2, s1
.LBB615_63:
	s_or_b32 exec_lo, exec_lo, s0
	s_and_saveexec_b32 s0, s21
	s_cbranch_execz .LBB615_65
.LBB615_64:
	s_lshl_b64 s[0:1], s[12:13], 1
	v_mov_b32_e32 v0, 0
	s_add_u32 s0, s15, s0
	s_addc_u32 s1, s18, s1
	global_store_b16 v0, v1, s[0:1]
.LBB615_65:
	s_nop 0
	s_sendmsg sendmsg(MSG_DEALLOC_VGPRS)
	s_endpgm
	.section	.rodata,"a",@progbits
	.p2align	6, 0x0
	.amdhsa_kernel _ZL32rocblas_gemvt_warp_reduce_kernelILb0ELi1024ElPK16rocblas_bfloat16fKPS0_EviiT3_lPKT2_lT1_lS8_lS9_lS5_lPT4_lS9_li
		.amdhsa_group_segment_fixed_size 128
		.amdhsa_private_segment_fixed_size 0
		.amdhsa_kernarg_size 140
		.amdhsa_user_sgpr_count 14
		.amdhsa_user_sgpr_dispatch_ptr 0
		.amdhsa_user_sgpr_queue_ptr 0
		.amdhsa_user_sgpr_kernarg_segment_ptr 1
		.amdhsa_user_sgpr_dispatch_id 0
		.amdhsa_user_sgpr_private_segment_size 0
		.amdhsa_wavefront_size32 1
		.amdhsa_uses_dynamic_stack 0
		.amdhsa_enable_private_segment 0
		.amdhsa_system_sgpr_workgroup_id_x 1
		.amdhsa_system_sgpr_workgroup_id_y 0
		.amdhsa_system_sgpr_workgroup_id_z 1
		.amdhsa_system_sgpr_workgroup_info 0
		.amdhsa_system_vgpr_workitem_id 0
		.amdhsa_next_free_vgpr 12
		.amdhsa_next_free_sgpr 28
		.amdhsa_reserve_vcc 1
		.amdhsa_float_round_mode_32 0
		.amdhsa_float_round_mode_16_64 0
		.amdhsa_float_denorm_mode_32 3
		.amdhsa_float_denorm_mode_16_64 3
		.amdhsa_dx10_clamp 1
		.amdhsa_ieee_mode 1
		.amdhsa_fp16_overflow 0
		.amdhsa_workgroup_processor_mode 1
		.amdhsa_memory_ordered 1
		.amdhsa_forward_progress 0
		.amdhsa_shared_vgpr_count 0
		.amdhsa_exception_fp_ieee_invalid_op 0
		.amdhsa_exception_fp_denorm_src 0
		.amdhsa_exception_fp_ieee_div_zero 0
		.amdhsa_exception_fp_ieee_overflow 0
		.amdhsa_exception_fp_ieee_underflow 0
		.amdhsa_exception_fp_ieee_inexact 0
		.amdhsa_exception_int_div_zero 0
	.end_amdhsa_kernel
	.section	.text._ZL32rocblas_gemvt_warp_reduce_kernelILb0ELi1024ElPK16rocblas_bfloat16fKPS0_EviiT3_lPKT2_lT1_lS8_lS9_lS5_lPT4_lS9_li,"axG",@progbits,_ZL32rocblas_gemvt_warp_reduce_kernelILb0ELi1024ElPK16rocblas_bfloat16fKPS0_EviiT3_lPKT2_lT1_lS8_lS9_lS5_lPT4_lS9_li,comdat
.Lfunc_end615:
	.size	_ZL32rocblas_gemvt_warp_reduce_kernelILb0ELi1024ElPK16rocblas_bfloat16fKPS0_EviiT3_lPKT2_lT1_lS8_lS9_lS5_lPT4_lS9_li, .Lfunc_end615-_ZL32rocblas_gemvt_warp_reduce_kernelILb0ELi1024ElPK16rocblas_bfloat16fKPS0_EviiT3_lPKT2_lT1_lS8_lS9_lS5_lPT4_lS9_li
                                        ; -- End function
	.section	.AMDGPU.csdata,"",@progbits
; Kernel info:
; codeLenInByte = 2272
; NumSgprs: 30
; NumVgprs: 12
; ScratchSize: 0
; MemoryBound: 0
; FloatMode: 240
; IeeeMode: 1
; LDSByteSize: 128 bytes/workgroup (compile time only)
; SGPRBlocks: 3
; VGPRBlocks: 1
; NumSGPRsForWavesPerEU: 30
; NumVGPRsForWavesPerEU: 12
; Occupancy: 16
; WaveLimiterHint : 1
; COMPUTE_PGM_RSRC2:SCRATCH_EN: 0
; COMPUTE_PGM_RSRC2:USER_SGPR: 14
; COMPUTE_PGM_RSRC2:TRAP_HANDLER: 0
; COMPUTE_PGM_RSRC2:TGID_X_EN: 1
; COMPUTE_PGM_RSRC2:TGID_Y_EN: 0
; COMPUTE_PGM_RSRC2:TGID_Z_EN: 1
; COMPUTE_PGM_RSRC2:TIDIG_COMP_CNT: 0
	.section	.text._ZL22rocblas_gemvtsm_kernelILb1ELi256EPK16rocblas_bfloat16PKfKPS0_EviiT2_lPKT1_lilSA_lilS7_lPT3_lil,"axG",@progbits,_ZL22rocblas_gemvtsm_kernelILb1ELi256EPK16rocblas_bfloat16PKfKPS0_EviiT2_lPKT1_lilSA_lilS7_lPT3_lil,comdat
	.globl	_ZL22rocblas_gemvtsm_kernelILb1ELi256EPK16rocblas_bfloat16PKfKPS0_EviiT2_lPKT1_lilSA_lilS7_lPT3_lil ; -- Begin function _ZL22rocblas_gemvtsm_kernelILb1ELi256EPK16rocblas_bfloat16PKfKPS0_EviiT2_lPKT1_lilSA_lilS7_lPT3_lil
	.p2align	8
	.type	_ZL22rocblas_gemvtsm_kernelILb1ELi256EPK16rocblas_bfloat16PKfKPS0_EviiT2_lPKT1_lilSA_lilS7_lPT3_lil,@function
_ZL22rocblas_gemvtsm_kernelILb1ELi256EPK16rocblas_bfloat16PKfKPS0_EviiT2_lPKT1_lilSA_lilS7_lPT3_lil: ; @_ZL22rocblas_gemvtsm_kernelILb1ELi256EPK16rocblas_bfloat16PKfKPS0_EviiT2_lPKT1_lilSA_lilS7_lPT3_lil
; %bb.0:
	s_mov_b32 s2, s15
	s_clause 0x1
	s_load_b256 s[12:19], s[0:1], 0x8
	s_load_b256 s[4:11], s[0:1], 0x58
	s_waitcnt lgkmcnt(0)
	s_mul_i32 s3, s2, s15
	s_mul_hi_u32 s15, s2, s14
	s_mul_i32 s14, s2, s14
	s_add_i32 s15, s15, s3
	s_mul_i32 s3, s2, s7
	s_lshl_b64 s[14:15], s[14:15], 2
	s_mul_hi_u32 s7, s2, s6
	s_add_u32 s12, s12, s14
	s_addc_u32 s13, s13, s15
	s_add_i32 s7, s7, s3
	s_mul_i32 s6, s2, s6
	s_delay_alu instid0(SALU_CYCLE_1) | instskip(NEXT) | instid1(SALU_CYCLE_1)
	s_lshl_b64 s[6:7], s[6:7], 2
	s_add_u32 s4, s4, s6
	s_addc_u32 s5, s5, s7
	s_load_b32 s21, s[12:13], 0x0
	s_load_b32 s20, s[4:5], 0x0
	s_waitcnt lgkmcnt(0)
	v_cmp_eq_f32_e64 s7, s21, 0
	v_cmp_eq_f32_e64 s3, s20, 1.0
	s_delay_alu instid0(VALU_DEP_1) | instskip(NEXT) | instid1(SALU_CYCLE_1)
	s_and_b32 s3, s7, s3
	s_and_b32 vcc_lo, exec_lo, s3
	s_mov_b32 s3, 0
	s_cbranch_vccnz .LBB616_74
; %bb.1:
	v_cmp_neq_f32_e64 s4, s21, 0
	s_mov_b64 s[14:15], 0
	s_and_b32 vcc_lo, exec_lo, s7
	s_mov_b64 s[12:13], 0
	s_cbranch_vccnz .LBB616_3
; %bb.2:
	s_lshl_b64 s[12:13], s[2:3], 3
	s_delay_alu instid0(SALU_CYCLE_1)
	s_add_u32 s12, s16, s12
	s_addc_u32 s13, s17, s13
	s_lshl_b64 s[16:17], s[18:19], 1
	s_load_b64 s[12:13], s[12:13], 0x0
	s_waitcnt lgkmcnt(0)
	s_add_u32 s12, s12, s16
	s_addc_u32 s13, s13, s17
.LBB616_3:
	s_and_not1_b32 vcc_lo, exec_lo, s4
	s_cbranch_vccnz .LBB616_5
; %bb.4:
	s_load_b128 s[16:19], s[0:1], 0x38
	s_lshl_b64 s[4:5], s[2:3], 3
	s_waitcnt lgkmcnt(0)
	s_add_u32 s4, s16, s4
	s_addc_u32 s5, s17, s5
	s_lshl_b64 s[14:15], s[18:19], 1
	s_load_b64 s[4:5], s[4:5], 0x0
	s_waitcnt lgkmcnt(0)
	s_add_u32 s14, s4, s14
	s_addc_u32 s15, s5, s15
.LBB616_5:
	s_lshl_b64 s[2:3], s[2:3], 3
	s_delay_alu instid0(SALU_CYCLE_1)
	s_add_u32 s2, s8, s2
	s_addc_u32 s3, s9, s3
	s_clause 0x1
	s_load_b64 s[4:5], s[0:1], 0x0
	s_load_b32 s6, s[0:1], 0x78
	s_load_b64 s[8:9], s[2:3], 0x0
	s_and_not1_b32 vcc_lo, exec_lo, s7
	s_mov_b32 s2, -1
	s_cbranch_vccnz .LBB616_24
; %bb.6:
	s_waitcnt lgkmcnt(0)
	s_cmp_gt_i32 s5, 0
	v_cmp_neq_f32_e64 s2, s20, 0
	s_cselect_b32 s16, -1, 0
	s_delay_alu instid0(SALU_CYCLE_1) | instskip(NEXT) | instid1(VALU_DEP_2)
	v_cndmask_b32_e64 v1, 0, 1, s16
	s_and_b32 vcc_lo, exec_lo, s2
	s_delay_alu instid0(VALU_DEP_1)
	v_cmp_ne_u32_e64 s2, 1, v1
	s_cbranch_vccnz .LBB616_13
; %bb.7:
	s_delay_alu instid0(VALU_DEP_1)
	s_and_b32 vcc_lo, exec_lo, s2
	s_cbranch_vccnz .LBB616_12
; %bb.8:
	v_mad_i64_i32 v[1:2], null, s6, v0, 0
	s_lshl_b64 s[2:3], s[10:11], 1
	s_ashr_i32 s7, s6, 31
	s_add_u32 s2, s8, s2
	s_addc_u32 s3, s9, s3
	v_mov_b32_e32 v3, 0
	s_delay_alu instid0(VALU_DEP_2) | instskip(NEXT) | instid1(VALU_DEP_1)
	v_lshlrev_b64 v[1:2], 1, v[1:2]
	v_add_co_u32 v1, vcc_lo, s2, v1
	s_delay_alu instid0(VALU_DEP_2)
	v_add_co_ci_u32_e32 v2, vcc_lo, s3, v2, vcc_lo
	s_lshl_b64 s[2:3], s[6:7], 9
	s_mov_b32 s7, 0
	s_branch .LBB616_10
.LBB616_9:                              ;   in Loop: Header=BB616_10 Depth=1
	s_or_b32 exec_lo, exec_lo, s17
	v_add_co_u32 v1, vcc_lo, v1, s2
	v_add_co_ci_u32_e32 v2, vcc_lo, s3, v2, vcc_lo
	s_addk_i32 s7, 0x100
	s_delay_alu instid0(SALU_CYCLE_1)
	s_cmp_ge_i32 s7, s5
	s_cbranch_scc1 .LBB616_12
.LBB616_10:                             ; =>This Inner Loop Header: Depth=1
	v_add_nc_u32_e32 v4, s7, v0
	s_mov_b32 s17, exec_lo
	s_delay_alu instid0(VALU_DEP_1)
	v_cmpx_gt_i32_e64 s5, v4
	s_cbranch_execz .LBB616_9
; %bb.11:                               ;   in Loop: Header=BB616_10 Depth=1
	global_store_b16 v[1:2], v3, off
	s_branch .LBB616_9
.LBB616_12:
	s_cbranch_execz .LBB616_14
	s_branch .LBB616_23
.LBB616_13:
.LBB616_14:
	s_and_not1_b32 vcc_lo, exec_lo, s16
	s_cbranch_vccnz .LBB616_23
; %bb.15:
	v_mad_i64_i32 v[1:2], null, s6, v0, 0
	s_lshl_b64 s[2:3], s[10:11], 1
	s_ashr_i32 s7, s6, 31
	s_add_u32 s2, s8, s2
	s_addc_u32 s3, s9, s3
	s_delay_alu instid0(VALU_DEP_1) | instskip(NEXT) | instid1(VALU_DEP_1)
	v_lshlrev_b64 v[1:2], 1, v[1:2]
	v_add_co_u32 v1, vcc_lo, s2, v1
	s_delay_alu instid0(VALU_DEP_2)
	v_add_co_ci_u32_e32 v2, vcc_lo, s3, v2, vcc_lo
	s_lshl_b64 s[2:3], s[6:7], 9
	s_mov_b32 s7, 0
	s_set_inst_prefetch_distance 0x1
	s_branch .LBB616_18
	.p2align	6
.LBB616_16:                             ;   in Loop: Header=BB616_18 Depth=1
	s_or_b32 exec_lo, exec_lo, s17
	global_store_d16_hi_b16 v[1:2], v4, off
.LBB616_17:                             ;   in Loop: Header=BB616_18 Depth=1
	s_or_b32 exec_lo, exec_lo, s16
	v_add_co_u32 v1, vcc_lo, v1, s2
	v_add_co_ci_u32_e32 v2, vcc_lo, s3, v2, vcc_lo
	s_addk_i32 s7, 0x100
	s_delay_alu instid0(SALU_CYCLE_1)
	s_cmp_ge_i32 s7, s5
	s_cbranch_scc1 .LBB616_23
.LBB616_18:                             ; =>This Inner Loop Header: Depth=1
	v_add_nc_u32_e32 v3, s7, v0
	s_mov_b32 s16, exec_lo
	s_delay_alu instid0(VALU_DEP_1)
	v_cmpx_gt_i32_e64 s5, v3
	s_cbranch_execz .LBB616_17
; %bb.19:                               ;   in Loop: Header=BB616_18 Depth=1
	global_load_u16 v3, v[1:2], off
	s_waitcnt vmcnt(0)
	v_lshlrev_b32_e32 v3, 16, v3
	s_delay_alu instid0(VALU_DEP_1) | instskip(NEXT) | instid1(VALU_DEP_1)
	v_mul_f32_e32 v3, s20, v3
	v_and_b32_e32 v4, 0x7f800000, v3
	s_delay_alu instid0(VALU_DEP_1) | instskip(SKIP_1) | instid1(SALU_CYCLE_1)
	v_cmp_ne_u32_e32 vcc_lo, 0x7f800000, v4
                                        ; implicit-def: $vgpr4
	s_and_saveexec_b32 s17, vcc_lo
	s_xor_b32 s17, exec_lo, s17
; %bb.20:                               ;   in Loop: Header=BB616_18 Depth=1
	v_bfe_u32 v4, v3, 16, 1
	s_delay_alu instid0(VALU_DEP_1)
	v_add3_u32 v4, v3, v4, 0x7fff
                                        ; implicit-def: $vgpr3
; %bb.21:                               ;   in Loop: Header=BB616_18 Depth=1
	s_and_not1_saveexec_b32 s17, s17
	s_cbranch_execz .LBB616_16
; %bb.22:                               ;   in Loop: Header=BB616_18 Depth=1
	v_and_b32_e32 v4, 0xffff, v3
	v_or_b32_e32 v5, 0x10000, v3
	s_delay_alu instid0(VALU_DEP_2) | instskip(NEXT) | instid1(VALU_DEP_2)
	v_cmp_eq_u32_e32 vcc_lo, 0, v4
	v_cndmask_b32_e32 v4, v5, v3, vcc_lo
	s_branch .LBB616_16
.LBB616_23:
	s_set_inst_prefetch_distance 0x2
	s_mov_b32 s2, 0
.LBB616_24:
	s_delay_alu instid0(SALU_CYCLE_1)
	s_and_not1_b32 vcc_lo, exec_lo, s2
	s_cbranch_vccnz .LBB616_74
; %bb.25:
	s_mov_b32 s2, exec_lo
	s_waitcnt lgkmcnt(0)
	v_cmpx_gt_i32_e64 s4, v0
	s_cbranch_execz .LBB616_31
; %bb.26:
	s_load_b32 s3, s[0:1], 0x48
	s_waitcnt lgkmcnt(0)
	v_mad_i64_i32 v[1:2], null, s3, v0, 0
	s_delay_alu instid0(VALU_DEP_1) | instskip(NEXT) | instid1(VALU_DEP_1)
	v_lshlrev_b64 v[1:2], 1, v[1:2]
	v_add_co_u32 v1, vcc_lo, s14, v1
	s_delay_alu instid0(VALU_DEP_2) | instskip(SKIP_3) | instid1(VALU_DEP_1)
	v_add_co_ci_u32_e32 v2, vcc_lo, s15, v2, vcc_lo
	flat_load_u16 v1, v[1:2]
	s_waitcnt vmcnt(0) lgkmcnt(0)
	v_lshlrev_b32_e32 v1, 16, v1
	v_mul_f32_e32 v1, s21, v1
	s_delay_alu instid0(VALU_DEP_1) | instskip(NEXT) | instid1(VALU_DEP_1)
	v_and_b32_e32 v2, 0x7f800000, v1
	v_cmp_ne_u32_e32 vcc_lo, 0x7f800000, v2
                                        ; implicit-def: $vgpr2
	s_and_saveexec_b32 s3, vcc_lo
	s_delay_alu instid0(SALU_CYCLE_1)
	s_xor_b32 s3, exec_lo, s3
; %bb.27:
	v_bfe_u32 v2, v1, 16, 1
	s_delay_alu instid0(VALU_DEP_1)
	v_add3_u32 v2, v1, v2, 0x7fff
                                        ; implicit-def: $vgpr1
; %bb.28:
	s_and_not1_saveexec_b32 s3, s3
; %bb.29:
	v_and_b32_e32 v2, 0xffff, v1
	v_or_b32_e32 v3, 0x10000, v1
	s_delay_alu instid0(VALU_DEP_2) | instskip(NEXT) | instid1(VALU_DEP_2)
	v_cmp_eq_u32_e32 vcc_lo, 0, v2
	v_cndmask_b32_e32 v2, v3, v1, vcc_lo
; %bb.30:
	s_or_b32 exec_lo, exec_lo, s3
	s_delay_alu instid0(VALU_DEP_1)
	v_and_b32_e32 v1, 0xffff0000, v2
	v_lshlrev_b32_e32 v2, 2, v0
	ds_store_b32 v2, v1
.LBB616_31:
	s_or_b32 exec_lo, exec_lo, s2
	s_cmp_lt_i32 s5, 1
	s_waitcnt lgkmcnt(0)
	s_waitcnt_vscnt null, 0x0
	s_barrier
	buffer_gl0_inv
	s_cbranch_scc1 .LBB616_74
; %bb.32:
	s_load_b32 s0, s[0:1], 0x28
	s_lshl_b64 s[2:3], s[10:11], 1
	s_delay_alu instid0(SALU_CYCLE_1)
	s_add_u32 s2, s8, s2
	s_addc_u32 s3, s9, s3
	s_ashr_i32 s7, s6, 31
	v_cmp_neq_f32_e64 s8, s20, 0
	s_waitcnt lgkmcnt(0)
	v_mad_i64_i32 v[1:2], null, s0, v0, 0
	s_ashr_i32 s1, s0, 31
	s_cmp_gt_i32 s4, 0
	s_cselect_b32 s9, -1, 0
	s_and_b32 s10, s4, 3
	s_cmp_gt_u32 s4, 3
	s_delay_alu instid0(VALU_DEP_1) | instskip(SKIP_3) | instid1(VALU_DEP_1)
	v_lshlrev_b64 v[1:2], 1, v[1:2]
	s_cselect_b32 s11, -1, 0
	s_and_b32 s4, s4, 0x7ffffffc
	s_cmp_lg_u32 s10, 0
	v_add_co_u32 v1, vcc_lo, s12, v1
	s_delay_alu instid0(VALU_DEP_2)
	v_add_co_ci_u32_e32 v2, vcc_lo, s13, v2, vcc_lo
	s_cselect_b32 s12, -1, 0
	s_mov_b32 s13, 0
	s_lshl_b64 s[0:1], s[0:1], 9
	s_branch .LBB616_35
.LBB616_33:                             ;   in Loop: Header=BB616_35 Depth=1
	s_or_b32 exec_lo, exec_lo, s15
	v_add_co_u32 v3, vcc_lo, s2, v3
	v_add_co_ci_u32_e32 v4, vcc_lo, s3, v4, vcc_lo
	global_store_d16_hi_b16 v[3:4], v5, off
.LBB616_34:                             ;   in Loop: Header=BB616_35 Depth=1
	s_or_b32 exec_lo, exec_lo, s14
	v_add_co_u32 v1, vcc_lo, v1, s0
	v_add_co_ci_u32_e32 v2, vcc_lo, s1, v2, vcc_lo
	s_addk_i32 s13, 0x100
	s_delay_alu instid0(SALU_CYCLE_1)
	s_cmp_ge_i32 s13, s5
	s_cbranch_scc1 .LBB616_74
.LBB616_35:                             ; =>This Loop Header: Depth=1
                                        ;     Child Loop BB616_46 Depth 2
                                        ;     Child Loop BB616_66 Depth 2
	v_add_nc_u32_e32 v3, s13, v0
	s_mov_b32 s14, exec_lo
	s_delay_alu instid0(VALU_DEP_1)
	v_cmpx_gt_i32_e64 s5, v3
	s_cbranch_execz .LBB616_34
; %bb.36:                               ;   in Loop: Header=BB616_35 Depth=1
	v_mad_u64_u32 v[4:5], null, v3, s6, 0
	s_and_not1_b32 vcc_lo, exec_lo, s8
	s_delay_alu instid0(VALU_DEP_1) | instskip(NEXT) | instid1(VALU_DEP_1)
	v_mad_u64_u32 v[6:7], null, v3, s7, v[5:6]
	v_mov_b32_e32 v5, v6
	s_delay_alu instid0(VALU_DEP_1)
	v_lshlrev_b64 v[3:4], 1, v[4:5]
	s_cbranch_vccnz .LBB616_42
; %bb.37:                               ;   in Loop: Header=BB616_35 Depth=1
	s_delay_alu instid0(VALU_DEP_1) | instskip(NEXT) | instid1(VALU_DEP_2)
	v_add_co_u32 v5, vcc_lo, s2, v3
	v_add_co_ci_u32_e32 v6, vcc_lo, s3, v4, vcc_lo
	global_load_u16 v5, v[5:6], off
	s_waitcnt vmcnt(0)
	v_lshlrev_b32_e32 v5, 16, v5
	s_delay_alu instid0(VALU_DEP_1) | instskip(NEXT) | instid1(VALU_DEP_1)
	v_mul_f32_e32 v5, s20, v5
	v_and_b32_e32 v6, 0x7f800000, v5
	s_delay_alu instid0(VALU_DEP_1) | instskip(SKIP_1) | instid1(SALU_CYCLE_1)
	v_cmp_ne_u32_e32 vcc_lo, 0x7f800000, v6
                                        ; implicit-def: $vgpr6
	s_and_saveexec_b32 s15, vcc_lo
	s_xor_b32 s15, exec_lo, s15
; %bb.38:                               ;   in Loop: Header=BB616_35 Depth=1
	v_bfe_u32 v6, v5, 16, 1
	s_delay_alu instid0(VALU_DEP_1)
	v_add3_u32 v6, v5, v6, 0x7fff
                                        ; implicit-def: $vgpr5
; %bb.39:                               ;   in Loop: Header=BB616_35 Depth=1
	s_and_not1_saveexec_b32 s15, s15
; %bb.40:                               ;   in Loop: Header=BB616_35 Depth=1
	v_and_b32_e32 v6, 0xffff, v5
	v_or_b32_e32 v7, 0x10000, v5
	s_delay_alu instid0(VALU_DEP_2) | instskip(NEXT) | instid1(VALU_DEP_2)
	v_cmp_eq_u32_e32 vcc_lo, 0, v6
	v_cndmask_b32_e32 v6, v7, v5, vcc_lo
; %bb.41:                               ;   in Loop: Header=BB616_35 Depth=1
	s_or_b32 exec_lo, exec_lo, s15
	s_delay_alu instid0(VALU_DEP_1) | instskip(NEXT) | instid1(VALU_DEP_1)
	v_and_b32_e32 v5, 0xffff0000, v6
	v_cvt_i32_f32_e32 v5, v5
	s_delay_alu instid0(VALU_DEP_1)
	v_cvt_f32_i32_e32 v7, v5
	s_and_not1_b32 vcc_lo, exec_lo, s9
	s_cbranch_vccz .LBB616_43
	s_branch .LBB616_70
.LBB616_42:                             ;   in Loop: Header=BB616_35 Depth=1
	v_mov_b32_e32 v5, 0
	s_delay_alu instid0(VALU_DEP_1)
	v_cvt_f32_i32_e32 v7, v5
	s_and_not1_b32 vcc_lo, exec_lo, s9
	s_cbranch_vccnz .LBB616_70
.LBB616_43:                             ;   in Loop: Header=BB616_35 Depth=1
	s_and_not1_b32 vcc_lo, exec_lo, s11
	s_cbranch_vccnz .LBB616_62
; %bb.44:                               ;   in Loop: Header=BB616_35 Depth=1
	v_dual_mov_b32 v6, v2 :: v_dual_mov_b32 v5, v1
	s_mov_b32 s15, 0
	s_mov_b32 s16, 0
	s_branch .LBB616_46
.LBB616_45:                             ;   in Loop: Header=BB616_46 Depth=2
	s_or_b32 exec_lo, exec_lo, s17
	v_and_b32_e32 v9, 0xffff0000, v9
	v_and_b32_e32 v8, 0xffff0000, v8
	v_add_co_u32 v5, vcc_lo, v5, 8
	v_add_co_ci_u32_e32 v6, vcc_lo, 0, v6, vcc_lo
	s_delay_alu instid0(VALU_DEP_3) | instskip(SKIP_3) | instid1(VALU_DEP_1)
	v_dual_add_f32 v7, v7, v8 :: v_dual_and_b32 v8, 0xffff0000, v10
	s_add_i32 s16, s16, 4
	s_add_i32 s15, s15, 16
	s_cmp_eq_u32 s4, s16
	v_add_f32_e32 v7, v7, v9
	v_and_b32_e32 v9, 0xffff0000, v11
	s_delay_alu instid0(VALU_DEP_2) | instskip(NEXT) | instid1(VALU_DEP_1)
	v_add_f32_e32 v7, v7, v8
	v_add_f32_e32 v7, v7, v9
	s_cbranch_scc1 .LBB616_63
.LBB616_46:                             ;   Parent Loop BB616_35 Depth=1
                                        ; =>  This Inner Loop Header: Depth=2
	flat_load_u16 v8, v[5:6]
	s_waitcnt vmcnt(0) lgkmcnt(0)
	v_dual_mov_b32 v9, s15 :: v_dual_lshlrev_b32 v8, 16, v8
	ds_load_b32 v9, v9
	s_waitcnt lgkmcnt(0)
	v_mul_f32_e32 v9, v9, v8
	s_delay_alu instid0(VALU_DEP_1) | instskip(NEXT) | instid1(VALU_DEP_1)
	v_and_b32_e32 v8, 0x7f800000, v9
	v_cmp_ne_u32_e32 vcc_lo, 0x7f800000, v8
                                        ; implicit-def: $vgpr8
	s_and_saveexec_b32 s17, vcc_lo
	s_delay_alu instid0(SALU_CYCLE_1)
	s_xor_b32 s17, exec_lo, s17
; %bb.47:                               ;   in Loop: Header=BB616_46 Depth=2
	v_bfe_u32 v8, v9, 16, 1
	s_delay_alu instid0(VALU_DEP_1)
	v_add3_u32 v8, v9, v8, 0x7fff
                                        ; implicit-def: $vgpr9
; %bb.48:                               ;   in Loop: Header=BB616_46 Depth=2
	s_and_not1_saveexec_b32 s17, s17
; %bb.49:                               ;   in Loop: Header=BB616_46 Depth=2
	v_and_b32_e32 v8, 0xffff, v9
	v_or_b32_e32 v10, 0x10000, v9
	s_delay_alu instid0(VALU_DEP_2) | instskip(NEXT) | instid1(VALU_DEP_2)
	v_cmp_eq_u32_e32 vcc_lo, 0, v8
	v_cndmask_b32_e32 v8, v10, v9, vcc_lo
; %bb.50:                               ;   in Loop: Header=BB616_46 Depth=2
	s_or_b32 exec_lo, exec_lo, s17
	flat_load_u16 v9, v[5:6] offset:2
	s_waitcnt vmcnt(0) lgkmcnt(0)
	v_dual_mov_b32 v10, s15 :: v_dual_lshlrev_b32 v9, 16, v9
	ds_load_b32 v10, v10 offset:4
	s_waitcnt lgkmcnt(0)
	v_mul_f32_e32 v10, v10, v9
	s_delay_alu instid0(VALU_DEP_1) | instskip(NEXT) | instid1(VALU_DEP_1)
	v_and_b32_e32 v9, 0x7f800000, v10
	v_cmp_ne_u32_e32 vcc_lo, 0x7f800000, v9
                                        ; implicit-def: $vgpr9
	s_and_saveexec_b32 s17, vcc_lo
	s_delay_alu instid0(SALU_CYCLE_1)
	s_xor_b32 s17, exec_lo, s17
; %bb.51:                               ;   in Loop: Header=BB616_46 Depth=2
	v_bfe_u32 v9, v10, 16, 1
	s_delay_alu instid0(VALU_DEP_1)
	v_add3_u32 v9, v10, v9, 0x7fff
                                        ; implicit-def: $vgpr10
; %bb.52:                               ;   in Loop: Header=BB616_46 Depth=2
	s_and_not1_saveexec_b32 s17, s17
; %bb.53:                               ;   in Loop: Header=BB616_46 Depth=2
	v_and_b32_e32 v9, 0xffff, v10
	v_or_b32_e32 v11, 0x10000, v10
	s_delay_alu instid0(VALU_DEP_2) | instskip(NEXT) | instid1(VALU_DEP_2)
	v_cmp_eq_u32_e32 vcc_lo, 0, v9
	v_cndmask_b32_e32 v9, v11, v10, vcc_lo
; %bb.54:                               ;   in Loop: Header=BB616_46 Depth=2
	s_or_b32 exec_lo, exec_lo, s17
	flat_load_u16 v10, v[5:6] offset:4
	s_waitcnt vmcnt(0) lgkmcnt(0)
	v_dual_mov_b32 v11, s15 :: v_dual_lshlrev_b32 v10, 16, v10
	ds_load_b32 v11, v11 offset:8
	s_waitcnt lgkmcnt(0)
	v_mul_f32_e32 v11, v11, v10
	s_delay_alu instid0(VALU_DEP_1) | instskip(NEXT) | instid1(VALU_DEP_1)
	v_and_b32_e32 v10, 0x7f800000, v11
	v_cmp_ne_u32_e32 vcc_lo, 0x7f800000, v10
                                        ; implicit-def: $vgpr10
	s_and_saveexec_b32 s17, vcc_lo
	s_delay_alu instid0(SALU_CYCLE_1)
	s_xor_b32 s17, exec_lo, s17
; %bb.55:                               ;   in Loop: Header=BB616_46 Depth=2
	v_bfe_u32 v10, v11, 16, 1
	s_delay_alu instid0(VALU_DEP_1)
	v_add3_u32 v10, v11, v10, 0x7fff
                                        ; implicit-def: $vgpr11
; %bb.56:                               ;   in Loop: Header=BB616_46 Depth=2
	s_and_not1_saveexec_b32 s17, s17
; %bb.57:                               ;   in Loop: Header=BB616_46 Depth=2
	v_and_b32_e32 v10, 0xffff, v11
	v_or_b32_e32 v12, 0x10000, v11
	s_delay_alu instid0(VALU_DEP_2) | instskip(NEXT) | instid1(VALU_DEP_2)
	v_cmp_eq_u32_e32 vcc_lo, 0, v10
	v_cndmask_b32_e32 v10, v12, v11, vcc_lo
; %bb.58:                               ;   in Loop: Header=BB616_46 Depth=2
	s_or_b32 exec_lo, exec_lo, s17
	flat_load_u16 v11, v[5:6] offset:6
	s_waitcnt vmcnt(0) lgkmcnt(0)
	v_dual_mov_b32 v12, s15 :: v_dual_lshlrev_b32 v11, 16, v11
	ds_load_b32 v12, v12 offset:12
	s_waitcnt lgkmcnt(0)
	v_mul_f32_e32 v12, v12, v11
	s_delay_alu instid0(VALU_DEP_1) | instskip(NEXT) | instid1(VALU_DEP_1)
	v_and_b32_e32 v11, 0x7f800000, v12
	v_cmp_ne_u32_e32 vcc_lo, 0x7f800000, v11
                                        ; implicit-def: $vgpr11
	s_and_saveexec_b32 s17, vcc_lo
	s_delay_alu instid0(SALU_CYCLE_1)
	s_xor_b32 s17, exec_lo, s17
; %bb.59:                               ;   in Loop: Header=BB616_46 Depth=2
	v_bfe_u32 v11, v12, 16, 1
	s_delay_alu instid0(VALU_DEP_1)
	v_add3_u32 v11, v12, v11, 0x7fff
                                        ; implicit-def: $vgpr12
; %bb.60:                               ;   in Loop: Header=BB616_46 Depth=2
	s_and_not1_saveexec_b32 s17, s17
	s_cbranch_execz .LBB616_45
; %bb.61:                               ;   in Loop: Header=BB616_46 Depth=2
	v_and_b32_e32 v11, 0xffff, v12
	v_or_b32_e32 v13, 0x10000, v12
	s_delay_alu instid0(VALU_DEP_2) | instskip(NEXT) | instid1(VALU_DEP_2)
	v_cmp_eq_u32_e32 vcc_lo, 0, v11
	v_cndmask_b32_e32 v11, v13, v12, vcc_lo
	s_branch .LBB616_45
.LBB616_62:                             ;   in Loop: Header=BB616_35 Depth=1
	s_mov_b32 s15, 0
	s_and_not1_b32 vcc_lo, exec_lo, s12
	s_cbranch_vccz .LBB616_64
	s_branch .LBB616_70
.LBB616_63:                             ;   in Loop: Header=BB616_35 Depth=1
	s_mov_b32 s15, s4
	s_and_not1_b32 vcc_lo, exec_lo, s12
	s_cbranch_vccnz .LBB616_70
.LBB616_64:                             ;   in Loop: Header=BB616_35 Depth=1
	s_lshl_b32 s16, s15, 1
	s_lshl_b32 s15, s15, 2
	v_add_co_u32 v5, vcc_lo, v1, s16
	v_add_co_ci_u32_e32 v6, vcc_lo, 0, v2, vcc_lo
	s_mov_b32 s16, s10
	s_set_inst_prefetch_distance 0x1
	s_branch .LBB616_66
	.p2align	6
.LBB616_65:                             ;   in Loop: Header=BB616_66 Depth=2
	s_or_b32 exec_lo, exec_lo, s17
	s_delay_alu instid0(VALU_DEP_1) | instskip(SKIP_2) | instid1(VALU_DEP_3)
	v_and_b32_e32 v8, 0xffff0000, v9
	v_add_co_u32 v5, vcc_lo, v5, 2
	v_add_co_ci_u32_e32 v6, vcc_lo, 0, v6, vcc_lo
	v_add_f32_e32 v7, v7, v8
	s_add_i32 s16, s16, -1
	s_add_i32 s15, s15, 4
	s_cmp_lg_u32 s16, 0
	s_cbranch_scc0 .LBB616_70
.LBB616_66:                             ;   Parent Loop BB616_35 Depth=1
                                        ; =>  This Inner Loop Header: Depth=2
	flat_load_u16 v8, v[5:6]
	s_waitcnt vmcnt(0) lgkmcnt(0)
	v_dual_mov_b32 v9, s15 :: v_dual_lshlrev_b32 v8, 16, v8
	ds_load_b32 v9, v9
	s_waitcnt lgkmcnt(0)
	v_mul_f32_e32 v8, v9, v8
	s_delay_alu instid0(VALU_DEP_1) | instskip(NEXT) | instid1(VALU_DEP_1)
	v_and_b32_e32 v9, 0x7f800000, v8
	v_cmp_ne_u32_e32 vcc_lo, 0x7f800000, v9
                                        ; implicit-def: $vgpr9
	s_and_saveexec_b32 s17, vcc_lo
	s_delay_alu instid0(SALU_CYCLE_1)
	s_xor_b32 s17, exec_lo, s17
; %bb.67:                               ;   in Loop: Header=BB616_66 Depth=2
	v_bfe_u32 v9, v8, 16, 1
	s_delay_alu instid0(VALU_DEP_1)
	v_add3_u32 v9, v8, v9, 0x7fff
                                        ; implicit-def: $vgpr8
; %bb.68:                               ;   in Loop: Header=BB616_66 Depth=2
	s_and_not1_saveexec_b32 s17, s17
	s_cbranch_execz .LBB616_65
; %bb.69:                               ;   in Loop: Header=BB616_66 Depth=2
	v_and_b32_e32 v9, 0xffff, v8
	v_or_b32_e32 v10, 0x10000, v8
	s_delay_alu instid0(VALU_DEP_2) | instskip(NEXT) | instid1(VALU_DEP_2)
	v_cmp_eq_u32_e32 vcc_lo, 0, v9
	v_cndmask_b32_e32 v9, v10, v8, vcc_lo
	s_branch .LBB616_65
.LBB616_70:                             ;   in Loop: Header=BB616_35 Depth=1
	s_set_inst_prefetch_distance 0x2
	s_delay_alu instid0(VALU_DEP_1) | instskip(NEXT) | instid1(VALU_DEP_1)
	v_and_b32_e32 v5, 0x7f800000, v7
	v_cmp_ne_u32_e32 vcc_lo, 0x7f800000, v5
                                        ; implicit-def: $vgpr5
	s_and_saveexec_b32 s15, vcc_lo
	s_delay_alu instid0(SALU_CYCLE_1)
	s_xor_b32 s15, exec_lo, s15
; %bb.71:                               ;   in Loop: Header=BB616_35 Depth=1
	v_bfe_u32 v5, v7, 16, 1
	s_delay_alu instid0(VALU_DEP_1)
	v_add3_u32 v5, v7, v5, 0x7fff
                                        ; implicit-def: $vgpr7
; %bb.72:                               ;   in Loop: Header=BB616_35 Depth=1
	s_and_not1_saveexec_b32 s15, s15
	s_cbranch_execz .LBB616_33
; %bb.73:                               ;   in Loop: Header=BB616_35 Depth=1
	v_and_b32_e32 v5, 0xffff, v7
	v_or_b32_e32 v6, 0x10000, v7
	s_delay_alu instid0(VALU_DEP_2) | instskip(NEXT) | instid1(VALU_DEP_2)
	v_cmp_eq_u32_e32 vcc_lo, 0, v5
	v_cndmask_b32_e32 v5, v6, v7, vcc_lo
	s_branch .LBB616_33
.LBB616_74:
	s_nop 0
	s_sendmsg sendmsg(MSG_DEALLOC_VGPRS)
	s_endpgm
	.section	.rodata,"a",@progbits
	.p2align	6, 0x0
	.amdhsa_kernel _ZL22rocblas_gemvtsm_kernelILb1ELi256EPK16rocblas_bfloat16PKfKPS0_EviiT2_lPKT1_lilSA_lilS7_lPT3_lil
		.amdhsa_group_segment_fixed_size 256
		.amdhsa_private_segment_fixed_size 0
		.amdhsa_kernarg_size 136
		.amdhsa_user_sgpr_count 15
		.amdhsa_user_sgpr_dispatch_ptr 0
		.amdhsa_user_sgpr_queue_ptr 0
		.amdhsa_user_sgpr_kernarg_segment_ptr 1
		.amdhsa_user_sgpr_dispatch_id 0
		.amdhsa_user_sgpr_private_segment_size 0
		.amdhsa_wavefront_size32 1
		.amdhsa_uses_dynamic_stack 0
		.amdhsa_enable_private_segment 0
		.amdhsa_system_sgpr_workgroup_id_x 1
		.amdhsa_system_sgpr_workgroup_id_y 0
		.amdhsa_system_sgpr_workgroup_id_z 0
		.amdhsa_system_sgpr_workgroup_info 0
		.amdhsa_system_vgpr_workitem_id 0
		.amdhsa_next_free_vgpr 14
		.amdhsa_next_free_sgpr 22
		.amdhsa_reserve_vcc 1
		.amdhsa_float_round_mode_32 0
		.amdhsa_float_round_mode_16_64 0
		.amdhsa_float_denorm_mode_32 3
		.amdhsa_float_denorm_mode_16_64 3
		.amdhsa_dx10_clamp 1
		.amdhsa_ieee_mode 1
		.amdhsa_fp16_overflow 0
		.amdhsa_workgroup_processor_mode 1
		.amdhsa_memory_ordered 1
		.amdhsa_forward_progress 0
		.amdhsa_shared_vgpr_count 0
		.amdhsa_exception_fp_ieee_invalid_op 0
		.amdhsa_exception_fp_denorm_src 0
		.amdhsa_exception_fp_ieee_div_zero 0
		.amdhsa_exception_fp_ieee_overflow 0
		.amdhsa_exception_fp_ieee_underflow 0
		.amdhsa_exception_fp_ieee_inexact 0
		.amdhsa_exception_int_div_zero 0
	.end_amdhsa_kernel
	.section	.text._ZL22rocblas_gemvtsm_kernelILb1ELi256EPK16rocblas_bfloat16PKfKPS0_EviiT2_lPKT1_lilSA_lilS7_lPT3_lil,"axG",@progbits,_ZL22rocblas_gemvtsm_kernelILb1ELi256EPK16rocblas_bfloat16PKfKPS0_EviiT2_lPKT1_lilSA_lilS7_lPT3_lil,comdat
.Lfunc_end616:
	.size	_ZL22rocblas_gemvtsm_kernelILb1ELi256EPK16rocblas_bfloat16PKfKPS0_EviiT2_lPKT1_lilSA_lilS7_lPT3_lil, .Lfunc_end616-_ZL22rocblas_gemvtsm_kernelILb1ELi256EPK16rocblas_bfloat16PKfKPS0_EviiT2_lPKT1_lilSA_lilS7_lPT3_lil
                                        ; -- End function
	.section	.AMDGPU.csdata,"",@progbits
; Kernel info:
; codeLenInByte = 2464
; NumSgprs: 24
; NumVgprs: 14
; ScratchSize: 0
; MemoryBound: 0
; FloatMode: 240
; IeeeMode: 1
; LDSByteSize: 256 bytes/workgroup (compile time only)
; SGPRBlocks: 2
; VGPRBlocks: 1
; NumSGPRsForWavesPerEU: 24
; NumVGPRsForWavesPerEU: 14
; Occupancy: 16
; WaveLimiterHint : 1
; COMPUTE_PGM_RSRC2:SCRATCH_EN: 0
; COMPUTE_PGM_RSRC2:USER_SGPR: 15
; COMPUTE_PGM_RSRC2:TRAP_HANDLER: 0
; COMPUTE_PGM_RSRC2:TGID_X_EN: 1
; COMPUTE_PGM_RSRC2:TGID_Y_EN: 0
; COMPUTE_PGM_RSRC2:TGID_Z_EN: 0
; COMPUTE_PGM_RSRC2:TIDIG_COMP_CNT: 0
	.section	.text._ZL22rocblas_gemvtsm_kernelILb1ELi256EPK16rocblas_bfloat16fKPS0_EviiT2_lPKT1_lilS8_lilS5_lPT3_lil,"axG",@progbits,_ZL22rocblas_gemvtsm_kernelILb1ELi256EPK16rocblas_bfloat16fKPS0_EviiT2_lPKT1_lilS8_lilS5_lPT3_lil,comdat
	.globl	_ZL22rocblas_gemvtsm_kernelILb1ELi256EPK16rocblas_bfloat16fKPS0_EviiT2_lPKT1_lilS8_lilS5_lPT3_lil ; -- Begin function _ZL22rocblas_gemvtsm_kernelILb1ELi256EPK16rocblas_bfloat16fKPS0_EviiT2_lPKT1_lilS8_lilS5_lPT3_lil
	.p2align	8
	.type	_ZL22rocblas_gemvtsm_kernelILb1ELi256EPK16rocblas_bfloat16fKPS0_EviiT2_lPKT1_lilS8_lilS5_lPT3_lil,@function
_ZL22rocblas_gemvtsm_kernelILb1ELi256EPK16rocblas_bfloat16fKPS0_EviiT2_lPKT1_lilS8_lilS5_lPT3_lil: ; @_ZL22rocblas_gemvtsm_kernelILb1ELi256EPK16rocblas_bfloat16fKPS0_EviiT2_lPKT1_lilS8_lilS5_lPT3_lil
; %bb.0:
	s_load_b128 s[4:7], s[0:1], 0x0
	s_waitcnt lgkmcnt(0)
	s_load_b32 s7, s[0:1], 0x58
	v_cmp_eq_f32_e64 s13, s6, 0
	s_waitcnt lgkmcnt(0)
	v_cmp_eq_f32_e64 s3, s7, 1.0
	s_delay_alu instid0(VALU_DEP_1) | instskip(NEXT) | instid1(SALU_CYCLE_1)
	s_and_b32 s3, s13, s3
	s_and_b32 vcc_lo, exec_lo, s3
	s_cbranch_vccnz .LBB617_77
; %bb.1:
	v_cmp_neq_f32_e64 s8, s6, 0
	s_mov_b32 s2, s15
	s_delay_alu instid0(VALU_DEP_1)
	s_and_b32 vcc_lo, exec_lo, s8
	s_cbranch_vccnz .LBB617_3
; %bb.2:
	s_mov_b32 s3, 0
	s_mov_b64 s[14:15], 0
	s_cbranch_execz .LBB617_4
	s_branch .LBB617_5
.LBB617_3:
	s_mov_b32 s3, -1
                                        ; implicit-def: $sgpr14_sgpr15
.LBB617_4:
	s_load_b128 s[16:19], s[0:1], 0x18
	s_mov_b32 s3, 0
	s_delay_alu instid0(SALU_CYCLE_1)
	s_lshl_b64 s[10:11], s[2:3], 3
	s_waitcnt lgkmcnt(0)
	s_add_u32 s10, s16, s10
	s_addc_u32 s11, s17, s11
	s_lshl_b64 s[14:15], s[18:19], 1
	s_load_b64 s[10:11], s[10:11], 0x0
	s_waitcnt lgkmcnt(0)
	s_add_u32 s14, s10, s14
	s_addc_u32 s15, s11, s15
.LBB617_5:
	s_and_not1_b32 vcc_lo, exec_lo, s8
	s_cbranch_vccnz .LBB617_7
; %bb.6:
	s_load_b128 s[8:11], s[0:1], 0x38
	s_lshl_b64 s[16:17], s[2:3], 3
	s_waitcnt lgkmcnt(0)
	s_add_u32 s8, s8, s16
	s_addc_u32 s9, s9, s17
	s_lshl_b64 s[10:11], s[10:11], 1
	s_load_b64 s[8:9], s[8:9], 0x0
	s_waitcnt lgkmcnt(0)
	s_add_u32 s16, s8, s10
	s_addc_u32 s17, s9, s11
	s_branch .LBB617_8
.LBB617_7:
	s_mov_b64 s[16:17], 0
.LBB617_8:
	s_clause 0x1
	s_load_b128 s[8:11], s[0:1], 0x68
	s_load_b32 s12, s[0:1], 0x78
	s_lshl_b64 s[2:3], s[2:3], 3
	s_waitcnt lgkmcnt(0)
	s_add_u32 s2, s8, s2
	s_addc_u32 s3, s9, s3
	s_and_not1_b32 vcc_lo, exec_lo, s13
	s_load_b64 s[8:9], s[2:3], 0x0
	s_mov_b32 s2, -1
	s_cbranch_vccnz .LBB617_27
; %bb.9:
	s_cmp_gt_i32 s5, 0
	v_cmp_neq_f32_e64 s2, s7, 0
	s_cselect_b32 s18, -1, 0
	s_delay_alu instid0(SALU_CYCLE_1) | instskip(NEXT) | instid1(VALU_DEP_2)
	v_cndmask_b32_e64 v1, 0, 1, s18
	s_and_b32 vcc_lo, exec_lo, s2
	s_delay_alu instid0(VALU_DEP_1)
	v_cmp_ne_u32_e64 s2, 1, v1
	s_cbranch_vccnz .LBB617_16
; %bb.10:
	s_delay_alu instid0(VALU_DEP_1)
	s_and_b32 vcc_lo, exec_lo, s2
	s_cbranch_vccnz .LBB617_15
; %bb.11:
	v_mad_i64_i32 v[1:2], null, s12, v0, 0
	s_lshl_b64 s[2:3], s[10:11], 1
	s_ashr_i32 s13, s12, 31
	s_waitcnt lgkmcnt(0)
	s_add_u32 s2, s8, s2
	s_addc_u32 s3, s9, s3
	v_mov_b32_e32 v3, 0
	s_delay_alu instid0(VALU_DEP_2) | instskip(NEXT) | instid1(VALU_DEP_1)
	v_lshlrev_b64 v[1:2], 1, v[1:2]
	v_add_co_u32 v1, vcc_lo, s2, v1
	s_delay_alu instid0(VALU_DEP_2)
	v_add_co_ci_u32_e32 v2, vcc_lo, s3, v2, vcc_lo
	s_lshl_b64 s[2:3], s[12:13], 9
	s_mov_b32 s13, 0
	s_branch .LBB617_13
.LBB617_12:                             ;   in Loop: Header=BB617_13 Depth=1
	s_or_b32 exec_lo, exec_lo, s19
	v_add_co_u32 v1, vcc_lo, v1, s2
	v_add_co_ci_u32_e32 v2, vcc_lo, s3, v2, vcc_lo
	s_addk_i32 s13, 0x100
	s_delay_alu instid0(SALU_CYCLE_1)
	s_cmp_ge_i32 s13, s5
	s_cbranch_scc1 .LBB617_15
.LBB617_13:                             ; =>This Inner Loop Header: Depth=1
	v_add_nc_u32_e32 v4, s13, v0
	s_mov_b32 s19, exec_lo
	s_delay_alu instid0(VALU_DEP_1)
	v_cmpx_gt_i32_e64 s5, v4
	s_cbranch_execz .LBB617_12
; %bb.14:                               ;   in Loop: Header=BB617_13 Depth=1
	global_store_b16 v[1:2], v3, off
	s_branch .LBB617_12
.LBB617_15:
	s_cbranch_execz .LBB617_17
	s_branch .LBB617_26
.LBB617_16:
.LBB617_17:
	s_and_not1_b32 vcc_lo, exec_lo, s18
	s_cbranch_vccnz .LBB617_26
; %bb.18:
	v_mad_i64_i32 v[1:2], null, s12, v0, 0
	s_lshl_b64 s[2:3], s[10:11], 1
	s_ashr_i32 s13, s12, 31
	s_waitcnt lgkmcnt(0)
	s_add_u32 s2, s8, s2
	s_addc_u32 s3, s9, s3
	s_delay_alu instid0(VALU_DEP_1) | instskip(NEXT) | instid1(VALU_DEP_1)
	v_lshlrev_b64 v[1:2], 1, v[1:2]
	v_add_co_u32 v1, vcc_lo, s2, v1
	s_delay_alu instid0(VALU_DEP_2)
	v_add_co_ci_u32_e32 v2, vcc_lo, s3, v2, vcc_lo
	s_lshl_b64 s[2:3], s[12:13], 9
	s_mov_b32 s13, 0
	s_set_inst_prefetch_distance 0x1
	s_branch .LBB617_21
	.p2align	6
.LBB617_19:                             ;   in Loop: Header=BB617_21 Depth=1
	s_or_b32 exec_lo, exec_lo, s19
	global_store_d16_hi_b16 v[1:2], v4, off
.LBB617_20:                             ;   in Loop: Header=BB617_21 Depth=1
	s_or_b32 exec_lo, exec_lo, s18
	v_add_co_u32 v1, vcc_lo, v1, s2
	v_add_co_ci_u32_e32 v2, vcc_lo, s3, v2, vcc_lo
	s_addk_i32 s13, 0x100
	s_delay_alu instid0(SALU_CYCLE_1)
	s_cmp_ge_i32 s13, s5
	s_cbranch_scc1 .LBB617_26
.LBB617_21:                             ; =>This Inner Loop Header: Depth=1
	v_add_nc_u32_e32 v3, s13, v0
	s_mov_b32 s18, exec_lo
	s_delay_alu instid0(VALU_DEP_1)
	v_cmpx_gt_i32_e64 s5, v3
	s_cbranch_execz .LBB617_20
; %bb.22:                               ;   in Loop: Header=BB617_21 Depth=1
	global_load_u16 v3, v[1:2], off
	s_waitcnt vmcnt(0)
	v_lshlrev_b32_e32 v3, 16, v3
	s_delay_alu instid0(VALU_DEP_1) | instskip(NEXT) | instid1(VALU_DEP_1)
	v_mul_f32_e32 v3, s7, v3
	v_and_b32_e32 v4, 0x7f800000, v3
	s_delay_alu instid0(VALU_DEP_1) | instskip(SKIP_1) | instid1(SALU_CYCLE_1)
	v_cmp_ne_u32_e32 vcc_lo, 0x7f800000, v4
                                        ; implicit-def: $vgpr4
	s_and_saveexec_b32 s19, vcc_lo
	s_xor_b32 s19, exec_lo, s19
; %bb.23:                               ;   in Loop: Header=BB617_21 Depth=1
	v_bfe_u32 v4, v3, 16, 1
	s_delay_alu instid0(VALU_DEP_1)
	v_add3_u32 v4, v3, v4, 0x7fff
                                        ; implicit-def: $vgpr3
; %bb.24:                               ;   in Loop: Header=BB617_21 Depth=1
	s_and_not1_saveexec_b32 s19, s19
	s_cbranch_execz .LBB617_19
; %bb.25:                               ;   in Loop: Header=BB617_21 Depth=1
	v_and_b32_e32 v4, 0xffff, v3
	v_or_b32_e32 v5, 0x10000, v3
	s_delay_alu instid0(VALU_DEP_2) | instskip(NEXT) | instid1(VALU_DEP_2)
	v_cmp_eq_u32_e32 vcc_lo, 0, v4
	v_cndmask_b32_e32 v4, v5, v3, vcc_lo
	s_branch .LBB617_19
.LBB617_26:
	s_set_inst_prefetch_distance 0x2
	s_mov_b32 s2, 0
.LBB617_27:
	s_delay_alu instid0(SALU_CYCLE_1)
	s_and_not1_b32 vcc_lo, exec_lo, s2
	s_cbranch_vccnz .LBB617_77
; %bb.28:
	s_mov_b32 s2, exec_lo
	v_cmpx_gt_i32_e64 s4, v0
	s_cbranch_execz .LBB617_34
; %bb.29:
	s_load_b32 s3, s[0:1], 0x48
	s_waitcnt lgkmcnt(0)
	v_mad_i64_i32 v[1:2], null, s3, v0, 0
	s_delay_alu instid0(VALU_DEP_1) | instskip(NEXT) | instid1(VALU_DEP_1)
	v_lshlrev_b64 v[1:2], 1, v[1:2]
	v_add_co_u32 v1, vcc_lo, s16, v1
	s_delay_alu instid0(VALU_DEP_2) | instskip(SKIP_3) | instid1(VALU_DEP_1)
	v_add_co_ci_u32_e32 v2, vcc_lo, s17, v2, vcc_lo
	flat_load_u16 v1, v[1:2]
	s_waitcnt vmcnt(0) lgkmcnt(0)
	v_lshlrev_b32_e32 v1, 16, v1
	v_mul_f32_e32 v1, s6, v1
	s_delay_alu instid0(VALU_DEP_1) | instskip(NEXT) | instid1(VALU_DEP_1)
	v_and_b32_e32 v2, 0x7f800000, v1
	v_cmp_ne_u32_e32 vcc_lo, 0x7f800000, v2
                                        ; implicit-def: $vgpr2
	s_and_saveexec_b32 s3, vcc_lo
	s_delay_alu instid0(SALU_CYCLE_1)
	s_xor_b32 s3, exec_lo, s3
; %bb.30:
	v_bfe_u32 v2, v1, 16, 1
	s_delay_alu instid0(VALU_DEP_1)
	v_add3_u32 v2, v1, v2, 0x7fff
                                        ; implicit-def: $vgpr1
; %bb.31:
	s_and_not1_saveexec_b32 s3, s3
; %bb.32:
	v_and_b32_e32 v2, 0xffff, v1
	v_or_b32_e32 v3, 0x10000, v1
	s_delay_alu instid0(VALU_DEP_2) | instskip(NEXT) | instid1(VALU_DEP_2)
	v_cmp_eq_u32_e32 vcc_lo, 0, v2
	v_cndmask_b32_e32 v2, v3, v1, vcc_lo
; %bb.33:
	s_or_b32 exec_lo, exec_lo, s3
	s_delay_alu instid0(VALU_DEP_1)
	v_and_b32_e32 v1, 0xffff0000, v2
	v_lshlrev_b32_e32 v2, 2, v0
	ds_store_b32 v2, v1
.LBB617_34:
	s_or_b32 exec_lo, exec_lo, s2
	s_cmp_lt_i32 s5, 1
	s_waitcnt lgkmcnt(0)
	s_waitcnt_vscnt null, 0x0
	s_barrier
	buffer_gl0_inv
	s_cbranch_scc1 .LBB617_77
; %bb.35:
	s_load_b32 s0, s[0:1], 0x28
	s_lshl_b64 s[2:3], s[10:11], 1
	s_delay_alu instid0(SALU_CYCLE_1)
	s_add_u32 s2, s8, s2
	s_addc_u32 s3, s9, s3
	s_ashr_i32 s6, s12, 31
	v_cmp_neq_f32_e64 s8, s7, 0
	s_waitcnt lgkmcnt(0)
	v_mad_i64_i32 v[1:2], null, s0, v0, 0
	s_ashr_i32 s1, s0, 31
	s_cmp_gt_i32 s4, 0
	s_cselect_b32 s9, -1, 0
	s_and_b32 s10, s4, 3
	s_cmp_gt_u32 s4, 3
	s_delay_alu instid0(VALU_DEP_1) | instskip(SKIP_4) | instid1(VALU_DEP_1)
	v_lshlrev_b64 v[1:2], 1, v[1:2]
	s_cselect_b32 s11, -1, 0
	s_and_b32 s4, s4, 0x7ffffffc
	s_cmp_lg_u32 s10, 0
	s_cselect_b32 s13, -1, 0
	v_add_co_u32 v1, vcc_lo, s14, v1
	v_add_co_ci_u32_e32 v2, vcc_lo, s15, v2, vcc_lo
	s_mov_b32 s14, 0
	s_lshl_b64 s[0:1], s[0:1], 9
	s_branch .LBB617_38
.LBB617_36:                             ;   in Loop: Header=BB617_38 Depth=1
	s_or_b32 exec_lo, exec_lo, s16
	v_add_co_u32 v3, vcc_lo, s2, v3
	v_add_co_ci_u32_e32 v4, vcc_lo, s3, v4, vcc_lo
	global_store_d16_hi_b16 v[3:4], v5, off
.LBB617_37:                             ;   in Loop: Header=BB617_38 Depth=1
	s_or_b32 exec_lo, exec_lo, s15
	v_add_co_u32 v1, vcc_lo, v1, s0
	v_add_co_ci_u32_e32 v2, vcc_lo, s1, v2, vcc_lo
	s_addk_i32 s14, 0x100
	s_delay_alu instid0(SALU_CYCLE_1)
	s_cmp_ge_i32 s14, s5
	s_cbranch_scc1 .LBB617_77
.LBB617_38:                             ; =>This Loop Header: Depth=1
                                        ;     Child Loop BB617_49 Depth 2
                                        ;     Child Loop BB617_69 Depth 2
	v_add_nc_u32_e32 v3, s14, v0
	s_mov_b32 s15, exec_lo
	s_delay_alu instid0(VALU_DEP_1)
	v_cmpx_gt_i32_e64 s5, v3
	s_cbranch_execz .LBB617_37
; %bb.39:                               ;   in Loop: Header=BB617_38 Depth=1
	v_mad_u64_u32 v[4:5], null, v3, s12, 0
	s_and_not1_b32 vcc_lo, exec_lo, s8
	s_delay_alu instid0(VALU_DEP_1) | instskip(NEXT) | instid1(VALU_DEP_1)
	v_mad_u64_u32 v[6:7], null, v3, s6, v[5:6]
	v_mov_b32_e32 v5, v6
	s_delay_alu instid0(VALU_DEP_1)
	v_lshlrev_b64 v[3:4], 1, v[4:5]
	s_cbranch_vccnz .LBB617_45
; %bb.40:                               ;   in Loop: Header=BB617_38 Depth=1
	s_delay_alu instid0(VALU_DEP_1) | instskip(NEXT) | instid1(VALU_DEP_2)
	v_add_co_u32 v5, vcc_lo, s2, v3
	v_add_co_ci_u32_e32 v6, vcc_lo, s3, v4, vcc_lo
	global_load_u16 v5, v[5:6], off
	s_waitcnt vmcnt(0)
	v_lshlrev_b32_e32 v5, 16, v5
	s_delay_alu instid0(VALU_DEP_1) | instskip(NEXT) | instid1(VALU_DEP_1)
	v_mul_f32_e32 v5, s7, v5
	v_and_b32_e32 v6, 0x7f800000, v5
	s_delay_alu instid0(VALU_DEP_1) | instskip(SKIP_1) | instid1(SALU_CYCLE_1)
	v_cmp_ne_u32_e32 vcc_lo, 0x7f800000, v6
                                        ; implicit-def: $vgpr6
	s_and_saveexec_b32 s16, vcc_lo
	s_xor_b32 s16, exec_lo, s16
; %bb.41:                               ;   in Loop: Header=BB617_38 Depth=1
	v_bfe_u32 v6, v5, 16, 1
	s_delay_alu instid0(VALU_DEP_1)
	v_add3_u32 v6, v5, v6, 0x7fff
                                        ; implicit-def: $vgpr5
; %bb.42:                               ;   in Loop: Header=BB617_38 Depth=1
	s_and_not1_saveexec_b32 s16, s16
; %bb.43:                               ;   in Loop: Header=BB617_38 Depth=1
	v_and_b32_e32 v6, 0xffff, v5
	v_or_b32_e32 v7, 0x10000, v5
	s_delay_alu instid0(VALU_DEP_2) | instskip(NEXT) | instid1(VALU_DEP_2)
	v_cmp_eq_u32_e32 vcc_lo, 0, v6
	v_cndmask_b32_e32 v6, v7, v5, vcc_lo
; %bb.44:                               ;   in Loop: Header=BB617_38 Depth=1
	s_or_b32 exec_lo, exec_lo, s16
	s_delay_alu instid0(VALU_DEP_1) | instskip(NEXT) | instid1(VALU_DEP_1)
	v_and_b32_e32 v5, 0xffff0000, v6
	v_cvt_i32_f32_e32 v5, v5
	s_delay_alu instid0(VALU_DEP_1)
	v_cvt_f32_i32_e32 v7, v5
	s_and_not1_b32 vcc_lo, exec_lo, s9
	s_cbranch_vccz .LBB617_46
	s_branch .LBB617_73
.LBB617_45:                             ;   in Loop: Header=BB617_38 Depth=1
	v_mov_b32_e32 v5, 0
	s_delay_alu instid0(VALU_DEP_1)
	v_cvt_f32_i32_e32 v7, v5
	s_and_not1_b32 vcc_lo, exec_lo, s9
	s_cbranch_vccnz .LBB617_73
.LBB617_46:                             ;   in Loop: Header=BB617_38 Depth=1
	s_and_not1_b32 vcc_lo, exec_lo, s11
	s_cbranch_vccnz .LBB617_65
; %bb.47:                               ;   in Loop: Header=BB617_38 Depth=1
	v_dual_mov_b32 v6, v2 :: v_dual_mov_b32 v5, v1
	s_mov_b32 s16, 0
	s_mov_b32 s17, 0
	s_branch .LBB617_49
.LBB617_48:                             ;   in Loop: Header=BB617_49 Depth=2
	s_or_b32 exec_lo, exec_lo, s18
	v_and_b32_e32 v9, 0xffff0000, v9
	v_and_b32_e32 v8, 0xffff0000, v8
	v_add_co_u32 v5, vcc_lo, v5, 8
	v_add_co_ci_u32_e32 v6, vcc_lo, 0, v6, vcc_lo
	s_delay_alu instid0(VALU_DEP_3) | instskip(SKIP_3) | instid1(VALU_DEP_1)
	v_dual_add_f32 v7, v7, v8 :: v_dual_and_b32 v8, 0xffff0000, v10
	s_add_i32 s17, s17, 4
	s_add_i32 s16, s16, 16
	s_cmp_eq_u32 s4, s17
	v_add_f32_e32 v7, v7, v9
	v_and_b32_e32 v9, 0xffff0000, v11
	s_delay_alu instid0(VALU_DEP_2) | instskip(NEXT) | instid1(VALU_DEP_1)
	v_add_f32_e32 v7, v7, v8
	v_add_f32_e32 v7, v7, v9
	s_cbranch_scc1 .LBB617_66
.LBB617_49:                             ;   Parent Loop BB617_38 Depth=1
                                        ; =>  This Inner Loop Header: Depth=2
	flat_load_u16 v8, v[5:6]
	s_waitcnt vmcnt(0) lgkmcnt(0)
	v_dual_mov_b32 v9, s16 :: v_dual_lshlrev_b32 v8, 16, v8
	ds_load_b32 v9, v9
	s_waitcnt lgkmcnt(0)
	v_mul_f32_e32 v9, v9, v8
	s_delay_alu instid0(VALU_DEP_1) | instskip(NEXT) | instid1(VALU_DEP_1)
	v_and_b32_e32 v8, 0x7f800000, v9
	v_cmp_ne_u32_e32 vcc_lo, 0x7f800000, v8
                                        ; implicit-def: $vgpr8
	s_and_saveexec_b32 s18, vcc_lo
	s_delay_alu instid0(SALU_CYCLE_1)
	s_xor_b32 s18, exec_lo, s18
; %bb.50:                               ;   in Loop: Header=BB617_49 Depth=2
	v_bfe_u32 v8, v9, 16, 1
	s_delay_alu instid0(VALU_DEP_1)
	v_add3_u32 v8, v9, v8, 0x7fff
                                        ; implicit-def: $vgpr9
; %bb.51:                               ;   in Loop: Header=BB617_49 Depth=2
	s_and_not1_saveexec_b32 s18, s18
; %bb.52:                               ;   in Loop: Header=BB617_49 Depth=2
	v_and_b32_e32 v8, 0xffff, v9
	v_or_b32_e32 v10, 0x10000, v9
	s_delay_alu instid0(VALU_DEP_2) | instskip(NEXT) | instid1(VALU_DEP_2)
	v_cmp_eq_u32_e32 vcc_lo, 0, v8
	v_cndmask_b32_e32 v8, v10, v9, vcc_lo
; %bb.53:                               ;   in Loop: Header=BB617_49 Depth=2
	s_or_b32 exec_lo, exec_lo, s18
	flat_load_u16 v9, v[5:6] offset:2
	s_waitcnt vmcnt(0) lgkmcnt(0)
	v_dual_mov_b32 v10, s16 :: v_dual_lshlrev_b32 v9, 16, v9
	ds_load_b32 v10, v10 offset:4
	s_waitcnt lgkmcnt(0)
	v_mul_f32_e32 v10, v10, v9
	s_delay_alu instid0(VALU_DEP_1) | instskip(NEXT) | instid1(VALU_DEP_1)
	v_and_b32_e32 v9, 0x7f800000, v10
	v_cmp_ne_u32_e32 vcc_lo, 0x7f800000, v9
                                        ; implicit-def: $vgpr9
	s_and_saveexec_b32 s18, vcc_lo
	s_delay_alu instid0(SALU_CYCLE_1)
	s_xor_b32 s18, exec_lo, s18
; %bb.54:                               ;   in Loop: Header=BB617_49 Depth=2
	v_bfe_u32 v9, v10, 16, 1
	s_delay_alu instid0(VALU_DEP_1)
	v_add3_u32 v9, v10, v9, 0x7fff
                                        ; implicit-def: $vgpr10
; %bb.55:                               ;   in Loop: Header=BB617_49 Depth=2
	s_and_not1_saveexec_b32 s18, s18
; %bb.56:                               ;   in Loop: Header=BB617_49 Depth=2
	v_and_b32_e32 v9, 0xffff, v10
	v_or_b32_e32 v11, 0x10000, v10
	s_delay_alu instid0(VALU_DEP_2) | instskip(NEXT) | instid1(VALU_DEP_2)
	v_cmp_eq_u32_e32 vcc_lo, 0, v9
	v_cndmask_b32_e32 v9, v11, v10, vcc_lo
; %bb.57:                               ;   in Loop: Header=BB617_49 Depth=2
	s_or_b32 exec_lo, exec_lo, s18
	flat_load_u16 v10, v[5:6] offset:4
	s_waitcnt vmcnt(0) lgkmcnt(0)
	v_dual_mov_b32 v11, s16 :: v_dual_lshlrev_b32 v10, 16, v10
	ds_load_b32 v11, v11 offset:8
	s_waitcnt lgkmcnt(0)
	v_mul_f32_e32 v11, v11, v10
	s_delay_alu instid0(VALU_DEP_1) | instskip(NEXT) | instid1(VALU_DEP_1)
	v_and_b32_e32 v10, 0x7f800000, v11
	v_cmp_ne_u32_e32 vcc_lo, 0x7f800000, v10
                                        ; implicit-def: $vgpr10
	s_and_saveexec_b32 s18, vcc_lo
	s_delay_alu instid0(SALU_CYCLE_1)
	s_xor_b32 s18, exec_lo, s18
; %bb.58:                               ;   in Loop: Header=BB617_49 Depth=2
	v_bfe_u32 v10, v11, 16, 1
	s_delay_alu instid0(VALU_DEP_1)
	v_add3_u32 v10, v11, v10, 0x7fff
                                        ; implicit-def: $vgpr11
; %bb.59:                               ;   in Loop: Header=BB617_49 Depth=2
	s_and_not1_saveexec_b32 s18, s18
; %bb.60:                               ;   in Loop: Header=BB617_49 Depth=2
	v_and_b32_e32 v10, 0xffff, v11
	v_or_b32_e32 v12, 0x10000, v11
	s_delay_alu instid0(VALU_DEP_2) | instskip(NEXT) | instid1(VALU_DEP_2)
	v_cmp_eq_u32_e32 vcc_lo, 0, v10
	v_cndmask_b32_e32 v10, v12, v11, vcc_lo
; %bb.61:                               ;   in Loop: Header=BB617_49 Depth=2
	s_or_b32 exec_lo, exec_lo, s18
	flat_load_u16 v11, v[5:6] offset:6
	s_waitcnt vmcnt(0) lgkmcnt(0)
	v_dual_mov_b32 v12, s16 :: v_dual_lshlrev_b32 v11, 16, v11
	ds_load_b32 v12, v12 offset:12
	s_waitcnt lgkmcnt(0)
	v_mul_f32_e32 v12, v12, v11
	s_delay_alu instid0(VALU_DEP_1) | instskip(NEXT) | instid1(VALU_DEP_1)
	v_and_b32_e32 v11, 0x7f800000, v12
	v_cmp_ne_u32_e32 vcc_lo, 0x7f800000, v11
                                        ; implicit-def: $vgpr11
	s_and_saveexec_b32 s18, vcc_lo
	s_delay_alu instid0(SALU_CYCLE_1)
	s_xor_b32 s18, exec_lo, s18
; %bb.62:                               ;   in Loop: Header=BB617_49 Depth=2
	v_bfe_u32 v11, v12, 16, 1
	s_delay_alu instid0(VALU_DEP_1)
	v_add3_u32 v11, v12, v11, 0x7fff
                                        ; implicit-def: $vgpr12
; %bb.63:                               ;   in Loop: Header=BB617_49 Depth=2
	s_and_not1_saveexec_b32 s18, s18
	s_cbranch_execz .LBB617_48
; %bb.64:                               ;   in Loop: Header=BB617_49 Depth=2
	v_and_b32_e32 v11, 0xffff, v12
	v_or_b32_e32 v13, 0x10000, v12
	s_delay_alu instid0(VALU_DEP_2) | instskip(NEXT) | instid1(VALU_DEP_2)
	v_cmp_eq_u32_e32 vcc_lo, 0, v11
	v_cndmask_b32_e32 v11, v13, v12, vcc_lo
	s_branch .LBB617_48
.LBB617_65:                             ;   in Loop: Header=BB617_38 Depth=1
	s_mov_b32 s16, 0
	s_and_not1_b32 vcc_lo, exec_lo, s13
	s_cbranch_vccz .LBB617_67
	s_branch .LBB617_73
.LBB617_66:                             ;   in Loop: Header=BB617_38 Depth=1
	s_mov_b32 s16, s4
	s_and_not1_b32 vcc_lo, exec_lo, s13
	s_cbranch_vccnz .LBB617_73
.LBB617_67:                             ;   in Loop: Header=BB617_38 Depth=1
	s_lshl_b32 s17, s16, 1
	s_lshl_b32 s16, s16, 2
	v_add_co_u32 v5, vcc_lo, v1, s17
	v_add_co_ci_u32_e32 v6, vcc_lo, 0, v2, vcc_lo
	s_mov_b32 s17, s10
	s_set_inst_prefetch_distance 0x1
	s_branch .LBB617_69
	.p2align	6
.LBB617_68:                             ;   in Loop: Header=BB617_69 Depth=2
	s_or_b32 exec_lo, exec_lo, s18
	s_delay_alu instid0(VALU_DEP_1) | instskip(SKIP_2) | instid1(VALU_DEP_3)
	v_and_b32_e32 v8, 0xffff0000, v9
	v_add_co_u32 v5, vcc_lo, v5, 2
	v_add_co_ci_u32_e32 v6, vcc_lo, 0, v6, vcc_lo
	v_add_f32_e32 v7, v7, v8
	s_add_i32 s17, s17, -1
	s_add_i32 s16, s16, 4
	s_cmp_lg_u32 s17, 0
	s_cbranch_scc0 .LBB617_73
.LBB617_69:                             ;   Parent Loop BB617_38 Depth=1
                                        ; =>  This Inner Loop Header: Depth=2
	flat_load_u16 v8, v[5:6]
	s_waitcnt vmcnt(0) lgkmcnt(0)
	v_dual_mov_b32 v9, s16 :: v_dual_lshlrev_b32 v8, 16, v8
	ds_load_b32 v9, v9
	s_waitcnt lgkmcnt(0)
	v_mul_f32_e32 v8, v9, v8
	s_delay_alu instid0(VALU_DEP_1) | instskip(NEXT) | instid1(VALU_DEP_1)
	v_and_b32_e32 v9, 0x7f800000, v8
	v_cmp_ne_u32_e32 vcc_lo, 0x7f800000, v9
                                        ; implicit-def: $vgpr9
	s_and_saveexec_b32 s18, vcc_lo
	s_delay_alu instid0(SALU_CYCLE_1)
	s_xor_b32 s18, exec_lo, s18
; %bb.70:                               ;   in Loop: Header=BB617_69 Depth=2
	v_bfe_u32 v9, v8, 16, 1
	s_delay_alu instid0(VALU_DEP_1)
	v_add3_u32 v9, v8, v9, 0x7fff
                                        ; implicit-def: $vgpr8
; %bb.71:                               ;   in Loop: Header=BB617_69 Depth=2
	s_and_not1_saveexec_b32 s18, s18
	s_cbranch_execz .LBB617_68
; %bb.72:                               ;   in Loop: Header=BB617_69 Depth=2
	v_and_b32_e32 v9, 0xffff, v8
	v_or_b32_e32 v10, 0x10000, v8
	s_delay_alu instid0(VALU_DEP_2) | instskip(NEXT) | instid1(VALU_DEP_2)
	v_cmp_eq_u32_e32 vcc_lo, 0, v9
	v_cndmask_b32_e32 v9, v10, v8, vcc_lo
	s_branch .LBB617_68
.LBB617_73:                             ;   in Loop: Header=BB617_38 Depth=1
	s_set_inst_prefetch_distance 0x2
	s_delay_alu instid0(VALU_DEP_1) | instskip(NEXT) | instid1(VALU_DEP_1)
	v_and_b32_e32 v5, 0x7f800000, v7
	v_cmp_ne_u32_e32 vcc_lo, 0x7f800000, v5
                                        ; implicit-def: $vgpr5
	s_and_saveexec_b32 s16, vcc_lo
	s_delay_alu instid0(SALU_CYCLE_1)
	s_xor_b32 s16, exec_lo, s16
; %bb.74:                               ;   in Loop: Header=BB617_38 Depth=1
	v_bfe_u32 v5, v7, 16, 1
	s_delay_alu instid0(VALU_DEP_1)
	v_add3_u32 v5, v7, v5, 0x7fff
                                        ; implicit-def: $vgpr7
; %bb.75:                               ;   in Loop: Header=BB617_38 Depth=1
	s_and_not1_saveexec_b32 s16, s16
	s_cbranch_execz .LBB617_36
; %bb.76:                               ;   in Loop: Header=BB617_38 Depth=1
	v_and_b32_e32 v5, 0xffff, v7
	v_or_b32_e32 v6, 0x10000, v7
	s_delay_alu instid0(VALU_DEP_2) | instskip(NEXT) | instid1(VALU_DEP_2)
	v_cmp_eq_u32_e32 vcc_lo, 0, v5
	v_cndmask_b32_e32 v5, v6, v7, vcc_lo
	s_branch .LBB617_36
.LBB617_77:
	s_nop 0
	s_sendmsg sendmsg(MSG_DEALLOC_VGPRS)
	s_endpgm
	.section	.rodata,"a",@progbits
	.p2align	6, 0x0
	.amdhsa_kernel _ZL22rocblas_gemvtsm_kernelILb1ELi256EPK16rocblas_bfloat16fKPS0_EviiT2_lPKT1_lilS8_lilS5_lPT3_lil
		.amdhsa_group_segment_fixed_size 256
		.amdhsa_private_segment_fixed_size 0
		.amdhsa_kernarg_size 136
		.amdhsa_user_sgpr_count 15
		.amdhsa_user_sgpr_dispatch_ptr 0
		.amdhsa_user_sgpr_queue_ptr 0
		.amdhsa_user_sgpr_kernarg_segment_ptr 1
		.amdhsa_user_sgpr_dispatch_id 0
		.amdhsa_user_sgpr_private_segment_size 0
		.amdhsa_wavefront_size32 1
		.amdhsa_uses_dynamic_stack 0
		.amdhsa_enable_private_segment 0
		.amdhsa_system_sgpr_workgroup_id_x 1
		.amdhsa_system_sgpr_workgroup_id_y 0
		.amdhsa_system_sgpr_workgroup_id_z 0
		.amdhsa_system_sgpr_workgroup_info 0
		.amdhsa_system_vgpr_workitem_id 0
		.amdhsa_next_free_vgpr 14
		.amdhsa_next_free_sgpr 20
		.amdhsa_reserve_vcc 1
		.amdhsa_float_round_mode_32 0
		.amdhsa_float_round_mode_16_64 0
		.amdhsa_float_denorm_mode_32 3
		.amdhsa_float_denorm_mode_16_64 3
		.amdhsa_dx10_clamp 1
		.amdhsa_ieee_mode 1
		.amdhsa_fp16_overflow 0
		.amdhsa_workgroup_processor_mode 1
		.amdhsa_memory_ordered 1
		.amdhsa_forward_progress 0
		.amdhsa_shared_vgpr_count 0
		.amdhsa_exception_fp_ieee_invalid_op 0
		.amdhsa_exception_fp_denorm_src 0
		.amdhsa_exception_fp_ieee_div_zero 0
		.amdhsa_exception_fp_ieee_overflow 0
		.amdhsa_exception_fp_ieee_underflow 0
		.amdhsa_exception_fp_ieee_inexact 0
		.amdhsa_exception_int_div_zero 0
	.end_amdhsa_kernel
	.section	.text._ZL22rocblas_gemvtsm_kernelILb1ELi256EPK16rocblas_bfloat16fKPS0_EviiT2_lPKT1_lilS8_lilS5_lPT3_lil,"axG",@progbits,_ZL22rocblas_gemvtsm_kernelILb1ELi256EPK16rocblas_bfloat16fKPS0_EviiT2_lPKT1_lilS8_lilS5_lPT3_lil,comdat
.Lfunc_end617:
	.size	_ZL22rocblas_gemvtsm_kernelILb1ELi256EPK16rocblas_bfloat16fKPS0_EviiT2_lPKT1_lilS8_lilS5_lPT3_lil, .Lfunc_end617-_ZL22rocblas_gemvtsm_kernelILb1ELi256EPK16rocblas_bfloat16fKPS0_EviiT2_lPKT1_lilS8_lilS5_lPT3_lil
                                        ; -- End function
	.section	.AMDGPU.csdata,"",@progbits
; Kernel info:
; codeLenInByte = 2416
; NumSgprs: 22
; NumVgprs: 14
; ScratchSize: 0
; MemoryBound: 0
; FloatMode: 240
; IeeeMode: 1
; LDSByteSize: 256 bytes/workgroup (compile time only)
; SGPRBlocks: 2
; VGPRBlocks: 1
; NumSGPRsForWavesPerEU: 22
; NumVGPRsForWavesPerEU: 14
; Occupancy: 16
; WaveLimiterHint : 1
; COMPUTE_PGM_RSRC2:SCRATCH_EN: 0
; COMPUTE_PGM_RSRC2:USER_SGPR: 15
; COMPUTE_PGM_RSRC2:TRAP_HANDLER: 0
; COMPUTE_PGM_RSRC2:TGID_X_EN: 1
; COMPUTE_PGM_RSRC2:TGID_Y_EN: 0
; COMPUTE_PGM_RSRC2:TGID_Z_EN: 0
; COMPUTE_PGM_RSRC2:TIDIG_COMP_CNT: 0
	.section	.text._ZL23rocblas_gemvt_sn_kernelILb1ELi256ELi4EiPK16rocblas_bfloat16PKffEviiT4_lPKT3_lilS8_lilPT5_i,"axG",@progbits,_ZL23rocblas_gemvt_sn_kernelILb1ELi256ELi4EiPK16rocblas_bfloat16PKffEviiT4_lPKT3_lilS8_lilPT5_i,comdat
	.globl	_ZL23rocblas_gemvt_sn_kernelILb1ELi256ELi4EiPK16rocblas_bfloat16PKffEviiT4_lPKT3_lilS8_lilPT5_i ; -- Begin function _ZL23rocblas_gemvt_sn_kernelILb1ELi256ELi4EiPK16rocblas_bfloat16PKffEviiT4_lPKT3_lilS8_lilPT5_i
	.p2align	8
	.type	_ZL23rocblas_gemvt_sn_kernelILb1ELi256ELi4EiPK16rocblas_bfloat16PKffEviiT4_lPKT3_lilS8_lilPT5_i,@function
_ZL23rocblas_gemvt_sn_kernelILb1ELi256ELi4EiPK16rocblas_bfloat16PKffEviiT4_lPKT3_lilS8_lilPT5_i: ; @_ZL23rocblas_gemvt_sn_kernelILb1ELi256ELi4EiPK16rocblas_bfloat16PKffEviiT4_lPKT3_lilS8_lilPT5_i
; %bb.0:
	s_load_b256 s[4:11], s[0:1], 0x8
	s_mov_b32 s16, s15
	s_mov_b32 s17, 0
	s_mov_b64 s[12:13], 0
	s_waitcnt lgkmcnt(0)
	s_mul_i32 s2, s15, s7
	s_mul_hi_u32 s3, s15, s6
	s_delay_alu instid0(SALU_CYCLE_1) | instskip(SKIP_1) | instid1(SALU_CYCLE_1)
	s_add_i32 s3, s3, s2
	s_mul_i32 s2, s15, s6
	s_lshl_b64 s[2:3], s[2:3], 2
	s_delay_alu instid0(SALU_CYCLE_1)
	s_add_u32 s2, s4, s2
	s_addc_u32 s3, s5, s3
	s_load_b32 s28, s[2:3], 0x0
	s_mov_b64 s[2:3], 0
	s_waitcnt lgkmcnt(0)
	v_cmp_eq_f32_e64 s4, s28, 0
	v_cmp_neq_f32_e64 s5, s28, 0
	s_delay_alu instid0(VALU_DEP_2)
	s_and_b32 vcc_lo, exec_lo, s4
	s_cbranch_vccnz .LBB618_2
; %bb.1:
	s_lshl_b64 s[2:3], s[16:17], 3
	s_delay_alu instid0(SALU_CYCLE_1)
	s_add_u32 s2, s8, s2
	s_addc_u32 s3, s9, s3
	s_lshl_b64 s[6:7], s[10:11], 1
	s_load_b64 s[2:3], s[2:3], 0x0
	s_waitcnt lgkmcnt(0)
	s_add_u32 s2, s2, s6
	s_addc_u32 s3, s3, s7
.LBB618_2:
	s_delay_alu instid0(VALU_DEP_1)
	s_and_not1_b32 vcc_lo, exec_lo, s5
	s_cbranch_vccnz .LBB618_4
; %bb.3:
	s_load_b128 s[8:11], s[0:1], 0x38
	s_lshl_b64 s[6:7], s[16:17], 3
	s_waitcnt lgkmcnt(0)
	s_add_u32 s6, s8, s6
	s_addc_u32 s7, s9, s7
	s_lshl_b64 s[8:9], s[10:11], 1
	s_load_b64 s[6:7], s[6:7], 0x0
	s_waitcnt lgkmcnt(0)
	s_add_u32 s12, s6, s8
	s_addc_u32 s13, s7, s9
.LBB618_4:
	s_clause 0x2
	s_load_b64 s[8:9], s[0:1], 0x0
	s_load_b32 s10, s[0:1], 0x68
	s_load_b64 s[6:7], s[0:1], 0x58
	s_waitcnt lgkmcnt(0)
	s_ashr_i32 s17, s9, 31
	s_mul_hi_u32 s5, s9, s16
	s_mul_i32 s11, s17, s16
	s_mul_i32 s15, s9, s16
	s_add_i32 s5, s5, s11
	s_mul_hi_u32 s11, s15, s10
	s_mul_i32 s5, s5, s10
	s_mul_i32 s18, s15, s10
	s_add_i32 s19, s11, s5
	s_mov_b32 s11, 0
	s_lshl_b64 s[18:19], s[18:19], 2
	s_delay_alu instid0(SALU_CYCLE_1)
	s_add_u32 s30, s6, s18
	s_addc_u32 s31, s7, s19
	s_and_not1_b32 vcc_lo, exec_lo, s4
	s_mov_b32 s4, -1
	s_cbranch_vccnz .LBB618_9
; %bb.5:
	v_cmp_eq_u32_e32 vcc_lo, 0, v0
	s_cmp_gt_i32 s9, 0
	s_cselect_b32 s4, -1, 0
	s_delay_alu instid0(SALU_CYCLE_1) | instskip(NEXT) | instid1(SALU_CYCLE_1)
	s_and_b32 s4, vcc_lo, s4
	s_and_saveexec_b32 s16, s4
	s_cbranch_execz .LBB618_8
; %bb.6:
	s_mov_b32 s15, 0
	v_mov_b32_e32 v1, 0
	s_lshl_b64 s[4:5], s[14:15], 2
	s_delay_alu instid0(SALU_CYCLE_1)
	s_add_u32 s4, s30, s4
	s_addc_u32 s5, s31, s5
	s_lshl_b64 s[6:7], s[10:11], 2
	s_mov_b32 s11, s9
.LBB618_7:                              ; =>This Inner Loop Header: Depth=1
	s_delay_alu instid0(SALU_CYCLE_1)
	s_add_i32 s11, s11, -1
	global_store_b32 v1, v1, s[4:5]
	s_add_u32 s4, s4, s6
	s_addc_u32 s5, s5, s7
	s_cmp_eq_u32 s11, 0
	s_cbranch_scc0 .LBB618_7
.LBB618_8:
	s_or_b32 exec_lo, exec_lo, s16
	s_mov_b32 s4, 0
.LBB618_9:
	s_delay_alu instid0(SALU_CYCLE_1)
	s_and_not1_b32 vcc_lo, exec_lo, s4
	s_cbranch_vccnz .LBB618_83
; %bb.10:
	s_clause 0x1
	s_load_b32 s16, s[0:1], 0x28
	s_load_b32 s11, s[0:1], 0x48
	s_lshl_b32 s4, s14, 10
	s_ashr_i32 s0, s8, 31
	v_lshl_or_b32 v1, v0, 2, s4
	s_lshr_b32 s0, s0, 30
	s_lshr_b32 s1, s17, 30
	s_add_i32 s0, s8, s0
	s_add_i32 s1, s9, s1
	v_ashrrev_i32_e32 v2, 31, v1
	s_and_b32 s0, s0, -4
	s_and_b32 s15, s1, -4
	s_sub_i32 s29, s8, s0
	v_add_nc_u32_e32 v22, 4, v1
	v_lshlrev_b64 v[2:3], 1, v[1:2]
	v_add_nc_u32_e32 v23, s29, v1
	v_and_b32_e32 v19, 31, v0
	v_cmp_gt_u32_e64 s0, 32, v0
	v_mbcnt_lo_u32_b32 v21, -1, 0
	v_cmp_gt_u32_e64 s1, 8, v0
	v_add_co_u32 v17, vcc_lo, s2, v2
	s_waitcnt lgkmcnt(0)
	v_mul_lo_u32 v5, v1, s11
	v_add_co_ci_u32_e32 v18, vcc_lo, s3, v3, vcc_lo
	v_lshrrev_b32_e32 v20, 3, v0
	v_cmp_eq_u32_e64 s2, 0, v0
	s_cmp_lt_i32 s15, 1
	s_cbranch_scc1 .LBB618_58
; %bb.11:
	v_cmp_gt_u32_e32 vcc_lo, 16, v21
	v_mul_lo_u32 v6, v1, s11
	s_mov_b32 s19, 0
	s_cmp_gt_i32 s29, 0
	v_cmp_ge_i32_e64 s3, s8, v22
	v_cndmask_b32_e64 v2, 0, 1, vcc_lo
	v_cmp_gt_u32_e32 vcc_lo, 24, v21
	v_cmp_ge_i32_e64 s4, s8, v23
	v_cmp_eq_u32_e64 s5, 0, v19
	v_lshlrev_b32_e32 v29, 2, v19
	v_dual_mov_b32 v31, 0 :: v_dual_lshlrev_b32 v2, 4, v2
	v_cndmask_b32_e64 v3, 0, 1, vcc_lo
	v_cmp_gt_u32_e32 vcc_lo, 28, v21
	v_and_b32_e32 v30, 28, v20
	s_delay_alu instid0(VALU_DEP_4)
	v_add_lshl_u32 v24, v2, v21, 2
	s_mov_b32 s17, s19
	v_lshlrev_b32_e32 v2, 3, v3
	v_cndmask_b32_e64 v4, 0, 1, vcc_lo
	v_cmp_gt_u32_e32 vcc_lo, 30, v21
	s_cselect_b32 s33, -1, 0
	s_lshl_b32 s18, s16, 1
	v_add_lshl_u32 v25, v2, v21, 2
	v_lshlrev_b32_e32 v1, 2, v4
	v_cndmask_b32_e64 v7, 0, 1, vcc_lo
	v_cmp_ne_u32_e32 vcc_lo, 31, v21
	s_lshl_b32 s34, s16, 2
	s_mul_i32 s35, s16, 3
	v_add_lshl_u32 v26, v1, v21, 2
	v_lshlrev_b32_e32 v3, 1, v7
	v_add_nc_u32_e32 v1, s11, v6
	v_ashrrev_i32_e32 v7, 31, v6
	v_add_co_ci_u32_e32 v4, vcc_lo, 0, v21, vcc_lo
	s_delay_alu instid0(VALU_DEP_4) | instskip(NEXT) | instid1(VALU_DEP_4)
	v_add_lshl_u32 v27, v3, v21, 2
	v_add_nc_u32_e32 v3, s11, v1
	v_ashrrev_i32_e32 v2, 31, v1
	v_lshlrev_b64 v[7:8], 1, v[6:7]
	v_lshlrev_b32_e32 v28, 2, v4
	s_mov_b32 s36, s19
	v_add_nc_u32_e32 v11, s11, v3
	v_lshlrev_b64 v[1:2], 1, v[1:2]
	v_ashrrev_i32_e32 v4, 31, v3
	v_add_co_u32 v7, vcc_lo, s12, v7
	s_delay_alu instid0(VALU_DEP_4) | instskip(SKIP_1) | instid1(VALU_DEP_4)
	v_ashrrev_i32_e32 v12, 31, v11
	v_add_co_ci_u32_e32 v8, vcc_lo, s13, v8, vcc_lo
	v_lshlrev_b64 v[3:4], 1, v[3:4]
	v_add_co_u32 v9, vcc_lo, s12, v1
	v_add_co_ci_u32_e32 v10, vcc_lo, s13, v2, vcc_lo
	v_lshlrev_b64 v[1:2], 1, v[11:12]
	s_delay_alu instid0(VALU_DEP_4) | instskip(SKIP_2) | instid1(VALU_DEP_3)
	v_add_co_u32 v11, vcc_lo, s12, v3
	v_add_co_ci_u32_e32 v12, vcc_lo, s13, v4, vcc_lo
	s_mov_b32 s20, s19
	v_add_co_u32 v13, vcc_lo, s12, v1
	s_delay_alu instid0(VALU_DEP_4)
	v_add_co_ci_u32_e32 v14, vcc_lo, s13, v2, vcc_lo
	s_mov_b64 s[22:23], s[18:19]
	s_mov_b64 s[24:25], s[16:17]
	s_mov_b32 s17, 0
                                        ; implicit-def: $vgpr1_vgpr2_vgpr3_vgpr4
	s_branch .LBB618_13
.LBB618_12:                             ;   in Loop: Header=BB618_13 Depth=1
	s_or_b32 exec_lo, exec_lo, s6
	s_add_i32 s17, s17, 4
	s_add_u32 s24, s24, s34
	s_addc_u32 s25, s25, 0
	s_add_u32 s22, s22, s34
	s_addc_u32 s23, s23, 0
	;; [unrolled: 2-line block ×3, first 2 shown]
	s_add_i32 s20, s20, s34
	s_cmp_ge_i32 s17, s15
	s_cbranch_scc1 .LBB618_59
.LBB618_13:                             ; =>This Loop Header: Depth=1
                                        ;     Child Loop BB618_44 Depth 2
                                        ;     Child Loop BB618_47 Depth 2
                                        ; implicit-def: $vgpr32
                                        ; implicit-def: $vgpr33
                                        ; implicit-def: $vgpr34
                                        ; implicit-def: $vgpr35
	s_and_saveexec_b32 s6, s3
	s_delay_alu instid0(SALU_CYCLE_1)
	s_xor_b32 s6, exec_lo, s6
	s_cbranch_execnz .LBB618_40
; %bb.14:                               ;   in Loop: Header=BB618_13 Depth=1
	s_and_not1_saveexec_b32 s18, s6
	s_cbranch_execnz .LBB618_41
.LBB618_15:                             ;   in Loop: Header=BB618_13 Depth=1
	s_or_b32 exec_lo, exec_lo, s18
	s_and_saveexec_b32 s6, s0
	s_cbranch_execz .LBB618_17
.LBB618_16:                             ;   in Loop: Header=BB618_13 Depth=1
	ds_store_b32 v29, v31
.LBB618_17:                             ;   in Loop: Header=BB618_13 Depth=1
	s_or_b32 exec_lo, exec_lo, s6
	ds_bpermute_b32 v15, v24, v35
	s_waitcnt lgkmcnt(0)
	s_waitcnt_vscnt null, 0x0
	s_barrier
	buffer_gl0_inv
	v_add_f32_e32 v15, v35, v15
	ds_bpermute_b32 v16, v25, v15
	s_waitcnt lgkmcnt(0)
	v_add_f32_e32 v15, v15, v16
	ds_bpermute_b32 v16, v26, v15
	s_waitcnt lgkmcnt(0)
	;; [unrolled: 3-line block ×3, first 2 shown]
	v_add_f32_e32 v15, v15, v16
	ds_bpermute_b32 v16, v28, v15
	s_and_saveexec_b32 s6, s5
	s_cbranch_execz .LBB618_19
; %bb.18:                               ;   in Loop: Header=BB618_13 Depth=1
	s_waitcnt lgkmcnt(0)
	v_add_f32_e32 v15, v15, v16
	ds_store_b32 v30, v15
.LBB618_19:                             ;   in Loop: Header=BB618_13 Depth=1
	s_or_b32 exec_lo, exec_lo, s6
	v_mov_b32_e32 v15, 0
	s_waitcnt lgkmcnt(0)
	s_barrier
	buffer_gl0_inv
	s_and_saveexec_b32 s6, s1
	s_cbranch_execnz .LBB618_49
; %bb.20:                               ;   in Loop: Header=BB618_13 Depth=1
	s_or_b32 exec_lo, exec_lo, s6
	s_and_saveexec_b32 s6, s0
	s_cbranch_execnz .LBB618_50
.LBB618_21:                             ;   in Loop: Header=BB618_13 Depth=1
	s_or_b32 exec_lo, exec_lo, s6
	s_and_saveexec_b32 s6, s0
	s_cbranch_execz .LBB618_23
.LBB618_22:                             ;   in Loop: Header=BB618_13 Depth=1
	ds_store_b32 v29, v31
.LBB618_23:                             ;   in Loop: Header=BB618_13 Depth=1
	s_or_b32 exec_lo, exec_lo, s6
	ds_bpermute_b32 v16, v24, v34
	s_waitcnt lgkmcnt(0)
	s_barrier
	buffer_gl0_inv
	v_add_f32_e32 v16, v34, v16
	ds_bpermute_b32 v34, v25, v16
	s_waitcnt lgkmcnt(0)
	v_add_f32_e32 v16, v16, v34
	ds_bpermute_b32 v34, v26, v16
	s_waitcnt lgkmcnt(0)
	;; [unrolled: 3-line block ×3, first 2 shown]
	v_add_f32_e32 v16, v16, v34
	ds_bpermute_b32 v34, v28, v16
	s_and_saveexec_b32 s6, s5
	s_cbranch_execz .LBB618_25
; %bb.24:                               ;   in Loop: Header=BB618_13 Depth=1
	s_waitcnt lgkmcnt(0)
	v_add_f32_e32 v16, v16, v34
	ds_store_b32 v30, v16
.LBB618_25:                             ;   in Loop: Header=BB618_13 Depth=1
	s_or_b32 exec_lo, exec_lo, s6
	v_mov_b32_e32 v16, 0
	s_waitcnt lgkmcnt(0)
	s_barrier
	buffer_gl0_inv
	s_and_saveexec_b32 s6, s1
	s_cbranch_execnz .LBB618_51
; %bb.26:                               ;   in Loop: Header=BB618_13 Depth=1
	s_or_b32 exec_lo, exec_lo, s6
	s_and_saveexec_b32 s6, s0
	s_cbranch_execnz .LBB618_52
.LBB618_27:                             ;   in Loop: Header=BB618_13 Depth=1
	s_or_b32 exec_lo, exec_lo, s6
	s_and_saveexec_b32 s6, s0
	s_cbranch_execz .LBB618_29
.LBB618_28:                             ;   in Loop: Header=BB618_13 Depth=1
	ds_store_b32 v29, v31
.LBB618_29:                             ;   in Loop: Header=BB618_13 Depth=1
	s_or_b32 exec_lo, exec_lo, s6
	ds_bpermute_b32 v34, v24, v33
	s_waitcnt lgkmcnt(0)
	s_barrier
	buffer_gl0_inv
	v_add_f32_e32 v33, v33, v34
	ds_bpermute_b32 v34, v25, v33
	s_waitcnt lgkmcnt(0)
	v_add_f32_e32 v33, v33, v34
	ds_bpermute_b32 v34, v26, v33
	s_waitcnt lgkmcnt(0)
	;; [unrolled: 3-line block ×3, first 2 shown]
	v_add_f32_e32 v33, v33, v34
	ds_bpermute_b32 v34, v28, v33
	s_and_saveexec_b32 s6, s5
	s_cbranch_execz .LBB618_31
; %bb.30:                               ;   in Loop: Header=BB618_13 Depth=1
	s_waitcnt lgkmcnt(0)
	v_add_f32_e32 v33, v33, v34
	ds_store_b32 v30, v33
.LBB618_31:                             ;   in Loop: Header=BB618_13 Depth=1
	s_or_b32 exec_lo, exec_lo, s6
	v_mov_b32_e32 v33, 0
	s_waitcnt lgkmcnt(0)
	s_barrier
	buffer_gl0_inv
	s_and_saveexec_b32 s6, s1
	s_cbranch_execnz .LBB618_53
; %bb.32:                               ;   in Loop: Header=BB618_13 Depth=1
	s_or_b32 exec_lo, exec_lo, s6
	s_and_saveexec_b32 s6, s0
	s_cbranch_execnz .LBB618_54
.LBB618_33:                             ;   in Loop: Header=BB618_13 Depth=1
	s_or_b32 exec_lo, exec_lo, s6
	s_and_saveexec_b32 s6, s0
	s_cbranch_execz .LBB618_35
.LBB618_34:                             ;   in Loop: Header=BB618_13 Depth=1
	ds_store_b32 v29, v31
.LBB618_35:                             ;   in Loop: Header=BB618_13 Depth=1
	s_or_b32 exec_lo, exec_lo, s6
	ds_bpermute_b32 v34, v24, v32
	s_waitcnt lgkmcnt(0)
	s_barrier
	buffer_gl0_inv
	v_add_f32_e32 v32, v32, v34
	ds_bpermute_b32 v34, v25, v32
	s_waitcnt lgkmcnt(0)
	v_add_f32_e32 v32, v32, v34
	ds_bpermute_b32 v34, v26, v32
	s_waitcnt lgkmcnt(0)
	v_add_f32_e32 v32, v32, v34
	ds_bpermute_b32 v34, v27, v32
	s_waitcnt lgkmcnt(0)
	v_add_f32_e32 v32, v32, v34
	ds_bpermute_b32 v34, v28, v32
	s_and_saveexec_b32 s6, s5
	s_cbranch_execz .LBB618_37
; %bb.36:                               ;   in Loop: Header=BB618_13 Depth=1
	s_waitcnt lgkmcnt(0)
	v_add_f32_e32 v32, v32, v34
	ds_store_b32 v30, v32
.LBB618_37:                             ;   in Loop: Header=BB618_13 Depth=1
	s_or_b32 exec_lo, exec_lo, s6
	v_mov_b32_e32 v32, 0
	s_waitcnt lgkmcnt(0)
	s_barrier
	buffer_gl0_inv
	s_and_saveexec_b32 s6, s1
	s_cbranch_execnz .LBB618_55
; %bb.38:                               ;   in Loop: Header=BB618_13 Depth=1
	s_or_b32 exec_lo, exec_lo, s6
	s_and_saveexec_b32 s6, s0
	s_cbranch_execnz .LBB618_56
.LBB618_39:                             ;   in Loop: Header=BB618_13 Depth=1
	s_or_b32 exec_lo, exec_lo, s6
	s_and_saveexec_b32 s6, s2
	s_cbranch_execz .LBB618_12
	s_branch .LBB618_57
.LBB618_40:                             ;   in Loop: Header=BB618_13 Depth=1
	s_mul_i32 s26, s17, s16
	s_delay_alu instid0(SALU_CYCLE_1)
	s_ashr_i32 s27, s26, 31
	s_add_i32 s38, s26, s16
	s_lshl_b64 s[26:27], s[26:27], 1
	s_ashr_i32 s39, s38, 31
	v_add_co_u32 v1, vcc_lo, v17, s26
	v_add_co_ci_u32_e32 v2, vcc_lo, s27, v18, vcc_lo
	s_lshl_b64 s[26:27], s[38:39], 1
	s_delay_alu instid0(SALU_CYCLE_1)
	v_add_co_u32 v3, vcc_lo, v17, s26
	s_add_i32 s26, s38, s16
	v_add_co_ci_u32_e32 v4, vcc_lo, s27, v18, vcc_lo
	s_ashr_i32 s27, s26, 31
	s_add_i32 s38, s26, s16
	s_lshl_b64 s[26:27], s[26:27], 1
	flat_load_b64 v[15:16], v[1:2]
	s_waitcnt lgkmcnt(1)
	flat_load_b64 v[32:33], v[3:4]
	s_ashr_i32 s39, s38, 31
	v_add_co_u32 v1, vcc_lo, v17, s26
	v_add_co_ci_u32_e32 v2, vcc_lo, s27, v18, vcc_lo
	s_lshl_b64 s[26:27], s[38:39], 1
	s_clause 0x3
	flat_load_u16 v34, v[7:8]
	flat_load_u16 v39, v[9:10]
	;; [unrolled: 1-line block ×4, first 2 shown]
	v_add_co_u32 v3, vcc_lo, v17, s26
	v_add_co_ci_u32_e32 v4, vcc_lo, s27, v18, vcc_lo
	s_clause 0x1
	flat_load_b64 v[35:36], v[1:2]
	flat_load_b64 v[37:38], v[3:4]
	s_waitcnt vmcnt(1) lgkmcnt(1)
	v_and_b32_e32 v44, 0xffff0000, v35
	v_lshlrev_b32_e32 v45, 16, v36
	s_waitcnt vmcnt(0) lgkmcnt(0)
	v_lshlrev_b32_e32 v46, 16, v37
	v_and_b32_e32 v37, 0xffff0000, v37
	v_lshlrev_b32_e32 v3, 16, v40
	v_lshlrev_b32_e32 v2, 16, v39
	;; [unrolled: 1-line block ×4, first 2 shown]
	v_and_b32_e32 v41, 0xffff0000, v32
	v_lshlrev_b32_e32 v1, 16, v34
	v_lshlrev_b32_e32 v34, 16, v15
	;; [unrolled: 1-line block ×4, first 2 shown]
	s_delay_alu instid0(VALU_DEP_3) | instskip(SKIP_3) | instid1(VALU_DEP_3)
	v_fma_f32 v35, v1, v34, 0
	v_fma_f32 v34, v1, v40, 0
	v_lshlrev_b32_e32 v40, 16, v38
	v_and_b32_e32 v43, 0xffff0000, v33
	v_fmac_f32_e32 v34, v2, v41
	v_fma_f32 v33, v1, v32, 0
	v_fma_f32 v32, v1, v46, 0
	s_delay_alu instid0(VALU_DEP_2) | instskip(NEXT) | instid1(VALU_DEP_1)
	v_fmac_f32_e32 v33, v2, v44
	v_fmac_f32_e32 v33, v3, v45
	s_delay_alu instid0(VALU_DEP_3) | instskip(SKIP_1) | instid1(VALU_DEP_2)
	v_dual_fmac_f32 v32, v2, v37 :: v_dual_and_b32 v15, 0xffff0000, v15
	v_fmac_f32_e32 v34, v3, v42
	v_dual_fmac_f32 v32, v3, v40 :: v_dual_fmac_f32 v35, v2, v15
	s_delay_alu instid0(VALU_DEP_2) | instskip(SKIP_2) | instid1(VALU_DEP_3)
	v_dual_fmac_f32 v34, v4, v43 :: v_dual_lshlrev_b32 v39, 16, v16
	v_and_b32_e32 v16, 0xffff0000, v16
	v_and_b32_e32 v15, 0xffff0000, v36
	v_dual_fmac_f32 v35, v3, v39 :: v_dual_and_b32 v36, 0xffff0000, v38
	s_delay_alu instid0(VALU_DEP_2) | instskip(NEXT) | instid1(VALU_DEP_2)
	v_fmac_f32_e32 v33, v4, v15
	v_fmac_f32_e32 v32, v4, v36
	s_delay_alu instid0(VALU_DEP_3)
	v_fmac_f32_e32 v35, v4, v16
	s_and_not1_saveexec_b32 s18, s6
	s_cbranch_execz .LBB618_15
.LBB618_41:                             ;   in Loop: Header=BB618_13 Depth=1
	s_waitcnt lgkmcnt(0)
	v_dual_mov_b32 v32, 0 :: v_dual_mov_b32 v33, 0
	v_dual_mov_b32 v34, 0 :: v_dual_mov_b32 v35, 0
	s_and_saveexec_b32 s37, s4
	s_cbranch_execz .LBB618_48
; %bb.42:                               ;   in Loop: Header=BB618_13 Depth=1
	s_and_not1_b32 vcc_lo, exec_lo, s33
	s_cbranch_vccnz .LBB618_45
; %bb.43:                               ;   in Loop: Header=BB618_13 Depth=1
	v_mov_b32_e32 v15, v6
	s_mov_b64 s[26:27], 0
	.p2align	6
.LBB618_44:                             ;   Parent Loop BB618_13 Depth=1
                                        ; =>  This Inner Loop Header: Depth=2
	s_delay_alu instid0(VALU_DEP_1) | instskip(SKIP_1) | instid1(VALU_DEP_1)
	v_ashrrev_i32_e32 v16, 31, v15
	s_cmp_eq_u32 s26, 3
	v_lshlrev_b64 v[32:33], 1, v[15:16]
	s_delay_alu instid0(VALU_DEP_1) | instskip(NEXT) | instid1(VALU_DEP_2)
	v_add_co_u32 v32, vcc_lo, s12, v32
	v_add_co_ci_u32_e32 v33, vcc_lo, s13, v33, vcc_lo
	s_cselect_b32 vcc_lo, -1, 0
	s_cmp_eq_u32 s26, 2
	s_cselect_b32 s6, -1, 0
	flat_load_u16 v16, v[32:33]
	s_cmp_eq_u32 s26, 1
	s_cselect_b32 s7, -1, 0
	s_cmp_eq_u32 s26, 0
	s_waitcnt vmcnt(0) lgkmcnt(0)
	v_lshlrev_b32_e32 v16, 16, v16
	s_delay_alu instid0(VALU_DEP_1)
	v_dual_cndmask_b32 v4, v4, v16 :: v_dual_add_nc_u32 v15, s11, v15
	s_cselect_b32 vcc_lo, -1, 0
	v_cndmask_b32_e64 v3, v3, v16, s6
	v_cndmask_b32_e64 v2, v2, v16, s7
	v_cndmask_b32_e32 v1, v1, v16, vcc_lo
	s_add_u32 s26, s26, 1
	s_addc_u32 s27, s27, 0
	s_cmp_eq_u32 s29, s26
	s_cbranch_scc0 .LBB618_44
.LBB618_45:                             ;   in Loop: Header=BB618_13 Depth=1
	v_dual_mov_b32 v32, 0 :: v_dual_mov_b32 v33, 0
	v_dual_mov_b32 v34, 0 :: v_dual_mov_b32 v35, 0
	s_and_not1_b32 vcc_lo, exec_lo, s33
	s_cbranch_vccnz .LBB618_48
; %bb.46:                               ;   in Loop: Header=BB618_13 Depth=1
	s_ashr_i32 s21, s20, 31
	v_dual_mov_b32 v35, 0 :: v_dual_mov_b32 v34, 0
	s_lshl_b64 s[6:7], s[20:21], 1
	v_dual_mov_b32 v33, 0 :: v_dual_mov_b32 v32, 0
	v_add_co_u32 v15, vcc_lo, v17, s6
	v_add_co_ci_u32_e32 v16, vcc_lo, s7, v18, vcc_lo
	s_mov_b64 s[26:27], 0
.LBB618_47:                             ;   Parent Loop BB618_13 Depth=1
                                        ; =>  This Inner Loop Header: Depth=2
	s_delay_alu instid0(SALU_CYCLE_1)
	s_cmp_eq_u32 s26, 1
	s_cselect_b32 vcc_lo, -1, 0
	s_cmp_eq_u32 s26, 2
	v_cndmask_b32_e32 v36, v1, v2, vcc_lo
	s_cselect_b32 vcc_lo, -1, 0
	s_cmp_eq_u32 s26, 3
	s_delay_alu instid0(VALU_DEP_1)
	v_cndmask_b32_e32 v42, v36, v3, vcc_lo
	s_cselect_b32 vcc_lo, -1, 0
	s_add_i32 s6, s24, s26
	s_add_i32 s38, s22, s26
	s_ashr_i32 s7, s6, 31
	s_ashr_i32 s39, s38, 31
	s_lshl_b64 s[6:7], s[6:7], 1
	s_add_i32 s40, s35, s26
	v_add_co_u32 v36, s6, v17, s6
	s_lshl_b64 s[38:39], s[38:39], 1
	s_ashr_i32 s41, s40, 31
	v_add_co_ci_u32_e64 v37, s6, s7, v18, s6
	v_add_co_u32 v38, s6, v17, s38
	s_lshl_b64 s[40:41], s[40:41], 1
	v_add_co_ci_u32_e64 v39, s6, s39, v18, s6
	v_add_co_u32 v40, s6, v17, s40
	s_delay_alu instid0(VALU_DEP_1)
	v_add_co_ci_u32_e64 v41, s6, s41, v18, s6
	flat_load_u16 v43, v[15:16]
	s_clause 0x2
	flat_load_u16 v36, v[36:37]
	flat_load_u16 v37, v[38:39]
	;; [unrolled: 1-line block ×3, first 2 shown]
	v_add_co_u32 v15, s6, v15, 2
	s_delay_alu instid0(VALU_DEP_1)
	v_add_co_ci_u32_e64 v16, s6, 0, v16, s6
	s_add_u32 s26, s26, 1
	s_addc_u32 s27, s27, 0
	s_cmp_lg_u32 s29, s26
	s_waitcnt vmcnt(2) lgkmcnt(2)
	v_lshlrev_b32_e32 v36, 16, v36
	s_waitcnt vmcnt(1) lgkmcnt(1)
	v_lshlrev_b32_e32 v37, 16, v37
	v_dual_cndmask_b32 v39, v42, v4 :: v_dual_lshlrev_b32 v40, 16, v43
	s_waitcnt vmcnt(0) lgkmcnt(0)
	s_delay_alu instid0(VALU_DEP_1) | instskip(NEXT) | instid1(VALU_DEP_2)
	v_dual_fmac_f32 v33, v39, v37 :: v_dual_lshlrev_b32 v38, 16, v38
	v_fmac_f32_e32 v35, v39, v40
	v_fmac_f32_e32 v34, v39, v36
	s_delay_alu instid0(VALU_DEP_3)
	v_fmac_f32_e32 v32, v39, v38
	s_cbranch_scc1 .LBB618_47
.LBB618_48:                             ;   in Loop: Header=BB618_13 Depth=1
	s_or_b32 exec_lo, exec_lo, s37
	s_delay_alu instid0(SALU_CYCLE_1)
	s_or_b32 exec_lo, exec_lo, s18
	s_and_saveexec_b32 s6, s0
	s_cbranch_execnz .LBB618_16
	s_branch .LBB618_17
.LBB618_49:                             ;   in Loop: Header=BB618_13 Depth=1
	ds_load_b32 v15, v29
	s_or_b32 exec_lo, exec_lo, s6
	s_and_saveexec_b32 s6, s0
	s_cbranch_execz .LBB618_21
.LBB618_50:                             ;   in Loop: Header=BB618_13 Depth=1
	s_waitcnt lgkmcnt(0)
	ds_bpermute_b32 v16, v26, v15
	s_waitcnt lgkmcnt(0)
	v_add_f32_e32 v15, v15, v16
	ds_bpermute_b32 v16, v27, v15
	s_waitcnt lgkmcnt(0)
	v_add_f32_e32 v15, v15, v16
	;; [unrolled: 3-line block ×3, first 2 shown]
	s_or_b32 exec_lo, exec_lo, s6
	s_and_saveexec_b32 s6, s0
	s_cbranch_execnz .LBB618_22
	s_branch .LBB618_23
.LBB618_51:                             ;   in Loop: Header=BB618_13 Depth=1
	ds_load_b32 v16, v29
	s_or_b32 exec_lo, exec_lo, s6
	s_and_saveexec_b32 s6, s0
	s_cbranch_execz .LBB618_27
.LBB618_52:                             ;   in Loop: Header=BB618_13 Depth=1
	s_waitcnt lgkmcnt(0)
	ds_bpermute_b32 v34, v26, v16
	s_waitcnt lgkmcnt(0)
	v_add_f32_e32 v16, v16, v34
	ds_bpermute_b32 v34, v27, v16
	s_waitcnt lgkmcnt(0)
	v_add_f32_e32 v16, v16, v34
	;; [unrolled: 3-line block ×3, first 2 shown]
	s_or_b32 exec_lo, exec_lo, s6
	s_and_saveexec_b32 s6, s0
	s_cbranch_execnz .LBB618_28
	s_branch .LBB618_29
.LBB618_53:                             ;   in Loop: Header=BB618_13 Depth=1
	ds_load_b32 v33, v29
	s_or_b32 exec_lo, exec_lo, s6
	s_and_saveexec_b32 s6, s0
	s_cbranch_execz .LBB618_33
.LBB618_54:                             ;   in Loop: Header=BB618_13 Depth=1
	s_waitcnt lgkmcnt(0)
	ds_bpermute_b32 v34, v26, v33
	s_waitcnt lgkmcnt(0)
	v_add_f32_e32 v33, v33, v34
	ds_bpermute_b32 v34, v27, v33
	s_waitcnt lgkmcnt(0)
	v_add_f32_e32 v33, v33, v34
	;; [unrolled: 3-line block ×3, first 2 shown]
	s_or_b32 exec_lo, exec_lo, s6
	s_and_saveexec_b32 s6, s0
	s_cbranch_execnz .LBB618_34
	s_branch .LBB618_35
.LBB618_55:                             ;   in Loop: Header=BB618_13 Depth=1
	ds_load_b32 v32, v29
	s_or_b32 exec_lo, exec_lo, s6
	s_and_saveexec_b32 s6, s0
	s_cbranch_execz .LBB618_39
.LBB618_56:                             ;   in Loop: Header=BB618_13 Depth=1
	s_waitcnt lgkmcnt(0)
	ds_bpermute_b32 v34, v26, v32
	s_waitcnt lgkmcnt(0)
	v_add_f32_e32 v32, v32, v34
	ds_bpermute_b32 v34, v27, v32
	s_waitcnt lgkmcnt(0)
	v_add_f32_e32 v32, v32, v34
	;; [unrolled: 3-line block ×3, first 2 shown]
	s_or_b32 exec_lo, exec_lo, s6
	s_and_saveexec_b32 s6, s2
	s_cbranch_execz .LBB618_12
.LBB618_57:                             ;   in Loop: Header=BB618_13 Depth=1
	s_mul_i32 s7, s17, s10
	v_dual_mul_f32 v15, s28, v15 :: v_dual_mul_f32 v16, s28, v16
	s_add_i32 s18, s7, s14
	v_mul_f32_e32 v33, s28, v33
	s_lshl_b64 s[26:27], s[18:19], 2
	s_delay_alu instid0(SALU_CYCLE_1)
	s_add_u32 s26, s30, s26
	s_addc_u32 s27, s31, s27
	s_add_i32 s18, s18, s10
	global_store_b32 v31, v15, s[26:27]
	s_lshl_b64 s[38:39], s[18:19], 2
	s_waitcnt lgkmcnt(0)
	v_mul_f32_e32 v15, s28, v32
	s_add_u32 s38, s30, s38
	s_addc_u32 s39, s31, s39
	s_add_i32 s18, s18, s10
	global_store_b32 v31, v16, s[38:39]
	s_lshl_b64 s[40:41], s[18:19], 2
	s_delay_alu instid0(SALU_CYCLE_1) | instskip(SKIP_2) | instid1(SALU_CYCLE_1)
	s_add_u32 s26, s30, s40
	s_addc_u32 s27, s31, s41
	s_add_i32 s18, s18, s10
	s_lshl_b64 s[40:41], s[18:19], 2
	s_delay_alu instid0(SALU_CYCLE_1)
	s_add_u32 s38, s30, s40
	s_addc_u32 s39, s31, s41
	s_clause 0x1
	global_store_b32 v31, v33, s[26:27]
	global_store_b32 v31, v15, s[38:39]
	s_branch .LBB618_12
.LBB618_58:
	s_mov_b32 s17, 0
                                        ; implicit-def: $vgpr1_vgpr2_vgpr3_vgpr4
.LBB618_59:
	s_delay_alu instid0(SALU_CYCLE_1)
	s_cmp_ge_i32 s17, s9
	s_cbranch_scc1 .LBB618_83
; %bb.60:
	v_cmp_gt_u32_e32 vcc_lo, 16, v21
	v_cmp_ge_i32_e64 s1, s8, v23
	v_cmp_gt_u32_e64 s2, 32, v0
	v_cmp_gt_u32_e64 s4, 8, v0
	v_cmp_eq_u32_e64 s5, 0, v0
	v_cndmask_b32_e64 v6, 0, 1, vcc_lo
	v_cmp_gt_u32_e32 vcc_lo, 24, v21
	v_cmp_ge_i32_e64 s0, s8, v22
	s_cmp_gt_i32 s29, 0
	s_mov_b32 s15, 0
	v_lshlrev_b32_e32 v6, 4, v6
	v_cndmask_b32_e64 v7, 0, 1, vcc_lo
	v_cmp_gt_u32_e32 vcc_lo, 28, v21
	s_cselect_b32 s8, -1, 0
	v_lshlrev_b32_e32 v16, 2, v19
	s_delay_alu instid0(VALU_DEP_3)
	v_dual_mov_b32 v0, 0 :: v_dual_lshlrev_b32 v7, 3, v7
	v_cndmask_b32_e64 v8, 0, 1, vcc_lo
	v_cmp_gt_u32_e32 vcc_lo, 30, v21
	v_add_lshl_u32 v22, v6, v21, 2
	v_ashrrev_i32_e32 v6, 31, v5
	v_add_lshl_u32 v23, v7, v21, 2
	v_lshlrev_b32_e32 v8, 2, v8
	v_cndmask_b32_e64 v9, 0, 1, vcc_lo
	v_cmp_ne_u32_e32 vcc_lo, 31, v21
	v_add_nc_u32_e32 v7, s11, v5
	v_lshlrev_b64 v[11:12], 1, v[5:6]
	v_add_lshl_u32 v24, v8, v21, 2
	v_lshlrev_b32_e32 v9, 1, v9
	v_add_co_ci_u32_e32 v10, vcc_lo, 0, v21, vcc_lo
	v_ashrrev_i32_e32 v8, 31, v7
	v_add_co_u32 v6, vcc_lo, s12, v11
	s_delay_alu instid0(VALU_DEP_4) | instskip(SKIP_4) | instid1(VALU_DEP_4)
	v_add_lshl_u32 v21, v9, v21, 2
	v_add_nc_u32_e32 v9, s11, v7
	v_lshlrev_b32_e32 v25, 2, v10
	v_lshlrev_b64 v[13:14], 1, v[7:8]
	v_add_co_ci_u32_e32 v7, vcc_lo, s13, v12, vcc_lo
	v_add_nc_u32_e32 v26, s11, v9
	v_ashrrev_i32_e32 v10, 31, v9
	v_cmp_eq_u32_e64 s3, 0, v19
	v_add_co_u32 v8, vcc_lo, s12, v13
	s_delay_alu instid0(VALU_DEP_4) | instskip(NEXT) | instid1(VALU_DEP_4)
	v_ashrrev_i32_e32 v27, 31, v26
	v_lshlrev_b64 v[10:11], 1, v[9:10]
	v_add_co_ci_u32_e32 v9, vcc_lo, s13, v14, vcc_lo
	v_and_b32_e32 v19, 28, v20
	s_delay_alu instid0(VALU_DEP_4) | instskip(SKIP_1) | instid1(VALU_DEP_4)
	v_lshlrev_b64 v[12:13], 1, v[26:27]
	s_lshl_b64 s[6:7], s[14:15], 2
	v_add_co_u32 v10, vcc_lo, s12, v10
	v_add_co_ci_u32_e32 v11, vcc_lo, s13, v11, vcc_lo
	s_delay_alu instid0(VALU_DEP_3) | instskip(NEXT) | instid1(VALU_DEP_4)
	v_add_co_u32 v12, vcc_lo, s12, v12
	v_add_co_ci_u32_e32 v13, vcc_lo, s13, v13, vcc_lo
	s_add_u32 s14, s30, s6
	s_addc_u32 s22, s31, s7
	s_mul_i32 s18, s17, s16
	s_branch .LBB618_62
.LBB618_61:                             ;   in Loop: Header=BB618_62 Depth=1
	s_or_b32 exec_lo, exec_lo, s6
	s_add_i32 s17, s17, 1
	s_add_i32 s18, s18, s16
	s_cmp_ge_i32 s17, s9
	s_cbranch_scc1 .LBB618_83
.LBB618_62:                             ; =>This Loop Header: Depth=1
                                        ;     Child Loop BB618_75 Depth 2
                                        ;     Child Loop BB618_78 Depth 2
	v_mov_b32_e32 v20, s15
	s_and_saveexec_b32 s6, s0
	s_delay_alu instid0(SALU_CYCLE_1)
	s_xor_b32 s6, exec_lo, s6
	s_cbranch_execnz .LBB618_71
; %bb.63:                               ;   in Loop: Header=BB618_62 Depth=1
	s_and_not1_saveexec_b32 s23, s6
	s_cbranch_execnz .LBB618_72
.LBB618_64:                             ;   in Loop: Header=BB618_62 Depth=1
	s_or_b32 exec_lo, exec_lo, s23
	s_and_saveexec_b32 s6, s2
	s_cbranch_execz .LBB618_66
.LBB618_65:                             ;   in Loop: Header=BB618_62 Depth=1
	ds_store_b32 v16, v0
.LBB618_66:                             ;   in Loop: Header=BB618_62 Depth=1
	s_or_b32 exec_lo, exec_lo, s6
	s_waitcnt lgkmcnt(0)
	ds_bpermute_b32 v14, v22, v20
	s_waitcnt lgkmcnt(0)
	s_waitcnt_vscnt null, 0x0
	s_barrier
	buffer_gl0_inv
	v_add_f32_e32 v14, v20, v14
	ds_bpermute_b32 v15, v23, v14
	s_waitcnt lgkmcnt(0)
	v_add_f32_e32 v14, v14, v15
	ds_bpermute_b32 v15, v24, v14
	s_waitcnt lgkmcnt(0)
	;; [unrolled: 3-line block ×3, first 2 shown]
	v_add_f32_e32 v14, v14, v15
	ds_bpermute_b32 v15, v25, v14
	s_and_saveexec_b32 s6, s3
	s_cbranch_execz .LBB618_68
; %bb.67:                               ;   in Loop: Header=BB618_62 Depth=1
	s_waitcnt lgkmcnt(0)
	v_add_f32_e32 v14, v14, v15
	ds_store_b32 v19, v14
.LBB618_68:                             ;   in Loop: Header=BB618_62 Depth=1
	s_or_b32 exec_lo, exec_lo, s6
	v_mov_b32_e32 v14, 0
	s_waitcnt lgkmcnt(0)
	s_barrier
	buffer_gl0_inv
	s_and_saveexec_b32 s6, s4
	s_cbranch_execnz .LBB618_80
; %bb.69:                               ;   in Loop: Header=BB618_62 Depth=1
	s_or_b32 exec_lo, exec_lo, s6
	s_and_saveexec_b32 s6, s2
	s_cbranch_execnz .LBB618_81
.LBB618_70:                             ;   in Loop: Header=BB618_62 Depth=1
	s_or_b32 exec_lo, exec_lo, s6
	s_and_saveexec_b32 s6, s5
	s_cbranch_execz .LBB618_61
	s_branch .LBB618_82
.LBB618_71:                             ;   in Loop: Header=BB618_62 Depth=1
	s_mul_i32 s20, s17, s16
	s_delay_alu instid0(SALU_CYCLE_1) | instskip(NEXT) | instid1(SALU_CYCLE_1)
	s_ashr_i32 s21, s20, 31
	s_lshl_b64 s[20:21], s[20:21], 1
	s_delay_alu instid0(SALU_CYCLE_1)
	v_add_co_u32 v1, vcc_lo, v17, s20
	v_add_co_ci_u32_e32 v2, vcc_lo, s21, v18, vcc_lo
	flat_load_u16 v3, v[6:7]
	s_waitcnt lgkmcnt(1)
	flat_load_b64 v[14:15], v[1:2]
	s_clause 0x2
	flat_load_u16 v2, v[8:9]
	flat_load_u16 v4, v[10:11]
	;; [unrolled: 1-line block ×3, first 2 shown]
	s_waitcnt vmcnt(2) lgkmcnt(2)
	v_lshlrev_b32_e32 v2, 16, v2
	v_lshlrev_b32_e32 v1, 16, v3
	;; [unrolled: 1-line block ×3, first 2 shown]
	v_and_b32_e32 v14, 0xffff0000, v14
	s_delay_alu instid0(VALU_DEP_2)
	v_fma_f32 v20, v1, v3, 0
	s_waitcnt vmcnt(1) lgkmcnt(1)
	v_lshlrev_b32_e32 v3, 16, v4
	s_waitcnt vmcnt(0) lgkmcnt(0)
	v_lshlrev_b32_e32 v4, 16, v26
	v_fmac_f32_e32 v20, v2, v14
	v_lshlrev_b32_e32 v14, 16, v15
	s_delay_alu instid0(VALU_DEP_1) | instskip(NEXT) | instid1(VALU_DEP_1)
	v_dual_fmac_f32 v20, v3, v14 :: v_dual_and_b32 v15, 0xffff0000, v15
	v_fmac_f32_e32 v20, v4, v15
	s_and_not1_saveexec_b32 s23, s6
	s_cbranch_execz .LBB618_64
.LBB618_72:                             ;   in Loop: Header=BB618_62 Depth=1
	s_and_saveexec_b32 s24, s1
	s_cbranch_execz .LBB618_79
; %bb.73:                               ;   in Loop: Header=BB618_62 Depth=1
	s_and_not1_b32 vcc_lo, exec_lo, s8
	s_cbranch_vccnz .LBB618_76
; %bb.74:                               ;   in Loop: Header=BB618_62 Depth=1
	s_waitcnt lgkmcnt(0)
	v_mov_b32_e32 v14, v5
	s_mov_b64 s[20:21], 0
	.p2align	6
.LBB618_75:                             ;   Parent Loop BB618_62 Depth=1
                                        ; =>  This Inner Loop Header: Depth=2
	s_delay_alu instid0(VALU_DEP_1) | instskip(SKIP_1) | instid1(VALU_DEP_1)
	v_ashrrev_i32_e32 v15, 31, v14
	s_cmp_eq_u32 s20, 3
	v_lshlrev_b64 v[26:27], 1, v[14:15]
	s_delay_alu instid0(VALU_DEP_1) | instskip(NEXT) | instid1(VALU_DEP_2)
	v_add_co_u32 v26, vcc_lo, s12, v26
	v_add_co_ci_u32_e32 v27, vcc_lo, s13, v27, vcc_lo
	s_cselect_b32 vcc_lo, -1, 0
	s_cmp_eq_u32 s20, 2
	s_cselect_b32 s6, -1, 0
	flat_load_u16 v15, v[26:27]
	s_cmp_eq_u32 s20, 1
	s_cselect_b32 s7, -1, 0
	s_cmp_eq_u32 s20, 0
	s_waitcnt vmcnt(0) lgkmcnt(0)
	v_lshlrev_b32_e32 v15, 16, v15
	s_delay_alu instid0(VALU_DEP_1)
	v_cndmask_b32_e32 v4, v4, v15, vcc_lo
	s_cselect_b32 vcc_lo, -1, 0
	v_dual_cndmask_b32 v1, v1, v15 :: v_dual_add_nc_u32 v14, s11, v14
	v_cndmask_b32_e64 v3, v3, v15, s6
	v_cndmask_b32_e64 v2, v2, v15, s7
	s_add_u32 s20, s20, 1
	s_addc_u32 s21, s21, 0
	s_cmp_eq_u32 s29, s20
	s_cbranch_scc0 .LBB618_75
.LBB618_76:                             ;   in Loop: Header=BB618_62 Depth=1
	s_and_not1_b32 vcc_lo, exec_lo, s8
	s_cbranch_vccnz .LBB618_79
; %bb.77:                               ;   in Loop: Header=BB618_62 Depth=1
	s_ashr_i32 s19, s18, 31
	s_delay_alu instid0(SALU_CYCLE_1)
	s_lshl_b64 s[6:7], s[18:19], 1
	s_waitcnt lgkmcnt(0)
	v_add_co_u32 v14, vcc_lo, v17, s6
	v_add_co_ci_u32_e32 v15, vcc_lo, s7, v18, vcc_lo
	s_mov_b64 s[6:7], 0
	.p2align	6
.LBB618_78:                             ;   Parent Loop BB618_62 Depth=1
                                        ; =>  This Inner Loop Header: Depth=2
	flat_load_u16 v26, v[14:15]
	s_cmp_eq_u32 s6, 1
	s_cselect_b32 vcc_lo, -1, 0
	s_cmp_eq_u32 s6, 2
	v_cndmask_b32_e32 v27, v1, v2, vcc_lo
	s_cselect_b32 vcc_lo, -1, 0
	s_cmp_eq_u32 s6, 3
	s_delay_alu instid0(VALU_DEP_1)
	v_cndmask_b32_e32 v27, v27, v3, vcc_lo
	s_cselect_b32 vcc_lo, -1, 0
	s_add_u32 s6, s6, 1
	s_addc_u32 s7, s7, 0
	s_cmp_lg_u32 s29, s6
	s_waitcnt vmcnt(0) lgkmcnt(0)
	v_dual_cndmask_b32 v27, v27, v4 :: v_dual_lshlrev_b32 v26, 16, v26
	v_add_co_u32 v14, vcc_lo, v14, 2
	v_add_co_ci_u32_e32 v15, vcc_lo, 0, v15, vcc_lo
	s_delay_alu instid0(VALU_DEP_3)
	v_fmac_f32_e32 v20, v27, v26
	s_cbranch_scc1 .LBB618_78
.LBB618_79:                             ;   in Loop: Header=BB618_62 Depth=1
	s_or_b32 exec_lo, exec_lo, s24
	s_delay_alu instid0(SALU_CYCLE_1)
	s_or_b32 exec_lo, exec_lo, s23
	s_and_saveexec_b32 s6, s2
	s_cbranch_execnz .LBB618_65
	s_branch .LBB618_66
.LBB618_80:                             ;   in Loop: Header=BB618_62 Depth=1
	ds_load_b32 v14, v16
	s_or_b32 exec_lo, exec_lo, s6
	s_and_saveexec_b32 s6, s2
	s_cbranch_execz .LBB618_70
.LBB618_81:                             ;   in Loop: Header=BB618_62 Depth=1
	s_waitcnt lgkmcnt(0)
	ds_bpermute_b32 v15, v24, v14
	s_waitcnt lgkmcnt(0)
	v_add_f32_e32 v14, v14, v15
	ds_bpermute_b32 v15, v21, v14
	s_waitcnt lgkmcnt(0)
	v_add_f32_e32 v14, v14, v15
	;; [unrolled: 3-line block ×3, first 2 shown]
	s_or_b32 exec_lo, exec_lo, s6
	s_and_saveexec_b32 s6, s5
	s_cbranch_execz .LBB618_61
.LBB618_82:                             ;   in Loop: Header=BB618_62 Depth=1
	s_mul_hi_u32 s21, s17, s10
	s_mul_i32 s20, s17, s10
	s_waitcnt lgkmcnt(0)
	v_mul_f32_e32 v14, s28, v14
	s_lshl_b64 s[20:21], s[20:21], 2
	s_delay_alu instid0(SALU_CYCLE_1)
	s_add_u32 s20, s14, s20
	s_addc_u32 s21, s22, s21
	global_store_b32 v0, v14, s[20:21]
	s_branch .LBB618_61
.LBB618_83:
	s_nop 0
	s_sendmsg sendmsg(MSG_DEALLOC_VGPRS)
	s_endpgm
	.section	.rodata,"a",@progbits
	.p2align	6, 0x0
	.amdhsa_kernel _ZL23rocblas_gemvt_sn_kernelILb1ELi256ELi4EiPK16rocblas_bfloat16PKffEviiT4_lPKT3_lilS8_lilPT5_i
		.amdhsa_group_segment_fixed_size 128
		.amdhsa_private_segment_fixed_size 0
		.amdhsa_kernarg_size 360
		.amdhsa_user_sgpr_count 14
		.amdhsa_user_sgpr_dispatch_ptr 0
		.amdhsa_user_sgpr_queue_ptr 0
		.amdhsa_user_sgpr_kernarg_segment_ptr 1
		.amdhsa_user_sgpr_dispatch_id 0
		.amdhsa_user_sgpr_private_segment_size 0
		.amdhsa_wavefront_size32 1
		.amdhsa_uses_dynamic_stack 0
		.amdhsa_enable_private_segment 0
		.amdhsa_system_sgpr_workgroup_id_x 1
		.amdhsa_system_sgpr_workgroup_id_y 0
		.amdhsa_system_sgpr_workgroup_id_z 1
		.amdhsa_system_sgpr_workgroup_info 0
		.amdhsa_system_vgpr_workitem_id 0
		.amdhsa_next_free_vgpr 47
		.amdhsa_next_free_sgpr 42
		.amdhsa_reserve_vcc 1
		.amdhsa_float_round_mode_32 0
		.amdhsa_float_round_mode_16_64 0
		.amdhsa_float_denorm_mode_32 3
		.amdhsa_float_denorm_mode_16_64 3
		.amdhsa_dx10_clamp 1
		.amdhsa_ieee_mode 1
		.amdhsa_fp16_overflow 0
		.amdhsa_workgroup_processor_mode 1
		.amdhsa_memory_ordered 1
		.amdhsa_forward_progress 0
		.amdhsa_shared_vgpr_count 0
		.amdhsa_exception_fp_ieee_invalid_op 0
		.amdhsa_exception_fp_denorm_src 0
		.amdhsa_exception_fp_ieee_div_zero 0
		.amdhsa_exception_fp_ieee_overflow 0
		.amdhsa_exception_fp_ieee_underflow 0
		.amdhsa_exception_fp_ieee_inexact 0
		.amdhsa_exception_int_div_zero 0
	.end_amdhsa_kernel
	.section	.text._ZL23rocblas_gemvt_sn_kernelILb1ELi256ELi4EiPK16rocblas_bfloat16PKffEviiT4_lPKT3_lilS8_lilPT5_i,"axG",@progbits,_ZL23rocblas_gemvt_sn_kernelILb1ELi256ELi4EiPK16rocblas_bfloat16PKffEviiT4_lPKT3_lilS8_lilPT5_i,comdat
.Lfunc_end618:
	.size	_ZL23rocblas_gemvt_sn_kernelILb1ELi256ELi4EiPK16rocblas_bfloat16PKffEviiT4_lPKT3_lilS8_lilPT5_i, .Lfunc_end618-_ZL23rocblas_gemvt_sn_kernelILb1ELi256ELi4EiPK16rocblas_bfloat16PKffEviiT4_lPKT3_lilS8_lilPT5_i
                                        ; -- End function
	.section	.AMDGPU.csdata,"",@progbits
; Kernel info:
; codeLenInByte = 4324
; NumSgprs: 44
; NumVgprs: 47
; ScratchSize: 0
; MemoryBound: 0
; FloatMode: 240
; IeeeMode: 1
; LDSByteSize: 128 bytes/workgroup (compile time only)
; SGPRBlocks: 5
; VGPRBlocks: 5
; NumSGPRsForWavesPerEU: 44
; NumVGPRsForWavesPerEU: 47
; Occupancy: 16
; WaveLimiterHint : 0
; COMPUTE_PGM_RSRC2:SCRATCH_EN: 0
; COMPUTE_PGM_RSRC2:USER_SGPR: 14
; COMPUTE_PGM_RSRC2:TRAP_HANDLER: 0
; COMPUTE_PGM_RSRC2:TGID_X_EN: 1
; COMPUTE_PGM_RSRC2:TGID_Y_EN: 0
; COMPUTE_PGM_RSRC2:TGID_Z_EN: 1
; COMPUTE_PGM_RSRC2:TIDIG_COMP_CNT: 0
	.section	.text._ZL23rocblas_gemvt_sn_kernelILb1ELi256ELi4ElPK16rocblas_bfloat16PKffEviiT4_lPKT3_lilS8_lilPT5_i,"axG",@progbits,_ZL23rocblas_gemvt_sn_kernelILb1ELi256ELi4ElPK16rocblas_bfloat16PKffEviiT4_lPKT3_lilS8_lilPT5_i,comdat
	.globl	_ZL23rocblas_gemvt_sn_kernelILb1ELi256ELi4ElPK16rocblas_bfloat16PKffEviiT4_lPKT3_lilS8_lilPT5_i ; -- Begin function _ZL23rocblas_gemvt_sn_kernelILb1ELi256ELi4ElPK16rocblas_bfloat16PKffEviiT4_lPKT3_lilS8_lilPT5_i
	.p2align	8
	.type	_ZL23rocblas_gemvt_sn_kernelILb1ELi256ELi4ElPK16rocblas_bfloat16PKffEviiT4_lPKT3_lilS8_lilPT5_i,@function
_ZL23rocblas_gemvt_sn_kernelILb1ELi256ELi4ElPK16rocblas_bfloat16PKffEviiT4_lPKT3_lilS8_lilPT5_i: ; @_ZL23rocblas_gemvt_sn_kernelILb1ELi256ELi4ElPK16rocblas_bfloat16PKffEviiT4_lPKT3_lilS8_lilPT5_i
; %bb.0:
	s_load_b256 s[4:11], s[0:1], 0x8
	s_mov_b32 s2, s15
	s_mov_b64 s[18:19], 0
	s_mov_b64 s[16:17], 0
	s_waitcnt lgkmcnt(0)
	s_mul_i32 s3, s15, s7
	s_mul_hi_u32 s7, s15, s6
	s_mul_i32 s6, s15, s6
	s_add_i32 s7, s7, s3
	s_mov_b32 s3, 0
	s_lshl_b64 s[6:7], s[6:7], 2
	s_delay_alu instid0(SALU_CYCLE_1)
	s_add_u32 s4, s4, s6
	s_addc_u32 s5, s5, s7
	s_load_b32 s33, s[4:5], 0x0
	s_waitcnt lgkmcnt(0)
	v_cmp_eq_f32_e64 s4, s33, 0
	v_cmp_neq_f32_e64 s5, s33, 0
	s_delay_alu instid0(VALU_DEP_2)
	s_and_b32 vcc_lo, exec_lo, s4
	s_cbranch_vccnz .LBB619_2
; %bb.1:
	s_lshl_b64 s[6:7], s[2:3], 3
	s_delay_alu instid0(SALU_CYCLE_1)
	s_add_u32 s6, s8, s6
	s_addc_u32 s7, s9, s7
	s_lshl_b64 s[8:9], s[10:11], 1
	s_load_b64 s[6:7], s[6:7], 0x0
	s_waitcnt lgkmcnt(0)
	s_add_u32 s16, s6, s8
	s_addc_u32 s17, s7, s9
.LBB619_2:
	s_delay_alu instid0(VALU_DEP_1)
	s_and_not1_b32 vcc_lo, exec_lo, s5
	s_cbranch_vccnz .LBB619_4
; %bb.3:
	s_load_b128 s[8:11], s[0:1], 0x38
	s_lshl_b64 s[6:7], s[2:3], 3
	s_waitcnt lgkmcnt(0)
	s_add_u32 s6, s8, s6
	s_addc_u32 s7, s9, s7
	s_lshl_b64 s[8:9], s[10:11], 1
	s_load_b64 s[6:7], s[6:7], 0x0
	s_waitcnt lgkmcnt(0)
	s_add_u32 s18, s6, s8
	s_addc_u32 s19, s7, s9
.LBB619_4:
	s_clause 0x2
	s_load_b64 s[8:9], s[0:1], 0x0
	s_load_b32 s10, s[0:1], 0x68
	s_load_b64 s[12:13], s[0:1], 0x58
	s_mov_b32 s11, 0
	s_waitcnt lgkmcnt(0)
	s_ashr_i32 s6, s9, 31
	s_mul_hi_u32 s3, s9, s2
	s_mul_i32 s5, s6, s2
	s_mul_i32 s2, s9, s2
	s_add_i32 s3, s3, s5
	s_mul_hi_u32 s5, s2, s10
	s_mul_i32 s3, s3, s10
	s_mul_i32 s2, s2, s10
	s_add_i32 s3, s5, s3
	s_delay_alu instid0(SALU_CYCLE_1) | instskip(NEXT) | instid1(SALU_CYCLE_1)
	s_lshl_b64 s[2:3], s[2:3], 2
	s_add_u32 s34, s12, s2
	s_addc_u32 s35, s13, s3
	s_and_not1_b32 vcc_lo, exec_lo, s4
	s_mov_b32 s2, -1
	s_cbranch_vccnz .LBB619_9
; %bb.5:
	v_cmp_eq_u32_e32 vcc_lo, 0, v0
	s_cmp_gt_i32 s9, 0
	s_cselect_b32 s2, -1, 0
	s_delay_alu instid0(SALU_CYCLE_1) | instskip(NEXT) | instid1(SALU_CYCLE_1)
	s_and_b32 s2, vcc_lo, s2
	s_and_saveexec_b32 s7, s2
	s_cbranch_execz .LBB619_8
; %bb.6:
	s_mov_b32 s15, 0
	v_mov_b32_e32 v1, 0
	s_lshl_b64 s[2:3], s[14:15], 2
	s_delay_alu instid0(SALU_CYCLE_1)
	s_add_u32 s2, s34, s2
	s_addc_u32 s3, s35, s3
	s_lshl_b64 s[4:5], s[10:11], 2
	s_mov_b32 s11, s9
.LBB619_7:                              ; =>This Inner Loop Header: Depth=1
	s_delay_alu instid0(SALU_CYCLE_1)
	s_add_i32 s11, s11, -1
	global_store_b32 v1, v1, s[2:3]
	s_add_u32 s2, s2, s4
	s_addc_u32 s3, s3, s5
	s_cmp_eq_u32 s11, 0
	s_cbranch_scc0 .LBB619_7
.LBB619_8:
	s_or_b32 exec_lo, exec_lo, s7
	s_mov_b32 s2, 0
.LBB619_9:
	s_delay_alu instid0(SALU_CYCLE_1)
	s_and_not1_b32 vcc_lo, exec_lo, s2
	s_cbranch_vccnz .LBB619_83
; %bb.10:
	s_lshl_b32 s2, s14, 10
	s_clause 0x1
	s_load_b32 s12, s[0:1], 0x28
	s_load_b32 s20, s[0:1], 0x48
	v_lshl_or_b32 v9, v0, 2, s2
	s_ashr_i32 s2, s8, 31
	s_lshr_b32 s1, s6, 30
	s_lshr_b32 s0, s2, 30
	s_add_i32 s1, s9, s1
	v_ashrrev_i32_e32 v10, 31, v9
	s_add_i32 s0, s8, s0
	s_and_b32 s36, s1, -4
	s_and_b32 s0, s0, -4
	v_add_nc_u32_e32 v28, 4, v9
	v_lshlrev_b64 v[7:8], 1, v[9:10]
	s_sub_i32 s11, s8, s0
	v_and_b32_e32 v25, 31, v0
	v_add_nc_u32_e32 v29, s11, v9
	v_cmp_gt_u32_e64 s0, 32, v0
	v_mbcnt_lo_u32_b32 v27, -1, 0
	v_add_co_u32 v5, vcc_lo, s16, v7
	v_add_co_ci_u32_e32 v6, vcc_lo, s17, v8, vcc_lo
	v_cmp_gt_u32_e64 s1, 8, v0
	v_lshrrev_b32_e32 v26, 3, v0
	v_cmp_eq_u32_e64 s2, 0, v0
	v_or_b32_e32 v24, 1, v9
	v_or_b32_e32 v23, 2, v9
	;; [unrolled: 1-line block ×3, first 2 shown]
	s_waitcnt lgkmcnt(0)
	s_ashr_i32 s13, s12, 31
	s_ashr_i32 s21, s20, 31
	s_cmp_lt_i32 s36, 1
	s_cbranch_scc1 .LBB619_58
; %bb.11:
	v_cmp_gt_u32_e32 vcc_lo, 16, v27
	v_mad_i64_i32 v[12:13], null, s20, v23, 0
	v_mad_i64_i32 v[14:15], null, s20, v22, 0
	v_cndmask_b32_e64 v1, 0, 1, vcc_lo
	v_cmp_gt_u32_e32 vcc_lo, 24, v27
	s_mov_b32 s15, 0
	s_cmp_gt_i32 s11, 0
	v_cmp_ge_i32_e64 s3, s8, v28
	v_lshlrev_b32_e32 v1, 4, v1
	v_cndmask_b32_e64 v2, 0, 1, vcc_lo
	v_cmp_gt_u32_e32 vcc_lo, 28, v27
	v_cmp_ge_i32_e64 s4, s8, v29
	s_cselect_b32 s37, -1, 0
	s_delay_alu instid0(VALU_DEP_3)
	v_dual_mov_b32 v37, 0 :: v_dual_lshlrev_b32 v2, 3, v2
	v_cndmask_b32_e64 v3, 0, 1, vcc_lo
	v_cmp_gt_u32_e32 vcc_lo, 30, v27
	v_cmp_eq_u32_e64 s5, 0, v25
	v_lshlrev_b32_e32 v35, 2, v25
	v_add_lshl_u32 v31, v2, v27, 2
	v_lshlrev_b32_e32 v3, 2, v3
	v_cndmask_b32_e64 v4, 0, 1, vcc_lo
	v_cmp_ne_u32_e32 vcc_lo, 31, v27
	v_dual_mov_b32 v19, v6 :: v_dual_mov_b32 v18, v5
	v_add_lshl_u32 v30, v1, v27, 2
	s_delay_alu instid0(VALU_DEP_4) | instskip(SKIP_3) | instid1(VALU_DEP_4)
	v_lshlrev_b32_e32 v4, 1, v4
	v_mad_i64_i32 v[1:2], null, s20, v9, 0
	v_add_lshl_u32 v32, v3, v27, 2
	v_add_co_ci_u32_e32 v10, vcc_lo, 0, v27, vcc_lo
	v_add_lshl_u32 v33, v4, v27, 2
	v_mad_i64_i32 v[3:4], null, s20, v24, 0
	v_lshlrev_b64 v[1:2], 1, v[1:2]
	s_delay_alu instid0(VALU_DEP_4) | instskip(SKIP_4) | instid1(VALU_DEP_4)
	v_lshlrev_b32_e32 v34, 2, v10
	s_lshl_b64 s[6:7], s[14:15], 2
	v_and_b32_e32 v36, 28, v26
	s_add_u32 s38, s34, s6
	s_addc_u32 s39, s35, s7
	v_lshlrev_b64 v[3:4], 1, v[3:4]
	v_add_co_u32 v10, vcc_lo, s18, v1
	v_add_co_ci_u32_e32 v11, vcc_lo, s19, v2, vcc_lo
	v_lshlrev_b64 v[1:2], 1, v[12:13]
	s_delay_alu instid0(VALU_DEP_4) | instskip(SKIP_2) | instid1(VALU_DEP_4)
	v_add_co_u32 v12, vcc_lo, s18, v3
	v_add_co_ci_u32_e32 v13, vcc_lo, s19, v4, vcc_lo
	v_lshlrev_b64 v[3:4], 1, v[14:15]
	v_add_co_u32 v14, vcc_lo, s18, v1
	v_add_co_ci_u32_e32 v15, vcc_lo, s19, v2, vcc_lo
	s_lshl_b64 s[22:23], s[20:21], 1
	s_delay_alu instid0(VALU_DEP_3) | instskip(NEXT) | instid1(VALU_DEP_4)
	v_add_co_u32 v16, vcc_lo, s18, v3
	v_add_co_ci_u32_e32 v17, vcc_lo, s19, v4, vcc_lo
	s_mul_hi_i32 s40, s12, 6
	s_mul_i32 s41, s12, 6
	s_lshl_b64 s[24:25], s[12:13], 3
	s_lshl_b64 s[26:27], s[12:13], 2
	;; [unrolled: 1-line block ×3, first 2 shown]
                                        ; implicit-def: $vgpr1_vgpr2_vgpr3_vgpr4
	s_branch .LBB619_13
.LBB619_12:                             ;   in Loop: Header=BB619_13 Depth=1
	s_or_b32 exec_lo, exec_lo, s6
	v_add_co_u32 v18, vcc_lo, v18, s24
	v_add_co_ci_u32_e32 v19, vcc_lo, s25, v19, vcc_lo
	s_add_i32 s15, s15, 4
	s_delay_alu instid0(SALU_CYCLE_1)
	s_cmp_ge_i32 s15, s36
	s_cbranch_scc1 .LBB619_59
.LBB619_13:                             ; =>This Loop Header: Depth=1
                                        ;     Child Loop BB619_44 Depth 2
                                        ;     Child Loop BB619_47 Depth 2
                                        ; implicit-def: $vgpr38
                                        ; implicit-def: $vgpr39
                                        ; implicit-def: $vgpr40
                                        ; implicit-def: $vgpr41
	s_and_saveexec_b32 s6, s3
	s_delay_alu instid0(SALU_CYCLE_1)
	s_xor_b32 s6, exec_lo, s6
	s_cbranch_execnz .LBB619_40
; %bb.14:                               ;   in Loop: Header=BB619_13 Depth=1
	s_and_not1_saveexec_b32 s42, s6
	s_cbranch_execnz .LBB619_41
.LBB619_15:                             ;   in Loop: Header=BB619_13 Depth=1
	s_or_b32 exec_lo, exec_lo, s42
	s_and_saveexec_b32 s6, s0
	s_cbranch_execz .LBB619_17
.LBB619_16:                             ;   in Loop: Header=BB619_13 Depth=1
	ds_store_b32 v35, v37
.LBB619_17:                             ;   in Loop: Header=BB619_13 Depth=1
	s_or_b32 exec_lo, exec_lo, s6
	ds_bpermute_b32 v20, v30, v41
	s_waitcnt lgkmcnt(0)
	s_waitcnt_vscnt null, 0x0
	s_barrier
	buffer_gl0_inv
	v_add_f32_e32 v20, v41, v20
	ds_bpermute_b32 v21, v31, v20
	s_waitcnt lgkmcnt(0)
	v_add_f32_e32 v20, v20, v21
	ds_bpermute_b32 v21, v32, v20
	s_waitcnt lgkmcnt(0)
	;; [unrolled: 3-line block ×3, first 2 shown]
	v_add_f32_e32 v20, v20, v21
	ds_bpermute_b32 v21, v34, v20
	s_and_saveexec_b32 s6, s5
	s_cbranch_execz .LBB619_19
; %bb.18:                               ;   in Loop: Header=BB619_13 Depth=1
	s_waitcnt lgkmcnt(0)
	v_add_f32_e32 v20, v20, v21
	ds_store_b32 v36, v20
.LBB619_19:                             ;   in Loop: Header=BB619_13 Depth=1
	s_or_b32 exec_lo, exec_lo, s6
	v_mov_b32_e32 v20, 0
	s_waitcnt lgkmcnt(0)
	s_barrier
	buffer_gl0_inv
	s_and_saveexec_b32 s6, s1
	s_cbranch_execnz .LBB619_49
; %bb.20:                               ;   in Loop: Header=BB619_13 Depth=1
	s_or_b32 exec_lo, exec_lo, s6
	s_and_saveexec_b32 s6, s0
	s_cbranch_execnz .LBB619_50
.LBB619_21:                             ;   in Loop: Header=BB619_13 Depth=1
	s_or_b32 exec_lo, exec_lo, s6
	s_and_saveexec_b32 s6, s0
	s_cbranch_execz .LBB619_23
.LBB619_22:                             ;   in Loop: Header=BB619_13 Depth=1
	ds_store_b32 v35, v37
.LBB619_23:                             ;   in Loop: Header=BB619_13 Depth=1
	s_or_b32 exec_lo, exec_lo, s6
	ds_bpermute_b32 v21, v30, v40
	s_waitcnt lgkmcnt(0)
	s_barrier
	buffer_gl0_inv
	v_add_f32_e32 v21, v40, v21
	ds_bpermute_b32 v40, v31, v21
	s_waitcnt lgkmcnt(0)
	v_add_f32_e32 v21, v21, v40
	ds_bpermute_b32 v40, v32, v21
	s_waitcnt lgkmcnt(0)
	;; [unrolled: 3-line block ×3, first 2 shown]
	v_add_f32_e32 v21, v21, v40
	ds_bpermute_b32 v40, v34, v21
	s_and_saveexec_b32 s6, s5
	s_cbranch_execz .LBB619_25
; %bb.24:                               ;   in Loop: Header=BB619_13 Depth=1
	s_waitcnt lgkmcnt(0)
	v_add_f32_e32 v21, v21, v40
	ds_store_b32 v36, v21
.LBB619_25:                             ;   in Loop: Header=BB619_13 Depth=1
	s_or_b32 exec_lo, exec_lo, s6
	v_mov_b32_e32 v21, 0
	s_waitcnt lgkmcnt(0)
	s_barrier
	buffer_gl0_inv
	s_and_saveexec_b32 s6, s1
	s_cbranch_execnz .LBB619_51
; %bb.26:                               ;   in Loop: Header=BB619_13 Depth=1
	s_or_b32 exec_lo, exec_lo, s6
	s_and_saveexec_b32 s6, s0
	s_cbranch_execnz .LBB619_52
.LBB619_27:                             ;   in Loop: Header=BB619_13 Depth=1
	s_or_b32 exec_lo, exec_lo, s6
	s_and_saveexec_b32 s6, s0
	s_cbranch_execz .LBB619_29
.LBB619_28:                             ;   in Loop: Header=BB619_13 Depth=1
	ds_store_b32 v35, v37
.LBB619_29:                             ;   in Loop: Header=BB619_13 Depth=1
	s_or_b32 exec_lo, exec_lo, s6
	ds_bpermute_b32 v40, v30, v39
	s_waitcnt lgkmcnt(0)
	s_barrier
	buffer_gl0_inv
	v_add_f32_e32 v39, v39, v40
	ds_bpermute_b32 v40, v31, v39
	s_waitcnt lgkmcnt(0)
	v_add_f32_e32 v39, v39, v40
	ds_bpermute_b32 v40, v32, v39
	s_waitcnt lgkmcnt(0)
	;; [unrolled: 3-line block ×3, first 2 shown]
	v_add_f32_e32 v39, v39, v40
	ds_bpermute_b32 v40, v34, v39
	s_and_saveexec_b32 s6, s5
	s_cbranch_execz .LBB619_31
; %bb.30:                               ;   in Loop: Header=BB619_13 Depth=1
	s_waitcnt lgkmcnt(0)
	v_add_f32_e32 v39, v39, v40
	ds_store_b32 v36, v39
.LBB619_31:                             ;   in Loop: Header=BB619_13 Depth=1
	s_or_b32 exec_lo, exec_lo, s6
	v_mov_b32_e32 v39, 0
	s_waitcnt lgkmcnt(0)
	s_barrier
	buffer_gl0_inv
	s_and_saveexec_b32 s6, s1
	s_cbranch_execnz .LBB619_53
; %bb.32:                               ;   in Loop: Header=BB619_13 Depth=1
	s_or_b32 exec_lo, exec_lo, s6
	s_and_saveexec_b32 s6, s0
	s_cbranch_execnz .LBB619_54
.LBB619_33:                             ;   in Loop: Header=BB619_13 Depth=1
	s_or_b32 exec_lo, exec_lo, s6
	s_and_saveexec_b32 s6, s0
	s_cbranch_execz .LBB619_35
.LBB619_34:                             ;   in Loop: Header=BB619_13 Depth=1
	ds_store_b32 v35, v37
.LBB619_35:                             ;   in Loop: Header=BB619_13 Depth=1
	s_or_b32 exec_lo, exec_lo, s6
	ds_bpermute_b32 v40, v30, v38
	s_waitcnt lgkmcnt(0)
	s_barrier
	buffer_gl0_inv
	v_add_f32_e32 v38, v38, v40
	ds_bpermute_b32 v40, v31, v38
	s_waitcnt lgkmcnt(0)
	v_add_f32_e32 v38, v38, v40
	ds_bpermute_b32 v40, v32, v38
	s_waitcnt lgkmcnt(0)
	v_add_f32_e32 v38, v38, v40
	ds_bpermute_b32 v40, v33, v38
	s_waitcnt lgkmcnt(0)
	v_add_f32_e32 v38, v38, v40
	ds_bpermute_b32 v40, v34, v38
	s_and_saveexec_b32 s6, s5
	s_cbranch_execz .LBB619_37
; %bb.36:                               ;   in Loop: Header=BB619_13 Depth=1
	s_waitcnt lgkmcnt(0)
	v_add_f32_e32 v38, v38, v40
	ds_store_b32 v36, v38
.LBB619_37:                             ;   in Loop: Header=BB619_13 Depth=1
	s_or_b32 exec_lo, exec_lo, s6
	v_mov_b32_e32 v38, 0
	s_waitcnt lgkmcnt(0)
	s_barrier
	buffer_gl0_inv
	s_and_saveexec_b32 s6, s1
	s_cbranch_execnz .LBB619_55
; %bb.38:                               ;   in Loop: Header=BB619_13 Depth=1
	s_or_b32 exec_lo, exec_lo, s6
	s_and_saveexec_b32 s6, s0
	s_cbranch_execnz .LBB619_56
.LBB619_39:                             ;   in Loop: Header=BB619_13 Depth=1
	s_or_b32 exec_lo, exec_lo, s6
	s_and_saveexec_b32 s6, s2
	s_cbranch_execz .LBB619_12
	s_branch .LBB619_57
.LBB619_40:                             ;   in Loop: Header=BB619_13 Depth=1
	s_mul_i32 s7, s15, s13
	s_mul_hi_u32 s31, s15, s12
	s_mul_i32 s30, s15, s12
	s_add_i32 s31, s31, s7
	s_or_b32 s7, s15, 1
	s_lshl_b64 s[30:31], s[30:31], 1
	s_delay_alu instid0(SALU_CYCLE_1) | instskip(SKIP_3) | instid1(SALU_CYCLE_1)
	v_add_co_u32 v1, vcc_lo, v5, s30
	v_add_co_ci_u32_e32 v2, vcc_lo, s31, v6, vcc_lo
	s_mul_i32 s30, s7, s13
	s_mul_hi_u32 s31, s7, s12
	s_add_i32 s31, s31, s30
	s_mul_i32 s30, s7, s12
	s_or_b32 s7, s15, 2
	s_lshl_b64 s[30:31], s[30:31], 1
	flat_load_b64 v[20:21], v[1:2]
	s_mul_i32 s42, s7, s13
	s_mul_hi_u32 s43, s7, s12
	v_add_co_u32 v1, vcc_lo, v5, s30
	v_add_co_ci_u32_e32 v2, vcc_lo, s31, v6, vcc_lo
	s_add_i32 s31, s43, s42
	s_or_b32 s42, s15, 3
	s_mul_i32 s30, s7, s12
	s_mul_i32 s7, s42, s13
	s_mul_hi_u32 s43, s42, s12
	s_lshl_b64 s[30:31], s[30:31], 1
	s_add_i32 s43, s43, s7
	s_mul_i32 s42, s42, s12
	v_add_co_u32 v3, vcc_lo, v5, s30
	v_add_co_ci_u32_e32 v4, vcc_lo, s31, v6, vcc_lo
	s_lshl_b64 s[30:31], s[42:43], 1
	s_clause 0x3
	flat_load_u16 v46, v[10:11]
	flat_load_u16 v47, v[12:13]
	;; [unrolled: 1-line block ×4, first 2 shown]
	s_waitcnt lgkmcnt(5)
	v_add_co_u32 v38, vcc_lo, v5, s30
	v_add_co_ci_u32_e32 v39, vcc_lo, s31, v6, vcc_lo
	s_clause 0x2
	flat_load_b64 v[40:41], v[1:2]
	flat_load_b64 v[42:43], v[3:4]
	;; [unrolled: 1-line block ×3, first 2 shown]
	s_waitcnt vmcnt(7) lgkmcnt(7)
	v_lshlrev_b32_e32 v38, 16, v20
	s_waitcnt vmcnt(2) lgkmcnt(2)
	v_lshlrev_b32_e32 v50, 16, v41
	;; [unrolled: 2-line block ×3, first 2 shown]
	v_and_b32_e32 v20, 0xffff0000, v20
	v_lshlrev_b32_e32 v4, 16, v49
	v_and_b32_e32 v49, 0xffff0000, v40
	v_and_b32_e32 v53, 0xffff0000, v41
	v_lshlrev_b32_e32 v3, 16, v48
	v_lshlrev_b32_e32 v2, 16, v47
	;; [unrolled: 1-line block ×4, first 2 shown]
	v_and_b32_e32 v43, 0xffff0000, v43
	s_waitcnt vmcnt(0) lgkmcnt(0)
	v_lshlrev_b32_e32 v52, 16, v45
	s_delay_alu instid0(VALU_DEP_3) | instskip(NEXT) | instid1(VALU_DEP_1)
	v_fma_f32 v40, v1, v39, 0
	v_fmac_f32_e32 v40, v2, v49
	v_fma_f32 v41, v1, v38, 0
	s_delay_alu instid0(VALU_DEP_1) | instskip(SKIP_2) | instid1(VALU_DEP_2)
	v_dual_fmac_f32 v40, v3, v50 :: v_dual_fmac_f32 v41, v2, v20
	v_lshlrev_b32_e32 v46, 16, v21
	v_and_b32_e32 v20, 0xffff0000, v45
	v_dual_fmac_f32 v40, v4, v53 :: v_dual_fmac_f32 v41, v3, v46
	v_lshlrev_b32_e32 v48, 16, v44
	v_and_b32_e32 v44, 0xffff0000, v44
	s_delay_alu instid0(VALU_DEP_2) | instskip(NEXT) | instid1(VALU_DEP_1)
	v_fma_f32 v38, v1, v48, 0
	v_dual_fmac_f32 v38, v2, v44 :: v_dual_and_b32 v21, 0xffff0000, v21
	v_lshlrev_b32_e32 v47, 16, v42
	s_delay_alu instid0(VALU_DEP_2) | instskip(NEXT) | instid1(VALU_DEP_3)
	v_dual_fmac_f32 v41, v4, v21 :: v_dual_and_b32 v42, 0xffff0000, v42
	v_fmac_f32_e32 v38, v3, v52
	s_delay_alu instid0(VALU_DEP_3) | instskip(NEXT) | instid1(VALU_DEP_1)
	v_fma_f32 v39, v1, v47, 0
	v_dual_fmac_f32 v38, v4, v20 :: v_dual_fmac_f32 v39, v2, v42
	s_delay_alu instid0(VALU_DEP_1) | instskip(NEXT) | instid1(VALU_DEP_1)
	v_fmac_f32_e32 v39, v3, v51
	v_fmac_f32_e32 v39, v4, v43
	s_and_not1_saveexec_b32 s42, s6
	s_cbranch_execz .LBB619_15
.LBB619_41:                             ;   in Loop: Header=BB619_13 Depth=1
	s_waitcnt lgkmcnt(0)
	v_dual_mov_b32 v38, 0 :: v_dual_mov_b32 v39, 0
	v_dual_mov_b32 v40, 0 :: v_dual_mov_b32 v41, 0
	s_and_saveexec_b32 s43, s4
	s_cbranch_execz .LBB619_48
; %bb.42:                               ;   in Loop: Header=BB619_13 Depth=1
	s_and_not1_b32 vcc_lo, exec_lo, s37
	s_cbranch_vccnz .LBB619_45
; %bb.43:                               ;   in Loop: Header=BB619_13 Depth=1
	v_dual_mov_b32 v21, v11 :: v_dual_mov_b32 v20, v10
	s_mov_b64 s[30:31], 0
	.p2align	6
.LBB619_44:                             ;   Parent Loop BB619_13 Depth=1
                                        ; =>  This Inner Loop Header: Depth=2
	flat_load_u16 v38, v[20:21]
	v_add_co_u32 v20, vcc_lo, v20, s22
	s_cmp_eq_u32 s30, 3
	v_add_co_ci_u32_e32 v21, vcc_lo, s23, v21, vcc_lo
	s_cselect_b32 vcc_lo, -1, 0
	s_cmp_eq_u32 s30, 2
	s_cselect_b32 s6, -1, 0
	s_cmp_eq_u32 s30, 1
	s_cselect_b32 s7, -1, 0
	s_cmp_eq_u32 s30, 0
	s_waitcnt vmcnt(0) lgkmcnt(0)
	v_lshlrev_b32_e32 v38, 16, v38
	s_delay_alu instid0(VALU_DEP_1)
	v_cndmask_b32_e32 v4, v4, v38, vcc_lo
	s_cselect_b32 vcc_lo, -1, 0
	v_cndmask_b32_e64 v3, v3, v38, s6
	v_cndmask_b32_e64 v2, v2, v38, s7
	v_cndmask_b32_e32 v1, v1, v38, vcc_lo
	s_add_u32 s30, s30, 1
	s_addc_u32 s31, s31, 0
	s_cmp_eq_u32 s11, s30
	s_cbranch_scc0 .LBB619_44
.LBB619_45:                             ;   in Loop: Header=BB619_13 Depth=1
	v_dual_mov_b32 v38, 0 :: v_dual_mov_b32 v39, 0
	v_dual_mov_b32 v40, 0 :: v_dual_mov_b32 v41, 0
	s_and_not1_b32 vcc_lo, exec_lo, s37
	s_cbranch_vccnz .LBB619_48
; %bb.46:                               ;   in Loop: Header=BB619_13 Depth=1
	v_dual_mov_b32 v21, v19 :: v_dual_mov_b32 v40, 0
	v_dual_mov_b32 v41, 0 :: v_dual_mov_b32 v20, v18
	;; [unrolled: 1-line block ×3, first 2 shown]
	s_mov_b64 s[30:31], 0
	s_set_inst_prefetch_distance 0x1
	.p2align	6
.LBB619_47:                             ;   Parent Loop BB619_13 Depth=1
                                        ; =>  This Inner Loop Header: Depth=2
	s_delay_alu instid0(VALU_DEP_2)
	v_add_co_u32 v42, vcc_lo, v20, s28
	v_add_co_ci_u32_e32 v43, vcc_lo, s29, v21, vcc_lo
	v_add_co_u32 v44, vcc_lo, v20, s26
	v_add_co_ci_u32_e32 v45, vcc_lo, s27, v21, vcc_lo
	;; [unrolled: 2-line block ×3, first 2 shown]
	s_clause 0x3
	flat_load_u16 v48, v[20:21]
	flat_load_u16 v42, v[42:43]
	;; [unrolled: 1-line block ×4, first 2 shown]
	s_cmp_eq_u32 s30, 1
	v_add_co_u32 v20, s6, v20, 2
	s_cselect_b32 vcc_lo, -1, 0
	s_cmp_eq_u32 s30, 2
	v_cndmask_b32_e32 v45, v1, v2, vcc_lo
	s_cselect_b32 vcc_lo, -1, 0
	s_cmp_eq_u32 s30, 3
	v_add_co_ci_u32_e64 v21, s6, 0, v21, s6
	s_waitcnt vmcnt(3) lgkmcnt(3)
	v_dual_cndmask_b32 v45, v45, v3 :: v_dual_lshlrev_b32 v46, 16, v48
	s_waitcnt vmcnt(2) lgkmcnt(2)
	v_lshlrev_b32_e32 v42, 16, v42
	s_cselect_b32 vcc_lo, -1, 0
	s_add_u32 s30, s30, 1
	s_addc_u32 s31, s31, 0
	v_cndmask_b32_e32 v45, v45, v4, vcc_lo
	s_waitcnt vmcnt(1) lgkmcnt(1)
	v_lshlrev_b32_e32 v43, 16, v43
	s_waitcnt vmcnt(0) lgkmcnt(0)
	v_lshlrev_b32_e32 v44, 16, v44
	s_cmp_lg_u32 s11, s30
	v_fmac_f32_e32 v41, v45, v46
	v_fmac_f32_e32 v40, v45, v42
	v_fmac_f32_e32 v39, v45, v43
	v_fmac_f32_e32 v38, v45, v44
	s_cbranch_scc1 .LBB619_47
.LBB619_48:                             ;   in Loop: Header=BB619_13 Depth=1
	s_set_inst_prefetch_distance 0x2
	s_or_b32 exec_lo, exec_lo, s43
	s_delay_alu instid0(SALU_CYCLE_1)
	s_or_b32 exec_lo, exec_lo, s42
	s_and_saveexec_b32 s6, s0
	s_cbranch_execnz .LBB619_16
	s_branch .LBB619_17
.LBB619_49:                             ;   in Loop: Header=BB619_13 Depth=1
	ds_load_b32 v20, v35
	s_or_b32 exec_lo, exec_lo, s6
	s_and_saveexec_b32 s6, s0
	s_cbranch_execz .LBB619_21
.LBB619_50:                             ;   in Loop: Header=BB619_13 Depth=1
	s_waitcnt lgkmcnt(0)
	ds_bpermute_b32 v21, v32, v20
	s_waitcnt lgkmcnt(0)
	v_add_f32_e32 v20, v20, v21
	ds_bpermute_b32 v21, v33, v20
	s_waitcnt lgkmcnt(0)
	v_add_f32_e32 v20, v20, v21
	;; [unrolled: 3-line block ×3, first 2 shown]
	s_or_b32 exec_lo, exec_lo, s6
	s_and_saveexec_b32 s6, s0
	s_cbranch_execnz .LBB619_22
	s_branch .LBB619_23
.LBB619_51:                             ;   in Loop: Header=BB619_13 Depth=1
	ds_load_b32 v21, v35
	s_or_b32 exec_lo, exec_lo, s6
	s_and_saveexec_b32 s6, s0
	s_cbranch_execz .LBB619_27
.LBB619_52:                             ;   in Loop: Header=BB619_13 Depth=1
	s_waitcnt lgkmcnt(0)
	ds_bpermute_b32 v40, v32, v21
	s_waitcnt lgkmcnt(0)
	v_add_f32_e32 v21, v21, v40
	ds_bpermute_b32 v40, v33, v21
	s_waitcnt lgkmcnt(0)
	v_add_f32_e32 v21, v21, v40
	;; [unrolled: 3-line block ×3, first 2 shown]
	s_or_b32 exec_lo, exec_lo, s6
	s_and_saveexec_b32 s6, s0
	s_cbranch_execnz .LBB619_28
	s_branch .LBB619_29
.LBB619_53:                             ;   in Loop: Header=BB619_13 Depth=1
	ds_load_b32 v39, v35
	s_or_b32 exec_lo, exec_lo, s6
	s_and_saveexec_b32 s6, s0
	s_cbranch_execz .LBB619_33
.LBB619_54:                             ;   in Loop: Header=BB619_13 Depth=1
	s_waitcnt lgkmcnt(0)
	ds_bpermute_b32 v40, v32, v39
	s_waitcnt lgkmcnt(0)
	v_add_f32_e32 v39, v39, v40
	ds_bpermute_b32 v40, v33, v39
	s_waitcnt lgkmcnt(0)
	v_add_f32_e32 v39, v39, v40
	;; [unrolled: 3-line block ×3, first 2 shown]
	s_or_b32 exec_lo, exec_lo, s6
	s_and_saveexec_b32 s6, s0
	s_cbranch_execnz .LBB619_34
	s_branch .LBB619_35
.LBB619_55:                             ;   in Loop: Header=BB619_13 Depth=1
	ds_load_b32 v38, v35
	s_or_b32 exec_lo, exec_lo, s6
	s_and_saveexec_b32 s6, s0
	s_cbranch_execz .LBB619_39
.LBB619_56:                             ;   in Loop: Header=BB619_13 Depth=1
	s_waitcnt lgkmcnt(0)
	ds_bpermute_b32 v40, v32, v38
	s_waitcnt lgkmcnt(0)
	v_add_f32_e32 v38, v38, v40
	ds_bpermute_b32 v40, v33, v38
	s_waitcnt lgkmcnt(0)
	v_add_f32_e32 v38, v38, v40
	;; [unrolled: 3-line block ×3, first 2 shown]
	s_or_b32 exec_lo, exec_lo, s6
	s_and_saveexec_b32 s6, s2
	s_cbranch_execz .LBB619_12
.LBB619_57:                             ;   in Loop: Header=BB619_13 Depth=1
	s_mul_hi_u32 s31, s15, s10
	s_mul_i32 s30, s15, s10
	v_dual_mul_f32 v20, s33, v20 :: v_dual_mul_f32 v21, s33, v21
	s_lshl_b64 s[30:31], s[30:31], 2
	s_waitcnt lgkmcnt(0)
	v_mul_f32_e32 v38, s33, v38
	s_add_u32 s30, s38, s30
	s_addc_u32 s31, s39, s31
	s_or_b32 s7, s15, 1
	global_store_b32 v37, v20, s[30:31]
	s_mul_hi_u32 s43, s7, s10
	s_mul_i32 s42, s7, s10
	v_mul_f32_e32 v20, s33, v39
	s_lshl_b64 s[42:43], s[42:43], 2
	s_delay_alu instid0(SALU_CYCLE_1)
	s_add_u32 s42, s38, s42
	s_addc_u32 s43, s39, s43
	s_or_b32 s7, s15, 2
	global_store_b32 v37, v21, s[42:43]
	s_mul_hi_u32 s45, s7, s10
	s_mul_i32 s44, s7, s10
	s_delay_alu instid0(SALU_CYCLE_1) | instskip(NEXT) | instid1(SALU_CYCLE_1)
	s_lshl_b64 s[44:45], s[44:45], 2
	s_add_u32 s30, s38, s44
	s_addc_u32 s31, s39, s45
	s_or_b32 s7, s15, 3
	s_delay_alu instid0(SALU_CYCLE_1) | instskip(SKIP_1) | instid1(SALU_CYCLE_1)
	s_mul_hi_u32 s45, s7, s10
	s_mul_i32 s44, s7, s10
	s_lshl_b64 s[44:45], s[44:45], 2
	s_delay_alu instid0(SALU_CYCLE_1)
	s_add_u32 s42, s38, s44
	s_addc_u32 s43, s39, s45
	s_clause 0x1
	global_store_b32 v37, v20, s[30:31]
	global_store_b32 v37, v38, s[42:43]
	s_branch .LBB619_12
.LBB619_58:
	s_mov_b32 s15, 0
                                        ; implicit-def: $vgpr1_vgpr2_vgpr3_vgpr4
.LBB619_59:
	s_delay_alu instid0(SALU_CYCLE_1)
	s_cmp_ge_i32 s15, s9
	s_cbranch_scc1 .LBB619_83
; %bb.60:
	v_cmp_gt_u32_e32 vcc_lo, 16, v27
	v_cmp_ge_i32_e64 s0, s8, v28
	v_cmp_ge_i32_e64 s1, s8, v29
	v_mad_i64_i32 v[16:17], null, s20, v22, 0
	v_cndmask_b32_e64 v10, 0, 1, vcc_lo
	v_cmp_gt_u32_e32 vcc_lo, 24, v27
	s_cmp_gt_i32 s11, 0
	s_mov_b32 s23, 0
	s_mov_b32 s22, s14
	v_lshlrev_b32_e32 v10, 4, v10
	v_cndmask_b32_e64 v11, 0, 1, vcc_lo
	v_cmp_gt_u32_e32 vcc_lo, 28, v27
	s_cselect_b32 s8, -1, 0
	s_lshl_b64 s[6:7], s[22:23], 2
	v_add_lshl_u32 v20, v10, v27, 2
	v_lshlrev_b32_e32 v11, 3, v11
	v_cndmask_b32_e64 v12, 0, 1, vcc_lo
	v_cmp_gt_u32_e32 vcc_lo, 30, v27
	s_add_u32 s14, s34, s6
	s_addc_u32 s22, s35, s7
	v_add_lshl_u32 v21, v11, v27, 2
	v_lshlrev_b32_e32 v12, 2, v12
	v_cndmask_b32_e64 v13, 0, 1, vcc_lo
	v_cmp_ne_u32_e32 vcc_lo, 31, v27
	v_mad_i64_i32 v[10:11], null, s20, v9, 0
	s_delay_alu instid0(VALU_DEP_4) | instskip(NEXT) | instid1(VALU_DEP_4)
	v_add_lshl_u32 v28, v12, v27, 2
	v_lshlrev_b32_e32 v13, 1, v13
	v_add_co_ci_u32_e32 v14, vcc_lo, 0, v27, vcc_lo
	s_mul_i32 s6, s13, s15
	s_mul_hi_u32 s7, s12, s15
	s_delay_alu instid0(VALU_DEP_2)
	v_add_lshl_u32 v27, v13, v27, 2
	v_mad_i64_i32 v[12:13], null, s20, v24, 0
	v_lshlrev_b32_e32 v29, 2, v14
	v_mad_i64_i32 v[14:15], null, s20, v23, 0
	v_lshlrev_b64 v[9:10], 1, v[10:11]
	s_add_i32 s7, s7, s6
	s_mul_i32 s6, s12, s15
	s_delay_alu instid0(VALU_DEP_4)
	v_lshlrev_b64 v[11:12], 1, v[12:13]
	s_lshl_b64 s[6:7], s[6:7], 1
	v_cmp_gt_u32_e64 s2, 32, v0
	v_add_co_u32 v9, vcc_lo, s18, v9
	v_lshlrev_b64 v[13:14], 1, v[14:15]
	v_add_co_ci_u32_e32 v10, vcc_lo, s19, v10, vcc_lo
	v_add_co_u32 v11, vcc_lo, s18, v11
	v_lshlrev_b64 v[15:16], 1, v[16:17]
	v_add_co_ci_u32_e32 v12, vcc_lo, s19, v12, vcc_lo
	v_add_co_u32 v13, vcc_lo, s18, v13
	v_add_co_ci_u32_e32 v14, vcc_lo, s19, v14, vcc_lo
	s_delay_alu instid0(VALU_DEP_4)
	v_add_co_u32 v15, vcc_lo, s18, v15
	v_add_co_ci_u32_e32 v16, vcc_lo, s19, v16, vcc_lo
	s_lshl_b64 s[18:19], s[20:21], 1
	s_add_u32 s6, s16, s6
	s_addc_u32 s7, s17, s7
	v_add_co_u32 v7, vcc_lo, s6, v7
	v_lshlrev_b32_e32 v19, 2, v25
	v_cmp_eq_u32_e64 s3, 0, v25
	v_and_b32_e32 v25, 28, v26
	v_cmp_gt_u32_e64 s4, 8, v0
	v_cmp_eq_u32_e64 s5, 0, v0
	v_mov_b32_e32 v0, 0
	v_add_co_ci_u32_e32 v8, vcc_lo, s7, v8, vcc_lo
	s_lshl_b64 s[16:17], s[12:13], 1
	s_branch .LBB619_62
.LBB619_61:                             ;   in Loop: Header=BB619_62 Depth=1
	s_or_b32 exec_lo, exec_lo, s6
	v_add_co_u32 v7, vcc_lo, v7, s16
	v_add_co_ci_u32_e32 v8, vcc_lo, s17, v8, vcc_lo
	s_add_i32 s15, s15, 1
	s_delay_alu instid0(SALU_CYCLE_1)
	s_cmp_ge_i32 s15, s9
	s_cbranch_scc1 .LBB619_83
.LBB619_62:                             ; =>This Loop Header: Depth=1
                                        ;     Child Loop BB619_75 Depth 2
                                        ;     Child Loop BB619_78 Depth 2
	v_mov_b32_e32 v22, s23
	s_and_saveexec_b32 s6, s0
	s_delay_alu instid0(SALU_CYCLE_1)
	s_xor_b32 s6, exec_lo, s6
	s_cbranch_execnz .LBB619_71
; %bb.63:                               ;   in Loop: Header=BB619_62 Depth=1
	s_and_not1_saveexec_b32 s24, s6
	s_cbranch_execnz .LBB619_72
.LBB619_64:                             ;   in Loop: Header=BB619_62 Depth=1
	s_or_b32 exec_lo, exec_lo, s24
	s_and_saveexec_b32 s6, s2
	s_cbranch_execz .LBB619_66
.LBB619_65:                             ;   in Loop: Header=BB619_62 Depth=1
	ds_store_b32 v19, v0
.LBB619_66:                             ;   in Loop: Header=BB619_62 Depth=1
	s_or_b32 exec_lo, exec_lo, s6
	s_waitcnt lgkmcnt(0)
	ds_bpermute_b32 v17, v20, v22
	s_waitcnt lgkmcnt(0)
	s_waitcnt_vscnt null, 0x0
	s_barrier
	buffer_gl0_inv
	v_add_f32_e32 v17, v22, v17
	ds_bpermute_b32 v18, v21, v17
	s_waitcnt lgkmcnt(0)
	v_add_f32_e32 v17, v17, v18
	ds_bpermute_b32 v18, v28, v17
	s_waitcnt lgkmcnt(0)
	;; [unrolled: 3-line block ×3, first 2 shown]
	v_add_f32_e32 v17, v17, v18
	ds_bpermute_b32 v18, v29, v17
	s_and_saveexec_b32 s6, s3
	s_cbranch_execz .LBB619_68
; %bb.67:                               ;   in Loop: Header=BB619_62 Depth=1
	s_waitcnt lgkmcnt(0)
	v_add_f32_e32 v17, v17, v18
	ds_store_b32 v25, v17
.LBB619_68:                             ;   in Loop: Header=BB619_62 Depth=1
	s_or_b32 exec_lo, exec_lo, s6
	v_mov_b32_e32 v17, 0
	s_waitcnt lgkmcnt(0)
	s_barrier
	buffer_gl0_inv
	s_and_saveexec_b32 s6, s4
	s_cbranch_execnz .LBB619_80
; %bb.69:                               ;   in Loop: Header=BB619_62 Depth=1
	s_or_b32 exec_lo, exec_lo, s6
	s_and_saveexec_b32 s6, s2
	s_cbranch_execnz .LBB619_81
.LBB619_70:                             ;   in Loop: Header=BB619_62 Depth=1
	s_or_b32 exec_lo, exec_lo, s6
	s_and_saveexec_b32 s6, s5
	s_cbranch_execz .LBB619_61
	s_branch .LBB619_82
.LBB619_71:                             ;   in Loop: Header=BB619_62 Depth=1
	s_mul_i32 s7, s15, s13
	s_mul_hi_u32 s21, s15, s12
	s_mul_i32 s20, s15, s12
	s_add_i32 s21, s21, s7
	s_delay_alu instid0(SALU_CYCLE_1) | instskip(NEXT) | instid1(SALU_CYCLE_1)
	s_lshl_b64 s[20:21], s[20:21], 1
	v_add_co_u32 v1, vcc_lo, v5, s20
	v_add_co_ci_u32_e32 v2, vcc_lo, s21, v6, vcc_lo
	flat_load_u16 v3, v[9:10]
	s_waitcnt lgkmcnt(1)
	flat_load_b64 v[17:18], v[1:2]
	s_clause 0x2
	flat_load_u16 v2, v[11:12]
	flat_load_u16 v4, v[13:14]
	;; [unrolled: 1-line block ×3, first 2 shown]
	s_waitcnt vmcnt(2) lgkmcnt(2)
	v_lshlrev_b32_e32 v2, 16, v2
	v_lshlrev_b32_e32 v1, 16, v3
	;; [unrolled: 1-line block ×3, first 2 shown]
	v_and_b32_e32 v17, 0xffff0000, v17
	s_delay_alu instid0(VALU_DEP_2)
	v_fma_f32 v22, v1, v3, 0
	s_waitcnt vmcnt(1) lgkmcnt(1)
	v_lshlrev_b32_e32 v3, 16, v4
	s_waitcnt vmcnt(0) lgkmcnt(0)
	v_lshlrev_b32_e32 v4, 16, v23
	v_dual_fmac_f32 v22, v2, v17 :: v_dual_lshlrev_b32 v17, 16, v18
	v_and_b32_e32 v18, 0xffff0000, v18
	s_delay_alu instid0(VALU_DEP_2) | instskip(NEXT) | instid1(VALU_DEP_1)
	v_fmac_f32_e32 v22, v3, v17
	v_fmac_f32_e32 v22, v4, v18
	s_and_not1_saveexec_b32 s24, s6
	s_cbranch_execz .LBB619_64
.LBB619_72:                             ;   in Loop: Header=BB619_62 Depth=1
	s_and_saveexec_b32 s25, s1
	s_cbranch_execz .LBB619_79
; %bb.73:                               ;   in Loop: Header=BB619_62 Depth=1
	s_and_not1_b32 vcc_lo, exec_lo, s8
	s_cbranch_vccnz .LBB619_76
; %bb.74:                               ;   in Loop: Header=BB619_62 Depth=1
	s_waitcnt lgkmcnt(0)
	v_dual_mov_b32 v18, v10 :: v_dual_mov_b32 v17, v9
	s_mov_b64 s[20:21], 0
	.p2align	6
.LBB619_75:                             ;   Parent Loop BB619_62 Depth=1
                                        ; =>  This Inner Loop Header: Depth=2
	flat_load_u16 v23, v[17:18]
	v_add_co_u32 v17, vcc_lo, v17, s18
	s_cmp_eq_u32 s20, 3
	v_add_co_ci_u32_e32 v18, vcc_lo, s19, v18, vcc_lo
	s_cselect_b32 vcc_lo, -1, 0
	s_cmp_eq_u32 s20, 2
	s_cselect_b32 s6, -1, 0
	s_cmp_eq_u32 s20, 1
	s_cselect_b32 s7, -1, 0
	s_cmp_eq_u32 s20, 0
	s_waitcnt vmcnt(0) lgkmcnt(0)
	v_lshlrev_b32_e32 v23, 16, v23
	s_delay_alu instid0(VALU_DEP_1)
	v_cndmask_b32_e32 v4, v4, v23, vcc_lo
	s_cselect_b32 vcc_lo, -1, 0
	v_cndmask_b32_e64 v3, v3, v23, s6
	v_cndmask_b32_e64 v2, v2, v23, s7
	v_cndmask_b32_e32 v1, v1, v23, vcc_lo
	s_add_u32 s20, s20, 1
	s_addc_u32 s21, s21, 0
	s_cmp_eq_u32 s11, s20
	s_cbranch_scc0 .LBB619_75
.LBB619_76:                             ;   in Loop: Header=BB619_62 Depth=1
	s_and_not1_b32 vcc_lo, exec_lo, s8
	s_cbranch_vccnz .LBB619_79
; %bb.77:                               ;   in Loop: Header=BB619_62 Depth=1
	s_waitcnt lgkmcnt(0)
	v_dual_mov_b32 v18, v8 :: v_dual_mov_b32 v17, v7
	s_mov_b64 s[6:7], 0
	.p2align	6
.LBB619_78:                             ;   Parent Loop BB619_62 Depth=1
                                        ; =>  This Inner Loop Header: Depth=2
	flat_load_u16 v23, v[17:18]
	s_cmp_eq_u32 s6, 1
	s_cselect_b32 vcc_lo, -1, 0
	s_cmp_eq_u32 s6, 2
	v_cndmask_b32_e32 v24, v1, v2, vcc_lo
	s_cselect_b32 vcc_lo, -1, 0
	s_cmp_eq_u32 s6, 3
	s_waitcnt vmcnt(0) lgkmcnt(0)
	v_lshlrev_b32_e32 v23, 16, v23
	v_cndmask_b32_e32 v24, v24, v3, vcc_lo
	s_cselect_b32 vcc_lo, -1, 0
	s_add_u32 s6, s6, 1
	s_addc_u32 s7, s7, 0
	s_cmp_lg_u32 s11, s6
	v_cndmask_b32_e32 v24, v24, v4, vcc_lo
	v_add_co_u32 v17, vcc_lo, v17, 2
	v_add_co_ci_u32_e32 v18, vcc_lo, 0, v18, vcc_lo
	s_delay_alu instid0(VALU_DEP_3)
	v_fmac_f32_e32 v22, v24, v23
	s_cbranch_scc1 .LBB619_78
.LBB619_79:                             ;   in Loop: Header=BB619_62 Depth=1
	s_or_b32 exec_lo, exec_lo, s25
	s_delay_alu instid0(SALU_CYCLE_1)
	s_or_b32 exec_lo, exec_lo, s24
	s_and_saveexec_b32 s6, s2
	s_cbranch_execnz .LBB619_65
	s_branch .LBB619_66
.LBB619_80:                             ;   in Loop: Header=BB619_62 Depth=1
	ds_load_b32 v17, v19
	s_or_b32 exec_lo, exec_lo, s6
	s_and_saveexec_b32 s6, s2
	s_cbranch_execz .LBB619_70
.LBB619_81:                             ;   in Loop: Header=BB619_62 Depth=1
	s_waitcnt lgkmcnt(0)
	ds_bpermute_b32 v18, v28, v17
	s_waitcnt lgkmcnt(0)
	v_add_f32_e32 v17, v17, v18
	ds_bpermute_b32 v18, v27, v17
	s_waitcnt lgkmcnt(0)
	v_add_f32_e32 v17, v17, v18
	;; [unrolled: 3-line block ×3, first 2 shown]
	s_or_b32 exec_lo, exec_lo, s6
	s_and_saveexec_b32 s6, s5
	s_cbranch_execz .LBB619_61
.LBB619_82:                             ;   in Loop: Header=BB619_62 Depth=1
	s_mul_hi_u32 s21, s15, s10
	s_mul_i32 s20, s15, s10
	s_waitcnt lgkmcnt(0)
	v_mul_f32_e32 v17, s33, v17
	s_lshl_b64 s[20:21], s[20:21], 2
	s_delay_alu instid0(SALU_CYCLE_1)
	s_add_u32 s20, s14, s20
	s_addc_u32 s21, s22, s21
	global_store_b32 v0, v17, s[20:21]
	s_branch .LBB619_61
.LBB619_83:
	s_nop 0
	s_sendmsg sendmsg(MSG_DEALLOC_VGPRS)
	s_endpgm
	.section	.rodata,"a",@progbits
	.p2align	6, 0x0
	.amdhsa_kernel _ZL23rocblas_gemvt_sn_kernelILb1ELi256ELi4ElPK16rocblas_bfloat16PKffEviiT4_lPKT3_lilS8_lilPT5_i
		.amdhsa_group_segment_fixed_size 128
		.amdhsa_private_segment_fixed_size 0
		.amdhsa_kernarg_size 360
		.amdhsa_user_sgpr_count 14
		.amdhsa_user_sgpr_dispatch_ptr 0
		.amdhsa_user_sgpr_queue_ptr 0
		.amdhsa_user_sgpr_kernarg_segment_ptr 1
		.amdhsa_user_sgpr_dispatch_id 0
		.amdhsa_user_sgpr_private_segment_size 0
		.amdhsa_wavefront_size32 1
		.amdhsa_uses_dynamic_stack 0
		.amdhsa_enable_private_segment 0
		.amdhsa_system_sgpr_workgroup_id_x 1
		.amdhsa_system_sgpr_workgroup_id_y 0
		.amdhsa_system_sgpr_workgroup_id_z 1
		.amdhsa_system_sgpr_workgroup_info 0
		.amdhsa_system_vgpr_workitem_id 0
		.amdhsa_next_free_vgpr 54
		.amdhsa_next_free_sgpr 46
		.amdhsa_reserve_vcc 1
		.amdhsa_float_round_mode_32 0
		.amdhsa_float_round_mode_16_64 0
		.amdhsa_float_denorm_mode_32 3
		.amdhsa_float_denorm_mode_16_64 3
		.amdhsa_dx10_clamp 1
		.amdhsa_ieee_mode 1
		.amdhsa_fp16_overflow 0
		.amdhsa_workgroup_processor_mode 1
		.amdhsa_memory_ordered 1
		.amdhsa_forward_progress 0
		.amdhsa_shared_vgpr_count 0
		.amdhsa_exception_fp_ieee_invalid_op 0
		.amdhsa_exception_fp_denorm_src 0
		.amdhsa_exception_fp_ieee_div_zero 0
		.amdhsa_exception_fp_ieee_overflow 0
		.amdhsa_exception_fp_ieee_underflow 0
		.amdhsa_exception_fp_ieee_inexact 0
		.amdhsa_exception_int_div_zero 0
	.end_amdhsa_kernel
	.section	.text._ZL23rocblas_gemvt_sn_kernelILb1ELi256ELi4ElPK16rocblas_bfloat16PKffEviiT4_lPKT3_lilS8_lilPT5_i,"axG",@progbits,_ZL23rocblas_gemvt_sn_kernelILb1ELi256ELi4ElPK16rocblas_bfloat16PKffEviiT4_lPKT3_lilS8_lilPT5_i,comdat
.Lfunc_end619:
	.size	_ZL23rocblas_gemvt_sn_kernelILb1ELi256ELi4ElPK16rocblas_bfloat16PKffEviiT4_lPKT3_lilS8_lilPT5_i, .Lfunc_end619-_ZL23rocblas_gemvt_sn_kernelILb1ELi256ELi4ElPK16rocblas_bfloat16PKffEviiT4_lPKT3_lilS8_lilPT5_i
                                        ; -- End function
	.section	.AMDGPU.csdata,"",@progbits
; Kernel info:
; codeLenInByte = 4336
; NumSgprs: 48
; NumVgprs: 54
; ScratchSize: 0
; MemoryBound: 0
; FloatMode: 240
; IeeeMode: 1
; LDSByteSize: 128 bytes/workgroup (compile time only)
; SGPRBlocks: 5
; VGPRBlocks: 6
; NumSGPRsForWavesPerEU: 48
; NumVGPRsForWavesPerEU: 54
; Occupancy: 16
; WaveLimiterHint : 0
; COMPUTE_PGM_RSRC2:SCRATCH_EN: 0
; COMPUTE_PGM_RSRC2:USER_SGPR: 14
; COMPUTE_PGM_RSRC2:TRAP_HANDLER: 0
; COMPUTE_PGM_RSRC2:TGID_X_EN: 1
; COMPUTE_PGM_RSRC2:TGID_Y_EN: 0
; COMPUTE_PGM_RSRC2:TGID_Z_EN: 1
; COMPUTE_PGM_RSRC2:TIDIG_COMP_CNT: 0
	.section	.text._ZL23rocblas_gemvt_sn_kernelILb1ELi256ELi4EiPK16rocblas_bfloat16ffEviiT4_lPKT3_lilS6_lilPT5_i,"axG",@progbits,_ZL23rocblas_gemvt_sn_kernelILb1ELi256ELi4EiPK16rocblas_bfloat16ffEviiT4_lPKT3_lilS6_lilPT5_i,comdat
	.globl	_ZL23rocblas_gemvt_sn_kernelILb1ELi256ELi4EiPK16rocblas_bfloat16ffEviiT4_lPKT3_lilS6_lilPT5_i ; -- Begin function _ZL23rocblas_gemvt_sn_kernelILb1ELi256ELi4EiPK16rocblas_bfloat16ffEviiT4_lPKT3_lilS6_lilPT5_i
	.p2align	8
	.type	_ZL23rocblas_gemvt_sn_kernelILb1ELi256ELi4EiPK16rocblas_bfloat16ffEviiT4_lPKT3_lilS6_lilPT5_i,@function
_ZL23rocblas_gemvt_sn_kernelILb1ELi256ELi4EiPK16rocblas_bfloat16ffEviiT4_lPKT3_lilS6_lilPT5_i: ; @_ZL23rocblas_gemvt_sn_kernelILb1ELi256ELi4EiPK16rocblas_bfloat16ffEviiT4_lPKT3_lilS6_lilPT5_i
; %bb.0:
	s_load_b128 s[8:11], s[0:1], 0x0
	s_mov_b32 s4, s15
	s_mov_b32 s5, 0
	s_waitcnt lgkmcnt(0)
	v_cmp_neq_f32_e64 s7, s10, 0
	v_cmp_eq_f32_e64 s6, s10, 0
	s_delay_alu instid0(VALU_DEP_2)
	s_and_b32 vcc_lo, exec_lo, s7
	s_cbranch_vccnz .LBB620_2
; %bb.1:
	s_mov_b64 s[2:3], 0
	s_and_not1_b32 vcc_lo, exec_lo, s5
	s_cbranch_vccz .LBB620_3
	s_branch .LBB620_4
.LBB620_2:
	s_mov_b32 s5, -1
                                        ; implicit-def: $sgpr2_sgpr3
.LBB620_3:
	s_load_b128 s[16:19], s[0:1], 0x18
	s_mov_b32 s5, 0
	s_delay_alu instid0(SALU_CYCLE_1)
	s_lshl_b64 s[2:3], s[4:5], 3
	s_waitcnt lgkmcnt(0)
	s_add_u32 s2, s16, s2
	s_addc_u32 s3, s17, s3
	s_lshl_b64 s[12:13], s[18:19], 1
	s_load_b64 s[2:3], s[2:3], 0x0
	s_waitcnt lgkmcnt(0)
	s_add_u32 s2, s2, s12
	s_addc_u32 s3, s3, s13
.LBB620_4:
	s_and_not1_b32 vcc_lo, exec_lo, s7
	s_cbranch_vccnz .LBB620_6
; %bb.5:
	s_load_b128 s[16:19], s[0:1], 0x38
	s_lshl_b64 s[12:13], s[4:5], 3
	s_waitcnt lgkmcnt(0)
	s_add_u32 s12, s16, s12
	s_addc_u32 s13, s17, s13
	s_lshl_b64 s[16:17], s[18:19], 1
	s_load_b64 s[12:13], s[12:13], 0x0
	s_waitcnt lgkmcnt(0)
	s_add_u32 s12, s12, s16
	s_addc_u32 s13, s13, s17
	s_branch .LBB620_7
.LBB620_6:
	s_mov_b64 s[12:13], 0
.LBB620_7:
	s_clause 0x1
	s_load_b32 s16, s[0:1], 0x68
	s_load_b64 s[20:21], s[0:1], 0x58
	s_ashr_i32 s19, s9, 31
	s_mul_hi_u32 s7, s4, s9
	s_mul_i32 s11, s4, s19
	s_mul_i32 s5, s5, s9
	s_add_i32 s7, s7, s11
	s_mul_i32 s4, s4, s9
	s_add_i32 s5, s7, s5
	s_mov_b32 s17, 0
	s_waitcnt lgkmcnt(0)
	s_mul_i32 s5, s5, s16
	s_mul_hi_u32 s7, s4, s16
	s_mul_i32 s4, s4, s16
	s_add_i32 s5, s7, s5
	s_delay_alu instid0(SALU_CYCLE_1) | instskip(NEXT) | instid1(SALU_CYCLE_1)
	s_lshl_b64 s[4:5], s[4:5], 2
	s_add_u32 s30, s20, s4
	s_addc_u32 s31, s21, s5
	s_and_not1_b32 vcc_lo, exec_lo, s6
	s_mov_b32 s4, -1
	s_cbranch_vccnz .LBB620_12
; %bb.8:
	v_cmp_eq_u32_e32 vcc_lo, 0, v0
	s_cmp_gt_i32 s9, 0
	s_cselect_b32 s4, -1, 0
	s_delay_alu instid0(SALU_CYCLE_1) | instskip(NEXT) | instid1(SALU_CYCLE_1)
	s_and_b32 s4, vcc_lo, s4
	s_and_saveexec_b32 s11, s4
	s_cbranch_execz .LBB620_11
; %bb.9:
	s_mov_b32 s15, 0
	v_mov_b32_e32 v1, 0
	s_lshl_b64 s[4:5], s[14:15], 2
	s_mov_b32 s15, s9
	s_add_u32 s4, s30, s4
	s_addc_u32 s5, s31, s5
	s_lshl_b64 s[6:7], s[16:17], 2
.LBB620_10:                             ; =>This Inner Loop Header: Depth=1
	s_add_i32 s15, s15, -1
	global_store_b32 v1, v1, s[4:5]
	s_add_u32 s4, s4, s6
	s_addc_u32 s5, s5, s7
	s_cmp_eq_u32 s15, 0
	s_cbranch_scc0 .LBB620_10
.LBB620_11:
	s_or_b32 exec_lo, exec_lo, s11
	s_mov_b32 s4, 0
.LBB620_12:
	s_delay_alu instid0(SALU_CYCLE_1)
	s_and_not1_b32 vcc_lo, exec_lo, s4
	s_cbranch_vccnz .LBB620_86
; %bb.13:
	s_clause 0x1
	s_load_b32 s18, s[0:1], 0x28
	s_load_b32 s11, s[0:1], 0x48
	s_lshl_b32 s4, s14, 10
	s_ashr_i32 s0, s8, 31
	v_lshl_or_b32 v1, v0, 2, s4
	s_lshr_b32 s0, s0, 30
	s_lshr_b32 s1, s19, 30
	s_add_i32 s0, s8, s0
	s_add_i32 s1, s9, s1
	v_ashrrev_i32_e32 v2, 31, v1
	s_and_b32 s0, s0, -4
	s_and_b32 s15, s1, -4
	s_sub_i32 s17, s8, s0
	v_add_nc_u32_e32 v22, 4, v1
	v_lshlrev_b64 v[2:3], 1, v[1:2]
	v_add_nc_u32_e32 v23, s17, v1
	v_and_b32_e32 v19, 31, v0
	v_cmp_gt_u32_e64 s0, 32, v0
	v_mbcnt_lo_u32_b32 v21, -1, 0
	v_cmp_gt_u32_e64 s1, 8, v0
	v_add_co_u32 v17, vcc_lo, s2, v2
	s_waitcnt lgkmcnt(0)
	v_mul_lo_u32 v5, v1, s11
	v_add_co_ci_u32_e32 v18, vcc_lo, s3, v3, vcc_lo
	v_lshrrev_b32_e32 v20, 3, v0
	v_cmp_eq_u32_e64 s2, 0, v0
	s_cmp_lt_i32 s15, 1
	s_cbranch_scc1 .LBB620_61
; %bb.14:
	v_cmp_gt_u32_e32 vcc_lo, 16, v21
	v_mul_lo_u32 v6, v1, s11
	s_mov_b32 s21, 0
	s_cmp_gt_i32 s17, 0
	v_cmp_ge_i32_e64 s3, s8, v22
	v_cndmask_b32_e64 v2, 0, 1, vcc_lo
	v_cmp_gt_u32_e32 vcc_lo, 24, v21
	v_cmp_ge_i32_e64 s4, s8, v23
	v_cmp_eq_u32_e64 s5, 0, v19
	v_lshlrev_b32_e32 v29, 2, v19
	v_dual_mov_b32 v31, 0 :: v_dual_lshlrev_b32 v2, 4, v2
	v_cndmask_b32_e64 v3, 0, 1, vcc_lo
	v_cmp_gt_u32_e32 vcc_lo, 28, v21
	v_and_b32_e32 v30, 28, v20
	s_delay_alu instid0(VALU_DEP_4)
	v_add_lshl_u32 v24, v2, v21, 2
	s_mov_b32 s19, s21
	v_lshlrev_b32_e32 v2, 3, v3
	v_cndmask_b32_e64 v4, 0, 1, vcc_lo
	v_cmp_gt_u32_e32 vcc_lo, 30, v21
	s_cselect_b32 s33, -1, 0
	s_lshl_b32 s20, s18, 1
	v_add_lshl_u32 v25, v2, v21, 2
	v_lshlrev_b32_e32 v1, 2, v4
	v_cndmask_b32_e64 v7, 0, 1, vcc_lo
	v_cmp_ne_u32_e32 vcc_lo, 31, v21
	s_lshl_b32 s34, s18, 2
	s_mul_i32 s35, s18, 3
	v_add_lshl_u32 v26, v1, v21, 2
	v_lshlrev_b32_e32 v3, 1, v7
	v_add_nc_u32_e32 v1, s11, v6
	v_ashrrev_i32_e32 v7, 31, v6
	v_add_co_ci_u32_e32 v4, vcc_lo, 0, v21, vcc_lo
	s_delay_alu instid0(VALU_DEP_4) | instskip(NEXT) | instid1(VALU_DEP_4)
	v_add_lshl_u32 v27, v3, v21, 2
	v_add_nc_u32_e32 v3, s11, v1
	v_ashrrev_i32_e32 v2, 31, v1
	v_lshlrev_b64 v[7:8], 1, v[6:7]
	v_lshlrev_b32_e32 v28, 2, v4
	s_mov_b32 s36, s21
	v_add_nc_u32_e32 v11, s11, v3
	v_lshlrev_b64 v[1:2], 1, v[1:2]
	v_ashrrev_i32_e32 v4, 31, v3
	v_add_co_u32 v7, vcc_lo, s12, v7
	s_delay_alu instid0(VALU_DEP_4) | instskip(SKIP_1) | instid1(VALU_DEP_4)
	v_ashrrev_i32_e32 v12, 31, v11
	v_add_co_ci_u32_e32 v8, vcc_lo, s13, v8, vcc_lo
	v_lshlrev_b64 v[3:4], 1, v[3:4]
	v_add_co_u32 v9, vcc_lo, s12, v1
	v_add_co_ci_u32_e32 v10, vcc_lo, s13, v2, vcc_lo
	v_lshlrev_b64 v[1:2], 1, v[11:12]
	s_delay_alu instid0(VALU_DEP_4) | instskip(SKIP_2) | instid1(VALU_DEP_3)
	v_add_co_u32 v11, vcc_lo, s12, v3
	v_add_co_ci_u32_e32 v12, vcc_lo, s13, v4, vcc_lo
	s_mov_b32 s22, s21
	v_add_co_u32 v13, vcc_lo, s12, v1
	s_delay_alu instid0(VALU_DEP_4)
	v_add_co_ci_u32_e32 v14, vcc_lo, s13, v2, vcc_lo
	s_mov_b64 s[24:25], s[20:21]
	s_mov_b64 s[26:27], s[18:19]
	s_mov_b32 s19, 0
                                        ; implicit-def: $vgpr1_vgpr2_vgpr3_vgpr4
	s_branch .LBB620_16
.LBB620_15:                             ;   in Loop: Header=BB620_16 Depth=1
	s_or_b32 exec_lo, exec_lo, s6
	s_add_i32 s19, s19, 4
	s_add_u32 s26, s26, s34
	s_addc_u32 s27, s27, 0
	s_add_u32 s24, s24, s34
	s_addc_u32 s25, s25, 0
	;; [unrolled: 2-line block ×3, first 2 shown]
	s_add_i32 s22, s22, s34
	s_cmp_ge_i32 s19, s15
	s_cbranch_scc1 .LBB620_62
.LBB620_16:                             ; =>This Loop Header: Depth=1
                                        ;     Child Loop BB620_47 Depth 2
                                        ;     Child Loop BB620_50 Depth 2
                                        ; implicit-def: $vgpr32
                                        ; implicit-def: $vgpr33
                                        ; implicit-def: $vgpr34
                                        ; implicit-def: $vgpr35
	s_and_saveexec_b32 s6, s3
	s_delay_alu instid0(SALU_CYCLE_1)
	s_xor_b32 s6, exec_lo, s6
	s_cbranch_execnz .LBB620_43
; %bb.17:                               ;   in Loop: Header=BB620_16 Depth=1
	s_and_not1_saveexec_b32 s20, s6
	s_cbranch_execnz .LBB620_44
.LBB620_18:                             ;   in Loop: Header=BB620_16 Depth=1
	s_or_b32 exec_lo, exec_lo, s20
	s_and_saveexec_b32 s6, s0
	s_cbranch_execz .LBB620_20
.LBB620_19:                             ;   in Loop: Header=BB620_16 Depth=1
	ds_store_b32 v29, v31
.LBB620_20:                             ;   in Loop: Header=BB620_16 Depth=1
	s_or_b32 exec_lo, exec_lo, s6
	ds_bpermute_b32 v15, v24, v35
	s_waitcnt lgkmcnt(0)
	s_waitcnt_vscnt null, 0x0
	s_barrier
	buffer_gl0_inv
	v_add_f32_e32 v15, v35, v15
	ds_bpermute_b32 v16, v25, v15
	s_waitcnt lgkmcnt(0)
	v_add_f32_e32 v15, v15, v16
	ds_bpermute_b32 v16, v26, v15
	s_waitcnt lgkmcnt(0)
	;; [unrolled: 3-line block ×3, first 2 shown]
	v_add_f32_e32 v15, v15, v16
	ds_bpermute_b32 v16, v28, v15
	s_and_saveexec_b32 s6, s5
	s_cbranch_execz .LBB620_22
; %bb.21:                               ;   in Loop: Header=BB620_16 Depth=1
	s_waitcnt lgkmcnt(0)
	v_add_f32_e32 v15, v15, v16
	ds_store_b32 v30, v15
.LBB620_22:                             ;   in Loop: Header=BB620_16 Depth=1
	s_or_b32 exec_lo, exec_lo, s6
	v_mov_b32_e32 v15, 0
	s_waitcnt lgkmcnt(0)
	s_barrier
	buffer_gl0_inv
	s_and_saveexec_b32 s6, s1
	s_cbranch_execnz .LBB620_52
; %bb.23:                               ;   in Loop: Header=BB620_16 Depth=1
	s_or_b32 exec_lo, exec_lo, s6
	s_and_saveexec_b32 s6, s0
	s_cbranch_execnz .LBB620_53
.LBB620_24:                             ;   in Loop: Header=BB620_16 Depth=1
	s_or_b32 exec_lo, exec_lo, s6
	s_and_saveexec_b32 s6, s0
	s_cbranch_execz .LBB620_26
.LBB620_25:                             ;   in Loop: Header=BB620_16 Depth=1
	ds_store_b32 v29, v31
.LBB620_26:                             ;   in Loop: Header=BB620_16 Depth=1
	s_or_b32 exec_lo, exec_lo, s6
	ds_bpermute_b32 v16, v24, v34
	s_waitcnt lgkmcnt(0)
	s_barrier
	buffer_gl0_inv
	v_add_f32_e32 v16, v34, v16
	ds_bpermute_b32 v34, v25, v16
	s_waitcnt lgkmcnt(0)
	v_add_f32_e32 v16, v16, v34
	ds_bpermute_b32 v34, v26, v16
	s_waitcnt lgkmcnt(0)
	;; [unrolled: 3-line block ×3, first 2 shown]
	v_add_f32_e32 v16, v16, v34
	ds_bpermute_b32 v34, v28, v16
	s_and_saveexec_b32 s6, s5
	s_cbranch_execz .LBB620_28
; %bb.27:                               ;   in Loop: Header=BB620_16 Depth=1
	s_waitcnt lgkmcnt(0)
	v_add_f32_e32 v16, v16, v34
	ds_store_b32 v30, v16
.LBB620_28:                             ;   in Loop: Header=BB620_16 Depth=1
	s_or_b32 exec_lo, exec_lo, s6
	v_mov_b32_e32 v16, 0
	s_waitcnt lgkmcnt(0)
	s_barrier
	buffer_gl0_inv
	s_and_saveexec_b32 s6, s1
	s_cbranch_execnz .LBB620_54
; %bb.29:                               ;   in Loop: Header=BB620_16 Depth=1
	s_or_b32 exec_lo, exec_lo, s6
	s_and_saveexec_b32 s6, s0
	s_cbranch_execnz .LBB620_55
.LBB620_30:                             ;   in Loop: Header=BB620_16 Depth=1
	s_or_b32 exec_lo, exec_lo, s6
	s_and_saveexec_b32 s6, s0
	s_cbranch_execz .LBB620_32
.LBB620_31:                             ;   in Loop: Header=BB620_16 Depth=1
	ds_store_b32 v29, v31
.LBB620_32:                             ;   in Loop: Header=BB620_16 Depth=1
	s_or_b32 exec_lo, exec_lo, s6
	ds_bpermute_b32 v34, v24, v33
	s_waitcnt lgkmcnt(0)
	s_barrier
	buffer_gl0_inv
	v_add_f32_e32 v33, v33, v34
	ds_bpermute_b32 v34, v25, v33
	s_waitcnt lgkmcnt(0)
	v_add_f32_e32 v33, v33, v34
	ds_bpermute_b32 v34, v26, v33
	s_waitcnt lgkmcnt(0)
	;; [unrolled: 3-line block ×3, first 2 shown]
	v_add_f32_e32 v33, v33, v34
	ds_bpermute_b32 v34, v28, v33
	s_and_saveexec_b32 s6, s5
	s_cbranch_execz .LBB620_34
; %bb.33:                               ;   in Loop: Header=BB620_16 Depth=1
	s_waitcnt lgkmcnt(0)
	v_add_f32_e32 v33, v33, v34
	ds_store_b32 v30, v33
.LBB620_34:                             ;   in Loop: Header=BB620_16 Depth=1
	s_or_b32 exec_lo, exec_lo, s6
	v_mov_b32_e32 v33, 0
	s_waitcnt lgkmcnt(0)
	s_barrier
	buffer_gl0_inv
	s_and_saveexec_b32 s6, s1
	s_cbranch_execnz .LBB620_56
; %bb.35:                               ;   in Loop: Header=BB620_16 Depth=1
	s_or_b32 exec_lo, exec_lo, s6
	s_and_saveexec_b32 s6, s0
	s_cbranch_execnz .LBB620_57
.LBB620_36:                             ;   in Loop: Header=BB620_16 Depth=1
	s_or_b32 exec_lo, exec_lo, s6
	s_and_saveexec_b32 s6, s0
	s_cbranch_execz .LBB620_38
.LBB620_37:                             ;   in Loop: Header=BB620_16 Depth=1
	ds_store_b32 v29, v31
.LBB620_38:                             ;   in Loop: Header=BB620_16 Depth=1
	s_or_b32 exec_lo, exec_lo, s6
	ds_bpermute_b32 v34, v24, v32
	s_waitcnt lgkmcnt(0)
	s_barrier
	buffer_gl0_inv
	v_add_f32_e32 v32, v32, v34
	ds_bpermute_b32 v34, v25, v32
	s_waitcnt lgkmcnt(0)
	v_add_f32_e32 v32, v32, v34
	ds_bpermute_b32 v34, v26, v32
	s_waitcnt lgkmcnt(0)
	;; [unrolled: 3-line block ×3, first 2 shown]
	v_add_f32_e32 v32, v32, v34
	ds_bpermute_b32 v34, v28, v32
	s_and_saveexec_b32 s6, s5
	s_cbranch_execz .LBB620_40
; %bb.39:                               ;   in Loop: Header=BB620_16 Depth=1
	s_waitcnt lgkmcnt(0)
	v_add_f32_e32 v32, v32, v34
	ds_store_b32 v30, v32
.LBB620_40:                             ;   in Loop: Header=BB620_16 Depth=1
	s_or_b32 exec_lo, exec_lo, s6
	v_mov_b32_e32 v32, 0
	s_waitcnt lgkmcnt(0)
	s_barrier
	buffer_gl0_inv
	s_and_saveexec_b32 s6, s1
	s_cbranch_execnz .LBB620_58
; %bb.41:                               ;   in Loop: Header=BB620_16 Depth=1
	s_or_b32 exec_lo, exec_lo, s6
	s_and_saveexec_b32 s6, s0
	s_cbranch_execnz .LBB620_59
.LBB620_42:                             ;   in Loop: Header=BB620_16 Depth=1
	s_or_b32 exec_lo, exec_lo, s6
	s_and_saveexec_b32 s6, s2
	s_cbranch_execz .LBB620_15
	s_branch .LBB620_60
.LBB620_43:                             ;   in Loop: Header=BB620_16 Depth=1
	s_mul_i32 s28, s19, s18
	s_delay_alu instid0(SALU_CYCLE_1)
	s_ashr_i32 s29, s28, 31
	s_add_i32 s38, s28, s18
	s_lshl_b64 s[28:29], s[28:29], 1
	s_ashr_i32 s39, s38, 31
	v_add_co_u32 v1, vcc_lo, v17, s28
	v_add_co_ci_u32_e32 v2, vcc_lo, s29, v18, vcc_lo
	s_lshl_b64 s[28:29], s[38:39], 1
	s_delay_alu instid0(SALU_CYCLE_1)
	v_add_co_u32 v3, vcc_lo, v17, s28
	s_add_i32 s28, s38, s18
	v_add_co_ci_u32_e32 v4, vcc_lo, s29, v18, vcc_lo
	s_ashr_i32 s29, s28, 31
	s_add_i32 s38, s28, s18
	s_lshl_b64 s[28:29], s[28:29], 1
	flat_load_b64 v[15:16], v[1:2]
	s_waitcnt lgkmcnt(1)
	flat_load_b64 v[32:33], v[3:4]
	s_ashr_i32 s39, s38, 31
	v_add_co_u32 v1, vcc_lo, v17, s28
	v_add_co_ci_u32_e32 v2, vcc_lo, s29, v18, vcc_lo
	s_lshl_b64 s[28:29], s[38:39], 1
	s_clause 0x3
	flat_load_u16 v34, v[7:8]
	flat_load_u16 v39, v[9:10]
	;; [unrolled: 1-line block ×4, first 2 shown]
	v_add_co_u32 v3, vcc_lo, v17, s28
	v_add_co_ci_u32_e32 v4, vcc_lo, s29, v18, vcc_lo
	s_clause 0x1
	flat_load_b64 v[35:36], v[1:2]
	flat_load_b64 v[37:38], v[3:4]
	s_waitcnt vmcnt(1) lgkmcnt(1)
	v_and_b32_e32 v44, 0xffff0000, v35
	v_lshlrev_b32_e32 v45, 16, v36
	s_waitcnt vmcnt(0) lgkmcnt(0)
	v_lshlrev_b32_e32 v46, 16, v37
	v_and_b32_e32 v37, 0xffff0000, v37
	v_lshlrev_b32_e32 v3, 16, v40
	v_lshlrev_b32_e32 v2, 16, v39
	v_lshlrev_b32_e32 v4, 16, v41
	v_lshlrev_b32_e32 v40, 16, v32
	v_and_b32_e32 v41, 0xffff0000, v32
	v_lshlrev_b32_e32 v1, 16, v34
	v_lshlrev_b32_e32 v34, 16, v15
	;; [unrolled: 1-line block ×4, first 2 shown]
	s_delay_alu instid0(VALU_DEP_3) | instskip(SKIP_3) | instid1(VALU_DEP_3)
	v_fma_f32 v35, v1, v34, 0
	v_fma_f32 v34, v1, v40, 0
	v_lshlrev_b32_e32 v40, 16, v38
	v_and_b32_e32 v43, 0xffff0000, v33
	v_fmac_f32_e32 v34, v2, v41
	v_fma_f32 v33, v1, v32, 0
	v_fma_f32 v32, v1, v46, 0
	s_delay_alu instid0(VALU_DEP_2) | instskip(NEXT) | instid1(VALU_DEP_1)
	v_fmac_f32_e32 v33, v2, v44
	v_fmac_f32_e32 v33, v3, v45
	s_delay_alu instid0(VALU_DEP_3) | instskip(SKIP_1) | instid1(VALU_DEP_2)
	v_dual_fmac_f32 v32, v2, v37 :: v_dual_and_b32 v15, 0xffff0000, v15
	v_fmac_f32_e32 v34, v3, v42
	v_dual_fmac_f32 v32, v3, v40 :: v_dual_fmac_f32 v35, v2, v15
	s_delay_alu instid0(VALU_DEP_2) | instskip(SKIP_2) | instid1(VALU_DEP_3)
	v_dual_fmac_f32 v34, v4, v43 :: v_dual_lshlrev_b32 v39, 16, v16
	v_and_b32_e32 v16, 0xffff0000, v16
	v_and_b32_e32 v15, 0xffff0000, v36
	v_dual_fmac_f32 v35, v3, v39 :: v_dual_and_b32 v36, 0xffff0000, v38
	s_delay_alu instid0(VALU_DEP_2) | instskip(NEXT) | instid1(VALU_DEP_2)
	v_fmac_f32_e32 v33, v4, v15
	v_fmac_f32_e32 v32, v4, v36
	s_delay_alu instid0(VALU_DEP_3)
	v_fmac_f32_e32 v35, v4, v16
	s_and_not1_saveexec_b32 s20, s6
	s_cbranch_execz .LBB620_18
.LBB620_44:                             ;   in Loop: Header=BB620_16 Depth=1
	s_waitcnt lgkmcnt(0)
	v_dual_mov_b32 v32, 0 :: v_dual_mov_b32 v33, 0
	v_dual_mov_b32 v34, 0 :: v_dual_mov_b32 v35, 0
	s_and_saveexec_b32 s37, s4
	s_cbranch_execz .LBB620_51
; %bb.45:                               ;   in Loop: Header=BB620_16 Depth=1
	s_and_not1_b32 vcc_lo, exec_lo, s33
	s_cbranch_vccnz .LBB620_48
; %bb.46:                               ;   in Loop: Header=BB620_16 Depth=1
	v_mov_b32_e32 v15, v6
	s_mov_b64 s[28:29], 0
	.p2align	6
.LBB620_47:                             ;   Parent Loop BB620_16 Depth=1
                                        ; =>  This Inner Loop Header: Depth=2
	s_delay_alu instid0(VALU_DEP_1) | instskip(SKIP_1) | instid1(VALU_DEP_1)
	v_ashrrev_i32_e32 v16, 31, v15
	s_cmp_eq_u32 s28, 3
	v_lshlrev_b64 v[32:33], 1, v[15:16]
	s_delay_alu instid0(VALU_DEP_1) | instskip(NEXT) | instid1(VALU_DEP_2)
	v_add_co_u32 v32, vcc_lo, s12, v32
	v_add_co_ci_u32_e32 v33, vcc_lo, s13, v33, vcc_lo
	s_cselect_b32 vcc_lo, -1, 0
	s_cmp_eq_u32 s28, 2
	s_cselect_b32 s6, -1, 0
	flat_load_u16 v16, v[32:33]
	s_cmp_eq_u32 s28, 1
	s_cselect_b32 s7, -1, 0
	s_cmp_eq_u32 s28, 0
	s_waitcnt vmcnt(0) lgkmcnt(0)
	v_lshlrev_b32_e32 v16, 16, v16
	s_delay_alu instid0(VALU_DEP_1)
	v_dual_cndmask_b32 v4, v4, v16 :: v_dual_add_nc_u32 v15, s11, v15
	s_cselect_b32 vcc_lo, -1, 0
	v_cndmask_b32_e64 v3, v3, v16, s6
	v_cndmask_b32_e64 v2, v2, v16, s7
	v_cndmask_b32_e32 v1, v1, v16, vcc_lo
	s_add_u32 s28, s28, 1
	s_addc_u32 s29, s29, 0
	s_cmp_eq_u32 s17, s28
	s_cbranch_scc0 .LBB620_47
.LBB620_48:                             ;   in Loop: Header=BB620_16 Depth=1
	v_dual_mov_b32 v32, 0 :: v_dual_mov_b32 v33, 0
	v_dual_mov_b32 v34, 0 :: v_dual_mov_b32 v35, 0
	s_and_not1_b32 vcc_lo, exec_lo, s33
	s_cbranch_vccnz .LBB620_51
; %bb.49:                               ;   in Loop: Header=BB620_16 Depth=1
	s_ashr_i32 s23, s22, 31
	v_dual_mov_b32 v35, 0 :: v_dual_mov_b32 v34, 0
	s_lshl_b64 s[6:7], s[22:23], 1
	v_dual_mov_b32 v33, 0 :: v_dual_mov_b32 v32, 0
	v_add_co_u32 v15, vcc_lo, v17, s6
	v_add_co_ci_u32_e32 v16, vcc_lo, s7, v18, vcc_lo
	s_mov_b64 s[28:29], 0
.LBB620_50:                             ;   Parent Loop BB620_16 Depth=1
                                        ; =>  This Inner Loop Header: Depth=2
	s_delay_alu instid0(SALU_CYCLE_1)
	s_cmp_eq_u32 s28, 1
	s_cselect_b32 vcc_lo, -1, 0
	s_cmp_eq_u32 s28, 2
	v_cndmask_b32_e32 v36, v1, v2, vcc_lo
	s_cselect_b32 vcc_lo, -1, 0
	s_cmp_eq_u32 s28, 3
	s_delay_alu instid0(VALU_DEP_1)
	v_cndmask_b32_e32 v42, v36, v3, vcc_lo
	s_cselect_b32 vcc_lo, -1, 0
	s_add_i32 s6, s26, s28
	s_add_i32 s38, s24, s28
	s_ashr_i32 s7, s6, 31
	s_ashr_i32 s39, s38, 31
	s_lshl_b64 s[6:7], s[6:7], 1
	s_add_i32 s40, s35, s28
	v_add_co_u32 v36, s6, v17, s6
	s_lshl_b64 s[38:39], s[38:39], 1
	s_ashr_i32 s41, s40, 31
	v_add_co_ci_u32_e64 v37, s6, s7, v18, s6
	v_add_co_u32 v38, s6, v17, s38
	s_lshl_b64 s[40:41], s[40:41], 1
	v_add_co_ci_u32_e64 v39, s6, s39, v18, s6
	v_add_co_u32 v40, s6, v17, s40
	s_delay_alu instid0(VALU_DEP_1)
	v_add_co_ci_u32_e64 v41, s6, s41, v18, s6
	flat_load_u16 v43, v[15:16]
	s_clause 0x2
	flat_load_u16 v36, v[36:37]
	flat_load_u16 v37, v[38:39]
	flat_load_u16 v38, v[40:41]
	v_add_co_u32 v15, s6, v15, 2
	s_delay_alu instid0(VALU_DEP_1)
	v_add_co_ci_u32_e64 v16, s6, 0, v16, s6
	s_add_u32 s28, s28, 1
	s_addc_u32 s29, s29, 0
	s_cmp_lg_u32 s17, s28
	s_waitcnt vmcnt(2) lgkmcnt(2)
	v_lshlrev_b32_e32 v36, 16, v36
	s_waitcnt vmcnt(1) lgkmcnt(1)
	v_lshlrev_b32_e32 v37, 16, v37
	v_dual_cndmask_b32 v39, v42, v4 :: v_dual_lshlrev_b32 v40, 16, v43
	s_waitcnt vmcnt(0) lgkmcnt(0)
	s_delay_alu instid0(VALU_DEP_1) | instskip(NEXT) | instid1(VALU_DEP_2)
	v_dual_fmac_f32 v33, v39, v37 :: v_dual_lshlrev_b32 v38, 16, v38
	v_fmac_f32_e32 v35, v39, v40
	v_fmac_f32_e32 v34, v39, v36
	s_delay_alu instid0(VALU_DEP_3)
	v_fmac_f32_e32 v32, v39, v38
	s_cbranch_scc1 .LBB620_50
.LBB620_51:                             ;   in Loop: Header=BB620_16 Depth=1
	s_or_b32 exec_lo, exec_lo, s37
	s_delay_alu instid0(SALU_CYCLE_1)
	s_or_b32 exec_lo, exec_lo, s20
	s_and_saveexec_b32 s6, s0
	s_cbranch_execnz .LBB620_19
	s_branch .LBB620_20
.LBB620_52:                             ;   in Loop: Header=BB620_16 Depth=1
	ds_load_b32 v15, v29
	s_or_b32 exec_lo, exec_lo, s6
	s_and_saveexec_b32 s6, s0
	s_cbranch_execz .LBB620_24
.LBB620_53:                             ;   in Loop: Header=BB620_16 Depth=1
	s_waitcnt lgkmcnt(0)
	ds_bpermute_b32 v16, v26, v15
	s_waitcnt lgkmcnt(0)
	v_add_f32_e32 v15, v15, v16
	ds_bpermute_b32 v16, v27, v15
	s_waitcnt lgkmcnt(0)
	v_add_f32_e32 v15, v15, v16
	;; [unrolled: 3-line block ×3, first 2 shown]
	s_or_b32 exec_lo, exec_lo, s6
	s_and_saveexec_b32 s6, s0
	s_cbranch_execnz .LBB620_25
	s_branch .LBB620_26
.LBB620_54:                             ;   in Loop: Header=BB620_16 Depth=1
	ds_load_b32 v16, v29
	s_or_b32 exec_lo, exec_lo, s6
	s_and_saveexec_b32 s6, s0
	s_cbranch_execz .LBB620_30
.LBB620_55:                             ;   in Loop: Header=BB620_16 Depth=1
	s_waitcnt lgkmcnt(0)
	ds_bpermute_b32 v34, v26, v16
	s_waitcnt lgkmcnt(0)
	v_add_f32_e32 v16, v16, v34
	ds_bpermute_b32 v34, v27, v16
	s_waitcnt lgkmcnt(0)
	v_add_f32_e32 v16, v16, v34
	;; [unrolled: 3-line block ×3, first 2 shown]
	s_or_b32 exec_lo, exec_lo, s6
	s_and_saveexec_b32 s6, s0
	s_cbranch_execnz .LBB620_31
	s_branch .LBB620_32
.LBB620_56:                             ;   in Loop: Header=BB620_16 Depth=1
	ds_load_b32 v33, v29
	s_or_b32 exec_lo, exec_lo, s6
	s_and_saveexec_b32 s6, s0
	s_cbranch_execz .LBB620_36
.LBB620_57:                             ;   in Loop: Header=BB620_16 Depth=1
	s_waitcnt lgkmcnt(0)
	ds_bpermute_b32 v34, v26, v33
	s_waitcnt lgkmcnt(0)
	v_add_f32_e32 v33, v33, v34
	ds_bpermute_b32 v34, v27, v33
	s_waitcnt lgkmcnt(0)
	v_add_f32_e32 v33, v33, v34
	;; [unrolled: 3-line block ×3, first 2 shown]
	s_or_b32 exec_lo, exec_lo, s6
	s_and_saveexec_b32 s6, s0
	s_cbranch_execnz .LBB620_37
	s_branch .LBB620_38
.LBB620_58:                             ;   in Loop: Header=BB620_16 Depth=1
	ds_load_b32 v32, v29
	s_or_b32 exec_lo, exec_lo, s6
	s_and_saveexec_b32 s6, s0
	s_cbranch_execz .LBB620_42
.LBB620_59:                             ;   in Loop: Header=BB620_16 Depth=1
	s_waitcnt lgkmcnt(0)
	ds_bpermute_b32 v34, v26, v32
	s_waitcnt lgkmcnt(0)
	v_add_f32_e32 v32, v32, v34
	ds_bpermute_b32 v34, v27, v32
	s_waitcnt lgkmcnt(0)
	v_add_f32_e32 v32, v32, v34
	ds_bpermute_b32 v34, v28, v32
	s_waitcnt lgkmcnt(0)
	v_add_f32_e32 v32, v32, v34
	s_or_b32 exec_lo, exec_lo, s6
	s_and_saveexec_b32 s6, s2
	s_cbranch_execz .LBB620_15
.LBB620_60:                             ;   in Loop: Header=BB620_16 Depth=1
	s_mul_i32 s7, s19, s16
	v_dual_mul_f32 v15, s10, v15 :: v_dual_mul_f32 v16, s10, v16
	s_add_i32 s20, s7, s14
	v_mul_f32_e32 v33, s10, v33
	s_lshl_b64 s[28:29], s[20:21], 2
	s_delay_alu instid0(SALU_CYCLE_1)
	s_add_u32 s28, s30, s28
	s_addc_u32 s29, s31, s29
	s_add_i32 s20, s20, s16
	global_store_b32 v31, v15, s[28:29]
	s_lshl_b64 s[38:39], s[20:21], 2
	s_waitcnt lgkmcnt(0)
	v_mul_f32_e32 v15, s10, v32
	s_add_u32 s38, s30, s38
	s_addc_u32 s39, s31, s39
	s_add_i32 s20, s20, s16
	global_store_b32 v31, v16, s[38:39]
	s_lshl_b64 s[40:41], s[20:21], 2
	s_delay_alu instid0(SALU_CYCLE_1) | instskip(SKIP_2) | instid1(SALU_CYCLE_1)
	s_add_u32 s28, s30, s40
	s_addc_u32 s29, s31, s41
	s_add_i32 s20, s20, s16
	s_lshl_b64 s[40:41], s[20:21], 2
	s_delay_alu instid0(SALU_CYCLE_1)
	s_add_u32 s38, s30, s40
	s_addc_u32 s39, s31, s41
	s_clause 0x1
	global_store_b32 v31, v33, s[28:29]
	global_store_b32 v31, v15, s[38:39]
	s_branch .LBB620_15
.LBB620_61:
	s_mov_b32 s19, 0
                                        ; implicit-def: $vgpr1_vgpr2_vgpr3_vgpr4
.LBB620_62:
	s_delay_alu instid0(SALU_CYCLE_1)
	s_cmp_ge_i32 s19, s9
	s_cbranch_scc1 .LBB620_86
; %bb.63:
	v_cmp_gt_u32_e32 vcc_lo, 16, v21
	v_cmp_ge_i32_e64 s1, s8, v23
	v_cmp_gt_u32_e64 s2, 32, v0
	v_cmp_gt_u32_e64 s4, 8, v0
	v_cmp_eq_u32_e64 s5, 0, v0
	v_cndmask_b32_e64 v6, 0, 1, vcc_lo
	v_cmp_gt_u32_e32 vcc_lo, 24, v21
	v_cmp_ge_i32_e64 s0, s8, v22
	s_cmp_gt_i32 s17, 0
	s_mov_b32 s15, 0
	v_lshlrev_b32_e32 v6, 4, v6
	v_cndmask_b32_e64 v7, 0, 1, vcc_lo
	v_cmp_gt_u32_e32 vcc_lo, 28, v21
	s_cselect_b32 s8, -1, 0
	v_lshlrev_b32_e32 v16, 2, v19
	s_delay_alu instid0(VALU_DEP_3)
	v_dual_mov_b32 v0, 0 :: v_dual_lshlrev_b32 v7, 3, v7
	v_cndmask_b32_e64 v8, 0, 1, vcc_lo
	v_cmp_gt_u32_e32 vcc_lo, 30, v21
	v_add_lshl_u32 v22, v6, v21, 2
	v_ashrrev_i32_e32 v6, 31, v5
	v_add_lshl_u32 v23, v7, v21, 2
	v_lshlrev_b32_e32 v8, 2, v8
	v_cndmask_b32_e64 v9, 0, 1, vcc_lo
	v_cmp_ne_u32_e32 vcc_lo, 31, v21
	v_add_nc_u32_e32 v7, s11, v5
	v_lshlrev_b64 v[11:12], 1, v[5:6]
	v_add_lshl_u32 v24, v8, v21, 2
	v_lshlrev_b32_e32 v9, 1, v9
	v_add_co_ci_u32_e32 v10, vcc_lo, 0, v21, vcc_lo
	v_ashrrev_i32_e32 v8, 31, v7
	v_add_co_u32 v6, vcc_lo, s12, v11
	s_delay_alu instid0(VALU_DEP_4) | instskip(SKIP_4) | instid1(VALU_DEP_4)
	v_add_lshl_u32 v21, v9, v21, 2
	v_add_nc_u32_e32 v9, s11, v7
	v_lshlrev_b32_e32 v25, 2, v10
	v_lshlrev_b64 v[13:14], 1, v[7:8]
	v_add_co_ci_u32_e32 v7, vcc_lo, s13, v12, vcc_lo
	v_add_nc_u32_e32 v26, s11, v9
	v_ashrrev_i32_e32 v10, 31, v9
	v_cmp_eq_u32_e64 s3, 0, v19
	v_add_co_u32 v8, vcc_lo, s12, v13
	s_delay_alu instid0(VALU_DEP_4) | instskip(NEXT) | instid1(VALU_DEP_4)
	v_ashrrev_i32_e32 v27, 31, v26
	v_lshlrev_b64 v[10:11], 1, v[9:10]
	v_add_co_ci_u32_e32 v9, vcc_lo, s13, v14, vcc_lo
	v_and_b32_e32 v19, 28, v20
	s_delay_alu instid0(VALU_DEP_4) | instskip(SKIP_1) | instid1(VALU_DEP_4)
	v_lshlrev_b64 v[12:13], 1, v[26:27]
	s_lshl_b64 s[6:7], s[14:15], 2
	v_add_co_u32 v10, vcc_lo, s12, v10
	v_add_co_ci_u32_e32 v11, vcc_lo, s13, v11, vcc_lo
	s_delay_alu instid0(VALU_DEP_3) | instskip(NEXT) | instid1(VALU_DEP_4)
	v_add_co_u32 v12, vcc_lo, s12, v12
	v_add_co_ci_u32_e32 v13, vcc_lo, s13, v13, vcc_lo
	s_add_u32 s14, s30, s6
	s_addc_u32 s24, s31, s7
	s_mul_i32 s20, s19, s18
	s_branch .LBB620_65
.LBB620_64:                             ;   in Loop: Header=BB620_65 Depth=1
	s_or_b32 exec_lo, exec_lo, s6
	s_add_i32 s19, s19, 1
	s_add_i32 s20, s20, s18
	s_cmp_ge_i32 s19, s9
	s_cbranch_scc1 .LBB620_86
.LBB620_65:                             ; =>This Loop Header: Depth=1
                                        ;     Child Loop BB620_78 Depth 2
                                        ;     Child Loop BB620_81 Depth 2
	v_mov_b32_e32 v20, s15
	s_and_saveexec_b32 s6, s0
	s_delay_alu instid0(SALU_CYCLE_1)
	s_xor_b32 s6, exec_lo, s6
	s_cbranch_execnz .LBB620_74
; %bb.66:                               ;   in Loop: Header=BB620_65 Depth=1
	s_and_not1_saveexec_b32 s25, s6
	s_cbranch_execnz .LBB620_75
.LBB620_67:                             ;   in Loop: Header=BB620_65 Depth=1
	s_or_b32 exec_lo, exec_lo, s25
	s_and_saveexec_b32 s6, s2
	s_cbranch_execz .LBB620_69
.LBB620_68:                             ;   in Loop: Header=BB620_65 Depth=1
	ds_store_b32 v16, v0
.LBB620_69:                             ;   in Loop: Header=BB620_65 Depth=1
	s_or_b32 exec_lo, exec_lo, s6
	s_waitcnt lgkmcnt(0)
	ds_bpermute_b32 v14, v22, v20
	s_waitcnt lgkmcnt(0)
	s_waitcnt_vscnt null, 0x0
	s_barrier
	buffer_gl0_inv
	v_add_f32_e32 v14, v20, v14
	ds_bpermute_b32 v15, v23, v14
	s_waitcnt lgkmcnt(0)
	v_add_f32_e32 v14, v14, v15
	ds_bpermute_b32 v15, v24, v14
	s_waitcnt lgkmcnt(0)
	;; [unrolled: 3-line block ×3, first 2 shown]
	v_add_f32_e32 v14, v14, v15
	ds_bpermute_b32 v15, v25, v14
	s_and_saveexec_b32 s6, s3
	s_cbranch_execz .LBB620_71
; %bb.70:                               ;   in Loop: Header=BB620_65 Depth=1
	s_waitcnt lgkmcnt(0)
	v_add_f32_e32 v14, v14, v15
	ds_store_b32 v19, v14
.LBB620_71:                             ;   in Loop: Header=BB620_65 Depth=1
	s_or_b32 exec_lo, exec_lo, s6
	v_mov_b32_e32 v14, 0
	s_waitcnt lgkmcnt(0)
	s_barrier
	buffer_gl0_inv
	s_and_saveexec_b32 s6, s4
	s_cbranch_execnz .LBB620_83
; %bb.72:                               ;   in Loop: Header=BB620_65 Depth=1
	s_or_b32 exec_lo, exec_lo, s6
	s_and_saveexec_b32 s6, s2
	s_cbranch_execnz .LBB620_84
.LBB620_73:                             ;   in Loop: Header=BB620_65 Depth=1
	s_or_b32 exec_lo, exec_lo, s6
	s_and_saveexec_b32 s6, s5
	s_cbranch_execz .LBB620_64
	s_branch .LBB620_85
.LBB620_74:                             ;   in Loop: Header=BB620_65 Depth=1
	s_mul_i32 s22, s19, s18
	s_delay_alu instid0(SALU_CYCLE_1) | instskip(NEXT) | instid1(SALU_CYCLE_1)
	s_ashr_i32 s23, s22, 31
	s_lshl_b64 s[22:23], s[22:23], 1
	s_delay_alu instid0(SALU_CYCLE_1)
	v_add_co_u32 v1, vcc_lo, v17, s22
	v_add_co_ci_u32_e32 v2, vcc_lo, s23, v18, vcc_lo
	flat_load_u16 v3, v[6:7]
	s_waitcnt lgkmcnt(1)
	flat_load_b64 v[14:15], v[1:2]
	s_clause 0x2
	flat_load_u16 v2, v[8:9]
	flat_load_u16 v4, v[10:11]
	;; [unrolled: 1-line block ×3, first 2 shown]
	s_waitcnt vmcnt(2) lgkmcnt(2)
	v_lshlrev_b32_e32 v2, 16, v2
	v_lshlrev_b32_e32 v1, 16, v3
	;; [unrolled: 1-line block ×3, first 2 shown]
	v_and_b32_e32 v14, 0xffff0000, v14
	s_delay_alu instid0(VALU_DEP_2)
	v_fma_f32 v20, v1, v3, 0
	s_waitcnt vmcnt(1) lgkmcnt(1)
	v_lshlrev_b32_e32 v3, 16, v4
	s_waitcnt vmcnt(0) lgkmcnt(0)
	v_lshlrev_b32_e32 v4, 16, v26
	v_fmac_f32_e32 v20, v2, v14
	v_lshlrev_b32_e32 v14, 16, v15
	s_delay_alu instid0(VALU_DEP_1) | instskip(NEXT) | instid1(VALU_DEP_1)
	v_dual_fmac_f32 v20, v3, v14 :: v_dual_and_b32 v15, 0xffff0000, v15
	v_fmac_f32_e32 v20, v4, v15
	s_and_not1_saveexec_b32 s25, s6
	s_cbranch_execz .LBB620_67
.LBB620_75:                             ;   in Loop: Header=BB620_65 Depth=1
	s_and_saveexec_b32 s26, s1
	s_cbranch_execz .LBB620_82
; %bb.76:                               ;   in Loop: Header=BB620_65 Depth=1
	s_and_not1_b32 vcc_lo, exec_lo, s8
	s_cbranch_vccnz .LBB620_79
; %bb.77:                               ;   in Loop: Header=BB620_65 Depth=1
	s_waitcnt lgkmcnt(0)
	v_mov_b32_e32 v14, v5
	s_mov_b64 s[22:23], 0
	.p2align	6
.LBB620_78:                             ;   Parent Loop BB620_65 Depth=1
                                        ; =>  This Inner Loop Header: Depth=2
	s_delay_alu instid0(VALU_DEP_1) | instskip(SKIP_1) | instid1(VALU_DEP_1)
	v_ashrrev_i32_e32 v15, 31, v14
	s_cmp_eq_u32 s22, 3
	v_lshlrev_b64 v[26:27], 1, v[14:15]
	s_delay_alu instid0(VALU_DEP_1) | instskip(NEXT) | instid1(VALU_DEP_2)
	v_add_co_u32 v26, vcc_lo, s12, v26
	v_add_co_ci_u32_e32 v27, vcc_lo, s13, v27, vcc_lo
	s_cselect_b32 vcc_lo, -1, 0
	s_cmp_eq_u32 s22, 2
	s_cselect_b32 s6, -1, 0
	flat_load_u16 v15, v[26:27]
	s_cmp_eq_u32 s22, 1
	s_cselect_b32 s7, -1, 0
	s_cmp_eq_u32 s22, 0
	s_waitcnt vmcnt(0) lgkmcnt(0)
	v_lshlrev_b32_e32 v15, 16, v15
	s_delay_alu instid0(VALU_DEP_1)
	v_cndmask_b32_e32 v4, v4, v15, vcc_lo
	s_cselect_b32 vcc_lo, -1, 0
	v_dual_cndmask_b32 v1, v1, v15 :: v_dual_add_nc_u32 v14, s11, v14
	v_cndmask_b32_e64 v3, v3, v15, s6
	v_cndmask_b32_e64 v2, v2, v15, s7
	s_add_u32 s22, s22, 1
	s_addc_u32 s23, s23, 0
	s_cmp_eq_u32 s17, s22
	s_cbranch_scc0 .LBB620_78
.LBB620_79:                             ;   in Loop: Header=BB620_65 Depth=1
	s_and_not1_b32 vcc_lo, exec_lo, s8
	s_cbranch_vccnz .LBB620_82
; %bb.80:                               ;   in Loop: Header=BB620_65 Depth=1
	s_ashr_i32 s21, s20, 31
	s_delay_alu instid0(SALU_CYCLE_1)
	s_lshl_b64 s[6:7], s[20:21], 1
	s_waitcnt lgkmcnt(0)
	v_add_co_u32 v14, vcc_lo, v17, s6
	v_add_co_ci_u32_e32 v15, vcc_lo, s7, v18, vcc_lo
	s_mov_b64 s[6:7], 0
	.p2align	6
.LBB620_81:                             ;   Parent Loop BB620_65 Depth=1
                                        ; =>  This Inner Loop Header: Depth=2
	flat_load_u16 v26, v[14:15]
	s_cmp_eq_u32 s6, 1
	s_cselect_b32 vcc_lo, -1, 0
	s_cmp_eq_u32 s6, 2
	v_cndmask_b32_e32 v27, v1, v2, vcc_lo
	s_cselect_b32 vcc_lo, -1, 0
	s_cmp_eq_u32 s6, 3
	s_delay_alu instid0(VALU_DEP_1)
	v_cndmask_b32_e32 v27, v27, v3, vcc_lo
	s_cselect_b32 vcc_lo, -1, 0
	s_add_u32 s6, s6, 1
	s_addc_u32 s7, s7, 0
	s_cmp_lg_u32 s17, s6
	s_waitcnt vmcnt(0) lgkmcnt(0)
	v_dual_cndmask_b32 v27, v27, v4 :: v_dual_lshlrev_b32 v26, 16, v26
	v_add_co_u32 v14, vcc_lo, v14, 2
	v_add_co_ci_u32_e32 v15, vcc_lo, 0, v15, vcc_lo
	s_delay_alu instid0(VALU_DEP_3)
	v_fmac_f32_e32 v20, v27, v26
	s_cbranch_scc1 .LBB620_81
.LBB620_82:                             ;   in Loop: Header=BB620_65 Depth=1
	s_or_b32 exec_lo, exec_lo, s26
	s_delay_alu instid0(SALU_CYCLE_1)
	s_or_b32 exec_lo, exec_lo, s25
	s_and_saveexec_b32 s6, s2
	s_cbranch_execnz .LBB620_68
	s_branch .LBB620_69
.LBB620_83:                             ;   in Loop: Header=BB620_65 Depth=1
	ds_load_b32 v14, v16
	s_or_b32 exec_lo, exec_lo, s6
	s_and_saveexec_b32 s6, s2
	s_cbranch_execz .LBB620_73
.LBB620_84:                             ;   in Loop: Header=BB620_65 Depth=1
	s_waitcnt lgkmcnt(0)
	ds_bpermute_b32 v15, v24, v14
	s_waitcnt lgkmcnt(0)
	v_add_f32_e32 v14, v14, v15
	ds_bpermute_b32 v15, v21, v14
	s_waitcnt lgkmcnt(0)
	v_add_f32_e32 v14, v14, v15
	;; [unrolled: 3-line block ×3, first 2 shown]
	s_or_b32 exec_lo, exec_lo, s6
	s_and_saveexec_b32 s6, s5
	s_cbranch_execz .LBB620_64
.LBB620_85:                             ;   in Loop: Header=BB620_65 Depth=1
	s_mul_hi_u32 s23, s19, s16
	s_mul_i32 s22, s19, s16
	s_waitcnt lgkmcnt(0)
	v_mul_f32_e32 v14, s10, v14
	s_lshl_b64 s[22:23], s[22:23], 2
	s_delay_alu instid0(SALU_CYCLE_1)
	s_add_u32 s22, s14, s22
	s_addc_u32 s23, s24, s23
	global_store_b32 v0, v14, s[22:23]
	s_branch .LBB620_64
.LBB620_86:
	s_nop 0
	s_sendmsg sendmsg(MSG_DEALLOC_VGPRS)
	s_endpgm
	.section	.rodata,"a",@progbits
	.p2align	6, 0x0
	.amdhsa_kernel _ZL23rocblas_gemvt_sn_kernelILb1ELi256ELi4EiPK16rocblas_bfloat16ffEviiT4_lPKT3_lilS6_lilPT5_i
		.amdhsa_group_segment_fixed_size 128
		.amdhsa_private_segment_fixed_size 0
		.amdhsa_kernarg_size 360
		.amdhsa_user_sgpr_count 14
		.amdhsa_user_sgpr_dispatch_ptr 0
		.amdhsa_user_sgpr_queue_ptr 0
		.amdhsa_user_sgpr_kernarg_segment_ptr 1
		.amdhsa_user_sgpr_dispatch_id 0
		.amdhsa_user_sgpr_private_segment_size 0
		.amdhsa_wavefront_size32 1
		.amdhsa_uses_dynamic_stack 0
		.amdhsa_enable_private_segment 0
		.amdhsa_system_sgpr_workgroup_id_x 1
		.amdhsa_system_sgpr_workgroup_id_y 0
		.amdhsa_system_sgpr_workgroup_id_z 1
		.amdhsa_system_sgpr_workgroup_info 0
		.amdhsa_system_vgpr_workitem_id 0
		.amdhsa_next_free_vgpr 47
		.amdhsa_next_free_sgpr 42
		.amdhsa_reserve_vcc 1
		.amdhsa_float_round_mode_32 0
		.amdhsa_float_round_mode_16_64 0
		.amdhsa_float_denorm_mode_32 3
		.amdhsa_float_denorm_mode_16_64 3
		.amdhsa_dx10_clamp 1
		.amdhsa_ieee_mode 1
		.amdhsa_fp16_overflow 0
		.amdhsa_workgroup_processor_mode 1
		.amdhsa_memory_ordered 1
		.amdhsa_forward_progress 0
		.amdhsa_shared_vgpr_count 0
		.amdhsa_exception_fp_ieee_invalid_op 0
		.amdhsa_exception_fp_denorm_src 0
		.amdhsa_exception_fp_ieee_div_zero 0
		.amdhsa_exception_fp_ieee_overflow 0
		.amdhsa_exception_fp_ieee_underflow 0
		.amdhsa_exception_fp_ieee_inexact 0
		.amdhsa_exception_int_div_zero 0
	.end_amdhsa_kernel
	.section	.text._ZL23rocblas_gemvt_sn_kernelILb1ELi256ELi4EiPK16rocblas_bfloat16ffEviiT4_lPKT3_lilS6_lilPT5_i,"axG",@progbits,_ZL23rocblas_gemvt_sn_kernelILb1ELi256ELi4EiPK16rocblas_bfloat16ffEviiT4_lPKT3_lilS6_lilPT5_i,comdat
.Lfunc_end620:
	.size	_ZL23rocblas_gemvt_sn_kernelILb1ELi256ELi4EiPK16rocblas_bfloat16ffEviiT4_lPKT3_lilS6_lilPT5_i, .Lfunc_end620-_ZL23rocblas_gemvt_sn_kernelILb1ELi256ELi4EiPK16rocblas_bfloat16ffEviiT4_lPKT3_lilS6_lilPT5_i
                                        ; -- End function
	.section	.AMDGPU.csdata,"",@progbits
; Kernel info:
; codeLenInByte = 4300
; NumSgprs: 44
; NumVgprs: 47
; ScratchSize: 0
; MemoryBound: 0
; FloatMode: 240
; IeeeMode: 1
; LDSByteSize: 128 bytes/workgroup (compile time only)
; SGPRBlocks: 5
; VGPRBlocks: 5
; NumSGPRsForWavesPerEU: 44
; NumVGPRsForWavesPerEU: 47
; Occupancy: 16
; WaveLimiterHint : 0
; COMPUTE_PGM_RSRC2:SCRATCH_EN: 0
; COMPUTE_PGM_RSRC2:USER_SGPR: 14
; COMPUTE_PGM_RSRC2:TRAP_HANDLER: 0
; COMPUTE_PGM_RSRC2:TGID_X_EN: 1
; COMPUTE_PGM_RSRC2:TGID_Y_EN: 0
; COMPUTE_PGM_RSRC2:TGID_Z_EN: 1
; COMPUTE_PGM_RSRC2:TIDIG_COMP_CNT: 0
	.section	.text._ZL23rocblas_gemvt_sn_kernelILb1ELi256ELi4ElPK16rocblas_bfloat16ffEviiT4_lPKT3_lilS6_lilPT5_i,"axG",@progbits,_ZL23rocblas_gemvt_sn_kernelILb1ELi256ELi4ElPK16rocblas_bfloat16ffEviiT4_lPKT3_lilS6_lilPT5_i,comdat
	.globl	_ZL23rocblas_gemvt_sn_kernelILb1ELi256ELi4ElPK16rocblas_bfloat16ffEviiT4_lPKT3_lilS6_lilPT5_i ; -- Begin function _ZL23rocblas_gemvt_sn_kernelILb1ELi256ELi4ElPK16rocblas_bfloat16ffEviiT4_lPKT3_lilS6_lilPT5_i
	.p2align	8
	.type	_ZL23rocblas_gemvt_sn_kernelILb1ELi256ELi4ElPK16rocblas_bfloat16ffEviiT4_lPKT3_lilS6_lilPT5_i,@function
_ZL23rocblas_gemvt_sn_kernelILb1ELi256ELi4ElPK16rocblas_bfloat16ffEviiT4_lPKT3_lilS6_lilPT5_i: ; @_ZL23rocblas_gemvt_sn_kernelILb1ELi256ELi4ElPK16rocblas_bfloat16ffEviiT4_lPKT3_lilS6_lilPT5_i
; %bb.0:
	s_load_b128 s[8:11], s[0:1], 0x0
	s_mov_b32 s2, s15
	s_mov_b32 s3, 0
	s_waitcnt lgkmcnt(0)
	v_cmp_neq_f32_e64 s5, s10, 0
	v_cmp_eq_f32_e64 s4, s10, 0
	s_delay_alu instid0(VALU_DEP_2)
	s_and_b32 vcc_lo, exec_lo, s5
	s_cbranch_vccnz .LBB621_2
; %bb.1:
	s_mov_b64 s[18:19], 0
	s_and_not1_b32 vcc_lo, exec_lo, s3
	s_cbranch_vccz .LBB621_3
	s_branch .LBB621_4
.LBB621_2:
	s_mov_b32 s3, -1
                                        ; implicit-def: $sgpr18_sgpr19
.LBB621_3:
	s_load_b128 s[16:19], s[0:1], 0x18
	s_mov_b32 s3, 0
	s_delay_alu instid0(SALU_CYCLE_1)
	s_lshl_b64 s[6:7], s[2:3], 3
	s_waitcnt lgkmcnt(0)
	s_add_u32 s6, s16, s6
	s_addc_u32 s7, s17, s7
	s_lshl_b64 s[12:13], s[18:19], 1
	s_load_b64 s[6:7], s[6:7], 0x0
	s_waitcnt lgkmcnt(0)
	s_add_u32 s18, s6, s12
	s_addc_u32 s19, s7, s13
.LBB621_4:
	s_and_not1_b32 vcc_lo, exec_lo, s5
	s_cbranch_vccnz .LBB621_6
; %bb.5:
	s_load_b128 s[20:23], s[0:1], 0x38
	s_lshl_b64 s[6:7], s[2:3], 3
	s_waitcnt lgkmcnt(0)
	s_add_u32 s6, s20, s6
	s_addc_u32 s7, s21, s7
	s_lshl_b64 s[12:13], s[22:23], 1
	s_load_b64 s[6:7], s[6:7], 0x0
	s_waitcnt lgkmcnt(0)
	s_add_u32 s20, s6, s12
	s_addc_u32 s21, s7, s13
	s_branch .LBB621_7
.LBB621_6:
	s_mov_b64 s[20:21], 0
.LBB621_7:
	s_clause 0x1
	s_load_b32 s12, s[0:1], 0x68
	s_load_b64 s[16:17], s[0:1], 0x58
	s_ashr_i32 s6, s9, 31
	s_mul_hi_u32 s5, s2, s9
	s_mul_i32 s7, s2, s6
	s_mul_i32 s3, s3, s9
	s_add_i32 s5, s5, s7
	s_mul_i32 s2, s2, s9
	s_add_i32 s3, s5, s3
	s_mov_b32 s13, 0
	s_waitcnt lgkmcnt(0)
	s_mul_i32 s3, s3, s12
	s_mul_hi_u32 s5, s2, s12
	s_mul_i32 s2, s2, s12
	s_add_i32 s3, s5, s3
	s_delay_alu instid0(SALU_CYCLE_1) | instskip(NEXT) | instid1(SALU_CYCLE_1)
	s_lshl_b64 s[2:3], s[2:3], 2
	s_add_u32 s33, s16, s2
	s_addc_u32 s36, s17, s3
	s_and_not1_b32 vcc_lo, exec_lo, s4
	s_mov_b32 s2, -1
	s_cbranch_vccnz .LBB621_12
; %bb.8:
	v_cmp_eq_u32_e32 vcc_lo, 0, v0
	s_cmp_gt_i32 s9, 0
	s_cselect_b32 s2, -1, 0
	s_delay_alu instid0(SALU_CYCLE_1) | instskip(NEXT) | instid1(SALU_CYCLE_1)
	s_and_b32 s2, vcc_lo, s2
	s_and_saveexec_b32 s7, s2
	s_cbranch_execz .LBB621_11
; %bb.9:
	s_mov_b32 s15, 0
	v_mov_b32_e32 v1, 0
	s_lshl_b64 s[2:3], s[14:15], 2
	s_mov_b32 s11, s9
	s_add_u32 s2, s33, s2
	s_addc_u32 s3, s36, s3
	s_lshl_b64 s[4:5], s[12:13], 2
.LBB621_10:                             ; =>This Inner Loop Header: Depth=1
	s_add_i32 s11, s11, -1
	global_store_b32 v1, v1, s[2:3]
	s_add_u32 s2, s2, s4
	s_addc_u32 s3, s3, s5
	s_cmp_eq_u32 s11, 0
	s_cbranch_scc0 .LBB621_10
.LBB621_11:
	s_or_b32 exec_lo, exec_lo, s7
	s_mov_b32 s2, 0
.LBB621_12:
	s_delay_alu instid0(SALU_CYCLE_1)
	s_and_not1_b32 vcc_lo, exec_lo, s2
	s_cbranch_vccnz .LBB621_86
; %bb.13:
	s_lshl_b32 s2, s14, 10
	s_clause 0x1
	s_load_b32 s16, s[0:1], 0x28
	s_load_b32 s22, s[0:1], 0x48
	v_lshl_or_b32 v9, v0, 2, s2
	s_ashr_i32 s2, s8, 31
	s_lshr_b32 s1, s6, 30
	s_lshr_b32 s0, s2, 30
	s_add_i32 s1, s9, s1
	v_ashrrev_i32_e32 v10, 31, v9
	s_add_i32 s0, s8, s0
	s_and_b32 s13, s1, -4
	s_and_b32 s0, s0, -4
	v_add_nc_u32_e32 v28, 4, v9
	v_lshlrev_b64 v[7:8], 1, v[9:10]
	s_sub_i32 s11, s8, s0
	v_and_b32_e32 v25, 31, v0
	v_add_nc_u32_e32 v29, s11, v9
	v_cmp_gt_u32_e64 s0, 32, v0
	v_mbcnt_lo_u32_b32 v27, -1, 0
	v_add_co_u32 v5, vcc_lo, s18, v7
	v_add_co_ci_u32_e32 v6, vcc_lo, s19, v8, vcc_lo
	v_cmp_gt_u32_e64 s1, 8, v0
	v_lshrrev_b32_e32 v26, 3, v0
	v_cmp_eq_u32_e64 s2, 0, v0
	v_or_b32_e32 v24, 1, v9
	v_or_b32_e32 v23, 2, v9
	;; [unrolled: 1-line block ×3, first 2 shown]
	s_waitcnt lgkmcnt(0)
	s_ashr_i32 s17, s16, 31
	s_ashr_i32 s23, s22, 31
	s_cmp_lt_i32 s13, 1
	s_cbranch_scc1 .LBB621_61
; %bb.14:
	v_cmp_gt_u32_e32 vcc_lo, 16, v27
	v_mad_i64_i32 v[12:13], null, s22, v23, 0
	v_mad_i64_i32 v[14:15], null, s22, v22, 0
	v_cndmask_b32_e64 v1, 0, 1, vcc_lo
	v_cmp_gt_u32_e32 vcc_lo, 24, v27
	s_mov_b32 s15, 0
	s_cmp_gt_i32 s11, 0
	v_cmp_ge_i32_e64 s3, s8, v28
	v_lshlrev_b32_e32 v1, 4, v1
	v_cndmask_b32_e64 v2, 0, 1, vcc_lo
	v_cmp_gt_u32_e32 vcc_lo, 28, v27
	v_cmp_ge_i32_e64 s4, s8, v29
	s_cselect_b32 s37, -1, 0
	s_delay_alu instid0(VALU_DEP_3)
	v_dual_mov_b32 v37, 0 :: v_dual_lshlrev_b32 v2, 3, v2
	v_cndmask_b32_e64 v3, 0, 1, vcc_lo
	v_cmp_gt_u32_e32 vcc_lo, 30, v27
	v_cmp_eq_u32_e64 s5, 0, v25
	v_lshlrev_b32_e32 v35, 2, v25
	v_add_lshl_u32 v31, v2, v27, 2
	v_lshlrev_b32_e32 v3, 2, v3
	v_cndmask_b32_e64 v4, 0, 1, vcc_lo
	v_cmp_ne_u32_e32 vcc_lo, 31, v27
	v_dual_mov_b32 v19, v6 :: v_dual_mov_b32 v18, v5
	v_add_lshl_u32 v30, v1, v27, 2
	s_delay_alu instid0(VALU_DEP_4) | instskip(SKIP_3) | instid1(VALU_DEP_4)
	v_lshlrev_b32_e32 v4, 1, v4
	v_mad_i64_i32 v[1:2], null, s22, v9, 0
	v_add_lshl_u32 v32, v3, v27, 2
	v_add_co_ci_u32_e32 v10, vcc_lo, 0, v27, vcc_lo
	v_add_lshl_u32 v33, v4, v27, 2
	v_mad_i64_i32 v[3:4], null, s22, v24, 0
	v_lshlrev_b64 v[1:2], 1, v[1:2]
	s_delay_alu instid0(VALU_DEP_4) | instskip(SKIP_4) | instid1(VALU_DEP_4)
	v_lshlrev_b32_e32 v34, 2, v10
	s_lshl_b64 s[6:7], s[14:15], 2
	v_and_b32_e32 v36, 28, v26
	s_add_u32 s38, s33, s6
	s_addc_u32 s39, s36, s7
	v_lshlrev_b64 v[3:4], 1, v[3:4]
	v_add_co_u32 v10, vcc_lo, s20, v1
	v_add_co_ci_u32_e32 v11, vcc_lo, s21, v2, vcc_lo
	v_lshlrev_b64 v[1:2], 1, v[12:13]
	s_delay_alu instid0(VALU_DEP_4) | instskip(SKIP_2) | instid1(VALU_DEP_4)
	v_add_co_u32 v12, vcc_lo, s20, v3
	v_add_co_ci_u32_e32 v13, vcc_lo, s21, v4, vcc_lo
	v_lshlrev_b64 v[3:4], 1, v[14:15]
	v_add_co_u32 v14, vcc_lo, s20, v1
	v_add_co_ci_u32_e32 v15, vcc_lo, s21, v2, vcc_lo
	s_lshl_b64 s[24:25], s[22:23], 1
	s_delay_alu instid0(VALU_DEP_3) | instskip(NEXT) | instid1(VALU_DEP_4)
	v_add_co_u32 v16, vcc_lo, s20, v3
	v_add_co_ci_u32_e32 v17, vcc_lo, s21, v4, vcc_lo
	s_mul_hi_i32 s40, s16, 6
	s_mul_i32 s41, s16, 6
	s_lshl_b64 s[26:27], s[16:17], 3
	s_lshl_b64 s[28:29], s[16:17], 2
	;; [unrolled: 1-line block ×3, first 2 shown]
                                        ; implicit-def: $vgpr1_vgpr2_vgpr3_vgpr4
	s_branch .LBB621_16
.LBB621_15:                             ;   in Loop: Header=BB621_16 Depth=1
	s_or_b32 exec_lo, exec_lo, s6
	v_add_co_u32 v18, vcc_lo, v18, s26
	v_add_co_ci_u32_e32 v19, vcc_lo, s27, v19, vcc_lo
	s_add_i32 s15, s15, 4
	s_delay_alu instid0(SALU_CYCLE_1)
	s_cmp_ge_i32 s15, s13
	s_cbranch_scc1 .LBB621_62
.LBB621_16:                             ; =>This Loop Header: Depth=1
                                        ;     Child Loop BB621_47 Depth 2
                                        ;     Child Loop BB621_50 Depth 2
                                        ; implicit-def: $vgpr38
                                        ; implicit-def: $vgpr39
                                        ; implicit-def: $vgpr40
                                        ; implicit-def: $vgpr41
	s_and_saveexec_b32 s6, s3
	s_delay_alu instid0(SALU_CYCLE_1)
	s_xor_b32 s6, exec_lo, s6
	s_cbranch_execnz .LBB621_43
; %bb.17:                               ;   in Loop: Header=BB621_16 Depth=1
	s_and_not1_saveexec_b32 s42, s6
	s_cbranch_execnz .LBB621_44
.LBB621_18:                             ;   in Loop: Header=BB621_16 Depth=1
	s_or_b32 exec_lo, exec_lo, s42
	s_and_saveexec_b32 s6, s0
	s_cbranch_execz .LBB621_20
.LBB621_19:                             ;   in Loop: Header=BB621_16 Depth=1
	ds_store_b32 v35, v37
.LBB621_20:                             ;   in Loop: Header=BB621_16 Depth=1
	s_or_b32 exec_lo, exec_lo, s6
	ds_bpermute_b32 v20, v30, v41
	s_waitcnt lgkmcnt(0)
	s_waitcnt_vscnt null, 0x0
	s_barrier
	buffer_gl0_inv
	v_add_f32_e32 v20, v41, v20
	ds_bpermute_b32 v21, v31, v20
	s_waitcnt lgkmcnt(0)
	v_add_f32_e32 v20, v20, v21
	ds_bpermute_b32 v21, v32, v20
	s_waitcnt lgkmcnt(0)
	;; [unrolled: 3-line block ×3, first 2 shown]
	v_add_f32_e32 v20, v20, v21
	ds_bpermute_b32 v21, v34, v20
	s_and_saveexec_b32 s6, s5
	s_cbranch_execz .LBB621_22
; %bb.21:                               ;   in Loop: Header=BB621_16 Depth=1
	s_waitcnt lgkmcnt(0)
	v_add_f32_e32 v20, v20, v21
	ds_store_b32 v36, v20
.LBB621_22:                             ;   in Loop: Header=BB621_16 Depth=1
	s_or_b32 exec_lo, exec_lo, s6
	v_mov_b32_e32 v20, 0
	s_waitcnt lgkmcnt(0)
	s_barrier
	buffer_gl0_inv
	s_and_saveexec_b32 s6, s1
	s_cbranch_execnz .LBB621_52
; %bb.23:                               ;   in Loop: Header=BB621_16 Depth=1
	s_or_b32 exec_lo, exec_lo, s6
	s_and_saveexec_b32 s6, s0
	s_cbranch_execnz .LBB621_53
.LBB621_24:                             ;   in Loop: Header=BB621_16 Depth=1
	s_or_b32 exec_lo, exec_lo, s6
	s_and_saveexec_b32 s6, s0
	s_cbranch_execz .LBB621_26
.LBB621_25:                             ;   in Loop: Header=BB621_16 Depth=1
	ds_store_b32 v35, v37
.LBB621_26:                             ;   in Loop: Header=BB621_16 Depth=1
	s_or_b32 exec_lo, exec_lo, s6
	ds_bpermute_b32 v21, v30, v40
	s_waitcnt lgkmcnt(0)
	s_barrier
	buffer_gl0_inv
	v_add_f32_e32 v21, v40, v21
	ds_bpermute_b32 v40, v31, v21
	s_waitcnt lgkmcnt(0)
	v_add_f32_e32 v21, v21, v40
	ds_bpermute_b32 v40, v32, v21
	s_waitcnt lgkmcnt(0)
	;; [unrolled: 3-line block ×3, first 2 shown]
	v_add_f32_e32 v21, v21, v40
	ds_bpermute_b32 v40, v34, v21
	s_and_saveexec_b32 s6, s5
	s_cbranch_execz .LBB621_28
; %bb.27:                               ;   in Loop: Header=BB621_16 Depth=1
	s_waitcnt lgkmcnt(0)
	v_add_f32_e32 v21, v21, v40
	ds_store_b32 v36, v21
.LBB621_28:                             ;   in Loop: Header=BB621_16 Depth=1
	s_or_b32 exec_lo, exec_lo, s6
	v_mov_b32_e32 v21, 0
	s_waitcnt lgkmcnt(0)
	s_barrier
	buffer_gl0_inv
	s_and_saveexec_b32 s6, s1
	s_cbranch_execnz .LBB621_54
; %bb.29:                               ;   in Loop: Header=BB621_16 Depth=1
	s_or_b32 exec_lo, exec_lo, s6
	s_and_saveexec_b32 s6, s0
	s_cbranch_execnz .LBB621_55
.LBB621_30:                             ;   in Loop: Header=BB621_16 Depth=1
	s_or_b32 exec_lo, exec_lo, s6
	s_and_saveexec_b32 s6, s0
	s_cbranch_execz .LBB621_32
.LBB621_31:                             ;   in Loop: Header=BB621_16 Depth=1
	ds_store_b32 v35, v37
.LBB621_32:                             ;   in Loop: Header=BB621_16 Depth=1
	s_or_b32 exec_lo, exec_lo, s6
	ds_bpermute_b32 v40, v30, v39
	s_waitcnt lgkmcnt(0)
	s_barrier
	buffer_gl0_inv
	v_add_f32_e32 v39, v39, v40
	ds_bpermute_b32 v40, v31, v39
	s_waitcnt lgkmcnt(0)
	v_add_f32_e32 v39, v39, v40
	ds_bpermute_b32 v40, v32, v39
	s_waitcnt lgkmcnt(0)
	v_add_f32_e32 v39, v39, v40
	ds_bpermute_b32 v40, v33, v39
	s_waitcnt lgkmcnt(0)
	v_add_f32_e32 v39, v39, v40
	ds_bpermute_b32 v40, v34, v39
	s_and_saveexec_b32 s6, s5
	s_cbranch_execz .LBB621_34
; %bb.33:                               ;   in Loop: Header=BB621_16 Depth=1
	s_waitcnt lgkmcnt(0)
	v_add_f32_e32 v39, v39, v40
	ds_store_b32 v36, v39
.LBB621_34:                             ;   in Loop: Header=BB621_16 Depth=1
	s_or_b32 exec_lo, exec_lo, s6
	v_mov_b32_e32 v39, 0
	s_waitcnt lgkmcnt(0)
	s_barrier
	buffer_gl0_inv
	s_and_saveexec_b32 s6, s1
	s_cbranch_execnz .LBB621_56
; %bb.35:                               ;   in Loop: Header=BB621_16 Depth=1
	s_or_b32 exec_lo, exec_lo, s6
	s_and_saveexec_b32 s6, s0
	s_cbranch_execnz .LBB621_57
.LBB621_36:                             ;   in Loop: Header=BB621_16 Depth=1
	s_or_b32 exec_lo, exec_lo, s6
	s_and_saveexec_b32 s6, s0
	s_cbranch_execz .LBB621_38
.LBB621_37:                             ;   in Loop: Header=BB621_16 Depth=1
	ds_store_b32 v35, v37
.LBB621_38:                             ;   in Loop: Header=BB621_16 Depth=1
	s_or_b32 exec_lo, exec_lo, s6
	ds_bpermute_b32 v40, v30, v38
	s_waitcnt lgkmcnt(0)
	s_barrier
	buffer_gl0_inv
	v_add_f32_e32 v38, v38, v40
	ds_bpermute_b32 v40, v31, v38
	s_waitcnt lgkmcnt(0)
	v_add_f32_e32 v38, v38, v40
	ds_bpermute_b32 v40, v32, v38
	s_waitcnt lgkmcnt(0)
	;; [unrolled: 3-line block ×3, first 2 shown]
	v_add_f32_e32 v38, v38, v40
	ds_bpermute_b32 v40, v34, v38
	s_and_saveexec_b32 s6, s5
	s_cbranch_execz .LBB621_40
; %bb.39:                               ;   in Loop: Header=BB621_16 Depth=1
	s_waitcnt lgkmcnt(0)
	v_add_f32_e32 v38, v38, v40
	ds_store_b32 v36, v38
.LBB621_40:                             ;   in Loop: Header=BB621_16 Depth=1
	s_or_b32 exec_lo, exec_lo, s6
	v_mov_b32_e32 v38, 0
	s_waitcnt lgkmcnt(0)
	s_barrier
	buffer_gl0_inv
	s_and_saveexec_b32 s6, s1
	s_cbranch_execnz .LBB621_58
; %bb.41:                               ;   in Loop: Header=BB621_16 Depth=1
	s_or_b32 exec_lo, exec_lo, s6
	s_and_saveexec_b32 s6, s0
	s_cbranch_execnz .LBB621_59
.LBB621_42:                             ;   in Loop: Header=BB621_16 Depth=1
	s_or_b32 exec_lo, exec_lo, s6
	s_and_saveexec_b32 s6, s2
	s_cbranch_execz .LBB621_15
	s_branch .LBB621_60
.LBB621_43:                             ;   in Loop: Header=BB621_16 Depth=1
	s_mul_i32 s7, s15, s17
	s_mul_hi_u32 s35, s15, s16
	s_mul_i32 s34, s15, s16
	s_add_i32 s35, s35, s7
	s_or_b32 s7, s15, 1
	s_lshl_b64 s[34:35], s[34:35], 1
	s_delay_alu instid0(SALU_CYCLE_1) | instskip(SKIP_3) | instid1(SALU_CYCLE_1)
	v_add_co_u32 v1, vcc_lo, v5, s34
	v_add_co_ci_u32_e32 v2, vcc_lo, s35, v6, vcc_lo
	s_mul_i32 s34, s7, s17
	s_mul_hi_u32 s35, s7, s16
	s_add_i32 s35, s35, s34
	s_mul_i32 s34, s7, s16
	s_or_b32 s7, s15, 2
	s_lshl_b64 s[34:35], s[34:35], 1
	flat_load_b64 v[20:21], v[1:2]
	s_mul_i32 s42, s7, s17
	s_mul_hi_u32 s43, s7, s16
	v_add_co_u32 v1, vcc_lo, v5, s34
	v_add_co_ci_u32_e32 v2, vcc_lo, s35, v6, vcc_lo
	s_add_i32 s35, s43, s42
	s_or_b32 s42, s15, 3
	s_mul_i32 s34, s7, s16
	s_mul_i32 s7, s42, s17
	s_mul_hi_u32 s43, s42, s16
	s_lshl_b64 s[34:35], s[34:35], 1
	s_add_i32 s43, s43, s7
	s_mul_i32 s42, s42, s16
	v_add_co_u32 v3, vcc_lo, v5, s34
	v_add_co_ci_u32_e32 v4, vcc_lo, s35, v6, vcc_lo
	s_lshl_b64 s[34:35], s[42:43], 1
	s_clause 0x3
	flat_load_u16 v46, v[10:11]
	flat_load_u16 v47, v[12:13]
	;; [unrolled: 1-line block ×4, first 2 shown]
	s_waitcnt lgkmcnt(5)
	v_add_co_u32 v38, vcc_lo, v5, s34
	v_add_co_ci_u32_e32 v39, vcc_lo, s35, v6, vcc_lo
	s_clause 0x2
	flat_load_b64 v[40:41], v[1:2]
	flat_load_b64 v[42:43], v[3:4]
	;; [unrolled: 1-line block ×3, first 2 shown]
	s_waitcnt vmcnt(7) lgkmcnt(7)
	v_lshlrev_b32_e32 v38, 16, v20
	s_waitcnt vmcnt(2) lgkmcnt(2)
	v_lshlrev_b32_e32 v50, 16, v41
	;; [unrolled: 2-line block ×3, first 2 shown]
	v_and_b32_e32 v20, 0xffff0000, v20
	v_lshlrev_b32_e32 v4, 16, v49
	v_and_b32_e32 v49, 0xffff0000, v40
	v_and_b32_e32 v53, 0xffff0000, v41
	v_lshlrev_b32_e32 v3, 16, v48
	v_lshlrev_b32_e32 v2, 16, v47
	;; [unrolled: 1-line block ×4, first 2 shown]
	v_and_b32_e32 v43, 0xffff0000, v43
	s_waitcnt vmcnt(0) lgkmcnt(0)
	v_lshlrev_b32_e32 v52, 16, v45
	s_delay_alu instid0(VALU_DEP_3) | instskip(NEXT) | instid1(VALU_DEP_1)
	v_fma_f32 v40, v1, v39, 0
	v_fmac_f32_e32 v40, v2, v49
	v_fma_f32 v41, v1, v38, 0
	s_delay_alu instid0(VALU_DEP_1) | instskip(SKIP_2) | instid1(VALU_DEP_2)
	v_dual_fmac_f32 v40, v3, v50 :: v_dual_fmac_f32 v41, v2, v20
	v_lshlrev_b32_e32 v46, 16, v21
	v_and_b32_e32 v20, 0xffff0000, v45
	v_dual_fmac_f32 v40, v4, v53 :: v_dual_fmac_f32 v41, v3, v46
	v_lshlrev_b32_e32 v48, 16, v44
	v_and_b32_e32 v44, 0xffff0000, v44
	s_delay_alu instid0(VALU_DEP_2) | instskip(NEXT) | instid1(VALU_DEP_1)
	v_fma_f32 v38, v1, v48, 0
	v_dual_fmac_f32 v38, v2, v44 :: v_dual_and_b32 v21, 0xffff0000, v21
	v_lshlrev_b32_e32 v47, 16, v42
	s_delay_alu instid0(VALU_DEP_2) | instskip(NEXT) | instid1(VALU_DEP_3)
	v_dual_fmac_f32 v41, v4, v21 :: v_dual_and_b32 v42, 0xffff0000, v42
	v_fmac_f32_e32 v38, v3, v52
	s_delay_alu instid0(VALU_DEP_3) | instskip(NEXT) | instid1(VALU_DEP_1)
	v_fma_f32 v39, v1, v47, 0
	v_dual_fmac_f32 v38, v4, v20 :: v_dual_fmac_f32 v39, v2, v42
	s_delay_alu instid0(VALU_DEP_1) | instskip(NEXT) | instid1(VALU_DEP_1)
	v_fmac_f32_e32 v39, v3, v51
	v_fmac_f32_e32 v39, v4, v43
	s_and_not1_saveexec_b32 s42, s6
	s_cbranch_execz .LBB621_18
.LBB621_44:                             ;   in Loop: Header=BB621_16 Depth=1
	s_waitcnt lgkmcnt(0)
	v_dual_mov_b32 v38, 0 :: v_dual_mov_b32 v39, 0
	v_dual_mov_b32 v40, 0 :: v_dual_mov_b32 v41, 0
	s_and_saveexec_b32 s43, s4
	s_cbranch_execz .LBB621_51
; %bb.45:                               ;   in Loop: Header=BB621_16 Depth=1
	s_and_not1_b32 vcc_lo, exec_lo, s37
	s_cbranch_vccnz .LBB621_48
; %bb.46:                               ;   in Loop: Header=BB621_16 Depth=1
	v_dual_mov_b32 v21, v11 :: v_dual_mov_b32 v20, v10
	s_mov_b64 s[34:35], 0
	.p2align	6
.LBB621_47:                             ;   Parent Loop BB621_16 Depth=1
                                        ; =>  This Inner Loop Header: Depth=2
	flat_load_u16 v38, v[20:21]
	v_add_co_u32 v20, vcc_lo, v20, s24
	s_cmp_eq_u32 s34, 3
	v_add_co_ci_u32_e32 v21, vcc_lo, s25, v21, vcc_lo
	s_cselect_b32 vcc_lo, -1, 0
	s_cmp_eq_u32 s34, 2
	s_cselect_b32 s6, -1, 0
	s_cmp_eq_u32 s34, 1
	s_cselect_b32 s7, -1, 0
	s_cmp_eq_u32 s34, 0
	s_waitcnt vmcnt(0) lgkmcnt(0)
	v_lshlrev_b32_e32 v38, 16, v38
	s_delay_alu instid0(VALU_DEP_1)
	v_cndmask_b32_e32 v4, v4, v38, vcc_lo
	s_cselect_b32 vcc_lo, -1, 0
	v_cndmask_b32_e64 v3, v3, v38, s6
	v_cndmask_b32_e64 v2, v2, v38, s7
	v_cndmask_b32_e32 v1, v1, v38, vcc_lo
	s_add_u32 s34, s34, 1
	s_addc_u32 s35, s35, 0
	s_cmp_eq_u32 s11, s34
	s_cbranch_scc0 .LBB621_47
.LBB621_48:                             ;   in Loop: Header=BB621_16 Depth=1
	v_dual_mov_b32 v38, 0 :: v_dual_mov_b32 v39, 0
	v_dual_mov_b32 v40, 0 :: v_dual_mov_b32 v41, 0
	s_and_not1_b32 vcc_lo, exec_lo, s37
	s_cbranch_vccnz .LBB621_51
; %bb.49:                               ;   in Loop: Header=BB621_16 Depth=1
	v_dual_mov_b32 v21, v19 :: v_dual_mov_b32 v40, 0
	v_dual_mov_b32 v41, 0 :: v_dual_mov_b32 v20, v18
	;; [unrolled: 1-line block ×3, first 2 shown]
	s_mov_b64 s[34:35], 0
	s_set_inst_prefetch_distance 0x1
	.p2align	6
.LBB621_50:                             ;   Parent Loop BB621_16 Depth=1
                                        ; =>  This Inner Loop Header: Depth=2
	s_delay_alu instid0(VALU_DEP_2)
	v_add_co_u32 v42, vcc_lo, v20, s30
	v_add_co_ci_u32_e32 v43, vcc_lo, s31, v21, vcc_lo
	v_add_co_u32 v44, vcc_lo, v20, s28
	v_add_co_ci_u32_e32 v45, vcc_lo, s29, v21, vcc_lo
	;; [unrolled: 2-line block ×3, first 2 shown]
	s_clause 0x3
	flat_load_u16 v48, v[20:21]
	flat_load_u16 v42, v[42:43]
	;; [unrolled: 1-line block ×4, first 2 shown]
	s_cmp_eq_u32 s34, 1
	v_add_co_u32 v20, s6, v20, 2
	s_cselect_b32 vcc_lo, -1, 0
	s_cmp_eq_u32 s34, 2
	v_cndmask_b32_e32 v45, v1, v2, vcc_lo
	s_cselect_b32 vcc_lo, -1, 0
	s_cmp_eq_u32 s34, 3
	v_add_co_ci_u32_e64 v21, s6, 0, v21, s6
	s_waitcnt vmcnt(3) lgkmcnt(3)
	v_dual_cndmask_b32 v45, v45, v3 :: v_dual_lshlrev_b32 v46, 16, v48
	s_waitcnt vmcnt(2) lgkmcnt(2)
	v_lshlrev_b32_e32 v42, 16, v42
	s_cselect_b32 vcc_lo, -1, 0
	s_add_u32 s34, s34, 1
	s_addc_u32 s35, s35, 0
	v_cndmask_b32_e32 v45, v45, v4, vcc_lo
	s_waitcnt vmcnt(1) lgkmcnt(1)
	v_lshlrev_b32_e32 v43, 16, v43
	s_waitcnt vmcnt(0) lgkmcnt(0)
	v_lshlrev_b32_e32 v44, 16, v44
	s_cmp_lg_u32 s11, s34
	v_fmac_f32_e32 v41, v45, v46
	v_fmac_f32_e32 v40, v45, v42
	;; [unrolled: 1-line block ×4, first 2 shown]
	s_cbranch_scc1 .LBB621_50
.LBB621_51:                             ;   in Loop: Header=BB621_16 Depth=1
	s_set_inst_prefetch_distance 0x2
	s_or_b32 exec_lo, exec_lo, s43
	s_delay_alu instid0(SALU_CYCLE_1)
	s_or_b32 exec_lo, exec_lo, s42
	s_and_saveexec_b32 s6, s0
	s_cbranch_execnz .LBB621_19
	s_branch .LBB621_20
.LBB621_52:                             ;   in Loop: Header=BB621_16 Depth=1
	ds_load_b32 v20, v35
	s_or_b32 exec_lo, exec_lo, s6
	s_and_saveexec_b32 s6, s0
	s_cbranch_execz .LBB621_24
.LBB621_53:                             ;   in Loop: Header=BB621_16 Depth=1
	s_waitcnt lgkmcnt(0)
	ds_bpermute_b32 v21, v32, v20
	s_waitcnt lgkmcnt(0)
	v_add_f32_e32 v20, v20, v21
	ds_bpermute_b32 v21, v33, v20
	s_waitcnt lgkmcnt(0)
	v_add_f32_e32 v20, v20, v21
	;; [unrolled: 3-line block ×3, first 2 shown]
	s_or_b32 exec_lo, exec_lo, s6
	s_and_saveexec_b32 s6, s0
	s_cbranch_execnz .LBB621_25
	s_branch .LBB621_26
.LBB621_54:                             ;   in Loop: Header=BB621_16 Depth=1
	ds_load_b32 v21, v35
	s_or_b32 exec_lo, exec_lo, s6
	s_and_saveexec_b32 s6, s0
	s_cbranch_execz .LBB621_30
.LBB621_55:                             ;   in Loop: Header=BB621_16 Depth=1
	s_waitcnt lgkmcnt(0)
	ds_bpermute_b32 v40, v32, v21
	s_waitcnt lgkmcnt(0)
	v_add_f32_e32 v21, v21, v40
	ds_bpermute_b32 v40, v33, v21
	s_waitcnt lgkmcnt(0)
	v_add_f32_e32 v21, v21, v40
	;; [unrolled: 3-line block ×3, first 2 shown]
	s_or_b32 exec_lo, exec_lo, s6
	s_and_saveexec_b32 s6, s0
	s_cbranch_execnz .LBB621_31
	s_branch .LBB621_32
.LBB621_56:                             ;   in Loop: Header=BB621_16 Depth=1
	ds_load_b32 v39, v35
	s_or_b32 exec_lo, exec_lo, s6
	s_and_saveexec_b32 s6, s0
	s_cbranch_execz .LBB621_36
.LBB621_57:                             ;   in Loop: Header=BB621_16 Depth=1
	s_waitcnt lgkmcnt(0)
	ds_bpermute_b32 v40, v32, v39
	s_waitcnt lgkmcnt(0)
	v_add_f32_e32 v39, v39, v40
	ds_bpermute_b32 v40, v33, v39
	s_waitcnt lgkmcnt(0)
	v_add_f32_e32 v39, v39, v40
	;; [unrolled: 3-line block ×3, first 2 shown]
	s_or_b32 exec_lo, exec_lo, s6
	s_and_saveexec_b32 s6, s0
	s_cbranch_execnz .LBB621_37
	s_branch .LBB621_38
.LBB621_58:                             ;   in Loop: Header=BB621_16 Depth=1
	ds_load_b32 v38, v35
	s_or_b32 exec_lo, exec_lo, s6
	s_and_saveexec_b32 s6, s0
	s_cbranch_execz .LBB621_42
.LBB621_59:                             ;   in Loop: Header=BB621_16 Depth=1
	s_waitcnt lgkmcnt(0)
	ds_bpermute_b32 v40, v32, v38
	s_waitcnt lgkmcnt(0)
	v_add_f32_e32 v38, v38, v40
	ds_bpermute_b32 v40, v33, v38
	s_waitcnt lgkmcnt(0)
	v_add_f32_e32 v38, v38, v40
	;; [unrolled: 3-line block ×3, first 2 shown]
	s_or_b32 exec_lo, exec_lo, s6
	s_and_saveexec_b32 s6, s2
	s_cbranch_execz .LBB621_15
.LBB621_60:                             ;   in Loop: Header=BB621_16 Depth=1
	s_mul_hi_u32 s35, s15, s12
	s_mul_i32 s34, s15, s12
	v_dual_mul_f32 v20, s10, v20 :: v_dual_mul_f32 v21, s10, v21
	s_lshl_b64 s[34:35], s[34:35], 2
	s_waitcnt lgkmcnt(0)
	v_mul_f32_e32 v38, s10, v38
	s_add_u32 s34, s38, s34
	s_addc_u32 s35, s39, s35
	s_or_b32 s7, s15, 1
	global_store_b32 v37, v20, s[34:35]
	s_mul_hi_u32 s43, s7, s12
	s_mul_i32 s42, s7, s12
	v_mul_f32_e32 v20, s10, v39
	s_lshl_b64 s[42:43], s[42:43], 2
	s_delay_alu instid0(SALU_CYCLE_1)
	s_add_u32 s42, s38, s42
	s_addc_u32 s43, s39, s43
	s_or_b32 s7, s15, 2
	global_store_b32 v37, v21, s[42:43]
	s_mul_hi_u32 s45, s7, s12
	s_mul_i32 s44, s7, s12
	s_delay_alu instid0(SALU_CYCLE_1) | instskip(NEXT) | instid1(SALU_CYCLE_1)
	s_lshl_b64 s[44:45], s[44:45], 2
	s_add_u32 s34, s38, s44
	s_addc_u32 s35, s39, s45
	s_or_b32 s7, s15, 3
	s_delay_alu instid0(SALU_CYCLE_1) | instskip(SKIP_1) | instid1(SALU_CYCLE_1)
	s_mul_hi_u32 s45, s7, s12
	s_mul_i32 s44, s7, s12
	s_lshl_b64 s[44:45], s[44:45], 2
	s_delay_alu instid0(SALU_CYCLE_1)
	s_add_u32 s42, s38, s44
	s_addc_u32 s43, s39, s45
	s_clause 0x1
	global_store_b32 v37, v20, s[34:35]
	global_store_b32 v37, v38, s[42:43]
	s_branch .LBB621_15
.LBB621_61:
	s_mov_b32 s15, 0
                                        ; implicit-def: $vgpr1_vgpr2_vgpr3_vgpr4
.LBB621_62:
	s_delay_alu instid0(SALU_CYCLE_1)
	s_cmp_ge_i32 s15, s9
	s_cbranch_scc1 .LBB621_86
; %bb.63:
	v_cmp_gt_u32_e32 vcc_lo, 16, v27
	v_cmp_ge_i32_e64 s0, s8, v28
	v_cmp_ge_i32_e64 s1, s8, v29
	v_mad_i64_i32 v[16:17], null, s22, v22, 0
	v_cndmask_b32_e64 v10, 0, 1, vcc_lo
	v_cmp_gt_u32_e32 vcc_lo, 24, v27
	s_cmp_gt_i32 s11, 0
	s_mov_b32 s25, 0
	s_mov_b32 s24, s14
	v_lshlrev_b32_e32 v10, 4, v10
	v_cndmask_b32_e64 v11, 0, 1, vcc_lo
	v_cmp_gt_u32_e32 vcc_lo, 28, v27
	s_cselect_b32 s8, -1, 0
	s_lshl_b64 s[6:7], s[24:25], 2
	v_add_lshl_u32 v20, v10, v27, 2
	v_lshlrev_b32_e32 v11, 3, v11
	v_cndmask_b32_e64 v12, 0, 1, vcc_lo
	v_cmp_gt_u32_e32 vcc_lo, 30, v27
	s_add_u32 s13, s33, s6
	s_addc_u32 s14, s36, s7
	v_add_lshl_u32 v21, v11, v27, 2
	v_lshlrev_b32_e32 v12, 2, v12
	v_cndmask_b32_e64 v13, 0, 1, vcc_lo
	v_cmp_ne_u32_e32 vcc_lo, 31, v27
	v_mad_i64_i32 v[10:11], null, s22, v9, 0
	s_delay_alu instid0(VALU_DEP_4) | instskip(NEXT) | instid1(VALU_DEP_4)
	v_add_lshl_u32 v28, v12, v27, 2
	v_lshlrev_b32_e32 v13, 1, v13
	v_add_co_ci_u32_e32 v14, vcc_lo, 0, v27, vcc_lo
	s_mul_i32 s6, s17, s15
	s_mul_hi_u32 s7, s16, s15
	s_delay_alu instid0(VALU_DEP_2)
	v_add_lshl_u32 v27, v13, v27, 2
	v_mad_i64_i32 v[12:13], null, s22, v24, 0
	v_lshlrev_b32_e32 v29, 2, v14
	v_mad_i64_i32 v[14:15], null, s22, v23, 0
	v_lshlrev_b64 v[9:10], 1, v[10:11]
	s_add_i32 s7, s7, s6
	s_mul_i32 s6, s16, s15
	s_delay_alu instid0(VALU_DEP_4)
	v_lshlrev_b64 v[11:12], 1, v[12:13]
	s_lshl_b64 s[6:7], s[6:7], 1
	v_cmp_gt_u32_e64 s2, 32, v0
	v_add_co_u32 v9, vcc_lo, s20, v9
	v_lshlrev_b64 v[13:14], 1, v[14:15]
	v_add_co_ci_u32_e32 v10, vcc_lo, s21, v10, vcc_lo
	v_add_co_u32 v11, vcc_lo, s20, v11
	v_lshlrev_b64 v[15:16], 1, v[16:17]
	v_add_co_ci_u32_e32 v12, vcc_lo, s21, v12, vcc_lo
	v_add_co_u32 v13, vcc_lo, s20, v13
	v_add_co_ci_u32_e32 v14, vcc_lo, s21, v14, vcc_lo
	s_delay_alu instid0(VALU_DEP_4)
	v_add_co_u32 v15, vcc_lo, s20, v15
	v_add_co_ci_u32_e32 v16, vcc_lo, s21, v16, vcc_lo
	s_lshl_b64 s[20:21], s[22:23], 1
	s_add_u32 s6, s18, s6
	s_addc_u32 s7, s19, s7
	v_add_co_u32 v7, vcc_lo, s6, v7
	v_lshlrev_b32_e32 v19, 2, v25
	v_cmp_eq_u32_e64 s3, 0, v25
	v_and_b32_e32 v25, 28, v26
	v_cmp_gt_u32_e64 s4, 8, v0
	v_cmp_eq_u32_e64 s5, 0, v0
	v_mov_b32_e32 v0, 0
	v_add_co_ci_u32_e32 v8, vcc_lo, s7, v8, vcc_lo
	s_lshl_b64 s[18:19], s[16:17], 1
	s_branch .LBB621_65
.LBB621_64:                             ;   in Loop: Header=BB621_65 Depth=1
	s_or_b32 exec_lo, exec_lo, s6
	v_add_co_u32 v7, vcc_lo, v7, s18
	v_add_co_ci_u32_e32 v8, vcc_lo, s19, v8, vcc_lo
	s_add_i32 s15, s15, 1
	s_delay_alu instid0(SALU_CYCLE_1)
	s_cmp_ge_i32 s15, s9
	s_cbranch_scc1 .LBB621_86
.LBB621_65:                             ; =>This Loop Header: Depth=1
                                        ;     Child Loop BB621_78 Depth 2
                                        ;     Child Loop BB621_81 Depth 2
	v_mov_b32_e32 v22, s25
	s_and_saveexec_b32 s6, s0
	s_delay_alu instid0(SALU_CYCLE_1)
	s_xor_b32 s6, exec_lo, s6
	s_cbranch_execnz .LBB621_74
; %bb.66:                               ;   in Loop: Header=BB621_65 Depth=1
	s_and_not1_saveexec_b32 s24, s6
	s_cbranch_execnz .LBB621_75
.LBB621_67:                             ;   in Loop: Header=BB621_65 Depth=1
	s_or_b32 exec_lo, exec_lo, s24
	s_and_saveexec_b32 s6, s2
	s_cbranch_execz .LBB621_69
.LBB621_68:                             ;   in Loop: Header=BB621_65 Depth=1
	ds_store_b32 v19, v0
.LBB621_69:                             ;   in Loop: Header=BB621_65 Depth=1
	s_or_b32 exec_lo, exec_lo, s6
	s_waitcnt lgkmcnt(0)
	ds_bpermute_b32 v17, v20, v22
	s_waitcnt lgkmcnt(0)
	s_waitcnt_vscnt null, 0x0
	s_barrier
	buffer_gl0_inv
	v_add_f32_e32 v17, v22, v17
	ds_bpermute_b32 v18, v21, v17
	s_waitcnt lgkmcnt(0)
	v_add_f32_e32 v17, v17, v18
	ds_bpermute_b32 v18, v28, v17
	s_waitcnt lgkmcnt(0)
	;; [unrolled: 3-line block ×3, first 2 shown]
	v_add_f32_e32 v17, v17, v18
	ds_bpermute_b32 v18, v29, v17
	s_and_saveexec_b32 s6, s3
	s_cbranch_execz .LBB621_71
; %bb.70:                               ;   in Loop: Header=BB621_65 Depth=1
	s_waitcnt lgkmcnt(0)
	v_add_f32_e32 v17, v17, v18
	ds_store_b32 v25, v17
.LBB621_71:                             ;   in Loop: Header=BB621_65 Depth=1
	s_or_b32 exec_lo, exec_lo, s6
	v_mov_b32_e32 v17, 0
	s_waitcnt lgkmcnt(0)
	s_barrier
	buffer_gl0_inv
	s_and_saveexec_b32 s6, s4
	s_cbranch_execnz .LBB621_83
; %bb.72:                               ;   in Loop: Header=BB621_65 Depth=1
	s_or_b32 exec_lo, exec_lo, s6
	s_and_saveexec_b32 s6, s2
	s_cbranch_execnz .LBB621_84
.LBB621_73:                             ;   in Loop: Header=BB621_65 Depth=1
	s_or_b32 exec_lo, exec_lo, s6
	s_and_saveexec_b32 s6, s5
	s_cbranch_execz .LBB621_64
	s_branch .LBB621_85
.LBB621_74:                             ;   in Loop: Header=BB621_65 Depth=1
	s_mul_i32 s7, s15, s17
	s_mul_hi_u32 s23, s15, s16
	s_mul_i32 s22, s15, s16
	s_add_i32 s23, s23, s7
	s_delay_alu instid0(SALU_CYCLE_1) | instskip(NEXT) | instid1(SALU_CYCLE_1)
	s_lshl_b64 s[22:23], s[22:23], 1
	v_add_co_u32 v1, vcc_lo, v5, s22
	v_add_co_ci_u32_e32 v2, vcc_lo, s23, v6, vcc_lo
	flat_load_u16 v3, v[9:10]
	s_waitcnt lgkmcnt(1)
	flat_load_b64 v[17:18], v[1:2]
	s_clause 0x2
	flat_load_u16 v2, v[11:12]
	flat_load_u16 v4, v[13:14]
	;; [unrolled: 1-line block ×3, first 2 shown]
	s_waitcnt vmcnt(2) lgkmcnt(2)
	v_lshlrev_b32_e32 v2, 16, v2
	v_lshlrev_b32_e32 v1, 16, v3
	;; [unrolled: 1-line block ×3, first 2 shown]
	v_and_b32_e32 v17, 0xffff0000, v17
	s_delay_alu instid0(VALU_DEP_2)
	v_fma_f32 v22, v1, v3, 0
	s_waitcnt vmcnt(1) lgkmcnt(1)
	v_lshlrev_b32_e32 v3, 16, v4
	s_waitcnt vmcnt(0) lgkmcnt(0)
	v_lshlrev_b32_e32 v4, 16, v23
	v_dual_fmac_f32 v22, v2, v17 :: v_dual_lshlrev_b32 v17, 16, v18
	v_and_b32_e32 v18, 0xffff0000, v18
	s_delay_alu instid0(VALU_DEP_2) | instskip(NEXT) | instid1(VALU_DEP_1)
	v_fmac_f32_e32 v22, v3, v17
	v_fmac_f32_e32 v22, v4, v18
	s_and_not1_saveexec_b32 s24, s6
	s_cbranch_execz .LBB621_67
.LBB621_75:                             ;   in Loop: Header=BB621_65 Depth=1
	s_and_saveexec_b32 s26, s1
	s_cbranch_execz .LBB621_82
; %bb.76:                               ;   in Loop: Header=BB621_65 Depth=1
	s_and_not1_b32 vcc_lo, exec_lo, s8
	s_cbranch_vccnz .LBB621_79
; %bb.77:                               ;   in Loop: Header=BB621_65 Depth=1
	s_waitcnt lgkmcnt(0)
	v_dual_mov_b32 v18, v10 :: v_dual_mov_b32 v17, v9
	s_mov_b64 s[22:23], 0
	.p2align	6
.LBB621_78:                             ;   Parent Loop BB621_65 Depth=1
                                        ; =>  This Inner Loop Header: Depth=2
	flat_load_u16 v23, v[17:18]
	v_add_co_u32 v17, vcc_lo, v17, s20
	s_cmp_eq_u32 s22, 3
	v_add_co_ci_u32_e32 v18, vcc_lo, s21, v18, vcc_lo
	s_cselect_b32 vcc_lo, -1, 0
	s_cmp_eq_u32 s22, 2
	s_cselect_b32 s6, -1, 0
	s_cmp_eq_u32 s22, 1
	s_cselect_b32 s7, -1, 0
	s_cmp_eq_u32 s22, 0
	s_waitcnt vmcnt(0) lgkmcnt(0)
	v_lshlrev_b32_e32 v23, 16, v23
	s_delay_alu instid0(VALU_DEP_1)
	v_cndmask_b32_e32 v4, v4, v23, vcc_lo
	s_cselect_b32 vcc_lo, -1, 0
	v_cndmask_b32_e64 v3, v3, v23, s6
	v_cndmask_b32_e64 v2, v2, v23, s7
	v_cndmask_b32_e32 v1, v1, v23, vcc_lo
	s_add_u32 s22, s22, 1
	s_addc_u32 s23, s23, 0
	s_cmp_eq_u32 s11, s22
	s_cbranch_scc0 .LBB621_78
.LBB621_79:                             ;   in Loop: Header=BB621_65 Depth=1
	s_and_not1_b32 vcc_lo, exec_lo, s8
	s_cbranch_vccnz .LBB621_82
; %bb.80:                               ;   in Loop: Header=BB621_65 Depth=1
	s_waitcnt lgkmcnt(0)
	v_dual_mov_b32 v18, v8 :: v_dual_mov_b32 v17, v7
	s_mov_b64 s[6:7], 0
	.p2align	6
.LBB621_81:                             ;   Parent Loop BB621_65 Depth=1
                                        ; =>  This Inner Loop Header: Depth=2
	flat_load_u16 v23, v[17:18]
	s_cmp_eq_u32 s6, 1
	s_cselect_b32 vcc_lo, -1, 0
	s_cmp_eq_u32 s6, 2
	v_cndmask_b32_e32 v24, v1, v2, vcc_lo
	s_cselect_b32 vcc_lo, -1, 0
	s_cmp_eq_u32 s6, 3
	s_waitcnt vmcnt(0) lgkmcnt(0)
	v_lshlrev_b32_e32 v23, 16, v23
	v_cndmask_b32_e32 v24, v24, v3, vcc_lo
	s_cselect_b32 vcc_lo, -1, 0
	s_add_u32 s6, s6, 1
	s_addc_u32 s7, s7, 0
	s_cmp_lg_u32 s11, s6
	v_cndmask_b32_e32 v24, v24, v4, vcc_lo
	v_add_co_u32 v17, vcc_lo, v17, 2
	v_add_co_ci_u32_e32 v18, vcc_lo, 0, v18, vcc_lo
	s_delay_alu instid0(VALU_DEP_3)
	v_fmac_f32_e32 v22, v24, v23
	s_cbranch_scc1 .LBB621_81
.LBB621_82:                             ;   in Loop: Header=BB621_65 Depth=1
	s_or_b32 exec_lo, exec_lo, s26
	s_delay_alu instid0(SALU_CYCLE_1)
	s_or_b32 exec_lo, exec_lo, s24
	s_and_saveexec_b32 s6, s2
	s_cbranch_execnz .LBB621_68
	s_branch .LBB621_69
.LBB621_83:                             ;   in Loop: Header=BB621_65 Depth=1
	ds_load_b32 v17, v19
	s_or_b32 exec_lo, exec_lo, s6
	s_and_saveexec_b32 s6, s2
	s_cbranch_execz .LBB621_73
.LBB621_84:                             ;   in Loop: Header=BB621_65 Depth=1
	s_waitcnt lgkmcnt(0)
	ds_bpermute_b32 v18, v28, v17
	s_waitcnt lgkmcnt(0)
	v_add_f32_e32 v17, v17, v18
	ds_bpermute_b32 v18, v27, v17
	s_waitcnt lgkmcnt(0)
	v_add_f32_e32 v17, v17, v18
	;; [unrolled: 3-line block ×3, first 2 shown]
	s_or_b32 exec_lo, exec_lo, s6
	s_and_saveexec_b32 s6, s5
	s_cbranch_execz .LBB621_64
.LBB621_85:                             ;   in Loop: Header=BB621_65 Depth=1
	s_mul_hi_u32 s23, s15, s12
	s_mul_i32 s22, s15, s12
	s_waitcnt lgkmcnt(0)
	v_mul_f32_e32 v17, s10, v17
	s_lshl_b64 s[22:23], s[22:23], 2
	s_delay_alu instid0(SALU_CYCLE_1)
	s_add_u32 s22, s13, s22
	s_addc_u32 s23, s14, s23
	global_store_b32 v0, v17, s[22:23]
	s_branch .LBB621_64
.LBB621_86:
	s_nop 0
	s_sendmsg sendmsg(MSG_DEALLOC_VGPRS)
	s_endpgm
	.section	.rodata,"a",@progbits
	.p2align	6, 0x0
	.amdhsa_kernel _ZL23rocblas_gemvt_sn_kernelILb1ELi256ELi4ElPK16rocblas_bfloat16ffEviiT4_lPKT3_lilS6_lilPT5_i
		.amdhsa_group_segment_fixed_size 128
		.amdhsa_private_segment_fixed_size 0
		.amdhsa_kernarg_size 360
		.amdhsa_user_sgpr_count 14
		.amdhsa_user_sgpr_dispatch_ptr 0
		.amdhsa_user_sgpr_queue_ptr 0
		.amdhsa_user_sgpr_kernarg_segment_ptr 1
		.amdhsa_user_sgpr_dispatch_id 0
		.amdhsa_user_sgpr_private_segment_size 0
		.amdhsa_wavefront_size32 1
		.amdhsa_uses_dynamic_stack 0
		.amdhsa_enable_private_segment 0
		.amdhsa_system_sgpr_workgroup_id_x 1
		.amdhsa_system_sgpr_workgroup_id_y 0
		.amdhsa_system_sgpr_workgroup_id_z 1
		.amdhsa_system_sgpr_workgroup_info 0
		.amdhsa_system_vgpr_workitem_id 0
		.amdhsa_next_free_vgpr 54
		.amdhsa_next_free_sgpr 46
		.amdhsa_reserve_vcc 1
		.amdhsa_float_round_mode_32 0
		.amdhsa_float_round_mode_16_64 0
		.amdhsa_float_denorm_mode_32 3
		.amdhsa_float_denorm_mode_16_64 3
		.amdhsa_dx10_clamp 1
		.amdhsa_ieee_mode 1
		.amdhsa_fp16_overflow 0
		.amdhsa_workgroup_processor_mode 1
		.amdhsa_memory_ordered 1
		.amdhsa_forward_progress 0
		.amdhsa_shared_vgpr_count 0
		.amdhsa_exception_fp_ieee_invalid_op 0
		.amdhsa_exception_fp_denorm_src 0
		.amdhsa_exception_fp_ieee_div_zero 0
		.amdhsa_exception_fp_ieee_overflow 0
		.amdhsa_exception_fp_ieee_underflow 0
		.amdhsa_exception_fp_ieee_inexact 0
		.amdhsa_exception_int_div_zero 0
	.end_amdhsa_kernel
	.section	.text._ZL23rocblas_gemvt_sn_kernelILb1ELi256ELi4ElPK16rocblas_bfloat16ffEviiT4_lPKT3_lilS6_lilPT5_i,"axG",@progbits,_ZL23rocblas_gemvt_sn_kernelILb1ELi256ELi4ElPK16rocblas_bfloat16ffEviiT4_lPKT3_lilS6_lilPT5_i,comdat
.Lfunc_end621:
	.size	_ZL23rocblas_gemvt_sn_kernelILb1ELi256ELi4ElPK16rocblas_bfloat16ffEviiT4_lPKT3_lilS6_lilPT5_i, .Lfunc_end621-_ZL23rocblas_gemvt_sn_kernelILb1ELi256ELi4ElPK16rocblas_bfloat16ffEviiT4_lPKT3_lilS6_lilPT5_i
                                        ; -- End function
	.section	.AMDGPU.csdata,"",@progbits
; Kernel info:
; codeLenInByte = 4316
; NumSgprs: 48
; NumVgprs: 54
; ScratchSize: 0
; MemoryBound: 0
; FloatMode: 240
; IeeeMode: 1
; LDSByteSize: 128 bytes/workgroup (compile time only)
; SGPRBlocks: 5
; VGPRBlocks: 6
; NumSGPRsForWavesPerEU: 48
; NumVGPRsForWavesPerEU: 54
; Occupancy: 16
; WaveLimiterHint : 0
; COMPUTE_PGM_RSRC2:SCRATCH_EN: 0
; COMPUTE_PGM_RSRC2:USER_SGPR: 14
; COMPUTE_PGM_RSRC2:TRAP_HANDLER: 0
; COMPUTE_PGM_RSRC2:TGID_X_EN: 1
; COMPUTE_PGM_RSRC2:TGID_Y_EN: 0
; COMPUTE_PGM_RSRC2:TGID_Z_EN: 1
; COMPUTE_PGM_RSRC2:TIDIG_COMP_CNT: 0
	.section	.text._ZL20rocblas_gemvt_kernelILb1ELi256EPK16rocblas_bfloat16PKfKPS0_EviiT2_lPKT1_lilSA_lilS7_lPT3_lili,"axG",@progbits,_ZL20rocblas_gemvt_kernelILb1ELi256EPK16rocblas_bfloat16PKfKPS0_EviiT2_lPKT1_lilSA_lilS7_lPT3_lili,comdat
	.globl	_ZL20rocblas_gemvt_kernelILb1ELi256EPK16rocblas_bfloat16PKfKPS0_EviiT2_lPKT1_lilSA_lilS7_lPT3_lili ; -- Begin function _ZL20rocblas_gemvt_kernelILb1ELi256EPK16rocblas_bfloat16PKfKPS0_EviiT2_lPKT1_lilSA_lilS7_lPT3_lili
	.p2align	8
	.type	_ZL20rocblas_gemvt_kernelILb1ELi256EPK16rocblas_bfloat16PKfKPS0_EviiT2_lPKT1_lilSA_lilS7_lPT3_lili,@function
_ZL20rocblas_gemvt_kernelILb1ELi256EPK16rocblas_bfloat16PKfKPS0_EviiT2_lPKT1_lilSA_lilS7_lPT3_lili: ; @_ZL20rocblas_gemvt_kernelILb1ELi256EPK16rocblas_bfloat16PKfKPS0_EviiT2_lPKT1_lilSA_lilS7_lPT3_lili
; %bb.0:
	s_clause 0x1
	s_load_b256 s[16:23], s[0:1], 0x8
	s_load_b256 s[4:11], s[0:1], 0x58
	s_mov_b32 s2, s15
	s_waitcnt lgkmcnt(0)
	s_mul_i32 s3, s15, s19
	s_mul_hi_u32 s13, s15, s18
	s_mul_i32 s12, s15, s18
	s_add_i32 s13, s13, s3
	s_mul_i32 s3, s15, s7
	s_lshl_b64 s[12:13], s[12:13], 2
	s_mul_hi_u32 s7, s15, s6
	s_add_u32 s12, s16, s12
	s_addc_u32 s13, s17, s13
	s_add_i32 s7, s7, s3
	s_mul_i32 s6, s15, s6
	s_delay_alu instid0(SALU_CYCLE_1) | instskip(NEXT) | instid1(SALU_CYCLE_1)
	s_lshl_b64 s[6:7], s[6:7], 2
	s_add_u32 s4, s4, s6
	s_addc_u32 s5, s5, s7
	s_load_b32 s16, s[12:13], 0x0
	s_load_b32 s15, s[4:5], 0x0
	s_waitcnt lgkmcnt(0)
	v_cmp_eq_f32_e64 s6, s16, 0
	v_cmp_eq_f32_e64 s3, s15, 1.0
	s_delay_alu instid0(VALU_DEP_1) | instskip(NEXT) | instid1(SALU_CYCLE_1)
	s_and_b32 s3, s6, s3
	s_and_b32 vcc_lo, exec_lo, s3
	s_mov_b32 s3, 0
	s_cbranch_vccnz .LBB622_69
; %bb.1:
	v_cmp_neq_f32_e64 s7, s16, 0
	s_mov_b64 s[4:5], 0
	s_and_b32 vcc_lo, exec_lo, s6
	s_mov_b64 s[12:13], 0
	s_cbranch_vccnz .LBB622_3
; %bb.2:
	s_lshl_b64 s[12:13], s[2:3], 3
	s_delay_alu instid0(SALU_CYCLE_1)
	s_add_u32 s12, s20, s12
	s_addc_u32 s13, s21, s13
	s_lshl_b64 s[18:19], s[22:23], 1
	s_load_b64 s[12:13], s[12:13], 0x0
	s_waitcnt lgkmcnt(0)
	s_add_u32 s12, s12, s18
	s_addc_u32 s13, s13, s19
.LBB622_3:
	s_and_not1_b32 vcc_lo, exec_lo, s7
	s_cbranch_vccnz .LBB622_5
; %bb.4:
	s_load_b128 s[20:23], s[0:1], 0x38
	s_lshl_b64 s[4:5], s[2:3], 3
	s_waitcnt lgkmcnt(0)
	s_add_u32 s4, s20, s4
	s_addc_u32 s5, s21, s5
	s_lshl_b64 s[18:19], s[22:23], 1
	s_load_b64 s[4:5], s[4:5], 0x0
	s_waitcnt lgkmcnt(0)
	s_add_u32 s4, s4, s18
	s_addc_u32 s5, s5, s19
.LBB622_5:
	s_lshl_b64 s[2:3], s[2:3], 3
	s_delay_alu instid0(SALU_CYCLE_1)
	s_add_u32 s2, s8, s2
	s_addc_u32 s3, s9, s3
	s_lshl_b64 s[10:11], s[10:11], 1
	s_load_b64 s[8:9], s[2:3], 0x0
	s_load_b32 s17, s[0:1], 0x78
	v_cmp_eq_u32_e64 s2, 0, v0
	s_waitcnt lgkmcnt(0)
	s_add_u32 s8, s8, s10
	s_addc_u32 s9, s9, s11
	s_and_not1_b32 vcc_lo, exec_lo, s6
	s_cbranch_vccnz .LBB622_10
; %bb.6:
	s_mov_b32 s3, 0
	s_mov_b32 s10, 0
                                        ; implicit-def: $sgpr11
                                        ; implicit-def: $sgpr6_sgpr7
	s_and_saveexec_b32 s18, s2
	s_cbranch_execz .LBB622_11
; %bb.7:
	v_cmp_eq_f32_e64 s2, s15, 0
	s_mov_b32 s11, 0
	s_mul_hi_i32 s7, s17, s14
	s_mul_i32 s6, s17, s14
	s_delay_alu instid0(VALU_DEP_1)
	s_and_b32 vcc_lo, exec_lo, s2
	s_cbranch_vccnz .LBB622_16
; %bb.8:
	s_lshl_b64 s[10:11], s[6:7], 1
	v_mov_b32_e32 v1, 0
	s_add_u32 s10, s8, s10
	s_addc_u32 s11, s9, s11
	global_load_u16 v1, v1, s[10:11]
	s_waitcnt vmcnt(0)
	v_lshlrev_b32_e32 v1, 16, v1
	s_delay_alu instid0(VALU_DEP_1) | instskip(NEXT) | instid1(VALU_DEP_1)
	v_mul_f32_e32 v1, s15, v1
	v_and_b32_e32 v2, 0x7f800000, v1
	v_readfirstlane_b32 s2, v1
	s_delay_alu instid0(VALU_DEP_2)
	v_cmp_eq_u32_e32 vcc_lo, 0x7f800000, v2
	s_cbranch_vccnz .LBB622_12
; %bb.9:
	s_delay_alu instid0(VALU_DEP_2) | instskip(SKIP_2) | instid1(SALU_CYCLE_1)
	s_bfe_u32 s10, s2, 0x10010
	s_mov_b32 s11, 0
	s_add_i32 s10, s2, s10
	s_addk_i32 s10, 0x7fff
	s_branch .LBB622_13
.LBB622_10:
	s_mov_b32 s10, 0
                                        ; implicit-def: $sgpr11
                                        ; implicit-def: $sgpr6_sgpr7
	s_cbranch_execnz .LBB622_17
	s_branch .LBB622_67
.LBB622_11:
	s_or_b32 exec_lo, exec_lo, s18
	s_delay_alu instid0(SALU_CYCLE_1)
	s_and_b32 vcc_lo, exec_lo, s3
	s_cbranch_vccnz .LBB622_17
	s_branch .LBB622_67
.LBB622_12:
	s_mov_b32 s11, -1
                                        ; implicit-def: $sgpr10
.LBB622_13:
	s_delay_alu instid0(SALU_CYCLE_1)
	s_and_not1_b32 vcc_lo, exec_lo, s11
	s_cbranch_vccnz .LBB622_15
; %bb.14:
	s_and_b32 s10, s2, 0xffff
	s_or_b32 s11, s2, 0x10000
	s_cmp_eq_u32 s10, 0
	s_cselect_b32 s10, s2, s11
.LBB622_15:
	s_delay_alu instid0(SALU_CYCLE_1)
	s_lshr_b32 s11, s10, 16
.LBB622_16:
	s_mov_b32 s10, exec_lo
	s_or_b32 exec_lo, exec_lo, s18
	s_delay_alu instid0(SALU_CYCLE_1)
	s_and_b32 vcc_lo, exec_lo, s3
	s_cbranch_vccz .LBB622_67
.LBB622_17:
	s_clause 0x2
	s_load_b32 s2, s[0:1], 0x28
	s_load_b32 s3, s[0:1], 0x0
	;; [unrolled: 1-line block ×3, first 2 shown]
	v_mov_b32_e32 v7, 0
	s_mov_b32 s11, 0
	s_waitcnt lgkmcnt(0)
	s_mul_hi_i32 s7, s2, s14
	v_cmp_gt_i32_e32 vcc_lo, s3, v0
	s_mul_i32 s6, s2, s14
	s_delay_alu instid0(SALU_CYCLE_1) | instskip(NEXT) | instid1(SALU_CYCLE_1)
	s_lshl_b64 s[6:7], s[6:7], 1
	s_add_u32 s1, s6, s12
	v_cndmask_b32_e32 v1, 0, v0, vcc_lo
	s_addc_u32 s2, s7, s13
	s_ashr_i32 s6, s3, 31
	s_delay_alu instid0(SALU_CYCLE_1) | instskip(NEXT) | instid1(VALU_DEP_1)
	s_lshr_b32 s6, s6, 24
	v_lshlrev_b32_e32 v1, 1, v1
	s_add_i32 s6, s3, s6
	s_delay_alu instid0(VALU_DEP_1) | instskip(NEXT) | instid1(VALU_DEP_1)
	v_add_co_u32 v1, s1, s1, v1
	v_add_co_ci_u32_e64 v2, null, s2, 0, s1
	s_and_b32 s2, s6, 0xffffff00
	s_cmpk_lt_i32 s3, 0x100
	s_cbranch_scc1 .LBB622_24
; %bb.18:
	v_mad_i64_i32 v[3:4], null, s0, v0, 0
	v_dual_mov_b32 v7, 0 :: v_dual_mov_b32 v6, v2
	v_mov_b32_e32 v5, v1
	s_ashr_i32 s1, s0, 31
	s_delay_alu instid0(SALU_CYCLE_1) | instskip(NEXT) | instid1(VALU_DEP_3)
	s_lshl_b64 s[6:7], s[0:1], 9
	v_lshlrev_b64 v[3:4], 1, v[3:4]
	s_delay_alu instid0(VALU_DEP_1) | instskip(NEXT) | instid1(VALU_DEP_2)
	v_add_co_u32 v3, vcc_lo, s4, v3
	v_add_co_ci_u32_e32 v4, vcc_lo, s5, v4, vcc_lo
	s_set_inst_prefetch_distance 0x1
	s_branch .LBB622_20
	.p2align	6
.LBB622_19:                             ;   in Loop: Header=BB622_20 Depth=1
	s_or_b32 exec_lo, exec_lo, s1
	s_delay_alu instid0(VALU_DEP_1) | instskip(SKIP_3) | instid1(VALU_DEP_4)
	v_and_b32_e32 v8, 0xffff0000, v9
	v_add_co_u32 v3, vcc_lo, v3, s6
	v_add_co_ci_u32_e32 v4, vcc_lo, s7, v4, vcc_lo
	v_add_co_u32 v5, vcc_lo, 0x200, v5
	v_add_f32_e32 v7, v7, v8
	v_add_co_ci_u32_e32 v6, vcc_lo, 0, v6, vcc_lo
	s_addk_i32 s11, 0x100
	s_delay_alu instid0(SALU_CYCLE_1)
	s_cmp_ge_i32 s11, s2
	s_cbranch_scc1 .LBB622_24
.LBB622_20:                             ; =>This Inner Loop Header: Depth=1
	flat_load_u16 v8, v[3:4]
	flat_load_u16 v9, v[5:6]
	s_waitcnt vmcnt(1) lgkmcnt(1)
	v_lshlrev_b32_e32 v8, 16, v8
	s_waitcnt vmcnt(0) lgkmcnt(0)
	v_lshlrev_b32_e32 v9, 16, v9
	s_delay_alu instid0(VALU_DEP_1) | instskip(NEXT) | instid1(VALU_DEP_1)
	v_mul_f32_e32 v8, v9, v8
	v_and_b32_e32 v9, 0x7f800000, v8
	s_delay_alu instid0(VALU_DEP_1) | instskip(SKIP_1) | instid1(SALU_CYCLE_1)
	v_cmp_ne_u32_e32 vcc_lo, 0x7f800000, v9
                                        ; implicit-def: $vgpr9
	s_and_saveexec_b32 s1, vcc_lo
	s_xor_b32 s1, exec_lo, s1
; %bb.21:                               ;   in Loop: Header=BB622_20 Depth=1
	v_bfe_u32 v9, v8, 16, 1
	s_delay_alu instid0(VALU_DEP_1)
	v_add3_u32 v9, v8, v9, 0x7fff
                                        ; implicit-def: $vgpr8
; %bb.22:                               ;   in Loop: Header=BB622_20 Depth=1
	s_and_not1_saveexec_b32 s1, s1
	s_cbranch_execz .LBB622_19
; %bb.23:                               ;   in Loop: Header=BB622_20 Depth=1
	v_and_b32_e32 v9, 0xffff, v8
	v_or_b32_e32 v10, 0x10000, v8
	s_delay_alu instid0(VALU_DEP_2) | instskip(NEXT) | instid1(VALU_DEP_2)
	v_cmp_eq_u32_e32 vcc_lo, 0, v9
	v_cndmask_b32_e32 v9, v10, v8, vcc_lo
	s_branch .LBB622_19
.LBB622_24:
	s_set_inst_prefetch_distance 0x2
	v_add_nc_u32_e32 v3, s2, v0
	s_mov_b32 s1, exec_lo
	s_delay_alu instid0(VALU_DEP_1)
	v_cmpx_gt_i32_e64 s3, v3
	s_cbranch_execz .LBB622_30
; %bb.25:
	v_mad_i64_i32 v[4:5], null, s0, v3, 0
	s_ashr_i32 s3, s2, 31
	s_delay_alu instid0(SALU_CYCLE_1) | instskip(NEXT) | instid1(VALU_DEP_1)
	s_lshl_b64 s[2:3], s[2:3], 1
	v_lshlrev_b64 v[3:4], 1, v[4:5]
	s_delay_alu instid0(VALU_DEP_1) | instskip(NEXT) | instid1(VALU_DEP_2)
	v_add_co_u32 v3, vcc_lo, s4, v3
	v_add_co_ci_u32_e32 v4, vcc_lo, s5, v4, vcc_lo
	v_add_co_u32 v1, vcc_lo, v1, s2
	v_add_co_ci_u32_e32 v2, vcc_lo, s3, v2, vcc_lo
	flat_load_u16 v3, v[3:4]
	flat_load_u16 v1, v[1:2]
	s_waitcnt vmcnt(1) lgkmcnt(1)
	v_lshlrev_b32_e32 v2, 16, v3
	s_waitcnt vmcnt(0) lgkmcnt(0)
	v_lshlrev_b32_e32 v1, 16, v1
	s_delay_alu instid0(VALU_DEP_1) | instskip(NEXT) | instid1(VALU_DEP_1)
	v_mul_f32_e32 v1, v1, v2
	v_and_b32_e32 v2, 0x7f800000, v1
	s_delay_alu instid0(VALU_DEP_1) | instskip(SKIP_1) | instid1(SALU_CYCLE_1)
	v_cmp_ne_u32_e32 vcc_lo, 0x7f800000, v2
                                        ; implicit-def: $vgpr2
	s_and_saveexec_b32 s0, vcc_lo
	s_xor_b32 s0, exec_lo, s0
; %bb.26:
	v_bfe_u32 v2, v1, 16, 1
	s_delay_alu instid0(VALU_DEP_1)
	v_add3_u32 v2, v1, v2, 0x7fff
                                        ; implicit-def: $vgpr1
; %bb.27:
	s_and_not1_saveexec_b32 s0, s0
; %bb.28:
	v_and_b32_e32 v2, 0xffff, v1
	v_or_b32_e32 v3, 0x10000, v1
	s_delay_alu instid0(VALU_DEP_2) | instskip(NEXT) | instid1(VALU_DEP_2)
	v_cmp_eq_u32_e32 vcc_lo, 0, v2
	v_cndmask_b32_e32 v2, v3, v1, vcc_lo
; %bb.29:
	s_or_b32 exec_lo, exec_lo, s0
	s_delay_alu instid0(VALU_DEP_1) | instskip(NEXT) | instid1(VALU_DEP_1)
	v_and_b32_e32 v1, 0xffff0000, v2
	v_add_f32_e32 v7, v7, v1
.LBB622_30:
	s_or_b32 exec_lo, exec_lo, s1
	v_lshlrev_b32_e32 v1, 2, v0
	s_mov_b32 s0, exec_lo
	ds_store_b32 v1, v7
	s_waitcnt lgkmcnt(0)
	s_barrier
	buffer_gl0_inv
	v_cmpx_gt_u32_e32 0x80, v0
	s_cbranch_execz .LBB622_32
; %bb.31:
	ds_load_2addr_stride64_b32 v[2:3], v1 offset1:2
	s_waitcnt lgkmcnt(0)
	v_add_f32_e32 v2, v3, v2
	ds_store_b32 v1, v2
.LBB622_32:
	s_or_b32 exec_lo, exec_lo, s0
	s_delay_alu instid0(SALU_CYCLE_1)
	s_mov_b32 s0, exec_lo
	s_waitcnt lgkmcnt(0)
	s_barrier
	buffer_gl0_inv
	v_cmpx_gt_u32_e32 64, v0
	s_cbranch_execz .LBB622_34
; %bb.33:
	ds_load_2addr_stride64_b32 v[2:3], v1 offset1:1
	s_waitcnt lgkmcnt(0)
	v_add_f32_e32 v2, v3, v2
	ds_store_b32 v1, v2
.LBB622_34:
	s_or_b32 exec_lo, exec_lo, s0
	s_delay_alu instid0(SALU_CYCLE_1)
	s_mov_b32 s0, exec_lo
	s_waitcnt lgkmcnt(0)
	s_barrier
	buffer_gl0_inv
	v_cmpx_gt_u32_e32 32, v0
	s_cbranch_execz .LBB622_36
; %bb.35:
	ds_load_2addr_b32 v[2:3], v1 offset1:32
	s_waitcnt lgkmcnt(0)
	v_add_f32_e32 v2, v3, v2
	ds_store_b32 v1, v2
.LBB622_36:
	s_or_b32 exec_lo, exec_lo, s0
	s_delay_alu instid0(SALU_CYCLE_1)
	s_mov_b32 s0, exec_lo
	s_waitcnt lgkmcnt(0)
	s_barrier
	buffer_gl0_inv
	v_cmpx_gt_u32_e32 16, v0
	s_cbranch_execz .LBB622_38
; %bb.37:
	ds_load_2addr_b32 v[2:3], v1 offset1:16
	s_waitcnt lgkmcnt(0)
	v_add_f32_e32 v2, v3, v2
	ds_store_b32 v1, v2
.LBB622_38:
	s_or_b32 exec_lo, exec_lo, s0
	s_delay_alu instid0(SALU_CYCLE_1)
	s_mov_b32 s0, exec_lo
	s_waitcnt lgkmcnt(0)
	s_barrier
	buffer_gl0_inv
	v_cmpx_gt_u32_e32 8, v0
	s_cbranch_execz .LBB622_40
; %bb.39:
	ds_load_2addr_b32 v[2:3], v1 offset1:8
	s_waitcnt lgkmcnt(0)
	v_add_f32_e32 v2, v3, v2
	ds_store_b32 v1, v2
.LBB622_40:
	s_or_b32 exec_lo, exec_lo, s0
	s_delay_alu instid0(SALU_CYCLE_1)
	s_mov_b32 s0, exec_lo
	s_waitcnt lgkmcnt(0)
	s_barrier
	buffer_gl0_inv
	v_cmpx_gt_u32_e32 4, v0
	s_cbranch_execz .LBB622_42
; %bb.41:
	ds_load_2addr_b32 v[2:3], v1 offset1:4
	s_waitcnt lgkmcnt(0)
	v_add_f32_e32 v2, v3, v2
	ds_store_b32 v1, v2
.LBB622_42:
	s_or_b32 exec_lo, exec_lo, s0
	s_delay_alu instid0(SALU_CYCLE_1)
	s_mov_b32 s0, exec_lo
	s_waitcnt lgkmcnt(0)
	s_barrier
	buffer_gl0_inv
	v_cmpx_gt_u32_e32 2, v0
	s_cbranch_execz .LBB622_44
; %bb.43:
	ds_load_2addr_b32 v[2:3], v1 offset1:2
	s_waitcnt lgkmcnt(0)
	v_add_f32_e32 v2, v3, v2
	ds_store_b32 v1, v2
.LBB622_44:
	s_or_b32 exec_lo, exec_lo, s0
	v_cmp_eq_u32_e32 vcc_lo, 0, v0
	s_waitcnt lgkmcnt(0)
	s_barrier
	buffer_gl0_inv
	s_and_saveexec_b32 s0, vcc_lo
	s_cbranch_execz .LBB622_46
; %bb.45:
	v_mov_b32_e32 v2, 0
	ds_load_b64 v[0:1], v2
	s_waitcnt lgkmcnt(0)
	v_add_f32_e32 v0, v1, v0
	ds_store_b32 v2, v0
.LBB622_46:
	s_or_b32 exec_lo, exec_lo, s0
	s_waitcnt lgkmcnt(0)
	s_barrier
	buffer_gl0_inv
                                        ; implicit-def: $sgpr11
                                        ; implicit-def: $sgpr6_sgpr7
	s_and_saveexec_b32 s0, vcc_lo
	s_cbranch_execz .LBB622_66
; %bb.47:
	v_mov_b32_e32 v0, 0
	v_cmp_eq_f32_e64 s2, s15, 0
	ds_load_b32 v0, v0
	s_and_b32 vcc_lo, exec_lo, s2
	s_waitcnt lgkmcnt(0)
	v_mul_f32_e32 v0, s16, v0
	s_delay_alu instid0(VALU_DEP_1)
	v_readfirstlane_b32 s1, v0
	s_cbranch_vccz .LBB622_50
; %bb.48:
	s_delay_alu instid0(VALU_DEP_1) | instskip(NEXT) | instid1(SALU_CYCLE_1)
	s_and_b32 s2, s1, 0x7f800000
	s_cmp_eq_u32 s2, 0x7f800000
	s_cbranch_scc1 .LBB622_51
; %bb.49:
	s_bfe_u32 s2, s1, 0x10010
	s_mov_b32 s3, 0
	s_add_i32 s2, s1, s2
	s_delay_alu instid0(SALU_CYCLE_1)
	s_addk_i32 s2, 0x7fff
	s_branch .LBB622_52
.LBB622_50:
                                        ; implicit-def: $sgpr2
	s_mul_hi_i32 s7, s17, s14
	s_mul_i32 s6, s17, s14
	s_branch .LBB622_55
.LBB622_51:
	s_mov_b32 s3, -1
                                        ; implicit-def: $sgpr2
.LBB622_52:
	s_delay_alu instid0(SALU_CYCLE_1)
	s_and_not1_b32 vcc_lo, exec_lo, s3
	s_cbranch_vccnz .LBB622_54
; %bb.53:
	s_and_b32 s2, s1, 0xffff
	s_or_b32 s3, s1, 0x10000
	s_cmp_eq_u32 s2, 0
	s_cselect_b32 s2, s1, s3
.LBB622_54:
	s_mul_hi_i32 s7, s17, s14
	s_mul_i32 s6, s17, s14
	s_cbranch_execnz .LBB622_65
.LBB622_55:
	s_lshl_b64 s[2:3], s[6:7], 1
	v_mov_b32_e32 v0, 0
	s_add_u32 s2, s8, s2
	s_addc_u32 s3, s9, s3
	global_load_u16 v0, v0, s[2:3]
	s_waitcnt vmcnt(0)
	v_lshlrev_b32_e32 v0, 16, v0
	s_delay_alu instid0(VALU_DEP_1) | instskip(NEXT) | instid1(VALU_DEP_1)
	v_mul_f32_e32 v0, s15, v0
	v_and_b32_e32 v1, 0x7f800000, v0
	v_readfirstlane_b32 s2, v0
	s_delay_alu instid0(VALU_DEP_2)
	v_cmp_eq_u32_e32 vcc_lo, 0x7f800000, v1
	s_cbranch_vccnz .LBB622_57
; %bb.56:
	s_delay_alu instid0(VALU_DEP_2) | instskip(SKIP_2) | instid1(SALU_CYCLE_1)
	s_bfe_u32 s3, s2, 0x10010
	s_mov_b32 s4, 0
	s_add_i32 s3, s2, s3
	s_addk_i32 s3, 0x7fff
	s_branch .LBB622_58
.LBB622_57:
	s_mov_b32 s4, -1
                                        ; implicit-def: $sgpr3
.LBB622_58:
	s_delay_alu instid0(SALU_CYCLE_1)
	s_and_not1_b32 vcc_lo, exec_lo, s4
	s_cbranch_vccnz .LBB622_60
; %bb.59:
	s_and_b32 s3, s2, 0xffff
	s_or_b32 s4, s2, 0x10000
	s_cmp_eq_u32 s3, 0
	s_cselect_b32 s3, s2, s4
.LBB622_60:
	s_delay_alu instid0(SALU_CYCLE_1) | instskip(NEXT) | instid1(SALU_CYCLE_1)
	s_and_b32 s2, s3, 0xffff0000
	v_add_f32_e64 v0, s1, s2
	s_delay_alu instid0(VALU_DEP_1) | instskip(SKIP_1) | instid1(VALU_DEP_2)
	v_and_b32_e32 v1, 0x7f800000, v0
	v_readfirstlane_b32 s1, v0
	v_cmp_eq_u32_e32 vcc_lo, 0x7f800000, v1
	s_cbranch_vccnz .LBB622_62
; %bb.61:
	s_delay_alu instid0(VALU_DEP_2) | instskip(SKIP_2) | instid1(SALU_CYCLE_1)
	s_bfe_u32 s2, s1, 0x10010
	s_mov_b32 s3, 0
	s_add_i32 s2, s1, s2
	s_addk_i32 s2, 0x7fff
	s_branch .LBB622_63
.LBB622_62:
	s_mov_b32 s3, -1
                                        ; implicit-def: $sgpr2
.LBB622_63:
	s_delay_alu instid0(SALU_CYCLE_1)
	s_and_not1_b32 vcc_lo, exec_lo, s3
	s_cbranch_vccnz .LBB622_65
; %bb.64:
	s_and_b32 s2, s1, 0xffff
	s_or_b32 s3, s1, 0x10000
	s_cmp_eq_u32 s2, 0
	s_cselect_b32 s2, s1, s3
.LBB622_65:
	s_delay_alu instid0(SALU_CYCLE_1)
	s_lshr_b32 s11, s2, 16
	s_or_b32 s10, s10, exec_lo
.LBB622_66:
	s_or_b32 exec_lo, exec_lo, s0
.LBB622_67:
	s_and_saveexec_b32 s0, s10
	s_cbranch_execz .LBB622_69
; %bb.68:
	s_lshl_b64 s[0:1], s[6:7], 1
	v_dual_mov_b32 v0, 0 :: v_dual_mov_b32 v1, s11
	s_add_u32 s0, s8, s0
	s_addc_u32 s1, s9, s1
	global_store_b16 v0, v1, s[0:1]
.LBB622_69:
	s_nop 0
	s_sendmsg sendmsg(MSG_DEALLOC_VGPRS)
	s_endpgm
	.section	.rodata,"a",@progbits
	.p2align	6, 0x0
	.amdhsa_kernel _ZL20rocblas_gemvt_kernelILb1ELi256EPK16rocblas_bfloat16PKfKPS0_EviiT2_lPKT1_lilSA_lilS7_lPT3_lili
		.amdhsa_group_segment_fixed_size 1024
		.amdhsa_private_segment_fixed_size 0
		.amdhsa_kernarg_size 140
		.amdhsa_user_sgpr_count 14
		.amdhsa_user_sgpr_dispatch_ptr 0
		.amdhsa_user_sgpr_queue_ptr 0
		.amdhsa_user_sgpr_kernarg_segment_ptr 1
		.amdhsa_user_sgpr_dispatch_id 0
		.amdhsa_user_sgpr_private_segment_size 0
		.amdhsa_wavefront_size32 1
		.amdhsa_uses_dynamic_stack 0
		.amdhsa_enable_private_segment 0
		.amdhsa_system_sgpr_workgroup_id_x 1
		.amdhsa_system_sgpr_workgroup_id_y 0
		.amdhsa_system_sgpr_workgroup_id_z 1
		.amdhsa_system_sgpr_workgroup_info 0
		.amdhsa_system_vgpr_workitem_id 0
		.amdhsa_next_free_vgpr 11
		.amdhsa_next_free_sgpr 24
		.amdhsa_reserve_vcc 1
		.amdhsa_float_round_mode_32 0
		.amdhsa_float_round_mode_16_64 0
		.amdhsa_float_denorm_mode_32 3
		.amdhsa_float_denorm_mode_16_64 3
		.amdhsa_dx10_clamp 1
		.amdhsa_ieee_mode 1
		.amdhsa_fp16_overflow 0
		.amdhsa_workgroup_processor_mode 1
		.amdhsa_memory_ordered 1
		.amdhsa_forward_progress 0
		.amdhsa_shared_vgpr_count 0
		.amdhsa_exception_fp_ieee_invalid_op 0
		.amdhsa_exception_fp_denorm_src 0
		.amdhsa_exception_fp_ieee_div_zero 0
		.amdhsa_exception_fp_ieee_overflow 0
		.amdhsa_exception_fp_ieee_underflow 0
		.amdhsa_exception_fp_ieee_inexact 0
		.amdhsa_exception_int_div_zero 0
	.end_amdhsa_kernel
	.section	.text._ZL20rocblas_gemvt_kernelILb1ELi256EPK16rocblas_bfloat16PKfKPS0_EviiT2_lPKT1_lilSA_lilS7_lPT3_lili,"axG",@progbits,_ZL20rocblas_gemvt_kernelILb1ELi256EPK16rocblas_bfloat16PKfKPS0_EviiT2_lPKT1_lilSA_lilS7_lPT3_lili,comdat
.Lfunc_end622:
	.size	_ZL20rocblas_gemvt_kernelILb1ELi256EPK16rocblas_bfloat16PKfKPS0_EviiT2_lPKT1_lilSA_lilS7_lPT3_lili, .Lfunc_end622-_ZL20rocblas_gemvt_kernelILb1ELi256EPK16rocblas_bfloat16PKfKPS0_EviiT2_lPKT1_lilSA_lilS7_lPT3_lili
                                        ; -- End function
	.section	.AMDGPU.csdata,"",@progbits
; Kernel info:
; codeLenInByte = 2184
; NumSgprs: 26
; NumVgprs: 11
; ScratchSize: 0
; MemoryBound: 0
; FloatMode: 240
; IeeeMode: 1
; LDSByteSize: 1024 bytes/workgroup (compile time only)
; SGPRBlocks: 3
; VGPRBlocks: 1
; NumSGPRsForWavesPerEU: 26
; NumVGPRsForWavesPerEU: 11
; Occupancy: 16
; WaveLimiterHint : 1
; COMPUTE_PGM_RSRC2:SCRATCH_EN: 0
; COMPUTE_PGM_RSRC2:USER_SGPR: 14
; COMPUTE_PGM_RSRC2:TRAP_HANDLER: 0
; COMPUTE_PGM_RSRC2:TGID_X_EN: 1
; COMPUTE_PGM_RSRC2:TGID_Y_EN: 0
; COMPUTE_PGM_RSRC2:TGID_Z_EN: 1
; COMPUTE_PGM_RSRC2:TIDIG_COMP_CNT: 0
	.section	.text._ZL20rocblas_gemvt_kernelILb1ELi256EPK16rocblas_bfloat16fKPS0_EviiT2_lPKT1_lilS8_lilS5_lPT3_lili,"axG",@progbits,_ZL20rocblas_gemvt_kernelILb1ELi256EPK16rocblas_bfloat16fKPS0_EviiT2_lPKT1_lilS8_lilS5_lPT3_lili,comdat
	.globl	_ZL20rocblas_gemvt_kernelILb1ELi256EPK16rocblas_bfloat16fKPS0_EviiT2_lPKT1_lilS8_lilS5_lPT3_lili ; -- Begin function _ZL20rocblas_gemvt_kernelILb1ELi256EPK16rocblas_bfloat16fKPS0_EviiT2_lPKT1_lilS8_lilS5_lPT3_lili
	.p2align	8
	.type	_ZL20rocblas_gemvt_kernelILb1ELi256EPK16rocblas_bfloat16fKPS0_EviiT2_lPKT1_lilS8_lilS5_lPT3_lili,@function
_ZL20rocblas_gemvt_kernelILb1ELi256EPK16rocblas_bfloat16fKPS0_EviiT2_lPKT1_lilS8_lilS5_lPT3_lili: ; @_ZL20rocblas_gemvt_kernelILb1ELi256EPK16rocblas_bfloat16fKPS0_EviiT2_lPKT1_lilS8_lilS5_lPT3_lili
; %bb.0:
	s_clause 0x1
	s_load_b32 s13, s[0:1], 0x8
	s_load_b32 s12, s[0:1], 0x58
	s_waitcnt lgkmcnt(0)
	v_cmp_eq_f32_e64 s6, s13, 0
	v_cmp_eq_f32_e64 s3, s12, 1.0
	s_delay_alu instid0(VALU_DEP_1) | instskip(NEXT) | instid1(SALU_CYCLE_1)
	s_and_b32 s3, s6, s3
	s_and_b32 vcc_lo, exec_lo, s3
	s_cbranch_vccnz .LBB623_72
; %bb.1:
	v_cmp_neq_f32_e64 s4, s13, 0
	s_mov_b32 s2, s15
	s_delay_alu instid0(VALU_DEP_1)
	s_and_b32 vcc_lo, exec_lo, s4
	s_cbranch_vccnz .LBB623_3
; %bb.2:
	s_mov_b32 s3, 0
	s_mov_b64 s[8:9], 0
	s_cbranch_execz .LBB623_4
	s_branch .LBB623_5
.LBB623_3:
	s_mov_b32 s3, -1
                                        ; implicit-def: $sgpr8_sgpr9
.LBB623_4:
	s_load_b128 s[8:11], s[0:1], 0x18
	s_mov_b32 s3, 0
	s_delay_alu instid0(SALU_CYCLE_1)
	s_lshl_b64 s[16:17], s[2:3], 3
	s_waitcnt lgkmcnt(0)
	s_add_u32 s8, s8, s16
	s_addc_u32 s9, s9, s17
	s_lshl_b64 s[10:11], s[10:11], 1
	s_load_b64 s[8:9], s[8:9], 0x0
	s_waitcnt lgkmcnt(0)
	s_add_u32 s8, s8, s10
	s_addc_u32 s9, s9, s11
.LBB623_5:
	s_and_not1_b32 vcc_lo, exec_lo, s4
	s_cbranch_vccnz .LBB623_7
; %bb.6:
	s_load_b128 s[16:19], s[0:1], 0x38
	s_lshl_b64 s[4:5], s[2:3], 3
	s_waitcnt lgkmcnt(0)
	s_add_u32 s4, s16, s4
	s_addc_u32 s5, s17, s5
	s_lshl_b64 s[10:11], s[18:19], 1
	s_load_b64 s[4:5], s[4:5], 0x0
	s_waitcnt lgkmcnt(0)
	s_add_u32 s4, s4, s10
	s_addc_u32 s5, s5, s11
	s_branch .LBB623_8
.LBB623_7:
	s_mov_b64 s[4:5], 0
.LBB623_8:
	s_clause 0x1
	s_load_b128 s[20:23], s[0:1], 0x68
	s_load_b32 s16, s[0:1], 0x78
	s_lshl_b64 s[2:3], s[2:3], 3
	s_waitcnt lgkmcnt(0)
	s_add_u32 s2, s20, s2
	s_addc_u32 s3, s21, s3
	s_lshl_b64 s[18:19], s[22:23], 1
	s_load_b64 s[10:11], s[2:3], 0x0
	v_cmp_eq_u32_e64 s2, 0, v0
	s_waitcnt lgkmcnt(0)
	s_add_u32 s10, s10, s18
	s_addc_u32 s11, s11, s19
	s_and_not1_b32 vcc_lo, exec_lo, s6
	s_cbranch_vccnz .LBB623_13
; %bb.9:
	s_mov_b32 s3, 0
	s_mov_b32 s15, 0
                                        ; implicit-def: $sgpr17
                                        ; implicit-def: $sgpr6_sgpr7
	s_and_saveexec_b32 s18, s2
	s_cbranch_execz .LBB623_14
; %bb.10:
	v_cmp_eq_f32_e64 s2, s12, 0
	s_mov_b32 s17, 0
	s_mul_hi_i32 s7, s16, s14
	s_mul_i32 s6, s16, s14
	s_delay_alu instid0(VALU_DEP_1)
	s_and_b32 vcc_lo, exec_lo, s2
	s_cbranch_vccnz .LBB623_19
; %bb.11:
	s_lshl_b64 s[20:21], s[6:7], 1
	v_mov_b32_e32 v1, 0
	s_add_u32 s20, s10, s20
	s_addc_u32 s21, s11, s21
	global_load_u16 v1, v1, s[20:21]
	s_waitcnt vmcnt(0)
	v_lshlrev_b32_e32 v1, 16, v1
	s_delay_alu instid0(VALU_DEP_1) | instskip(NEXT) | instid1(VALU_DEP_1)
	v_mul_f32_e32 v1, s12, v1
	v_and_b32_e32 v2, 0x7f800000, v1
	v_readfirstlane_b32 s2, v1
	s_delay_alu instid0(VALU_DEP_2)
	v_cmp_eq_u32_e32 vcc_lo, 0x7f800000, v2
	s_cbranch_vccnz .LBB623_15
; %bb.12:
	s_delay_alu instid0(VALU_DEP_2) | instskip(NEXT) | instid1(SALU_CYCLE_1)
	s_bfe_u32 s15, s2, 0x10010
	s_add_i32 s15, s2, s15
	s_delay_alu instid0(SALU_CYCLE_1)
	s_addk_i32 s15, 0x7fff
	s_branch .LBB623_16
.LBB623_13:
	s_mov_b32 s15, 0
                                        ; implicit-def: $sgpr17
                                        ; implicit-def: $sgpr6_sgpr7
	s_cbranch_execnz .LBB623_20
	s_branch .LBB623_70
.LBB623_14:
	s_or_b32 exec_lo, exec_lo, s18
	s_delay_alu instid0(SALU_CYCLE_1)
	s_and_b32 vcc_lo, exec_lo, s3
	s_cbranch_vccnz .LBB623_20
	s_branch .LBB623_70
.LBB623_15:
	s_mov_b32 s17, -1
                                        ; implicit-def: $sgpr15
.LBB623_16:
	s_delay_alu instid0(SALU_CYCLE_1)
	s_and_not1_b32 vcc_lo, exec_lo, s17
	s_cbranch_vccnz .LBB623_18
; %bb.17:
	s_and_b32 s15, s2, 0xffff
	s_or_b32 s17, s2, 0x10000
	s_cmp_eq_u32 s15, 0
	s_cselect_b32 s15, s2, s17
.LBB623_18:
	s_delay_alu instid0(SALU_CYCLE_1)
	s_lshr_b32 s17, s15, 16
.LBB623_19:
	s_mov_b32 s15, exec_lo
	s_or_b32 exec_lo, exec_lo, s18
	s_delay_alu instid0(SALU_CYCLE_1)
	s_and_b32 vcc_lo, exec_lo, s3
	s_cbranch_vccz .LBB623_70
.LBB623_20:
	s_clause 0x2
	s_load_b32 s2, s[0:1], 0x28
	s_load_b32 s3, s[0:1], 0x0
	;; [unrolled: 1-line block ×3, first 2 shown]
	v_mov_b32_e32 v7, 0
	s_waitcnt lgkmcnt(0)
	s_mul_hi_i32 s7, s2, s14
	v_cmp_gt_i32_e32 vcc_lo, s3, v0
	s_mul_i32 s6, s2, s14
	s_delay_alu instid0(SALU_CYCLE_1) | instskip(NEXT) | instid1(SALU_CYCLE_1)
	s_lshl_b64 s[6:7], s[6:7], 1
	s_add_u32 s1, s6, s8
	v_cndmask_b32_e32 v1, 0, v0, vcc_lo
	s_addc_u32 s2, s7, s9
	s_ashr_i32 s6, s3, 31
	s_mov_b32 s8, 0
	s_lshr_b32 s6, s6, 24
	v_lshlrev_b32_e32 v1, 1, v1
	s_add_i32 s6, s3, s6
	s_delay_alu instid0(VALU_DEP_1) | instskip(NEXT) | instid1(VALU_DEP_1)
	v_add_co_u32 v1, s1, s1, v1
	v_add_co_ci_u32_e64 v2, null, s2, 0, s1
	s_and_b32 s2, s6, 0xffffff00
	s_cmpk_lt_i32 s3, 0x100
	s_cbranch_scc1 .LBB623_27
; %bb.21:
	v_mad_i64_i32 v[3:4], null, s0, v0, 0
	v_dual_mov_b32 v7, 0 :: v_dual_mov_b32 v6, v2
	v_mov_b32_e32 v5, v1
	s_ashr_i32 s1, s0, 31
	s_delay_alu instid0(SALU_CYCLE_1) | instskip(NEXT) | instid1(VALU_DEP_3)
	s_lshl_b64 s[6:7], s[0:1], 9
	v_lshlrev_b64 v[3:4], 1, v[3:4]
	s_delay_alu instid0(VALU_DEP_1) | instskip(NEXT) | instid1(VALU_DEP_2)
	v_add_co_u32 v3, vcc_lo, s4, v3
	v_add_co_ci_u32_e32 v4, vcc_lo, s5, v4, vcc_lo
	s_set_inst_prefetch_distance 0x1
	s_branch .LBB623_23
	.p2align	6
.LBB623_22:                             ;   in Loop: Header=BB623_23 Depth=1
	s_or_b32 exec_lo, exec_lo, s1
	s_delay_alu instid0(VALU_DEP_1) | instskip(SKIP_3) | instid1(VALU_DEP_4)
	v_and_b32_e32 v8, 0xffff0000, v9
	v_add_co_u32 v3, vcc_lo, v3, s6
	v_add_co_ci_u32_e32 v4, vcc_lo, s7, v4, vcc_lo
	v_add_co_u32 v5, vcc_lo, 0x200, v5
	v_add_f32_e32 v7, v7, v8
	v_add_co_ci_u32_e32 v6, vcc_lo, 0, v6, vcc_lo
	s_addk_i32 s8, 0x100
	s_delay_alu instid0(SALU_CYCLE_1)
	s_cmp_ge_i32 s8, s2
	s_cbranch_scc1 .LBB623_27
.LBB623_23:                             ; =>This Inner Loop Header: Depth=1
	flat_load_u16 v8, v[3:4]
	flat_load_u16 v9, v[5:6]
	s_waitcnt vmcnt(1) lgkmcnt(1)
	v_lshlrev_b32_e32 v8, 16, v8
	s_waitcnt vmcnt(0) lgkmcnt(0)
	v_lshlrev_b32_e32 v9, 16, v9
	s_delay_alu instid0(VALU_DEP_1) | instskip(NEXT) | instid1(VALU_DEP_1)
	v_mul_f32_e32 v8, v9, v8
	v_and_b32_e32 v9, 0x7f800000, v8
	s_delay_alu instid0(VALU_DEP_1) | instskip(SKIP_1) | instid1(SALU_CYCLE_1)
	v_cmp_ne_u32_e32 vcc_lo, 0x7f800000, v9
                                        ; implicit-def: $vgpr9
	s_and_saveexec_b32 s1, vcc_lo
	s_xor_b32 s1, exec_lo, s1
; %bb.24:                               ;   in Loop: Header=BB623_23 Depth=1
	v_bfe_u32 v9, v8, 16, 1
	s_delay_alu instid0(VALU_DEP_1)
	v_add3_u32 v9, v8, v9, 0x7fff
                                        ; implicit-def: $vgpr8
; %bb.25:                               ;   in Loop: Header=BB623_23 Depth=1
	s_and_not1_saveexec_b32 s1, s1
	s_cbranch_execz .LBB623_22
; %bb.26:                               ;   in Loop: Header=BB623_23 Depth=1
	v_and_b32_e32 v9, 0xffff, v8
	v_or_b32_e32 v10, 0x10000, v8
	s_delay_alu instid0(VALU_DEP_2) | instskip(NEXT) | instid1(VALU_DEP_2)
	v_cmp_eq_u32_e32 vcc_lo, 0, v9
	v_cndmask_b32_e32 v9, v10, v8, vcc_lo
	s_branch .LBB623_22
.LBB623_27:
	s_set_inst_prefetch_distance 0x2
	v_add_nc_u32_e32 v3, s2, v0
	s_mov_b32 s1, exec_lo
	s_delay_alu instid0(VALU_DEP_1)
	v_cmpx_gt_i32_e64 s3, v3
	s_cbranch_execz .LBB623_33
; %bb.28:
	v_mad_i64_i32 v[4:5], null, s0, v3, 0
	s_ashr_i32 s3, s2, 31
	s_delay_alu instid0(SALU_CYCLE_1) | instskip(NEXT) | instid1(VALU_DEP_1)
	s_lshl_b64 s[2:3], s[2:3], 1
	v_lshlrev_b64 v[3:4], 1, v[4:5]
	s_delay_alu instid0(VALU_DEP_1) | instskip(NEXT) | instid1(VALU_DEP_2)
	v_add_co_u32 v3, vcc_lo, s4, v3
	v_add_co_ci_u32_e32 v4, vcc_lo, s5, v4, vcc_lo
	v_add_co_u32 v1, vcc_lo, v1, s2
	v_add_co_ci_u32_e32 v2, vcc_lo, s3, v2, vcc_lo
	flat_load_u16 v3, v[3:4]
	flat_load_u16 v1, v[1:2]
	s_waitcnt vmcnt(1) lgkmcnt(1)
	v_lshlrev_b32_e32 v2, 16, v3
	s_waitcnt vmcnt(0) lgkmcnt(0)
	v_lshlrev_b32_e32 v1, 16, v1
	s_delay_alu instid0(VALU_DEP_1) | instskip(NEXT) | instid1(VALU_DEP_1)
	v_mul_f32_e32 v1, v1, v2
	v_and_b32_e32 v2, 0x7f800000, v1
	s_delay_alu instid0(VALU_DEP_1) | instskip(SKIP_1) | instid1(SALU_CYCLE_1)
	v_cmp_ne_u32_e32 vcc_lo, 0x7f800000, v2
                                        ; implicit-def: $vgpr2
	s_and_saveexec_b32 s0, vcc_lo
	s_xor_b32 s0, exec_lo, s0
; %bb.29:
	v_bfe_u32 v2, v1, 16, 1
	s_delay_alu instid0(VALU_DEP_1)
	v_add3_u32 v2, v1, v2, 0x7fff
                                        ; implicit-def: $vgpr1
; %bb.30:
	s_and_not1_saveexec_b32 s0, s0
; %bb.31:
	v_and_b32_e32 v2, 0xffff, v1
	v_or_b32_e32 v3, 0x10000, v1
	s_delay_alu instid0(VALU_DEP_2) | instskip(NEXT) | instid1(VALU_DEP_2)
	v_cmp_eq_u32_e32 vcc_lo, 0, v2
	v_cndmask_b32_e32 v2, v3, v1, vcc_lo
; %bb.32:
	s_or_b32 exec_lo, exec_lo, s0
	s_delay_alu instid0(VALU_DEP_1) | instskip(NEXT) | instid1(VALU_DEP_1)
	v_and_b32_e32 v1, 0xffff0000, v2
	v_add_f32_e32 v7, v7, v1
.LBB623_33:
	s_or_b32 exec_lo, exec_lo, s1
	v_lshlrev_b32_e32 v1, 2, v0
	s_mov_b32 s0, exec_lo
	ds_store_b32 v1, v7
	s_waitcnt lgkmcnt(0)
	s_barrier
	buffer_gl0_inv
	v_cmpx_gt_u32_e32 0x80, v0
	s_cbranch_execz .LBB623_35
; %bb.34:
	ds_load_2addr_stride64_b32 v[2:3], v1 offset1:2
	s_waitcnt lgkmcnt(0)
	v_add_f32_e32 v2, v3, v2
	ds_store_b32 v1, v2
.LBB623_35:
	s_or_b32 exec_lo, exec_lo, s0
	s_delay_alu instid0(SALU_CYCLE_1)
	s_mov_b32 s0, exec_lo
	s_waitcnt lgkmcnt(0)
	s_barrier
	buffer_gl0_inv
	v_cmpx_gt_u32_e32 64, v0
	s_cbranch_execz .LBB623_37
; %bb.36:
	ds_load_2addr_stride64_b32 v[2:3], v1 offset1:1
	s_waitcnt lgkmcnt(0)
	v_add_f32_e32 v2, v3, v2
	ds_store_b32 v1, v2
.LBB623_37:
	s_or_b32 exec_lo, exec_lo, s0
	s_delay_alu instid0(SALU_CYCLE_1)
	s_mov_b32 s0, exec_lo
	s_waitcnt lgkmcnt(0)
	s_barrier
	buffer_gl0_inv
	v_cmpx_gt_u32_e32 32, v0
	s_cbranch_execz .LBB623_39
; %bb.38:
	ds_load_2addr_b32 v[2:3], v1 offset1:32
	s_waitcnt lgkmcnt(0)
	v_add_f32_e32 v2, v3, v2
	ds_store_b32 v1, v2
.LBB623_39:
	s_or_b32 exec_lo, exec_lo, s0
	s_delay_alu instid0(SALU_CYCLE_1)
	s_mov_b32 s0, exec_lo
	s_waitcnt lgkmcnt(0)
	s_barrier
	buffer_gl0_inv
	v_cmpx_gt_u32_e32 16, v0
	s_cbranch_execz .LBB623_41
; %bb.40:
	ds_load_2addr_b32 v[2:3], v1 offset1:16
	s_waitcnt lgkmcnt(0)
	v_add_f32_e32 v2, v3, v2
	ds_store_b32 v1, v2
.LBB623_41:
	;; [unrolled: 14-line block ×5, first 2 shown]
	s_or_b32 exec_lo, exec_lo, s0
	v_cmp_eq_u32_e32 vcc_lo, 0, v0
	s_waitcnt lgkmcnt(0)
	s_barrier
	buffer_gl0_inv
	s_and_saveexec_b32 s0, vcc_lo
	s_cbranch_execz .LBB623_49
; %bb.48:
	v_mov_b32_e32 v2, 0
	ds_load_b64 v[0:1], v2
	s_waitcnt lgkmcnt(0)
	v_add_f32_e32 v0, v1, v0
	ds_store_b32 v2, v0
.LBB623_49:
	s_or_b32 exec_lo, exec_lo, s0
	s_waitcnt lgkmcnt(0)
	s_barrier
	buffer_gl0_inv
                                        ; implicit-def: $sgpr17
                                        ; implicit-def: $sgpr6_sgpr7
	s_and_saveexec_b32 s0, vcc_lo
	s_cbranch_execz .LBB623_69
; %bb.50:
	v_mov_b32_e32 v0, 0
	v_cmp_eq_f32_e64 s2, s12, 0
	ds_load_b32 v0, v0
	s_and_b32 vcc_lo, exec_lo, s2
	s_waitcnt lgkmcnt(0)
	v_mul_f32_e32 v0, s13, v0
	s_delay_alu instid0(VALU_DEP_1)
	v_readfirstlane_b32 s1, v0
	s_cbranch_vccz .LBB623_53
; %bb.51:
	s_delay_alu instid0(VALU_DEP_1) | instskip(NEXT) | instid1(SALU_CYCLE_1)
	s_and_b32 s2, s1, 0x7f800000
	s_cmp_eq_u32 s2, 0x7f800000
	s_cbranch_scc1 .LBB623_54
; %bb.52:
	s_bfe_u32 s2, s1, 0x10010
	s_mov_b32 s3, 0
	s_add_i32 s2, s1, s2
	s_delay_alu instid0(SALU_CYCLE_1)
	s_addk_i32 s2, 0x7fff
	s_branch .LBB623_55
.LBB623_53:
                                        ; implicit-def: $sgpr2
	s_mul_hi_i32 s7, s16, s14
	s_mul_i32 s6, s16, s14
	s_branch .LBB623_58
.LBB623_54:
	s_mov_b32 s3, -1
                                        ; implicit-def: $sgpr2
.LBB623_55:
	s_delay_alu instid0(SALU_CYCLE_1)
	s_and_not1_b32 vcc_lo, exec_lo, s3
	s_cbranch_vccnz .LBB623_57
; %bb.56:
	s_and_b32 s2, s1, 0xffff
	s_or_b32 s3, s1, 0x10000
	s_cmp_eq_u32 s2, 0
	s_cselect_b32 s2, s1, s3
.LBB623_57:
	s_mul_hi_i32 s7, s16, s14
	s_mul_i32 s6, s16, s14
	s_cbranch_execnz .LBB623_68
.LBB623_58:
	s_lshl_b64 s[2:3], s[6:7], 1
	v_mov_b32_e32 v0, 0
	s_add_u32 s2, s10, s2
	s_addc_u32 s3, s11, s3
	global_load_u16 v0, v0, s[2:3]
	s_waitcnt vmcnt(0)
	v_lshlrev_b32_e32 v0, 16, v0
	s_delay_alu instid0(VALU_DEP_1) | instskip(NEXT) | instid1(VALU_DEP_1)
	v_mul_f32_e32 v0, s12, v0
	v_and_b32_e32 v1, 0x7f800000, v0
	v_readfirstlane_b32 s2, v0
	s_delay_alu instid0(VALU_DEP_2)
	v_cmp_eq_u32_e32 vcc_lo, 0x7f800000, v1
	s_cbranch_vccnz .LBB623_60
; %bb.59:
	s_delay_alu instid0(VALU_DEP_2) | instskip(SKIP_2) | instid1(SALU_CYCLE_1)
	s_bfe_u32 s3, s2, 0x10010
	s_mov_b32 s4, 0
	s_add_i32 s3, s2, s3
	s_addk_i32 s3, 0x7fff
	s_branch .LBB623_61
.LBB623_60:
	s_mov_b32 s4, -1
                                        ; implicit-def: $sgpr3
.LBB623_61:
	s_delay_alu instid0(SALU_CYCLE_1)
	s_and_not1_b32 vcc_lo, exec_lo, s4
	s_cbranch_vccnz .LBB623_63
; %bb.62:
	s_and_b32 s3, s2, 0xffff
	s_or_b32 s4, s2, 0x10000
	s_cmp_eq_u32 s3, 0
	s_cselect_b32 s3, s2, s4
.LBB623_63:
	s_delay_alu instid0(SALU_CYCLE_1) | instskip(NEXT) | instid1(SALU_CYCLE_1)
	s_and_b32 s2, s3, 0xffff0000
	v_add_f32_e64 v0, s1, s2
	s_delay_alu instid0(VALU_DEP_1) | instskip(SKIP_1) | instid1(VALU_DEP_2)
	v_and_b32_e32 v1, 0x7f800000, v0
	v_readfirstlane_b32 s1, v0
	v_cmp_eq_u32_e32 vcc_lo, 0x7f800000, v1
	s_cbranch_vccnz .LBB623_65
; %bb.64:
	s_delay_alu instid0(VALU_DEP_2) | instskip(SKIP_2) | instid1(SALU_CYCLE_1)
	s_bfe_u32 s2, s1, 0x10010
	s_mov_b32 s3, 0
	s_add_i32 s2, s1, s2
	s_addk_i32 s2, 0x7fff
	s_branch .LBB623_66
.LBB623_65:
	s_mov_b32 s3, -1
                                        ; implicit-def: $sgpr2
.LBB623_66:
	s_delay_alu instid0(SALU_CYCLE_1)
	s_and_not1_b32 vcc_lo, exec_lo, s3
	s_cbranch_vccnz .LBB623_68
; %bb.67:
	s_and_b32 s2, s1, 0xffff
	s_or_b32 s3, s1, 0x10000
	s_cmp_eq_u32 s2, 0
	s_cselect_b32 s2, s1, s3
.LBB623_68:
	s_delay_alu instid0(SALU_CYCLE_1)
	s_lshr_b32 s17, s2, 16
	s_or_b32 s15, s15, exec_lo
.LBB623_69:
	s_or_b32 exec_lo, exec_lo, s0
.LBB623_70:
	s_and_saveexec_b32 s0, s15
	s_cbranch_execz .LBB623_72
; %bb.71:
	s_lshl_b64 s[0:1], s[6:7], 1
	v_dual_mov_b32 v0, 0 :: v_dual_mov_b32 v1, s17
	s_add_u32 s0, s10, s0
	s_addc_u32 s1, s11, s1
	global_store_b16 v0, v1, s[0:1]
.LBB623_72:
	s_nop 0
	s_sendmsg sendmsg(MSG_DEALLOC_VGPRS)
	s_endpgm
	.section	.rodata,"a",@progbits
	.p2align	6, 0x0
	.amdhsa_kernel _ZL20rocblas_gemvt_kernelILb1ELi256EPK16rocblas_bfloat16fKPS0_EviiT2_lPKT1_lilS8_lilS5_lPT3_lili
		.amdhsa_group_segment_fixed_size 1024
		.amdhsa_private_segment_fixed_size 0
		.amdhsa_kernarg_size 140
		.amdhsa_user_sgpr_count 14
		.amdhsa_user_sgpr_dispatch_ptr 0
		.amdhsa_user_sgpr_queue_ptr 0
		.amdhsa_user_sgpr_kernarg_segment_ptr 1
		.amdhsa_user_sgpr_dispatch_id 0
		.amdhsa_user_sgpr_private_segment_size 0
		.amdhsa_wavefront_size32 1
		.amdhsa_uses_dynamic_stack 0
		.amdhsa_enable_private_segment 0
		.amdhsa_system_sgpr_workgroup_id_x 1
		.amdhsa_system_sgpr_workgroup_id_y 0
		.amdhsa_system_sgpr_workgroup_id_z 1
		.amdhsa_system_sgpr_workgroup_info 0
		.amdhsa_system_vgpr_workitem_id 0
		.amdhsa_next_free_vgpr 11
		.amdhsa_next_free_sgpr 24
		.amdhsa_reserve_vcc 1
		.amdhsa_float_round_mode_32 0
		.amdhsa_float_round_mode_16_64 0
		.amdhsa_float_denorm_mode_32 3
		.amdhsa_float_denorm_mode_16_64 3
		.amdhsa_dx10_clamp 1
		.amdhsa_ieee_mode 1
		.amdhsa_fp16_overflow 0
		.amdhsa_workgroup_processor_mode 1
		.amdhsa_memory_ordered 1
		.amdhsa_forward_progress 0
		.amdhsa_shared_vgpr_count 0
		.amdhsa_exception_fp_ieee_invalid_op 0
		.amdhsa_exception_fp_denorm_src 0
		.amdhsa_exception_fp_ieee_div_zero 0
		.amdhsa_exception_fp_ieee_overflow 0
		.amdhsa_exception_fp_ieee_underflow 0
		.amdhsa_exception_fp_ieee_inexact 0
		.amdhsa_exception_int_div_zero 0
	.end_amdhsa_kernel
	.section	.text._ZL20rocblas_gemvt_kernelILb1ELi256EPK16rocblas_bfloat16fKPS0_EviiT2_lPKT1_lilS8_lilS5_lPT3_lili,"axG",@progbits,_ZL20rocblas_gemvt_kernelILb1ELi256EPK16rocblas_bfloat16fKPS0_EviiT2_lPKT1_lilS8_lilS5_lPT3_lili,comdat
.Lfunc_end623:
	.size	_ZL20rocblas_gemvt_kernelILb1ELi256EPK16rocblas_bfloat16fKPS0_EviiT2_lPKT1_lilS8_lilS5_lPT3_lili, .Lfunc_end623-_ZL20rocblas_gemvt_kernelILb1ELi256EPK16rocblas_bfloat16fKPS0_EviiT2_lPKT1_lilS8_lilS5_lPT3_lili
                                        ; -- End function
	.section	.AMDGPU.csdata,"",@progbits
; Kernel info:
; codeLenInByte = 2148
; NumSgprs: 26
; NumVgprs: 11
; ScratchSize: 0
; MemoryBound: 0
; FloatMode: 240
; IeeeMode: 1
; LDSByteSize: 1024 bytes/workgroup (compile time only)
; SGPRBlocks: 3
; VGPRBlocks: 1
; NumSGPRsForWavesPerEU: 26
; NumVGPRsForWavesPerEU: 11
; Occupancy: 16
; WaveLimiterHint : 1
; COMPUTE_PGM_RSRC2:SCRATCH_EN: 0
; COMPUTE_PGM_RSRC2:USER_SGPR: 14
; COMPUTE_PGM_RSRC2:TRAP_HANDLER: 0
; COMPUTE_PGM_RSRC2:TGID_X_EN: 1
; COMPUTE_PGM_RSRC2:TGID_Y_EN: 0
; COMPUTE_PGM_RSRC2:TGID_Z_EN: 1
; COMPUTE_PGM_RSRC2:TIDIG_COMP_CNT: 0
	.section	.text._ZL32rocblas_gemvt_warp_reduce_kernelILb1ELi1024EiPK16rocblas_bfloat16PKfKPS0_EviiT3_lPKT2_lT1_lSA_lSB_lS7_lPT4_lSB_li,"axG",@progbits,_ZL32rocblas_gemvt_warp_reduce_kernelILb1ELi1024EiPK16rocblas_bfloat16PKfKPS0_EviiT3_lPKT2_lT1_lSA_lSB_lS7_lPT4_lSB_li,comdat
	.globl	_ZL32rocblas_gemvt_warp_reduce_kernelILb1ELi1024EiPK16rocblas_bfloat16PKfKPS0_EviiT3_lPKT2_lT1_lSA_lSB_lS7_lPT4_lSB_li ; -- Begin function _ZL32rocblas_gemvt_warp_reduce_kernelILb1ELi1024EiPK16rocblas_bfloat16PKfKPS0_EviiT3_lPKT2_lT1_lSA_lSB_lS7_lPT4_lSB_li
	.p2align	8
	.type	_ZL32rocblas_gemvt_warp_reduce_kernelILb1ELi1024EiPK16rocblas_bfloat16PKfKPS0_EviiT3_lPKT2_lT1_lSA_lSB_lS7_lPT4_lSB_li,@function
_ZL32rocblas_gemvt_warp_reduce_kernelILb1ELi1024EiPK16rocblas_bfloat16PKfKPS0_EviiT3_lPKT2_lT1_lSA_lSB_lS7_lPT4_lSB_li: ; @_ZL32rocblas_gemvt_warp_reduce_kernelILb1ELi1024EiPK16rocblas_bfloat16PKfKPS0_EviiT3_lPKT2_lT1_lSA_lSB_lS7_lPT4_lSB_li
; %bb.0:
	s_clause 0x1
	s_load_b256 s[16:23], s[0:1], 0x8
	s_load_b256 s[4:11], s[0:1], 0x58
	s_mov_b32 s2, s15
	s_waitcnt lgkmcnt(0)
	s_mul_i32 s3, s15, s19
	s_mul_hi_u32 s13, s15, s18
	s_mul_i32 s12, s15, s18
	s_add_i32 s13, s13, s3
	s_mul_i32 s3, s15, s7
	s_lshl_b64 s[12:13], s[12:13], 2
	s_mul_hi_u32 s7, s15, s6
	s_add_u32 s12, s16, s12
	s_addc_u32 s13, s17, s13
	s_add_i32 s7, s7, s3
	s_mul_i32 s6, s15, s6
	s_delay_alu instid0(SALU_CYCLE_1) | instskip(NEXT) | instid1(SALU_CYCLE_1)
	s_lshl_b64 s[6:7], s[6:7], 2
	s_add_u32 s4, s4, s6
	s_addc_u32 s5, s5, s7
	s_load_b32 s16, s[12:13], 0x0
	s_load_b32 s15, s[4:5], 0x0
	s_waitcnt lgkmcnt(0)
	v_cmp_eq_f32_e64 s6, s16, 0
	v_cmp_eq_f32_e64 s3, s15, 1.0
	s_delay_alu instid0(VALU_DEP_1) | instskip(NEXT) | instid1(SALU_CYCLE_1)
	s_and_b32 s3, s6, s3
	s_and_b32 vcc_lo, exec_lo, s3
	s_mov_b32 s3, 0
	s_cbranch_vccnz .LBB624_61
; %bb.1:
	v_cmp_neq_f32_e64 s7, s16, 0
	s_mov_b64 s[4:5], 0
	s_and_b32 vcc_lo, exec_lo, s6
	s_mov_b64 s[12:13], 0
	s_cbranch_vccnz .LBB624_3
; %bb.2:
	s_lshl_b64 s[12:13], s[2:3], 3
	s_delay_alu instid0(SALU_CYCLE_1)
	s_add_u32 s12, s20, s12
	s_addc_u32 s13, s21, s13
	s_lshl_b64 s[18:19], s[22:23], 1
	s_load_b64 s[12:13], s[12:13], 0x0
	s_waitcnt lgkmcnt(0)
	s_add_u32 s12, s12, s18
	s_addc_u32 s13, s13, s19
.LBB624_3:
	s_and_not1_b32 vcc_lo, exec_lo, s7
	s_cbranch_vccnz .LBB624_5
; %bb.4:
	s_load_b128 s[20:23], s[0:1], 0x38
	s_lshl_b64 s[4:5], s[2:3], 3
	s_waitcnt lgkmcnt(0)
	s_add_u32 s4, s20, s4
	s_addc_u32 s5, s21, s5
	s_lshl_b64 s[18:19], s[22:23], 1
	s_load_b64 s[4:5], s[4:5], 0x0
	s_waitcnt lgkmcnt(0)
	s_add_u32 s4, s4, s18
	s_addc_u32 s5, s5, s19
.LBB624_5:
	s_lshl_b64 s[2:3], s[2:3], 3
	s_delay_alu instid0(SALU_CYCLE_1)
	s_add_u32 s2, s8, s2
	s_addc_u32 s3, s9, s3
	s_lshl_b64 s[10:11], s[10:11], 1
	s_load_b64 s[8:9], s[2:3], 0x0
	s_load_b32 s17, s[0:1], 0x78
	v_cmp_eq_u32_e64 s2, 0, v0
	s_waitcnt lgkmcnt(0)
	s_add_u32 s8, s8, s10
	s_addc_u32 s9, s9, s11
	s_and_not1_b32 vcc_lo, exec_lo, s6
	s_cbranch_vccnz .LBB624_10
; %bb.6:
	s_mov_b32 s3, 0
	s_mov_b32 s10, 0
                                        ; implicit-def: $sgpr18
                                        ; implicit-def: $sgpr6_sgpr7
	s_and_saveexec_b32 s11, s2
	s_cbranch_execz .LBB624_11
; %bb.7:
	v_cmp_eq_f32_e64 s2, s15, 0
	s_mul_i32 s6, s14, s17
	s_mov_b32 s18, 0
	s_ashr_i32 s7, s6, 31
	s_delay_alu instid0(VALU_DEP_1)
	s_and_b32 vcc_lo, exec_lo, s2
	s_cbranch_vccnz .LBB624_17
; %bb.8:
	s_lshl_b64 s[18:19], s[6:7], 1
	v_mov_b32_e32 v1, 0
	s_add_u32 s18, s8, s18
	s_addc_u32 s19, s9, s19
	global_load_u16 v1, v1, s[18:19]
	s_waitcnt vmcnt(0)
	v_lshlrev_b32_e32 v1, 16, v1
	s_delay_alu instid0(VALU_DEP_1) | instskip(NEXT) | instid1(VALU_DEP_1)
	v_mul_f32_e32 v1, s15, v1
	v_and_b32_e32 v2, 0x7f800000, v1
	v_readfirstlane_b32 s2, v1
	s_delay_alu instid0(VALU_DEP_2)
	v_cmp_eq_u32_e32 vcc_lo, 0x7f800000, v2
	s_cbranch_vccnz .LBB624_13
; %bb.9:
	s_delay_alu instid0(VALU_DEP_2) | instskip(SKIP_2) | instid1(SALU_CYCLE_1)
	s_bfe_u32 s10, s2, 0x10010
	s_mov_b32 s18, 0
	s_add_i32 s10, s2, s10
	s_addk_i32 s10, 0x7fff
	s_branch .LBB624_14
.LBB624_10:
	s_mov_b32 s10, 0
                                        ; implicit-def: $sgpr18
                                        ; implicit-def: $sgpr6_sgpr7
	s_cbranch_execz .LBB624_12
	s_branch .LBB624_18
.LBB624_11:
	s_or_b32 exec_lo, exec_lo, s11
	s_delay_alu instid0(SALU_CYCLE_1)
	s_and_b32 vcc_lo, exec_lo, s3
	s_cbranch_vccnz .LBB624_18
.LBB624_12:
	v_mov_b32_e32 v1, s18
	s_and_saveexec_b32 s0, s10
	s_cbranch_execnz .LBB624_60
	s_branch .LBB624_61
.LBB624_13:
	s_mov_b32 s18, -1
                                        ; implicit-def: $sgpr10
.LBB624_14:
	s_delay_alu instid0(SALU_CYCLE_1)
	s_and_not1_b32 vcc_lo, exec_lo, s18
	s_cbranch_vccnz .LBB624_16
; %bb.15:
	s_and_b32 s10, s2, 0xffff
	s_or_b32 s18, s2, 0x10000
	s_cmp_eq_u32 s10, 0
	s_cselect_b32 s10, s2, s18
.LBB624_16:
	s_delay_alu instid0(SALU_CYCLE_1)
	s_lshr_b32 s18, s10, 16
.LBB624_17:
	s_mov_b32 s10, exec_lo
	s_or_b32 exec_lo, exec_lo, s11
	s_delay_alu instid0(SALU_CYCLE_1)
	s_and_b32 vcc_lo, exec_lo, s3
	s_cbranch_vccz .LBB624_12
.LBB624_18:
	s_clause 0x2
	s_load_b32 s2, s[0:1], 0x28
	s_load_b32 s3, s[0:1], 0x0
	;; [unrolled: 1-line block ×3, first 2 shown]
	v_mov_b32_e32 v7, 0
	s_waitcnt lgkmcnt(0)
	s_mul_i32 s6, s14, s2
	v_cmp_gt_i32_e32 vcc_lo, s3, v0
	s_ashr_i32 s7, s6, 31
	s_delay_alu instid0(SALU_CYCLE_1)
	s_lshl_b64 s[6:7], s[6:7], 1
	v_cndmask_b32_e32 v1, 0, v0, vcc_lo
	s_add_u32 s0, s6, s12
	s_addc_u32 s6, s7, s13
	s_ashr_i32 s2, s3, 31
	s_mov_b32 s7, 0
	v_lshlrev_b32_e32 v1, 1, v1
	s_lshr_b32 s2, s2, 22
	s_delay_alu instid0(SALU_CYCLE_1) | instskip(NEXT) | instid1(SALU_CYCLE_1)
	s_add_i32 s2, s3, s2
	s_and_b32 s2, s2, 0xfffffc00
	s_delay_alu instid0(VALU_DEP_1) | instskip(NEXT) | instid1(VALU_DEP_1)
	v_add_co_u32 v1, s0, s0, v1
	v_add_co_ci_u32_e64 v2, null, s6, 0, s0
	s_mov_b32 s6, exec_lo
	v_cmpx_gt_i32_e64 s2, v0
	s_cbranch_execz .LBB624_26
; %bb.19:
	v_mul_lo_u32 v3, v0, s1
	v_dual_mov_b32 v7, 0 :: v_dual_mov_b32 v6, v2
	v_dual_mov_b32 v5, v1 :: v_dual_mov_b32 v8, v0
	s_lshl_b32 s11, s1, 10
	s_branch .LBB624_21
.LBB624_20:                             ;   in Loop: Header=BB624_21 Depth=1
	s_or_b32 exec_lo, exec_lo, s0
	v_add_nc_u32_e32 v8, 0x400, v8
	s_delay_alu instid0(VALU_DEP_2) | instskip(SKIP_2) | instid1(VALU_DEP_4)
	v_and_b32_e32 v4, 0xffff0000, v9
	v_add_co_u32 v5, s0, 0x800, v5
	v_add_nc_u32_e32 v3, s11, v3
	v_cmp_le_i32_e32 vcc_lo, s2, v8
	s_delay_alu instid0(VALU_DEP_4) | instskip(SKIP_2) | instid1(SALU_CYCLE_1)
	v_add_f32_e32 v7, v7, v4
	v_add_co_ci_u32_e64 v6, s0, 0, v6, s0
	s_or_b32 s7, vcc_lo, s7
	s_and_not1_b32 exec_lo, exec_lo, s7
	s_cbranch_execz .LBB624_25
.LBB624_21:                             ; =>This Inner Loop Header: Depth=1
	s_delay_alu instid0(VALU_DEP_3) | instskip(NEXT) | instid1(VALU_DEP_1)
	v_ashrrev_i32_e32 v4, 31, v3
	v_lshlrev_b64 v[9:10], 1, v[3:4]
	s_delay_alu instid0(VALU_DEP_1) | instskip(NEXT) | instid1(VALU_DEP_2)
	v_add_co_u32 v9, vcc_lo, s4, v9
	v_add_co_ci_u32_e32 v10, vcc_lo, s5, v10, vcc_lo
	flat_load_u16 v4, v[5:6]
	flat_load_u16 v9, v[9:10]
	s_waitcnt vmcnt(1) lgkmcnt(1)
	v_lshlrev_b32_e32 v4, 16, v4
	s_waitcnt vmcnt(0) lgkmcnt(0)
	v_lshlrev_b32_e32 v9, 16, v9
	s_delay_alu instid0(VALU_DEP_1) | instskip(NEXT) | instid1(VALU_DEP_1)
	v_mul_f32_e32 v4, v4, v9
	v_and_b32_e32 v9, 0x7f800000, v4
	s_delay_alu instid0(VALU_DEP_1) | instskip(SKIP_1) | instid1(SALU_CYCLE_1)
	v_cmp_ne_u32_e32 vcc_lo, 0x7f800000, v9
                                        ; implicit-def: $vgpr9
	s_and_saveexec_b32 s0, vcc_lo
	s_xor_b32 s0, exec_lo, s0
; %bb.22:                               ;   in Loop: Header=BB624_21 Depth=1
	v_bfe_u32 v9, v4, 16, 1
	s_delay_alu instid0(VALU_DEP_1)
	v_add3_u32 v9, v4, v9, 0x7fff
                                        ; implicit-def: $vgpr4
; %bb.23:                               ;   in Loop: Header=BB624_21 Depth=1
	s_and_not1_saveexec_b32 s0, s0
	s_cbranch_execz .LBB624_20
; %bb.24:                               ;   in Loop: Header=BB624_21 Depth=1
	v_and_b32_e32 v9, 0xffff, v4
	v_or_b32_e32 v10, 0x10000, v4
	s_delay_alu instid0(VALU_DEP_2) | instskip(NEXT) | instid1(VALU_DEP_2)
	v_cmp_eq_u32_e32 vcc_lo, 0, v9
	v_cndmask_b32_e32 v9, v10, v4, vcc_lo
	s_branch .LBB624_20
.LBB624_25:
	s_or_b32 exec_lo, exec_lo, s7
.LBB624_26:
	s_delay_alu instid0(SALU_CYCLE_1) | instskip(SKIP_2) | instid1(VALU_DEP_1)
	s_or_b32 exec_lo, exec_lo, s6
	v_or_b32_e32 v3, s2, v0
	s_mov_b32 s0, exec_lo
	v_cmpx_gt_i32_e64 s3, v3
	s_cbranch_execz .LBB624_32
; %bb.27:
	v_mul_lo_u32 v3, v3, s1
	s_ashr_i32 s3, s2, 31
	s_delay_alu instid0(SALU_CYCLE_1) | instskip(NEXT) | instid1(VALU_DEP_1)
	s_lshl_b64 s[2:3], s[2:3], 1
	v_ashrrev_i32_e32 v4, 31, v3
	s_delay_alu instid0(VALU_DEP_1) | instskip(NEXT) | instid1(VALU_DEP_1)
	v_lshlrev_b64 v[3:4], 1, v[3:4]
	v_add_co_u32 v3, vcc_lo, s4, v3
	s_delay_alu instid0(VALU_DEP_2)
	v_add_co_ci_u32_e32 v4, vcc_lo, s5, v4, vcc_lo
	v_add_co_u32 v1, vcc_lo, v1, s2
	v_add_co_ci_u32_e32 v2, vcc_lo, s3, v2, vcc_lo
	flat_load_u16 v3, v[3:4]
	flat_load_u16 v1, v[1:2]
	s_waitcnt vmcnt(1) lgkmcnt(1)
	v_lshlrev_b32_e32 v2, 16, v3
	s_waitcnt vmcnt(0) lgkmcnt(0)
	v_lshlrev_b32_e32 v1, 16, v1
	s_delay_alu instid0(VALU_DEP_1) | instskip(NEXT) | instid1(VALU_DEP_1)
	v_mul_f32_e32 v1, v1, v2
	v_and_b32_e32 v2, 0x7f800000, v1
	s_delay_alu instid0(VALU_DEP_1) | instskip(SKIP_1) | instid1(SALU_CYCLE_1)
	v_cmp_ne_u32_e32 vcc_lo, 0x7f800000, v2
                                        ; implicit-def: $vgpr2
	s_and_saveexec_b32 s1, vcc_lo
	s_xor_b32 s1, exec_lo, s1
; %bb.28:
	v_bfe_u32 v2, v1, 16, 1
	s_delay_alu instid0(VALU_DEP_1)
	v_add3_u32 v2, v1, v2, 0x7fff
                                        ; implicit-def: $vgpr1
; %bb.29:
	s_and_not1_saveexec_b32 s1, s1
; %bb.30:
	v_and_b32_e32 v2, 0xffff, v1
	v_or_b32_e32 v3, 0x10000, v1
	s_delay_alu instid0(VALU_DEP_2) | instskip(NEXT) | instid1(VALU_DEP_2)
	v_cmp_eq_u32_e32 vcc_lo, 0, v2
	v_cndmask_b32_e32 v2, v3, v1, vcc_lo
; %bb.31:
	s_or_b32 exec_lo, exec_lo, s1
	s_delay_alu instid0(VALU_DEP_1) | instskip(NEXT) | instid1(VALU_DEP_1)
	v_and_b32_e32 v1, 0xffff0000, v2
	v_add_f32_e32 v7, v7, v1
.LBB624_32:
	s_or_b32 exec_lo, exec_lo, s0
	v_and_b32_e32 v6, 31, v0
	v_cmp_gt_u32_e32 vcc_lo, 32, v0
	s_delay_alu instid0(VALU_DEP_2)
	v_lshlrev_b32_e32 v1, 2, v6
	s_and_saveexec_b32 s0, vcc_lo
	s_cbranch_execz .LBB624_34
; %bb.33:
	v_mov_b32_e32 v2, 0
	ds_store_b32 v1, v2
.LBB624_34:
	s_or_b32 exec_lo, exec_lo, s0
	v_mbcnt_lo_u32_b32 v8, -1, 0
	s_mov_b32 s1, exec_lo
	s_waitcnt lgkmcnt(0)
	s_barrier
	buffer_gl0_inv
	v_cmp_gt_u32_e64 s0, 16, v8
	s_delay_alu instid0(VALU_DEP_1) | instskip(SKIP_1) | instid1(VALU_DEP_2)
	v_cndmask_b32_e64 v2, 0, 1, s0
	v_cmp_gt_u32_e64 s0, 24, v8
	v_lshlrev_b32_e32 v2, 4, v2
	s_delay_alu instid0(VALU_DEP_2) | instskip(SKIP_1) | instid1(VALU_DEP_3)
	v_cndmask_b32_e64 v3, 0, 1, s0
	v_cmp_gt_u32_e64 s0, 28, v8
	v_add_lshl_u32 v2, v2, v8, 2
	s_delay_alu instid0(VALU_DEP_3)
	v_lshlrev_b32_e32 v3, 3, v3
	ds_bpermute_b32 v4, v2, v7
	v_add_lshl_u32 v3, v3, v8, 2
	s_waitcnt lgkmcnt(0)
	v_add_f32_e32 v5, v7, v4
	v_cndmask_b32_e64 v4, 0, 1, s0
	v_cmp_gt_u32_e64 s0, 30, v8
	ds_bpermute_b32 v7, v3, v5
	s_waitcnt lgkmcnt(0)
	v_dual_add_f32 v7, v5, v7 :: v_dual_lshlrev_b32 v4, 2, v4
	s_delay_alu instid0(VALU_DEP_1)
	v_add_lshl_u32 v4, v4, v8, 2
	v_cndmask_b32_e64 v5, 0, 1, s0
	v_cmp_ne_u32_e64 s0, 31, v8
	ds_bpermute_b32 v9, v4, v7
	v_lshlrev_b32_e32 v5, 1, v5
	v_add_co_ci_u32_e64 v10, s0, 0, v8, s0
	s_delay_alu instid0(VALU_DEP_2)
	v_add_lshl_u32 v5, v5, v8, 2
	s_waitcnt lgkmcnt(0)
	v_add_f32_e32 v7, v7, v9
	ds_bpermute_b32 v9, v5, v7
	s_waitcnt lgkmcnt(0)
	v_dual_add_f32 v8, v7, v9 :: v_dual_lshlrev_b32 v7, 2, v10
	ds_bpermute_b32 v9, v7, v8
	v_cmpx_eq_u32_e32 0, v6
	s_cbranch_execz .LBB624_36
; %bb.35:
	v_lshrrev_b32_e32 v6, 3, v0
	s_waitcnt lgkmcnt(0)
	v_add_f32_e32 v8, v8, v9
	s_delay_alu instid0(VALU_DEP_2)
	v_and_b32_e32 v6, 0x7c, v6
	ds_store_b32 v6, v8
.LBB624_36:
	s_or_b32 exec_lo, exec_lo, s1
	v_mov_b32_e32 v6, 0
	s_waitcnt lgkmcnt(0)
	s_barrier
	buffer_gl0_inv
	s_and_saveexec_b32 s0, vcc_lo
	s_cbranch_execz .LBB624_38
; %bb.37:
	ds_load_b32 v6, v1
.LBB624_38:
	s_or_b32 exec_lo, exec_lo, s0
	s_and_saveexec_b32 s0, vcc_lo
	s_cbranch_execz .LBB624_40
; %bb.39:
	s_waitcnt lgkmcnt(0)
	ds_bpermute_b32 v1, v2, v6
	s_waitcnt lgkmcnt(0)
	v_add_f32_e32 v1, v6, v1
	ds_bpermute_b32 v2, v3, v1
	s_waitcnt lgkmcnt(0)
	v_add_f32_e32 v1, v1, v2
	;; [unrolled: 3-line block ×5, first 2 shown]
.LBB624_40:
	s_or_b32 exec_lo, exec_lo, s0
	s_delay_alu instid0(SALU_CYCLE_1)
	s_mov_b32 s0, exec_lo
                                        ; implicit-def: $vgpr1
                                        ; implicit-def: $sgpr6_sgpr7
	v_cmpx_eq_u32_e32 0, v0
	s_cbranch_execz .LBB624_59
; %bb.41:
	v_cmp_eq_f32_e64 s1, s15, 0
	s_waitcnt lgkmcnt(0)
	v_mul_f32_e32 v0, s16, v6
	s_delay_alu instid0(VALU_DEP_2)
	s_and_b32 vcc_lo, exec_lo, s1
	s_cbranch_vccz .LBB624_47
; %bb.42:
	s_delay_alu instid0(VALU_DEP_1) | instskip(NEXT) | instid1(VALU_DEP_1)
	v_and_b32_e32 v1, 0x7f800000, v0
	v_cmp_ne_u32_e32 vcc_lo, 0x7f800000, v1
                                        ; implicit-def: $vgpr1
	s_and_saveexec_b32 s1, vcc_lo
	s_delay_alu instid0(SALU_CYCLE_1)
	s_xor_b32 s1, exec_lo, s1
; %bb.43:
	v_bfe_u32 v1, v0, 16, 1
	s_delay_alu instid0(VALU_DEP_1)
	v_add3_u32 v1, v0, v1, 0x7fff
; %bb.44:
	s_and_not1_saveexec_b32 s1, s1
; %bb.45:
	v_and_b32_e32 v1, 0xffff, v0
	v_or_b32_e32 v2, 0x10000, v0
	s_delay_alu instid0(VALU_DEP_2) | instskip(NEXT) | instid1(VALU_DEP_2)
	v_cmp_eq_u32_e32 vcc_lo, 0, v1
	v_cndmask_b32_e32 v1, v2, v0, vcc_lo
; %bb.46:
	s_or_b32 exec_lo, exec_lo, s1
	s_mul_i32 s6, s14, s17
	s_cbranch_execz .LBB624_48
	s_branch .LBB624_58
.LBB624_47:
                                        ; implicit-def: $vgpr1
	s_mul_i32 s6, s14, s17
.LBB624_48:
	s_delay_alu instid0(SALU_CYCLE_1) | instskip(SKIP_2) | instid1(SALU_CYCLE_1)
	s_ashr_i32 s7, s6, 31
	v_mov_b32_e32 v1, 0
	s_lshl_b64 s[2:3], s[6:7], 1
	s_add_u32 s2, s8, s2
	s_addc_u32 s3, s9, s3
	global_load_u16 v1, v1, s[2:3]
	s_waitcnt vmcnt(0)
	v_lshlrev_b32_e32 v1, 16, v1
	s_delay_alu instid0(VALU_DEP_1) | instskip(NEXT) | instid1(VALU_DEP_1)
	v_mul_f32_e32 v1, s15, v1
	v_and_b32_e32 v2, 0x7f800000, v1
	v_readfirstlane_b32 s1, v1
	s_delay_alu instid0(VALU_DEP_2)
	v_cmp_eq_u32_e32 vcc_lo, 0x7f800000, v2
	s_cbranch_vccnz .LBB624_50
; %bb.49:
	s_delay_alu instid0(VALU_DEP_2) | instskip(SKIP_2) | instid1(SALU_CYCLE_1)
	s_bfe_u32 s2, s1, 0x10010
	s_mov_b32 s3, 0
	s_add_i32 s2, s1, s2
	s_addk_i32 s2, 0x7fff
	s_branch .LBB624_51
.LBB624_50:
	s_mov_b32 s3, -1
                                        ; implicit-def: $sgpr2
.LBB624_51:
	s_delay_alu instid0(SALU_CYCLE_1)
	s_and_not1_b32 vcc_lo, exec_lo, s3
	s_cbranch_vccnz .LBB624_53
; %bb.52:
	s_and_b32 s2, s1, 0xffff
	s_or_b32 s3, s1, 0x10000
	s_cmp_eq_u32 s2, 0
	s_cselect_b32 s2, s1, s3
.LBB624_53:
	s_delay_alu instid0(SALU_CYCLE_1) | instskip(NEXT) | instid1(SALU_CYCLE_1)
	s_and_b32 s1, s2, 0xffff0000
	v_add_f32_e32 v0, s1, v0
	s_delay_alu instid0(VALU_DEP_1) | instskip(NEXT) | instid1(VALU_DEP_1)
	v_and_b32_e32 v1, 0x7f800000, v0
	v_cmp_ne_u32_e32 vcc_lo, 0x7f800000, v1
                                        ; implicit-def: $vgpr1
	s_and_saveexec_b32 s1, vcc_lo
	s_delay_alu instid0(SALU_CYCLE_1)
	s_xor_b32 s1, exec_lo, s1
; %bb.54:
	v_bfe_u32 v1, v0, 16, 1
	s_delay_alu instid0(VALU_DEP_1)
	v_add3_u32 v1, v0, v1, 0x7fff
                                        ; implicit-def: $vgpr0
; %bb.55:
	s_and_not1_saveexec_b32 s1, s1
; %bb.56:
	v_and_b32_e32 v1, 0xffff, v0
	v_or_b32_e32 v2, 0x10000, v0
	s_delay_alu instid0(VALU_DEP_2) | instskip(NEXT) | instid1(VALU_DEP_2)
	v_cmp_eq_u32_e32 vcc_lo, 0, v1
	v_cndmask_b32_e32 v1, v2, v0, vcc_lo
; %bb.57:
	s_or_b32 exec_lo, exec_lo, s1
.LBB624_58:
	s_delay_alu instid0(VALU_DEP_1)
	v_lshrrev_b32_e32 v1, 16, v1
	s_ashr_i32 s7, s6, 31
	s_or_b32 s10, s10, exec_lo
.LBB624_59:
	s_or_b32 exec_lo, exec_lo, s0
	s_and_saveexec_b32 s0, s10
	s_cbranch_execz .LBB624_61
.LBB624_60:
	s_lshl_b64 s[0:1], s[6:7], 1
	v_mov_b32_e32 v0, 0
	s_add_u32 s0, s8, s0
	s_addc_u32 s1, s9, s1
	global_store_b16 v0, v1, s[0:1]
.LBB624_61:
	s_nop 0
	s_sendmsg sendmsg(MSG_DEALLOC_VGPRS)
	s_endpgm
	.section	.rodata,"a",@progbits
	.p2align	6, 0x0
	.amdhsa_kernel _ZL32rocblas_gemvt_warp_reduce_kernelILb1ELi1024EiPK16rocblas_bfloat16PKfKPS0_EviiT3_lPKT2_lT1_lSA_lSB_lS7_lPT4_lSB_li
		.amdhsa_group_segment_fixed_size 128
		.amdhsa_private_segment_fixed_size 0
		.amdhsa_kernarg_size 140
		.amdhsa_user_sgpr_count 14
		.amdhsa_user_sgpr_dispatch_ptr 0
		.amdhsa_user_sgpr_queue_ptr 0
		.amdhsa_user_sgpr_kernarg_segment_ptr 1
		.amdhsa_user_sgpr_dispatch_id 0
		.amdhsa_user_sgpr_private_segment_size 0
		.amdhsa_wavefront_size32 1
		.amdhsa_uses_dynamic_stack 0
		.amdhsa_enable_private_segment 0
		.amdhsa_system_sgpr_workgroup_id_x 1
		.amdhsa_system_sgpr_workgroup_id_y 0
		.amdhsa_system_sgpr_workgroup_id_z 1
		.amdhsa_system_sgpr_workgroup_info 0
		.amdhsa_system_vgpr_workitem_id 0
		.amdhsa_next_free_vgpr 11
		.amdhsa_next_free_sgpr 24
		.amdhsa_reserve_vcc 1
		.amdhsa_float_round_mode_32 0
		.amdhsa_float_round_mode_16_64 0
		.amdhsa_float_denorm_mode_32 3
		.amdhsa_float_denorm_mode_16_64 3
		.amdhsa_dx10_clamp 1
		.amdhsa_ieee_mode 1
		.amdhsa_fp16_overflow 0
		.amdhsa_workgroup_processor_mode 1
		.amdhsa_memory_ordered 1
		.amdhsa_forward_progress 0
		.amdhsa_shared_vgpr_count 0
		.amdhsa_exception_fp_ieee_invalid_op 0
		.amdhsa_exception_fp_denorm_src 0
		.amdhsa_exception_fp_ieee_div_zero 0
		.amdhsa_exception_fp_ieee_overflow 0
		.amdhsa_exception_fp_ieee_underflow 0
		.amdhsa_exception_fp_ieee_inexact 0
		.amdhsa_exception_int_div_zero 0
	.end_amdhsa_kernel
	.section	.text._ZL32rocblas_gemvt_warp_reduce_kernelILb1ELi1024EiPK16rocblas_bfloat16PKfKPS0_EviiT3_lPKT2_lT1_lSA_lSB_lS7_lPT4_lSB_li,"axG",@progbits,_ZL32rocblas_gemvt_warp_reduce_kernelILb1ELi1024EiPK16rocblas_bfloat16PKfKPS0_EviiT3_lPKT2_lT1_lSA_lSB_lS7_lPT4_lSB_li,comdat
.Lfunc_end624:
	.size	_ZL32rocblas_gemvt_warp_reduce_kernelILb1ELi1024EiPK16rocblas_bfloat16PKfKPS0_EviiT3_lPKT2_lT1_lSA_lSB_lS7_lPT4_lSB_li, .Lfunc_end624-_ZL32rocblas_gemvt_warp_reduce_kernelILb1ELi1024EiPK16rocblas_bfloat16PKfKPS0_EviiT3_lPKT2_lT1_lSA_lSB_lS7_lPT4_lSB_li
                                        ; -- End function
	.section	.AMDGPU.csdata,"",@progbits
; Kernel info:
; codeLenInByte = 2172
; NumSgprs: 26
; NumVgprs: 11
; ScratchSize: 0
; MemoryBound: 0
; FloatMode: 240
; IeeeMode: 1
; LDSByteSize: 128 bytes/workgroup (compile time only)
; SGPRBlocks: 3
; VGPRBlocks: 1
; NumSGPRsForWavesPerEU: 26
; NumVGPRsForWavesPerEU: 11
; Occupancy: 16
; WaveLimiterHint : 1
; COMPUTE_PGM_RSRC2:SCRATCH_EN: 0
; COMPUTE_PGM_RSRC2:USER_SGPR: 14
; COMPUTE_PGM_RSRC2:TRAP_HANDLER: 0
; COMPUTE_PGM_RSRC2:TGID_X_EN: 1
; COMPUTE_PGM_RSRC2:TGID_Y_EN: 0
; COMPUTE_PGM_RSRC2:TGID_Z_EN: 1
; COMPUTE_PGM_RSRC2:TIDIG_COMP_CNT: 0
	.section	.text._ZL32rocblas_gemvt_warp_reduce_kernelILb1ELi1024ElPK16rocblas_bfloat16PKfKPS0_EviiT3_lPKT2_lT1_lSA_lSB_lS7_lPT4_lSB_li,"axG",@progbits,_ZL32rocblas_gemvt_warp_reduce_kernelILb1ELi1024ElPK16rocblas_bfloat16PKfKPS0_EviiT3_lPKT2_lT1_lSA_lSB_lS7_lPT4_lSB_li,comdat
	.globl	_ZL32rocblas_gemvt_warp_reduce_kernelILb1ELi1024ElPK16rocblas_bfloat16PKfKPS0_EviiT3_lPKT2_lT1_lSA_lSB_lS7_lPT4_lSB_li ; -- Begin function _ZL32rocblas_gemvt_warp_reduce_kernelILb1ELi1024ElPK16rocblas_bfloat16PKfKPS0_EviiT3_lPKT2_lT1_lSA_lSB_lS7_lPT4_lSB_li
	.p2align	8
	.type	_ZL32rocblas_gemvt_warp_reduce_kernelILb1ELi1024ElPK16rocblas_bfloat16PKfKPS0_EviiT3_lPKT2_lT1_lSA_lSB_lS7_lPT4_lSB_li,@function
_ZL32rocblas_gemvt_warp_reduce_kernelILb1ELi1024ElPK16rocblas_bfloat16PKfKPS0_EviiT3_lPKT2_lT1_lSA_lSB_lS7_lPT4_lSB_li: ; @_ZL32rocblas_gemvt_warp_reduce_kernelILb1ELi1024ElPK16rocblas_bfloat16PKfKPS0_EviiT3_lPKT2_lT1_lSA_lSB_lS7_lPT4_lSB_li
; %bb.0:
	s_clause 0x1
	s_load_b256 s[16:23], s[0:1], 0x8
	s_load_b256 s[4:11], s[0:1], 0x58
	s_mov_b32 s2, s15
	s_waitcnt lgkmcnt(0)
	s_mul_i32 s3, s15, s19
	s_mul_hi_u32 s13, s15, s18
	s_mul_i32 s12, s15, s18
	s_add_i32 s13, s13, s3
	s_mul_i32 s3, s15, s7
	s_lshl_b64 s[12:13], s[12:13], 2
	s_mul_hi_u32 s7, s15, s6
	s_add_u32 s12, s16, s12
	s_addc_u32 s13, s17, s13
	s_add_i32 s7, s7, s3
	s_mul_i32 s6, s15, s6
	s_delay_alu instid0(SALU_CYCLE_1) | instskip(NEXT) | instid1(SALU_CYCLE_1)
	s_lshl_b64 s[6:7], s[6:7], 2
	s_add_u32 s4, s4, s6
	s_addc_u32 s5, s5, s7
	s_load_b32 s28, s[12:13], 0x0
	s_load_b32 s15, s[4:5], 0x0
	s_waitcnt lgkmcnt(0)
	v_cmp_eq_f32_e64 s29, s28, 0
	v_cmp_eq_f32_e64 s3, s15, 1.0
	s_delay_alu instid0(VALU_DEP_1) | instskip(NEXT) | instid1(SALU_CYCLE_1)
	s_and_b32 s3, s29, s3
	s_and_b32 vcc_lo, exec_lo, s3
	s_mov_b32 s3, 0
	s_cbranch_vccnz .LBB625_62
; %bb.1:
	s_clause 0x1
	s_load_b64 s[24:25], s[0:1], 0x28
	s_load_b64 s[12:13], s[0:1], 0x78
	v_cmp_neq_f32_e64 s30, s28, 0
	s_mov_b64 s[16:17], 0
	s_and_b32 vcc_lo, exec_lo, s29
	s_mov_b64 s[26:27], 0
	s_cbranch_vccnz .LBB625_3
; %bb.2:
	s_lshl_b64 s[4:5], s[2:3], 3
	s_delay_alu instid0(SALU_CYCLE_1)
	s_add_u32 s4, s20, s4
	s_addc_u32 s5, s21, s5
	s_lshl_b64 s[6:7], s[22:23], 1
	s_load_b64 s[4:5], s[4:5], 0x0
	s_waitcnt lgkmcnt(0)
	s_add_u32 s26, s4, s6
	s_addc_u32 s27, s5, s7
.LBB625_3:
	s_clause 0x1
	s_load_b128 s[4:7], s[0:1], 0x38
	s_load_b64 s[18:19], s[0:1], 0x48
	s_and_not1_b32 vcc_lo, exec_lo, s30
	s_cbranch_vccnz .LBB625_5
; %bb.4:
	s_lshl_b64 s[16:17], s[2:3], 3
	s_waitcnt lgkmcnt(0)
	s_add_u32 s4, s4, s16
	s_addc_u32 s5, s5, s17
	s_lshl_b64 s[6:7], s[6:7], 1
	s_load_b64 s[4:5], s[4:5], 0x0
	s_waitcnt lgkmcnt(0)
	s_add_u32 s16, s4, s6
	s_addc_u32 s17, s5, s7
.LBB625_5:
	s_lshl_b64 s[2:3], s[2:3], 3
	s_delay_alu instid0(SALU_CYCLE_1)
	s_add_u32 s2, s8, s2
	s_addc_u32 s3, s9, s3
	s_waitcnt lgkmcnt(0)
	s_lshl_b64 s[6:7], s[10:11], 1
	s_load_b64 s[4:5], s[2:3], 0x0
	v_cmp_eq_u32_e64 s2, 0, v0
	s_waitcnt lgkmcnt(0)
	s_add_u32 s6, s4, s6
	s_addc_u32 s7, s5, s7
	s_and_not1_b32 vcc_lo, exec_lo, s29
	s_cbranch_vccnz .LBB625_10
; %bb.6:
	s_mov_b32 s3, 0
	s_mov_b32 s8, 0
                                        ; implicit-def: $sgpr10
                                        ; implicit-def: $sgpr4_sgpr5
	s_and_saveexec_b32 s9, s2
	s_cbranch_execz .LBB625_11
; %bb.7:
	v_cmp_eq_f32_e64 s2, s15, 0
	s_mul_i32 s4, s14, s13
	s_mul_hi_u32 s5, s14, s12
	s_ashr_i32 s8, s14, 31
	s_add_i32 s4, s5, s4
	s_mul_i32 s8, s8, s12
	s_mov_b32 s10, 0
	s_add_i32 s5, s4, s8
	s_and_b32 vcc_lo, exec_lo, s2
	s_mul_i32 s4, s14, s12
	s_cbranch_vccnz .LBB625_17
; %bb.8:
	s_lshl_b64 s[10:11], s[4:5], 1
	v_mov_b32_e32 v1, 0
	s_add_u32 s10, s6, s10
	s_addc_u32 s11, s7, s11
	global_load_u16 v1, v1, s[10:11]
	s_waitcnt vmcnt(0)
	v_lshlrev_b32_e32 v1, 16, v1
	s_delay_alu instid0(VALU_DEP_1) | instskip(NEXT) | instid1(VALU_DEP_1)
	v_mul_f32_e32 v1, s15, v1
	v_and_b32_e32 v2, 0x7f800000, v1
	v_readfirstlane_b32 s2, v1
	s_delay_alu instid0(VALU_DEP_2)
	v_cmp_eq_u32_e32 vcc_lo, 0x7f800000, v2
	s_cbranch_vccnz .LBB625_13
; %bb.9:
	s_delay_alu instid0(VALU_DEP_2) | instskip(SKIP_2) | instid1(SALU_CYCLE_1)
	s_bfe_u32 s8, s2, 0x10010
	s_mov_b32 s10, 0
	s_add_i32 s8, s2, s8
	s_addk_i32 s8, 0x7fff
	s_branch .LBB625_14
.LBB625_10:
	s_mov_b32 s8, 0
                                        ; implicit-def: $sgpr10
                                        ; implicit-def: $sgpr4_sgpr5
	s_cbranch_execz .LBB625_12
	s_branch .LBB625_18
.LBB625_11:
	s_or_b32 exec_lo, exec_lo, s9
	s_delay_alu instid0(SALU_CYCLE_1)
	s_and_b32 vcc_lo, exec_lo, s3
	s_cbranch_vccnz .LBB625_18
.LBB625_12:
	v_mov_b32_e32 v1, s10
	s_and_saveexec_b32 s0, s8
	s_cbranch_execnz .LBB625_61
	s_branch .LBB625_62
.LBB625_13:
	s_mov_b32 s10, -1
                                        ; implicit-def: $sgpr8
.LBB625_14:
	s_delay_alu instid0(SALU_CYCLE_1)
	s_and_not1_b32 vcc_lo, exec_lo, s10
	s_cbranch_vccnz .LBB625_16
; %bb.15:
	s_and_b32 s8, s2, 0xffff
	s_or_b32 s10, s2, 0x10000
	s_cmp_eq_u32 s8, 0
	s_cselect_b32 s8, s2, s10
.LBB625_16:
	s_delay_alu instid0(SALU_CYCLE_1)
	s_lshr_b32 s10, s8, 16
.LBB625_17:
	s_mov_b32 s8, exec_lo
	s_or_b32 exec_lo, exec_lo, s9
	s_delay_alu instid0(SALU_CYCLE_1)
	s_and_b32 vcc_lo, exec_lo, s3
	s_cbranch_vccz .LBB625_12
.LBB625_18:
	s_load_b32 s3, s[0:1], 0x0
	s_mul_i32 s0, s14, s25
	s_mul_hi_u32 s2, s14, s24
	s_ashr_i32 s1, s14, 31
	s_add_i32 s0, s2, s0
	s_mul_i32 s2, s1, s24
	s_mul_i32 s4, s14, s24
	s_add_i32 s5, s0, s2
	v_mov_b32_e32 v7, 0
	s_lshl_b64 s[4:5], s[4:5], 1
	s_mov_b32 s10, 0
	s_add_u32 s0, s4, s26
	s_addc_u32 s4, s5, s27
	s_mov_b32 s9, exec_lo
	s_waitcnt lgkmcnt(0)
	v_cmp_gt_i32_e32 vcc_lo, s3, v0
	s_ashr_i32 s2, s3, 31
	s_delay_alu instid0(SALU_CYCLE_1) | instskip(NEXT) | instid1(SALU_CYCLE_1)
	s_lshr_b32 s2, s2, 22
	s_add_i32 s2, s3, s2
	v_cndmask_b32_e32 v1, 0, v0, vcc_lo
	s_and_b32 s2, s2, 0xfffffc00
	s_delay_alu instid0(VALU_DEP_1) | instskip(NEXT) | instid1(VALU_DEP_1)
	v_lshlrev_b32_e32 v1, 1, v1
	v_add_co_u32 v1, s0, s0, v1
	s_delay_alu instid0(VALU_DEP_1)
	v_add_co_ci_u32_e64 v2, null, s4, 0, s0
	v_cmpx_gt_i32_e64 s2, v0
	s_cbranch_execz .LBB625_26
; %bb.19:
	v_mad_u64_u32 v[3:4], null, s18, v0, 0
	v_mov_b32_e32 v8, v0
	s_lshl_b64 s[4:5], s[18:19], 11
	v_mov_b32_e32 v7, 0
	s_delay_alu instid0(VALU_DEP_3) | instskip(NEXT) | instid1(VALU_DEP_1)
	v_mad_u64_u32 v[5:6], null, s19, v0, v[4:5]
	v_mov_b32_e32 v4, v5
	s_delay_alu instid0(VALU_DEP_1) | instskip(SKIP_1) | instid1(VALU_DEP_2)
	v_lshlrev_b64 v[5:6], 1, v[3:4]
	v_dual_mov_b32 v4, v2 :: v_dual_mov_b32 v3, v1
	v_add_co_u32 v5, vcc_lo, s16, v5
	s_delay_alu instid0(VALU_DEP_3)
	v_add_co_ci_u32_e32 v6, vcc_lo, s17, v6, vcc_lo
	s_set_inst_prefetch_distance 0x1
	s_branch .LBB625_21
	.p2align	6
.LBB625_20:                             ;   in Loop: Header=BB625_21 Depth=1
	s_or_b32 exec_lo, exec_lo, s0
	s_delay_alu instid0(VALU_DEP_1) | instskip(SKIP_3) | instid1(VALU_DEP_4)
	v_and_b32_e32 v9, 0xffff0000, v10
	v_add_nc_u32_e32 v8, 0x400, v8
	v_add_co_u32 v3, vcc_lo, 0x800, v3
	v_add_co_ci_u32_e32 v4, vcc_lo, 0, v4, vcc_lo
	v_add_f32_e32 v7, v7, v9
	s_delay_alu instid0(VALU_DEP_4) | instskip(SKIP_1) | instid1(VALU_DEP_1)
	v_cmp_le_i32_e32 vcc_lo, s2, v8
	v_add_co_u32 v5, s0, v5, s4
	v_add_co_ci_u32_e64 v6, s0, s5, v6, s0
	s_or_b32 s10, vcc_lo, s10
	s_delay_alu instid0(SALU_CYCLE_1)
	s_and_not1_b32 exec_lo, exec_lo, s10
	s_cbranch_execz .LBB625_25
.LBB625_21:                             ; =>This Inner Loop Header: Depth=1
	flat_load_u16 v9, v[5:6]
	flat_load_u16 v10, v[3:4]
	s_waitcnt vmcnt(1) lgkmcnt(1)
	v_lshlrev_b32_e32 v9, 16, v9
	s_waitcnt vmcnt(0) lgkmcnt(0)
	v_lshlrev_b32_e32 v10, 16, v10
	s_delay_alu instid0(VALU_DEP_1) | instskip(NEXT) | instid1(VALU_DEP_1)
	v_mul_f32_e32 v9, v10, v9
	v_and_b32_e32 v10, 0x7f800000, v9
	s_delay_alu instid0(VALU_DEP_1) | instskip(SKIP_1) | instid1(SALU_CYCLE_1)
	v_cmp_ne_u32_e32 vcc_lo, 0x7f800000, v10
                                        ; implicit-def: $vgpr10
	s_and_saveexec_b32 s0, vcc_lo
	s_xor_b32 s0, exec_lo, s0
; %bb.22:                               ;   in Loop: Header=BB625_21 Depth=1
	v_bfe_u32 v10, v9, 16, 1
	s_delay_alu instid0(VALU_DEP_1)
	v_add3_u32 v10, v9, v10, 0x7fff
                                        ; implicit-def: $vgpr9
; %bb.23:                               ;   in Loop: Header=BB625_21 Depth=1
	s_and_not1_saveexec_b32 s0, s0
	s_cbranch_execz .LBB625_20
; %bb.24:                               ;   in Loop: Header=BB625_21 Depth=1
	v_and_b32_e32 v10, 0xffff, v9
	v_or_b32_e32 v11, 0x10000, v9
	s_delay_alu instid0(VALU_DEP_2) | instskip(NEXT) | instid1(VALU_DEP_2)
	v_cmp_eq_u32_e32 vcc_lo, 0, v10
	v_cndmask_b32_e32 v10, v11, v9, vcc_lo
	s_branch .LBB625_20
.LBB625_25:
	s_set_inst_prefetch_distance 0x2
	s_or_b32 exec_lo, exec_lo, s10
.LBB625_26:
	s_delay_alu instid0(SALU_CYCLE_1) | instskip(SKIP_2) | instid1(VALU_DEP_1)
	s_or_b32 exec_lo, exec_lo, s9
	v_or_b32_e32 v3, s2, v0
	s_mov_b32 s0, exec_lo
	v_cmpx_gt_i32_e64 s3, v3
	s_cbranch_execz .LBB625_32
; %bb.27:
	v_ashrrev_i32_e32 v6, 31, v3
	v_mul_lo_u32 v8, v3, s19
	v_mad_u64_u32 v[4:5], null, v3, s18, 0
	s_ashr_i32 s3, s2, 31
	s_delay_alu instid0(VALU_DEP_3) | instskip(SKIP_1) | instid1(VALU_DEP_1)
	v_mul_lo_u32 v3, v6, s18
	s_lshl_b64 s[2:3], s[2:3], 1
	v_add3_u32 v5, v5, v8, v3
	s_delay_alu instid0(VALU_DEP_1) | instskip(NEXT) | instid1(VALU_DEP_1)
	v_lshlrev_b64 v[3:4], 1, v[4:5]
	v_add_co_u32 v3, vcc_lo, s16, v3
	s_delay_alu instid0(VALU_DEP_2)
	v_add_co_ci_u32_e32 v4, vcc_lo, s17, v4, vcc_lo
	v_add_co_u32 v1, vcc_lo, v1, s2
	v_add_co_ci_u32_e32 v2, vcc_lo, s3, v2, vcc_lo
	flat_load_u16 v3, v[3:4]
	flat_load_u16 v1, v[1:2]
	s_waitcnt vmcnt(1) lgkmcnt(1)
	v_lshlrev_b32_e32 v2, 16, v3
	s_waitcnt vmcnt(0) lgkmcnt(0)
	v_lshlrev_b32_e32 v1, 16, v1
	s_delay_alu instid0(VALU_DEP_1) | instskip(NEXT) | instid1(VALU_DEP_1)
	v_mul_f32_e32 v1, v1, v2
	v_and_b32_e32 v2, 0x7f800000, v1
	s_delay_alu instid0(VALU_DEP_1) | instskip(SKIP_1) | instid1(SALU_CYCLE_1)
	v_cmp_ne_u32_e32 vcc_lo, 0x7f800000, v2
                                        ; implicit-def: $vgpr2
	s_and_saveexec_b32 s2, vcc_lo
	s_xor_b32 s2, exec_lo, s2
; %bb.28:
	v_bfe_u32 v2, v1, 16, 1
	s_delay_alu instid0(VALU_DEP_1)
	v_add3_u32 v2, v1, v2, 0x7fff
                                        ; implicit-def: $vgpr1
; %bb.29:
	s_and_not1_saveexec_b32 s2, s2
; %bb.30:
	v_and_b32_e32 v2, 0xffff, v1
	v_or_b32_e32 v3, 0x10000, v1
	s_delay_alu instid0(VALU_DEP_2) | instskip(NEXT) | instid1(VALU_DEP_2)
	v_cmp_eq_u32_e32 vcc_lo, 0, v2
	v_cndmask_b32_e32 v2, v3, v1, vcc_lo
; %bb.31:
	s_or_b32 exec_lo, exec_lo, s2
	s_delay_alu instid0(VALU_DEP_1) | instskip(NEXT) | instid1(VALU_DEP_1)
	v_and_b32_e32 v1, 0xffff0000, v2
	v_add_f32_e32 v7, v7, v1
.LBB625_32:
	s_or_b32 exec_lo, exec_lo, s0
	v_and_b32_e32 v6, 31, v0
	v_cmp_gt_u32_e32 vcc_lo, 32, v0
	s_delay_alu instid0(VALU_DEP_2)
	v_lshlrev_b32_e32 v1, 2, v6
	s_and_saveexec_b32 s0, vcc_lo
	s_cbranch_execz .LBB625_34
; %bb.33:
	v_mov_b32_e32 v2, 0
	ds_store_b32 v1, v2
.LBB625_34:
	s_or_b32 exec_lo, exec_lo, s0
	v_mbcnt_lo_u32_b32 v8, -1, 0
	s_mov_b32 s2, exec_lo
	s_waitcnt lgkmcnt(0)
	s_barrier
	buffer_gl0_inv
	v_cmp_gt_u32_e64 s0, 16, v8
	s_delay_alu instid0(VALU_DEP_1) | instskip(SKIP_1) | instid1(VALU_DEP_2)
	v_cndmask_b32_e64 v2, 0, 1, s0
	v_cmp_gt_u32_e64 s0, 24, v8
	v_lshlrev_b32_e32 v2, 4, v2
	s_delay_alu instid0(VALU_DEP_2) | instskip(SKIP_1) | instid1(VALU_DEP_3)
	v_cndmask_b32_e64 v3, 0, 1, s0
	v_cmp_gt_u32_e64 s0, 28, v8
	v_add_lshl_u32 v2, v2, v8, 2
	s_delay_alu instid0(VALU_DEP_3)
	v_lshlrev_b32_e32 v3, 3, v3
	ds_bpermute_b32 v4, v2, v7
	v_add_lshl_u32 v3, v3, v8, 2
	s_waitcnt lgkmcnt(0)
	v_add_f32_e32 v5, v7, v4
	v_cndmask_b32_e64 v4, 0, 1, s0
	v_cmp_gt_u32_e64 s0, 30, v8
	ds_bpermute_b32 v7, v3, v5
	s_waitcnt lgkmcnt(0)
	v_dual_add_f32 v7, v5, v7 :: v_dual_lshlrev_b32 v4, 2, v4
	s_delay_alu instid0(VALU_DEP_1)
	v_add_lshl_u32 v4, v4, v8, 2
	v_cndmask_b32_e64 v5, 0, 1, s0
	v_cmp_ne_u32_e64 s0, 31, v8
	ds_bpermute_b32 v9, v4, v7
	v_lshlrev_b32_e32 v5, 1, v5
	v_add_co_ci_u32_e64 v10, s0, 0, v8, s0
	s_delay_alu instid0(VALU_DEP_2)
	v_add_lshl_u32 v5, v5, v8, 2
	s_waitcnt lgkmcnt(0)
	v_add_f32_e32 v7, v7, v9
	ds_bpermute_b32 v9, v5, v7
	s_waitcnt lgkmcnt(0)
	v_dual_add_f32 v8, v7, v9 :: v_dual_lshlrev_b32 v7, 2, v10
	ds_bpermute_b32 v9, v7, v8
	v_cmpx_eq_u32_e32 0, v6
	s_cbranch_execz .LBB625_36
; %bb.35:
	v_lshrrev_b32_e32 v6, 3, v0
	s_waitcnt lgkmcnt(0)
	v_add_f32_e32 v8, v8, v9
	s_delay_alu instid0(VALU_DEP_2)
	v_and_b32_e32 v6, 0x7c, v6
	ds_store_b32 v6, v8
.LBB625_36:
	s_or_b32 exec_lo, exec_lo, s2
	v_mov_b32_e32 v6, 0
	s_waitcnt lgkmcnt(0)
	s_barrier
	buffer_gl0_inv
	s_and_saveexec_b32 s0, vcc_lo
	s_cbranch_execz .LBB625_38
; %bb.37:
	ds_load_b32 v6, v1
.LBB625_38:
	s_or_b32 exec_lo, exec_lo, s0
	s_and_saveexec_b32 s0, vcc_lo
	s_cbranch_execz .LBB625_40
; %bb.39:
	s_waitcnt lgkmcnt(0)
	ds_bpermute_b32 v1, v2, v6
	s_waitcnt lgkmcnt(0)
	v_add_f32_e32 v1, v6, v1
	ds_bpermute_b32 v2, v3, v1
	s_waitcnt lgkmcnt(0)
	v_add_f32_e32 v1, v1, v2
	;; [unrolled: 3-line block ×5, first 2 shown]
.LBB625_40:
	s_or_b32 exec_lo, exec_lo, s0
	s_delay_alu instid0(SALU_CYCLE_1)
	s_mov_b32 s0, exec_lo
                                        ; implicit-def: $vgpr1
                                        ; implicit-def: $sgpr4_sgpr5
	v_cmpx_eq_u32_e32 0, v0
	s_cbranch_execz .LBB625_60
; %bb.41:
	v_cmp_eq_f32_e64 s2, s15, 0
	s_waitcnt lgkmcnt(0)
	v_mul_f32_e32 v0, s28, v6
	s_delay_alu instid0(VALU_DEP_2)
	s_and_b32 vcc_lo, exec_lo, s2
	s_cbranch_vccz .LBB625_47
; %bb.42:
	s_delay_alu instid0(VALU_DEP_1) | instskip(NEXT) | instid1(VALU_DEP_1)
	v_and_b32_e32 v1, 0x7f800000, v0
	v_cmp_ne_u32_e32 vcc_lo, 0x7f800000, v1
                                        ; implicit-def: $vgpr1
	s_and_saveexec_b32 s2, vcc_lo
	s_delay_alu instid0(SALU_CYCLE_1)
	s_xor_b32 s2, exec_lo, s2
; %bb.43:
	v_bfe_u32 v1, v0, 16, 1
	s_delay_alu instid0(VALU_DEP_1)
	v_add3_u32 v1, v0, v1, 0x7fff
; %bb.44:
	s_and_not1_saveexec_b32 s2, s2
; %bb.45:
	v_and_b32_e32 v1, 0xffff, v0
	v_or_b32_e32 v2, 0x10000, v0
	s_delay_alu instid0(VALU_DEP_2) | instskip(NEXT) | instid1(VALU_DEP_2)
	v_cmp_eq_u32_e32 vcc_lo, 0, v1
	v_cndmask_b32_e32 v1, v2, v0, vcc_lo
; %bb.46:
	s_or_b32 exec_lo, exec_lo, s2
	s_mov_b32 s4, 0
	s_branch .LBB625_48
.LBB625_47:
	s_mov_b32 s4, -1
                                        ; implicit-def: $vgpr1
.LBB625_48:
	s_mul_i32 s2, s14, s13
	s_mul_hi_u32 s3, s14, s12
	s_and_not1_b32 vcc_lo, exec_lo, s4
	s_mul_i32 s1, s1, s12
	s_mul_i32 s4, s14, s12
	s_cbranch_vccnz .LBB625_59
; %bb.49:
	s_add_i32 s5, s3, s2
	v_mov_b32_e32 v1, 0
	s_add_i32 s5, s5, s1
	s_delay_alu instid0(SALU_CYCLE_1) | instskip(NEXT) | instid1(SALU_CYCLE_1)
	s_lshl_b64 s[10:11], s[4:5], 1
	s_add_u32 s10, s6, s10
	s_addc_u32 s11, s7, s11
	global_load_u16 v1, v1, s[10:11]
	s_waitcnt vmcnt(0)
	v_lshlrev_b32_e32 v1, 16, v1
	s_delay_alu instid0(VALU_DEP_1) | instskip(NEXT) | instid1(VALU_DEP_1)
	v_mul_f32_e32 v1, s15, v1
	v_and_b32_e32 v2, 0x7f800000, v1
	v_readfirstlane_b32 s5, v1
	s_delay_alu instid0(VALU_DEP_2)
	v_cmp_eq_u32_e32 vcc_lo, 0x7f800000, v2
	s_cbranch_vccnz .LBB625_51
; %bb.50:
	s_delay_alu instid0(VALU_DEP_2) | instskip(SKIP_2) | instid1(SALU_CYCLE_1)
	s_bfe_u32 s9, s5, 0x10010
	s_mov_b32 s10, 0
	s_add_i32 s9, s5, s9
	s_addk_i32 s9, 0x7fff
	s_branch .LBB625_52
.LBB625_51:
	s_mov_b32 s10, -1
                                        ; implicit-def: $sgpr9
.LBB625_52:
	s_delay_alu instid0(SALU_CYCLE_1)
	s_and_not1_b32 vcc_lo, exec_lo, s10
	s_cbranch_vccnz .LBB625_54
; %bb.53:
	s_and_b32 s9, s5, 0xffff
	s_or_b32 s10, s5, 0x10000
	s_cmp_eq_u32 s9, 0
	s_cselect_b32 s9, s5, s10
.LBB625_54:
	s_delay_alu instid0(SALU_CYCLE_1) | instskip(NEXT) | instid1(SALU_CYCLE_1)
	s_and_b32 s5, s9, 0xffff0000
	v_add_f32_e32 v0, s5, v0
	s_delay_alu instid0(VALU_DEP_1) | instskip(NEXT) | instid1(VALU_DEP_1)
	v_and_b32_e32 v1, 0x7f800000, v0
	v_cmp_ne_u32_e32 vcc_lo, 0x7f800000, v1
                                        ; implicit-def: $vgpr1
	s_and_saveexec_b32 s5, vcc_lo
	s_delay_alu instid0(SALU_CYCLE_1)
	s_xor_b32 s5, exec_lo, s5
; %bb.55:
	v_bfe_u32 v1, v0, 16, 1
	s_delay_alu instid0(VALU_DEP_1)
	v_add3_u32 v1, v0, v1, 0x7fff
                                        ; implicit-def: $vgpr0
; %bb.56:
	s_and_not1_saveexec_b32 s5, s5
; %bb.57:
	v_and_b32_e32 v1, 0xffff, v0
	v_or_b32_e32 v2, 0x10000, v0
	s_delay_alu instid0(VALU_DEP_2) | instskip(NEXT) | instid1(VALU_DEP_2)
	v_cmp_eq_u32_e32 vcc_lo, 0, v1
	v_cndmask_b32_e32 v1, v2, v0, vcc_lo
; %bb.58:
	s_or_b32 exec_lo, exec_lo, s5
.LBB625_59:
	s_delay_alu instid0(VALU_DEP_1)
	v_lshrrev_b32_e32 v1, 16, v1
	s_add_i32 s2, s3, s2
	s_or_b32 s8, s8, exec_lo
	s_add_i32 s5, s2, s1
.LBB625_60:
	s_or_b32 exec_lo, exec_lo, s0
	s_and_saveexec_b32 s0, s8
	s_cbranch_execz .LBB625_62
.LBB625_61:
	s_lshl_b64 s[0:1], s[4:5], 1
	v_mov_b32_e32 v0, 0
	s_add_u32 s0, s6, s0
	s_addc_u32 s1, s7, s1
	global_store_b16 v0, v1, s[0:1]
.LBB625_62:
	s_nop 0
	s_sendmsg sendmsg(MSG_DEALLOC_VGPRS)
	s_endpgm
	.section	.rodata,"a",@progbits
	.p2align	6, 0x0
	.amdhsa_kernel _ZL32rocblas_gemvt_warp_reduce_kernelILb1ELi1024ElPK16rocblas_bfloat16PKfKPS0_EviiT3_lPKT2_lT1_lSA_lSB_lS7_lPT4_lSB_li
		.amdhsa_group_segment_fixed_size 128
		.amdhsa_private_segment_fixed_size 0
		.amdhsa_kernarg_size 140
		.amdhsa_user_sgpr_count 14
		.amdhsa_user_sgpr_dispatch_ptr 0
		.amdhsa_user_sgpr_queue_ptr 0
		.amdhsa_user_sgpr_kernarg_segment_ptr 1
		.amdhsa_user_sgpr_dispatch_id 0
		.amdhsa_user_sgpr_private_segment_size 0
		.amdhsa_wavefront_size32 1
		.amdhsa_uses_dynamic_stack 0
		.amdhsa_enable_private_segment 0
		.amdhsa_system_sgpr_workgroup_id_x 1
		.amdhsa_system_sgpr_workgroup_id_y 0
		.amdhsa_system_sgpr_workgroup_id_z 1
		.amdhsa_system_sgpr_workgroup_info 0
		.amdhsa_system_vgpr_workitem_id 0
		.amdhsa_next_free_vgpr 12
		.amdhsa_next_free_sgpr 31
		.amdhsa_reserve_vcc 1
		.amdhsa_float_round_mode_32 0
		.amdhsa_float_round_mode_16_64 0
		.amdhsa_float_denorm_mode_32 3
		.amdhsa_float_denorm_mode_16_64 3
		.amdhsa_dx10_clamp 1
		.amdhsa_ieee_mode 1
		.amdhsa_fp16_overflow 0
		.amdhsa_workgroup_processor_mode 1
		.amdhsa_memory_ordered 1
		.amdhsa_forward_progress 0
		.amdhsa_shared_vgpr_count 0
		.amdhsa_exception_fp_ieee_invalid_op 0
		.amdhsa_exception_fp_denorm_src 0
		.amdhsa_exception_fp_ieee_div_zero 0
		.amdhsa_exception_fp_ieee_overflow 0
		.amdhsa_exception_fp_ieee_underflow 0
		.amdhsa_exception_fp_ieee_inexact 0
		.amdhsa_exception_int_div_zero 0
	.end_amdhsa_kernel
	.section	.text._ZL32rocblas_gemvt_warp_reduce_kernelILb1ELi1024ElPK16rocblas_bfloat16PKfKPS0_EviiT3_lPKT2_lT1_lSA_lSB_lS7_lPT4_lSB_li,"axG",@progbits,_ZL32rocblas_gemvt_warp_reduce_kernelILb1ELi1024ElPK16rocblas_bfloat16PKfKPS0_EviiT3_lPKT2_lT1_lSA_lSB_lS7_lPT4_lSB_li,comdat
.Lfunc_end625:
	.size	_ZL32rocblas_gemvt_warp_reduce_kernelILb1ELi1024ElPK16rocblas_bfloat16PKfKPS0_EviiT3_lPKT2_lT1_lSA_lSB_lS7_lPT4_lSB_li, .Lfunc_end625-_ZL32rocblas_gemvt_warp_reduce_kernelILb1ELi1024ElPK16rocblas_bfloat16PKfKPS0_EviiT3_lPKT2_lT1_lSA_lSB_lS7_lPT4_lSB_li
                                        ; -- End function
	.section	.AMDGPU.csdata,"",@progbits
; Kernel info:
; codeLenInByte = 2300
; NumSgprs: 33
; NumVgprs: 12
; ScratchSize: 0
; MemoryBound: 0
; FloatMode: 240
; IeeeMode: 1
; LDSByteSize: 128 bytes/workgroup (compile time only)
; SGPRBlocks: 4
; VGPRBlocks: 1
; NumSGPRsForWavesPerEU: 33
; NumVGPRsForWavesPerEU: 12
; Occupancy: 16
; WaveLimiterHint : 1
; COMPUTE_PGM_RSRC2:SCRATCH_EN: 0
; COMPUTE_PGM_RSRC2:USER_SGPR: 14
; COMPUTE_PGM_RSRC2:TRAP_HANDLER: 0
; COMPUTE_PGM_RSRC2:TGID_X_EN: 1
; COMPUTE_PGM_RSRC2:TGID_Y_EN: 0
; COMPUTE_PGM_RSRC2:TGID_Z_EN: 1
; COMPUTE_PGM_RSRC2:TIDIG_COMP_CNT: 0
	.section	.text._ZL32rocblas_gemvt_warp_reduce_kernelILb1ELi1024EiPK16rocblas_bfloat16fKPS0_EviiT3_lPKT2_lT1_lS8_lS9_lS5_lPT4_lS9_li,"axG",@progbits,_ZL32rocblas_gemvt_warp_reduce_kernelILb1ELi1024EiPK16rocblas_bfloat16fKPS0_EviiT3_lPKT2_lT1_lS8_lS9_lS5_lPT4_lS9_li,comdat
	.globl	_ZL32rocblas_gemvt_warp_reduce_kernelILb1ELi1024EiPK16rocblas_bfloat16fKPS0_EviiT3_lPKT2_lT1_lS8_lS9_lS5_lPT4_lS9_li ; -- Begin function _ZL32rocblas_gemvt_warp_reduce_kernelILb1ELi1024EiPK16rocblas_bfloat16fKPS0_EviiT3_lPKT2_lT1_lS8_lS9_lS5_lPT4_lS9_li
	.p2align	8
	.type	_ZL32rocblas_gemvt_warp_reduce_kernelILb1ELi1024EiPK16rocblas_bfloat16fKPS0_EviiT3_lPKT2_lT1_lS8_lS9_lS5_lPT4_lS9_li,@function
_ZL32rocblas_gemvt_warp_reduce_kernelILb1ELi1024EiPK16rocblas_bfloat16fKPS0_EviiT3_lPKT2_lT1_lS8_lS9_lS5_lPT4_lS9_li: ; @_ZL32rocblas_gemvt_warp_reduce_kernelILb1ELi1024EiPK16rocblas_bfloat16fKPS0_EviiT3_lPKT2_lT1_lS8_lS9_lS5_lPT4_lS9_li
; %bb.0:
	s_clause 0x1
	s_load_b32 s13, s[0:1], 0x8
	s_load_b32 s12, s[0:1], 0x58
	s_waitcnt lgkmcnt(0)
	v_cmp_eq_f32_e64 s6, s13, 0
	v_cmp_eq_f32_e64 s3, s12, 1.0
	s_delay_alu instid0(VALU_DEP_1) | instskip(NEXT) | instid1(SALU_CYCLE_1)
	s_and_b32 s3, s6, s3
	s_and_b32 vcc_lo, exec_lo, s3
	s_cbranch_vccnz .LBB626_64
; %bb.1:
	v_cmp_neq_f32_e64 s4, s13, 0
	s_mov_b32 s2, s15
	s_delay_alu instid0(VALU_DEP_1)
	s_and_b32 vcc_lo, exec_lo, s4
	s_cbranch_vccnz .LBB626_3
; %bb.2:
	s_mov_b32 s3, 0
	s_mov_b64 s[8:9], 0
	s_cbranch_execz .LBB626_4
	s_branch .LBB626_5
.LBB626_3:
	s_mov_b32 s3, -1
                                        ; implicit-def: $sgpr8_sgpr9
.LBB626_4:
	s_load_b128 s[8:11], s[0:1], 0x18
	s_mov_b32 s3, 0
	s_delay_alu instid0(SALU_CYCLE_1)
	s_lshl_b64 s[16:17], s[2:3], 3
	s_waitcnt lgkmcnt(0)
	s_add_u32 s8, s8, s16
	s_addc_u32 s9, s9, s17
	s_lshl_b64 s[10:11], s[10:11], 1
	s_load_b64 s[8:9], s[8:9], 0x0
	s_waitcnt lgkmcnt(0)
	s_add_u32 s8, s8, s10
	s_addc_u32 s9, s9, s11
.LBB626_5:
	s_and_not1_b32 vcc_lo, exec_lo, s4
	s_cbranch_vccnz .LBB626_7
; %bb.6:
	s_load_b128 s[16:19], s[0:1], 0x38
	s_lshl_b64 s[4:5], s[2:3], 3
	s_waitcnt lgkmcnt(0)
	s_add_u32 s4, s16, s4
	s_addc_u32 s5, s17, s5
	s_lshl_b64 s[10:11], s[18:19], 1
	s_load_b64 s[4:5], s[4:5], 0x0
	s_waitcnt lgkmcnt(0)
	s_add_u32 s4, s4, s10
	s_addc_u32 s5, s5, s11
	s_branch .LBB626_8
.LBB626_7:
	s_mov_b64 s[4:5], 0
.LBB626_8:
	s_clause 0x1
	s_load_b128 s[20:23], s[0:1], 0x68
	s_load_b32 s16, s[0:1], 0x78
	s_lshl_b64 s[2:3], s[2:3], 3
	s_waitcnt lgkmcnt(0)
	s_add_u32 s2, s20, s2
	s_addc_u32 s3, s21, s3
	s_lshl_b64 s[18:19], s[22:23], 1
	s_load_b64 s[10:11], s[2:3], 0x0
	v_cmp_eq_u32_e64 s2, 0, v0
	s_waitcnt lgkmcnt(0)
	s_add_u32 s10, s10, s18
	s_addc_u32 s11, s11, s19
	s_and_not1_b32 vcc_lo, exec_lo, s6
	s_cbranch_vccnz .LBB626_13
; %bb.9:
	s_mov_b32 s3, 0
	s_mov_b32 s15, 0
                                        ; implicit-def: $sgpr18
                                        ; implicit-def: $sgpr6_sgpr7
	s_and_saveexec_b32 s17, s2
	s_cbranch_execz .LBB626_14
; %bb.10:
	v_cmp_eq_f32_e64 s2, s12, 0
	s_mul_i32 s6, s14, s16
	s_mov_b32 s18, 0
	s_ashr_i32 s7, s6, 31
	s_delay_alu instid0(VALU_DEP_1)
	s_and_b32 vcc_lo, exec_lo, s2
	s_cbranch_vccnz .LBB626_20
; %bb.11:
	s_lshl_b64 s[18:19], s[6:7], 1
	v_mov_b32_e32 v1, 0
	s_add_u32 s18, s10, s18
	s_addc_u32 s19, s11, s19
	global_load_u16 v1, v1, s[18:19]
	s_waitcnt vmcnt(0)
	v_lshlrev_b32_e32 v1, 16, v1
	s_delay_alu instid0(VALU_DEP_1) | instskip(NEXT) | instid1(VALU_DEP_1)
	v_mul_f32_e32 v1, s12, v1
	v_and_b32_e32 v2, 0x7f800000, v1
	v_readfirstlane_b32 s2, v1
	s_delay_alu instid0(VALU_DEP_2)
	v_cmp_eq_u32_e32 vcc_lo, 0x7f800000, v2
	s_cbranch_vccnz .LBB626_16
; %bb.12:
	s_delay_alu instid0(VALU_DEP_2) | instskip(SKIP_2) | instid1(SALU_CYCLE_1)
	s_bfe_u32 s15, s2, 0x10010
	s_mov_b32 s18, 0
	s_add_i32 s15, s2, s15
	s_addk_i32 s15, 0x7fff
	s_branch .LBB626_17
.LBB626_13:
	s_mov_b32 s15, 0
                                        ; implicit-def: $sgpr18
                                        ; implicit-def: $sgpr6_sgpr7
	s_cbranch_execz .LBB626_15
	s_branch .LBB626_21
.LBB626_14:
	s_or_b32 exec_lo, exec_lo, s17
	s_delay_alu instid0(SALU_CYCLE_1)
	s_and_b32 vcc_lo, exec_lo, s3
	s_cbranch_vccnz .LBB626_21
.LBB626_15:
	v_mov_b32_e32 v1, s18
	s_and_saveexec_b32 s0, s15
	s_cbranch_execnz .LBB626_63
	s_branch .LBB626_64
.LBB626_16:
	s_mov_b32 s18, -1
                                        ; implicit-def: $sgpr15
.LBB626_17:
	s_delay_alu instid0(SALU_CYCLE_1)
	s_and_not1_b32 vcc_lo, exec_lo, s18
	s_cbranch_vccnz .LBB626_19
; %bb.18:
	s_and_b32 s15, s2, 0xffff
	s_or_b32 s18, s2, 0x10000
	s_cmp_eq_u32 s15, 0
	s_cselect_b32 s15, s2, s18
.LBB626_19:
	s_delay_alu instid0(SALU_CYCLE_1)
	s_lshr_b32 s18, s15, 16
.LBB626_20:
	s_mov_b32 s15, exec_lo
	s_or_b32 exec_lo, exec_lo, s17
	s_delay_alu instid0(SALU_CYCLE_1)
	s_and_b32 vcc_lo, exec_lo, s3
	s_cbranch_vccz .LBB626_15
.LBB626_21:
	s_clause 0x2
	s_load_b32 s2, s[0:1], 0x28
	s_load_b32 s3, s[0:1], 0x0
	;; [unrolled: 1-line block ×3, first 2 shown]
	v_mov_b32_e32 v7, 0
	s_waitcnt lgkmcnt(0)
	s_mul_i32 s6, s14, s2
	v_cmp_gt_i32_e32 vcc_lo, s3, v0
	s_ashr_i32 s7, s6, 31
	s_delay_alu instid0(SALU_CYCLE_1)
	s_lshl_b64 s[6:7], s[6:7], 1
	v_cndmask_b32_e32 v1, 0, v0, vcc_lo
	s_add_u32 s0, s6, s8
	s_addc_u32 s6, s7, s9
	s_ashr_i32 s2, s3, 31
	s_mov_b32 s7, 0
	v_lshlrev_b32_e32 v1, 1, v1
	s_lshr_b32 s2, s2, 22
	s_delay_alu instid0(SALU_CYCLE_1) | instskip(NEXT) | instid1(SALU_CYCLE_1)
	s_add_i32 s2, s3, s2
	s_and_b32 s2, s2, 0xfffffc00
	s_delay_alu instid0(VALU_DEP_1) | instskip(NEXT) | instid1(VALU_DEP_1)
	v_add_co_u32 v1, s0, s0, v1
	v_add_co_ci_u32_e64 v2, null, s6, 0, s0
	s_mov_b32 s6, exec_lo
	v_cmpx_gt_i32_e64 s2, v0
	s_cbranch_execz .LBB626_29
; %bb.22:
	v_mul_lo_u32 v3, v0, s1
	v_dual_mov_b32 v7, 0 :: v_dual_mov_b32 v6, v2
	v_dual_mov_b32 v5, v1 :: v_dual_mov_b32 v8, v0
	s_lshl_b32 s8, s1, 10
	s_branch .LBB626_24
.LBB626_23:                             ;   in Loop: Header=BB626_24 Depth=1
	s_or_b32 exec_lo, exec_lo, s0
	v_add_nc_u32_e32 v8, 0x400, v8
	s_delay_alu instid0(VALU_DEP_2) | instskip(SKIP_2) | instid1(VALU_DEP_4)
	v_and_b32_e32 v4, 0xffff0000, v9
	v_add_co_u32 v5, s0, 0x800, v5
	v_add_nc_u32_e32 v3, s8, v3
	v_cmp_le_i32_e32 vcc_lo, s2, v8
	s_delay_alu instid0(VALU_DEP_4) | instskip(SKIP_2) | instid1(SALU_CYCLE_1)
	v_add_f32_e32 v7, v7, v4
	v_add_co_ci_u32_e64 v6, s0, 0, v6, s0
	s_or_b32 s7, vcc_lo, s7
	s_and_not1_b32 exec_lo, exec_lo, s7
	s_cbranch_execz .LBB626_28
.LBB626_24:                             ; =>This Inner Loop Header: Depth=1
	s_delay_alu instid0(VALU_DEP_3) | instskip(NEXT) | instid1(VALU_DEP_1)
	v_ashrrev_i32_e32 v4, 31, v3
	v_lshlrev_b64 v[9:10], 1, v[3:4]
	s_delay_alu instid0(VALU_DEP_1) | instskip(NEXT) | instid1(VALU_DEP_2)
	v_add_co_u32 v9, vcc_lo, s4, v9
	v_add_co_ci_u32_e32 v10, vcc_lo, s5, v10, vcc_lo
	flat_load_u16 v4, v[5:6]
	flat_load_u16 v9, v[9:10]
	s_waitcnt vmcnt(1) lgkmcnt(1)
	v_lshlrev_b32_e32 v4, 16, v4
	s_waitcnt vmcnt(0) lgkmcnt(0)
	v_lshlrev_b32_e32 v9, 16, v9
	s_delay_alu instid0(VALU_DEP_1) | instskip(NEXT) | instid1(VALU_DEP_1)
	v_mul_f32_e32 v4, v4, v9
	v_and_b32_e32 v9, 0x7f800000, v4
	s_delay_alu instid0(VALU_DEP_1) | instskip(SKIP_1) | instid1(SALU_CYCLE_1)
	v_cmp_ne_u32_e32 vcc_lo, 0x7f800000, v9
                                        ; implicit-def: $vgpr9
	s_and_saveexec_b32 s0, vcc_lo
	s_xor_b32 s0, exec_lo, s0
; %bb.25:                               ;   in Loop: Header=BB626_24 Depth=1
	v_bfe_u32 v9, v4, 16, 1
	s_delay_alu instid0(VALU_DEP_1)
	v_add3_u32 v9, v4, v9, 0x7fff
                                        ; implicit-def: $vgpr4
; %bb.26:                               ;   in Loop: Header=BB626_24 Depth=1
	s_and_not1_saveexec_b32 s0, s0
	s_cbranch_execz .LBB626_23
; %bb.27:                               ;   in Loop: Header=BB626_24 Depth=1
	v_and_b32_e32 v9, 0xffff, v4
	v_or_b32_e32 v10, 0x10000, v4
	s_delay_alu instid0(VALU_DEP_2) | instskip(NEXT) | instid1(VALU_DEP_2)
	v_cmp_eq_u32_e32 vcc_lo, 0, v9
	v_cndmask_b32_e32 v9, v10, v4, vcc_lo
	s_branch .LBB626_23
.LBB626_28:
	s_or_b32 exec_lo, exec_lo, s7
.LBB626_29:
	s_delay_alu instid0(SALU_CYCLE_1) | instskip(SKIP_2) | instid1(VALU_DEP_1)
	s_or_b32 exec_lo, exec_lo, s6
	v_or_b32_e32 v3, s2, v0
	s_mov_b32 s0, exec_lo
	v_cmpx_gt_i32_e64 s3, v3
	s_cbranch_execz .LBB626_35
; %bb.30:
	v_mul_lo_u32 v3, v3, s1
	s_ashr_i32 s3, s2, 31
	s_delay_alu instid0(SALU_CYCLE_1) | instskip(NEXT) | instid1(VALU_DEP_1)
	s_lshl_b64 s[2:3], s[2:3], 1
	v_ashrrev_i32_e32 v4, 31, v3
	s_delay_alu instid0(VALU_DEP_1) | instskip(NEXT) | instid1(VALU_DEP_1)
	v_lshlrev_b64 v[3:4], 1, v[3:4]
	v_add_co_u32 v3, vcc_lo, s4, v3
	s_delay_alu instid0(VALU_DEP_2)
	v_add_co_ci_u32_e32 v4, vcc_lo, s5, v4, vcc_lo
	v_add_co_u32 v1, vcc_lo, v1, s2
	v_add_co_ci_u32_e32 v2, vcc_lo, s3, v2, vcc_lo
	flat_load_u16 v3, v[3:4]
	flat_load_u16 v1, v[1:2]
	s_waitcnt vmcnt(1) lgkmcnt(1)
	v_lshlrev_b32_e32 v2, 16, v3
	s_waitcnt vmcnt(0) lgkmcnt(0)
	v_lshlrev_b32_e32 v1, 16, v1
	s_delay_alu instid0(VALU_DEP_1) | instskip(NEXT) | instid1(VALU_DEP_1)
	v_mul_f32_e32 v1, v1, v2
	v_and_b32_e32 v2, 0x7f800000, v1
	s_delay_alu instid0(VALU_DEP_1) | instskip(SKIP_1) | instid1(SALU_CYCLE_1)
	v_cmp_ne_u32_e32 vcc_lo, 0x7f800000, v2
                                        ; implicit-def: $vgpr2
	s_and_saveexec_b32 s1, vcc_lo
	s_xor_b32 s1, exec_lo, s1
; %bb.31:
	v_bfe_u32 v2, v1, 16, 1
	s_delay_alu instid0(VALU_DEP_1)
	v_add3_u32 v2, v1, v2, 0x7fff
                                        ; implicit-def: $vgpr1
; %bb.32:
	s_and_not1_saveexec_b32 s1, s1
; %bb.33:
	v_and_b32_e32 v2, 0xffff, v1
	v_or_b32_e32 v3, 0x10000, v1
	s_delay_alu instid0(VALU_DEP_2) | instskip(NEXT) | instid1(VALU_DEP_2)
	v_cmp_eq_u32_e32 vcc_lo, 0, v2
	v_cndmask_b32_e32 v2, v3, v1, vcc_lo
; %bb.34:
	s_or_b32 exec_lo, exec_lo, s1
	s_delay_alu instid0(VALU_DEP_1) | instskip(NEXT) | instid1(VALU_DEP_1)
	v_and_b32_e32 v1, 0xffff0000, v2
	v_add_f32_e32 v7, v7, v1
.LBB626_35:
	s_or_b32 exec_lo, exec_lo, s0
	v_and_b32_e32 v6, 31, v0
	v_cmp_gt_u32_e32 vcc_lo, 32, v0
	s_delay_alu instid0(VALU_DEP_2)
	v_lshlrev_b32_e32 v1, 2, v6
	s_and_saveexec_b32 s0, vcc_lo
	s_cbranch_execz .LBB626_37
; %bb.36:
	v_mov_b32_e32 v2, 0
	ds_store_b32 v1, v2
.LBB626_37:
	s_or_b32 exec_lo, exec_lo, s0
	v_mbcnt_lo_u32_b32 v8, -1, 0
	s_mov_b32 s1, exec_lo
	s_waitcnt lgkmcnt(0)
	s_barrier
	buffer_gl0_inv
	v_cmp_gt_u32_e64 s0, 16, v8
	s_delay_alu instid0(VALU_DEP_1) | instskip(SKIP_1) | instid1(VALU_DEP_2)
	v_cndmask_b32_e64 v2, 0, 1, s0
	v_cmp_gt_u32_e64 s0, 24, v8
	v_lshlrev_b32_e32 v2, 4, v2
	s_delay_alu instid0(VALU_DEP_2) | instskip(SKIP_1) | instid1(VALU_DEP_3)
	v_cndmask_b32_e64 v3, 0, 1, s0
	v_cmp_gt_u32_e64 s0, 28, v8
	v_add_lshl_u32 v2, v2, v8, 2
	s_delay_alu instid0(VALU_DEP_3)
	v_lshlrev_b32_e32 v3, 3, v3
	ds_bpermute_b32 v4, v2, v7
	v_add_lshl_u32 v3, v3, v8, 2
	s_waitcnt lgkmcnt(0)
	v_add_f32_e32 v5, v7, v4
	v_cndmask_b32_e64 v4, 0, 1, s0
	v_cmp_gt_u32_e64 s0, 30, v8
	ds_bpermute_b32 v7, v3, v5
	s_waitcnt lgkmcnt(0)
	v_dual_add_f32 v7, v5, v7 :: v_dual_lshlrev_b32 v4, 2, v4
	s_delay_alu instid0(VALU_DEP_1)
	v_add_lshl_u32 v4, v4, v8, 2
	v_cndmask_b32_e64 v5, 0, 1, s0
	v_cmp_ne_u32_e64 s0, 31, v8
	ds_bpermute_b32 v9, v4, v7
	v_lshlrev_b32_e32 v5, 1, v5
	v_add_co_ci_u32_e64 v10, s0, 0, v8, s0
	s_delay_alu instid0(VALU_DEP_2)
	v_add_lshl_u32 v5, v5, v8, 2
	s_waitcnt lgkmcnt(0)
	v_add_f32_e32 v7, v7, v9
	ds_bpermute_b32 v9, v5, v7
	s_waitcnt lgkmcnt(0)
	v_dual_add_f32 v8, v7, v9 :: v_dual_lshlrev_b32 v7, 2, v10
	ds_bpermute_b32 v9, v7, v8
	v_cmpx_eq_u32_e32 0, v6
	s_cbranch_execz .LBB626_39
; %bb.38:
	v_lshrrev_b32_e32 v6, 3, v0
	s_waitcnt lgkmcnt(0)
	v_add_f32_e32 v8, v8, v9
	s_delay_alu instid0(VALU_DEP_2)
	v_and_b32_e32 v6, 0x7c, v6
	ds_store_b32 v6, v8
.LBB626_39:
	s_or_b32 exec_lo, exec_lo, s1
	v_mov_b32_e32 v6, 0
	s_waitcnt lgkmcnt(0)
	s_barrier
	buffer_gl0_inv
	s_and_saveexec_b32 s0, vcc_lo
	s_cbranch_execz .LBB626_41
; %bb.40:
	ds_load_b32 v6, v1
.LBB626_41:
	s_or_b32 exec_lo, exec_lo, s0
	s_and_saveexec_b32 s0, vcc_lo
	s_cbranch_execz .LBB626_43
; %bb.42:
	s_waitcnt lgkmcnt(0)
	ds_bpermute_b32 v1, v2, v6
	s_waitcnt lgkmcnt(0)
	v_add_f32_e32 v1, v6, v1
	ds_bpermute_b32 v2, v3, v1
	s_waitcnt lgkmcnt(0)
	v_add_f32_e32 v1, v1, v2
	;; [unrolled: 3-line block ×5, first 2 shown]
.LBB626_43:
	s_or_b32 exec_lo, exec_lo, s0
	s_delay_alu instid0(SALU_CYCLE_1)
	s_mov_b32 s0, exec_lo
                                        ; implicit-def: $vgpr1
                                        ; implicit-def: $sgpr6_sgpr7
	v_cmpx_eq_u32_e32 0, v0
	s_cbranch_execz .LBB626_62
; %bb.44:
	v_cmp_eq_f32_e64 s1, s12, 0
	s_waitcnt lgkmcnt(0)
	v_mul_f32_e32 v0, s13, v6
	s_delay_alu instid0(VALU_DEP_2)
	s_and_b32 vcc_lo, exec_lo, s1
	s_cbranch_vccz .LBB626_50
; %bb.45:
	s_delay_alu instid0(VALU_DEP_1) | instskip(NEXT) | instid1(VALU_DEP_1)
	v_and_b32_e32 v1, 0x7f800000, v0
	v_cmp_ne_u32_e32 vcc_lo, 0x7f800000, v1
                                        ; implicit-def: $vgpr1
	s_and_saveexec_b32 s1, vcc_lo
	s_delay_alu instid0(SALU_CYCLE_1)
	s_xor_b32 s1, exec_lo, s1
; %bb.46:
	v_bfe_u32 v1, v0, 16, 1
	s_delay_alu instid0(VALU_DEP_1)
	v_add3_u32 v1, v0, v1, 0x7fff
; %bb.47:
	s_and_not1_saveexec_b32 s1, s1
; %bb.48:
	v_and_b32_e32 v1, 0xffff, v0
	v_or_b32_e32 v2, 0x10000, v0
	s_delay_alu instid0(VALU_DEP_2) | instskip(NEXT) | instid1(VALU_DEP_2)
	v_cmp_eq_u32_e32 vcc_lo, 0, v1
	v_cndmask_b32_e32 v1, v2, v0, vcc_lo
; %bb.49:
	s_or_b32 exec_lo, exec_lo, s1
	s_mul_i32 s6, s14, s16
	s_cbranch_execz .LBB626_51
	s_branch .LBB626_61
.LBB626_50:
                                        ; implicit-def: $vgpr1
	s_mul_i32 s6, s14, s16
.LBB626_51:
	s_delay_alu instid0(SALU_CYCLE_1) | instskip(SKIP_2) | instid1(SALU_CYCLE_1)
	s_ashr_i32 s7, s6, 31
	v_mov_b32_e32 v1, 0
	s_lshl_b64 s[2:3], s[6:7], 1
	s_add_u32 s2, s10, s2
	s_addc_u32 s3, s11, s3
	global_load_u16 v1, v1, s[2:3]
	s_waitcnt vmcnt(0)
	v_lshlrev_b32_e32 v1, 16, v1
	s_delay_alu instid0(VALU_DEP_1) | instskip(NEXT) | instid1(VALU_DEP_1)
	v_mul_f32_e32 v1, s12, v1
	v_and_b32_e32 v2, 0x7f800000, v1
	v_readfirstlane_b32 s1, v1
	s_delay_alu instid0(VALU_DEP_2)
	v_cmp_eq_u32_e32 vcc_lo, 0x7f800000, v2
	s_cbranch_vccnz .LBB626_53
; %bb.52:
	s_delay_alu instid0(VALU_DEP_2) | instskip(SKIP_2) | instid1(SALU_CYCLE_1)
	s_bfe_u32 s2, s1, 0x10010
	s_mov_b32 s3, 0
	s_add_i32 s2, s1, s2
	s_addk_i32 s2, 0x7fff
	s_branch .LBB626_54
.LBB626_53:
	s_mov_b32 s3, -1
                                        ; implicit-def: $sgpr2
.LBB626_54:
	s_delay_alu instid0(SALU_CYCLE_1)
	s_and_not1_b32 vcc_lo, exec_lo, s3
	s_cbranch_vccnz .LBB626_56
; %bb.55:
	s_and_b32 s2, s1, 0xffff
	s_or_b32 s3, s1, 0x10000
	s_cmp_eq_u32 s2, 0
	s_cselect_b32 s2, s1, s3
.LBB626_56:
	s_delay_alu instid0(SALU_CYCLE_1) | instskip(NEXT) | instid1(SALU_CYCLE_1)
	s_and_b32 s1, s2, 0xffff0000
	v_add_f32_e32 v0, s1, v0
	s_delay_alu instid0(VALU_DEP_1) | instskip(NEXT) | instid1(VALU_DEP_1)
	v_and_b32_e32 v1, 0x7f800000, v0
	v_cmp_ne_u32_e32 vcc_lo, 0x7f800000, v1
                                        ; implicit-def: $vgpr1
	s_and_saveexec_b32 s1, vcc_lo
	s_delay_alu instid0(SALU_CYCLE_1)
	s_xor_b32 s1, exec_lo, s1
; %bb.57:
	v_bfe_u32 v1, v0, 16, 1
	s_delay_alu instid0(VALU_DEP_1)
	v_add3_u32 v1, v0, v1, 0x7fff
                                        ; implicit-def: $vgpr0
; %bb.58:
	s_and_not1_saveexec_b32 s1, s1
; %bb.59:
	v_and_b32_e32 v1, 0xffff, v0
	v_or_b32_e32 v2, 0x10000, v0
	s_delay_alu instid0(VALU_DEP_2) | instskip(NEXT) | instid1(VALU_DEP_2)
	v_cmp_eq_u32_e32 vcc_lo, 0, v1
	v_cndmask_b32_e32 v1, v2, v0, vcc_lo
; %bb.60:
	s_or_b32 exec_lo, exec_lo, s1
.LBB626_61:
	s_delay_alu instid0(VALU_DEP_1)
	v_lshrrev_b32_e32 v1, 16, v1
	s_ashr_i32 s7, s6, 31
	s_or_b32 s15, s15, exec_lo
.LBB626_62:
	s_or_b32 exec_lo, exec_lo, s0
	s_and_saveexec_b32 s0, s15
	s_cbranch_execz .LBB626_64
.LBB626_63:
	s_lshl_b64 s[0:1], s[6:7], 1
	v_mov_b32_e32 v0, 0
	s_add_u32 s0, s10, s0
	s_addc_u32 s1, s11, s1
	global_store_b16 v0, v1, s[0:1]
.LBB626_64:
	s_nop 0
	s_sendmsg sendmsg(MSG_DEALLOC_VGPRS)
	s_endpgm
	.section	.rodata,"a",@progbits
	.p2align	6, 0x0
	.amdhsa_kernel _ZL32rocblas_gemvt_warp_reduce_kernelILb1ELi1024EiPK16rocblas_bfloat16fKPS0_EviiT3_lPKT2_lT1_lS8_lS9_lS5_lPT4_lS9_li
		.amdhsa_group_segment_fixed_size 128
		.amdhsa_private_segment_fixed_size 0
		.amdhsa_kernarg_size 140
		.amdhsa_user_sgpr_count 14
		.amdhsa_user_sgpr_dispatch_ptr 0
		.amdhsa_user_sgpr_queue_ptr 0
		.amdhsa_user_sgpr_kernarg_segment_ptr 1
		.amdhsa_user_sgpr_dispatch_id 0
		.amdhsa_user_sgpr_private_segment_size 0
		.amdhsa_wavefront_size32 1
		.amdhsa_uses_dynamic_stack 0
		.amdhsa_enable_private_segment 0
		.amdhsa_system_sgpr_workgroup_id_x 1
		.amdhsa_system_sgpr_workgroup_id_y 0
		.amdhsa_system_sgpr_workgroup_id_z 1
		.amdhsa_system_sgpr_workgroup_info 0
		.amdhsa_system_vgpr_workitem_id 0
		.amdhsa_next_free_vgpr 11
		.amdhsa_next_free_sgpr 24
		.amdhsa_reserve_vcc 1
		.amdhsa_float_round_mode_32 0
		.amdhsa_float_round_mode_16_64 0
		.amdhsa_float_denorm_mode_32 3
		.amdhsa_float_denorm_mode_16_64 3
		.amdhsa_dx10_clamp 1
		.amdhsa_ieee_mode 1
		.amdhsa_fp16_overflow 0
		.amdhsa_workgroup_processor_mode 1
		.amdhsa_memory_ordered 1
		.amdhsa_forward_progress 0
		.amdhsa_shared_vgpr_count 0
		.amdhsa_exception_fp_ieee_invalid_op 0
		.amdhsa_exception_fp_denorm_src 0
		.amdhsa_exception_fp_ieee_div_zero 0
		.amdhsa_exception_fp_ieee_overflow 0
		.amdhsa_exception_fp_ieee_underflow 0
		.amdhsa_exception_fp_ieee_inexact 0
		.amdhsa_exception_int_div_zero 0
	.end_amdhsa_kernel
	.section	.text._ZL32rocblas_gemvt_warp_reduce_kernelILb1ELi1024EiPK16rocblas_bfloat16fKPS0_EviiT3_lPKT2_lT1_lS8_lS9_lS5_lPT4_lS9_li,"axG",@progbits,_ZL32rocblas_gemvt_warp_reduce_kernelILb1ELi1024EiPK16rocblas_bfloat16fKPS0_EviiT3_lPKT2_lT1_lS8_lS9_lS5_lPT4_lS9_li,comdat
.Lfunc_end626:
	.size	_ZL32rocblas_gemvt_warp_reduce_kernelILb1ELi1024EiPK16rocblas_bfloat16fKPS0_EviiT3_lPKT2_lT1_lS8_lS9_lS5_lPT4_lS9_li, .Lfunc_end626-_ZL32rocblas_gemvt_warp_reduce_kernelILb1ELi1024EiPK16rocblas_bfloat16fKPS0_EviiT3_lPKT2_lT1_lS8_lS9_lS5_lPT4_lS9_li
                                        ; -- End function
	.section	.AMDGPU.csdata,"",@progbits
; Kernel info:
; codeLenInByte = 2140
; NumSgprs: 26
; NumVgprs: 11
; ScratchSize: 0
; MemoryBound: 0
; FloatMode: 240
; IeeeMode: 1
; LDSByteSize: 128 bytes/workgroup (compile time only)
; SGPRBlocks: 3
; VGPRBlocks: 1
; NumSGPRsForWavesPerEU: 26
; NumVGPRsForWavesPerEU: 11
; Occupancy: 16
; WaveLimiterHint : 1
; COMPUTE_PGM_RSRC2:SCRATCH_EN: 0
; COMPUTE_PGM_RSRC2:USER_SGPR: 14
; COMPUTE_PGM_RSRC2:TRAP_HANDLER: 0
; COMPUTE_PGM_RSRC2:TGID_X_EN: 1
; COMPUTE_PGM_RSRC2:TGID_Y_EN: 0
; COMPUTE_PGM_RSRC2:TGID_Z_EN: 1
; COMPUTE_PGM_RSRC2:TIDIG_COMP_CNT: 0
	.section	.text._ZL32rocblas_gemvt_warp_reduce_kernelILb1ELi1024ElPK16rocblas_bfloat16fKPS0_EviiT3_lPKT2_lT1_lS8_lS9_lS5_lPT4_lS9_li,"axG",@progbits,_ZL32rocblas_gemvt_warp_reduce_kernelILb1ELi1024ElPK16rocblas_bfloat16fKPS0_EviiT3_lPKT2_lT1_lS8_lS9_lS5_lPT4_lS9_li,comdat
	.globl	_ZL32rocblas_gemvt_warp_reduce_kernelILb1ELi1024ElPK16rocblas_bfloat16fKPS0_EviiT3_lPKT2_lT1_lS8_lS9_lS5_lPT4_lS9_li ; -- Begin function _ZL32rocblas_gemvt_warp_reduce_kernelILb1ELi1024ElPK16rocblas_bfloat16fKPS0_EviiT3_lPKT2_lT1_lS8_lS9_lS5_lPT4_lS9_li
	.p2align	8
	.type	_ZL32rocblas_gemvt_warp_reduce_kernelILb1ELi1024ElPK16rocblas_bfloat16fKPS0_EviiT3_lPKT2_lT1_lS8_lS9_lS5_lPT4_lS9_li,@function
_ZL32rocblas_gemvt_warp_reduce_kernelILb1ELi1024ElPK16rocblas_bfloat16fKPS0_EviiT3_lPKT2_lT1_lS8_lS9_lS5_lPT4_lS9_li: ; @_ZL32rocblas_gemvt_warp_reduce_kernelILb1ELi1024ElPK16rocblas_bfloat16fKPS0_EviiT3_lPKT2_lT1_lS8_lS9_lS5_lPT4_lS9_li
; %bb.0:
	s_clause 0x1
	s_load_b32 s20, s[0:1], 0x8
	s_load_b32 s19, s[0:1], 0x58
	s_waitcnt lgkmcnt(0)
	v_cmp_eq_f32_e64 s12, s20, 0
	v_cmp_eq_f32_e64 s3, s19, 1.0
	s_delay_alu instid0(VALU_DEP_1) | instskip(NEXT) | instid1(SALU_CYCLE_1)
	s_and_b32 s3, s12, s3
	s_and_b32 vcc_lo, exec_lo, s3
	s_cbranch_vccnz .LBB627_65
; %bb.1:
	s_clause 0x1
	s_load_b128 s[4:7], s[0:1], 0x18
	s_load_b64 s[10:11], s[0:1], 0x28
	v_cmp_neq_f32_e64 s13, s20, 0
	s_mov_b32 s2, s15
	s_delay_alu instid0(VALU_DEP_1)
	s_and_b32 vcc_lo, exec_lo, s13
	s_cbranch_vccnz .LBB627_3
; %bb.2:
	s_mov_b32 s3, 0
	s_mov_b64 s[16:17], 0
	s_cbranch_execz .LBB627_4
	s_branch .LBB627_5
.LBB627_3:
	s_mov_b32 s3, -1
                                        ; implicit-def: $sgpr16_sgpr17
.LBB627_4:
	s_mov_b32 s3, 0
	s_delay_alu instid0(SALU_CYCLE_1)
	s_lshl_b64 s[8:9], s[2:3], 3
	s_waitcnt lgkmcnt(0)
	s_add_u32 s4, s4, s8
	s_addc_u32 s5, s5, s9
	s_lshl_b64 s[6:7], s[6:7], 1
	s_load_b64 s[4:5], s[4:5], 0x0
	s_waitcnt lgkmcnt(0)
	s_add_u32 s16, s4, s6
	s_addc_u32 s17, s5, s7
.LBB627_5:
	s_waitcnt lgkmcnt(0)
	s_clause 0x1
	s_load_b128 s[4:7], s[0:1], 0x38
	s_load_b64 s[8:9], s[0:1], 0x48
	s_and_not1_b32 vcc_lo, exec_lo, s13
	s_cbranch_vccnz .LBB627_7
; %bb.6:
	s_lshl_b64 s[22:23], s[2:3], 3
	s_waitcnt lgkmcnt(0)
	s_add_u32 s4, s4, s22
	s_addc_u32 s5, s5, s23
	s_lshl_b64 s[6:7], s[6:7], 1
	s_load_b64 s[4:5], s[4:5], 0x0
	s_waitcnt lgkmcnt(0)
	s_add_u32 s6, s4, s6
	s_addc_u32 s7, s5, s7
	s_branch .LBB627_8
.LBB627_7:
	s_waitcnt lgkmcnt(0)
	s_mov_b64 s[6:7], 0
.LBB627_8:
	s_clause 0x1
	s_load_b128 s[24:27], s[0:1], 0x68
	s_load_b64 s[4:5], s[0:1], 0x78
	s_lshl_b64 s[2:3], s[2:3], 3
	s_waitcnt lgkmcnt(0)
	s_add_u32 s2, s24, s2
	s_addc_u32 s3, s25, s3
	s_lshl_b64 s[24:25], s[26:27], 1
	s_load_b64 s[22:23], s[2:3], 0x0
	v_cmp_eq_u32_e64 s2, 0, v0
	s_waitcnt lgkmcnt(0)
	s_add_u32 s15, s22, s24
	s_addc_u32 s18, s23, s25
	s_and_not1_b32 vcc_lo, exec_lo, s12
	s_cbranch_vccnz .LBB627_13
; %bb.9:
	s_mov_b32 s3, 0
	s_mov_b32 s21, 0
                                        ; implicit-def: $sgpr23
                                        ; implicit-def: $sgpr12_sgpr13
	s_and_saveexec_b32 s22, s2
	s_cbranch_execz .LBB627_14
; %bb.10:
	v_cmp_eq_f32_e64 s2, s19, 0
	s_mul_i32 s12, s14, s5
	s_mul_hi_u32 s13, s14, s4
	s_ashr_i32 s21, s14, 31
	s_add_i32 s12, s13, s12
	s_mul_i32 s21, s21, s4
	s_mov_b32 s23, 0
	s_add_i32 s13, s12, s21
	s_and_b32 vcc_lo, exec_lo, s2
	s_mul_i32 s12, s14, s4
	s_cbranch_vccnz .LBB627_20
; %bb.11:
	s_lshl_b64 s[24:25], s[12:13], 1
	v_mov_b32_e32 v1, 0
	s_add_u32 s24, s15, s24
	s_addc_u32 s25, s18, s25
	global_load_u16 v1, v1, s[24:25]
	s_waitcnt vmcnt(0)
	v_lshlrev_b32_e32 v1, 16, v1
	s_delay_alu instid0(VALU_DEP_1) | instskip(NEXT) | instid1(VALU_DEP_1)
	v_mul_f32_e32 v1, s19, v1
	v_and_b32_e32 v2, 0x7f800000, v1
	v_readfirstlane_b32 s2, v1
	s_delay_alu instid0(VALU_DEP_2)
	v_cmp_eq_u32_e32 vcc_lo, 0x7f800000, v2
	s_cbranch_vccnz .LBB627_16
; %bb.12:
	s_delay_alu instid0(VALU_DEP_2) | instskip(NEXT) | instid1(SALU_CYCLE_1)
	s_bfe_u32 s21, s2, 0x10010
	s_add_i32 s21, s2, s21
	s_delay_alu instid0(SALU_CYCLE_1)
	s_addk_i32 s21, 0x7fff
	s_branch .LBB627_17
.LBB627_13:
	s_mov_b32 s21, 0
                                        ; implicit-def: $sgpr23
                                        ; implicit-def: $sgpr12_sgpr13
	s_cbranch_execz .LBB627_15
	s_branch .LBB627_21
.LBB627_14:
	s_or_b32 exec_lo, exec_lo, s22
	s_delay_alu instid0(SALU_CYCLE_1)
	s_and_b32 vcc_lo, exec_lo, s3
	s_cbranch_vccnz .LBB627_21
.LBB627_15:
	v_mov_b32_e32 v1, s23
	s_and_saveexec_b32 s0, s21
	s_cbranch_execnz .LBB627_64
	s_branch .LBB627_65
.LBB627_16:
	s_mov_b32 s23, -1
                                        ; implicit-def: $sgpr21
.LBB627_17:
	s_delay_alu instid0(SALU_CYCLE_1)
	s_and_not1_b32 vcc_lo, exec_lo, s23
	s_cbranch_vccnz .LBB627_19
; %bb.18:
	s_and_b32 s21, s2, 0xffff
	s_or_b32 s23, s2, 0x10000
	s_cmp_eq_u32 s21, 0
	s_cselect_b32 s21, s2, s23
.LBB627_19:
	s_delay_alu instid0(SALU_CYCLE_1)
	s_lshr_b32 s23, s21, 16
.LBB627_20:
	s_mov_b32 s21, exec_lo
	s_or_b32 exec_lo, exec_lo, s22
	s_delay_alu instid0(SALU_CYCLE_1)
	s_and_b32 vcc_lo, exec_lo, s3
	s_cbranch_vccz .LBB627_15
.LBB627_21:
	s_load_b32 s3, s[0:1], 0x0
	s_mul_i32 s0, s14, s11
	s_mul_hi_u32 s2, s14, s10
	s_ashr_i32 s1, s14, 31
	s_add_i32 s0, s2, s0
	s_mul_i32 s2, s1, s10
	s_mul_i32 s10, s14, s10
	s_add_i32 s11, s0, s2
	v_mov_b32_e32 v7, 0
	s_lshl_b64 s[10:11], s[10:11], 1
	s_mov_b32 s13, 0
	s_add_u32 s0, s10, s16
	s_addc_u32 s10, s11, s17
	s_mov_b32 s12, exec_lo
	s_waitcnt lgkmcnt(0)
	v_cmp_gt_i32_e32 vcc_lo, s3, v0
	s_ashr_i32 s2, s3, 31
	s_delay_alu instid0(SALU_CYCLE_1) | instskip(NEXT) | instid1(SALU_CYCLE_1)
	s_lshr_b32 s2, s2, 22
	s_add_i32 s2, s3, s2
	v_cndmask_b32_e32 v1, 0, v0, vcc_lo
	s_and_b32 s2, s2, 0xfffffc00
	s_delay_alu instid0(VALU_DEP_1) | instskip(NEXT) | instid1(VALU_DEP_1)
	v_lshlrev_b32_e32 v1, 1, v1
	v_add_co_u32 v1, s0, s0, v1
	s_delay_alu instid0(VALU_DEP_1)
	v_add_co_ci_u32_e64 v2, null, s10, 0, s0
	v_cmpx_gt_i32_e64 s2, v0
	s_cbranch_execz .LBB627_29
; %bb.22:
	v_mad_u64_u32 v[3:4], null, s8, v0, 0
	v_mov_b32_e32 v8, v0
	s_lshl_b64 s[10:11], s[8:9], 11
	v_mov_b32_e32 v7, 0
	s_delay_alu instid0(VALU_DEP_3) | instskip(NEXT) | instid1(VALU_DEP_1)
	v_mad_u64_u32 v[5:6], null, s9, v0, v[4:5]
	v_mov_b32_e32 v4, v5
	s_delay_alu instid0(VALU_DEP_1) | instskip(SKIP_1) | instid1(VALU_DEP_2)
	v_lshlrev_b64 v[5:6], 1, v[3:4]
	v_dual_mov_b32 v4, v2 :: v_dual_mov_b32 v3, v1
	v_add_co_u32 v5, vcc_lo, s6, v5
	s_delay_alu instid0(VALU_DEP_3)
	v_add_co_ci_u32_e32 v6, vcc_lo, s7, v6, vcc_lo
	s_set_inst_prefetch_distance 0x1
	s_branch .LBB627_24
	.p2align	6
.LBB627_23:                             ;   in Loop: Header=BB627_24 Depth=1
	s_or_b32 exec_lo, exec_lo, s0
	s_delay_alu instid0(VALU_DEP_1) | instskip(SKIP_3) | instid1(VALU_DEP_4)
	v_and_b32_e32 v9, 0xffff0000, v10
	v_add_nc_u32_e32 v8, 0x400, v8
	v_add_co_u32 v3, vcc_lo, 0x800, v3
	v_add_co_ci_u32_e32 v4, vcc_lo, 0, v4, vcc_lo
	v_add_f32_e32 v7, v7, v9
	s_delay_alu instid0(VALU_DEP_4) | instskip(SKIP_1) | instid1(VALU_DEP_1)
	v_cmp_le_i32_e32 vcc_lo, s2, v8
	v_add_co_u32 v5, s0, v5, s10
	v_add_co_ci_u32_e64 v6, s0, s11, v6, s0
	s_or_b32 s13, vcc_lo, s13
	s_delay_alu instid0(SALU_CYCLE_1)
	s_and_not1_b32 exec_lo, exec_lo, s13
	s_cbranch_execz .LBB627_28
.LBB627_24:                             ; =>This Inner Loop Header: Depth=1
	flat_load_u16 v9, v[5:6]
	flat_load_u16 v10, v[3:4]
	s_waitcnt vmcnt(1) lgkmcnt(1)
	v_lshlrev_b32_e32 v9, 16, v9
	s_waitcnt vmcnt(0) lgkmcnt(0)
	v_lshlrev_b32_e32 v10, 16, v10
	s_delay_alu instid0(VALU_DEP_1) | instskip(NEXT) | instid1(VALU_DEP_1)
	v_mul_f32_e32 v9, v10, v9
	v_and_b32_e32 v10, 0x7f800000, v9
	s_delay_alu instid0(VALU_DEP_1) | instskip(SKIP_1) | instid1(SALU_CYCLE_1)
	v_cmp_ne_u32_e32 vcc_lo, 0x7f800000, v10
                                        ; implicit-def: $vgpr10
	s_and_saveexec_b32 s0, vcc_lo
	s_xor_b32 s0, exec_lo, s0
; %bb.25:                               ;   in Loop: Header=BB627_24 Depth=1
	v_bfe_u32 v10, v9, 16, 1
	s_delay_alu instid0(VALU_DEP_1)
	v_add3_u32 v10, v9, v10, 0x7fff
                                        ; implicit-def: $vgpr9
; %bb.26:                               ;   in Loop: Header=BB627_24 Depth=1
	s_and_not1_saveexec_b32 s0, s0
	s_cbranch_execz .LBB627_23
; %bb.27:                               ;   in Loop: Header=BB627_24 Depth=1
	v_and_b32_e32 v10, 0xffff, v9
	v_or_b32_e32 v11, 0x10000, v9
	s_delay_alu instid0(VALU_DEP_2) | instskip(NEXT) | instid1(VALU_DEP_2)
	v_cmp_eq_u32_e32 vcc_lo, 0, v10
	v_cndmask_b32_e32 v10, v11, v9, vcc_lo
	s_branch .LBB627_23
.LBB627_28:
	s_set_inst_prefetch_distance 0x2
	s_or_b32 exec_lo, exec_lo, s13
.LBB627_29:
	s_delay_alu instid0(SALU_CYCLE_1) | instskip(SKIP_2) | instid1(VALU_DEP_1)
	s_or_b32 exec_lo, exec_lo, s12
	v_or_b32_e32 v3, s2, v0
	s_mov_b32 s0, exec_lo
	v_cmpx_gt_i32_e64 s3, v3
	s_cbranch_execz .LBB627_35
; %bb.30:
	v_ashrrev_i32_e32 v6, 31, v3
	v_mul_lo_u32 v8, v3, s9
	v_mad_u64_u32 v[4:5], null, v3, s8, 0
	s_ashr_i32 s3, s2, 31
	s_delay_alu instid0(VALU_DEP_3) | instskip(SKIP_1) | instid1(VALU_DEP_1)
	v_mul_lo_u32 v3, v6, s8
	s_lshl_b64 s[2:3], s[2:3], 1
	v_add3_u32 v5, v5, v8, v3
	s_delay_alu instid0(VALU_DEP_1) | instskip(NEXT) | instid1(VALU_DEP_1)
	v_lshlrev_b64 v[3:4], 1, v[4:5]
	v_add_co_u32 v3, vcc_lo, s6, v3
	s_delay_alu instid0(VALU_DEP_2)
	v_add_co_ci_u32_e32 v4, vcc_lo, s7, v4, vcc_lo
	v_add_co_u32 v1, vcc_lo, v1, s2
	v_add_co_ci_u32_e32 v2, vcc_lo, s3, v2, vcc_lo
	flat_load_u16 v3, v[3:4]
	flat_load_u16 v1, v[1:2]
	s_waitcnt vmcnt(1) lgkmcnt(1)
	v_lshlrev_b32_e32 v2, 16, v3
	s_waitcnt vmcnt(0) lgkmcnt(0)
	v_lshlrev_b32_e32 v1, 16, v1
	s_delay_alu instid0(VALU_DEP_1) | instskip(NEXT) | instid1(VALU_DEP_1)
	v_mul_f32_e32 v1, v1, v2
	v_and_b32_e32 v2, 0x7f800000, v1
	s_delay_alu instid0(VALU_DEP_1) | instskip(SKIP_1) | instid1(SALU_CYCLE_1)
	v_cmp_ne_u32_e32 vcc_lo, 0x7f800000, v2
                                        ; implicit-def: $vgpr2
	s_and_saveexec_b32 s2, vcc_lo
	s_xor_b32 s2, exec_lo, s2
; %bb.31:
	v_bfe_u32 v2, v1, 16, 1
	s_delay_alu instid0(VALU_DEP_1)
	v_add3_u32 v2, v1, v2, 0x7fff
                                        ; implicit-def: $vgpr1
; %bb.32:
	s_and_not1_saveexec_b32 s2, s2
; %bb.33:
	v_and_b32_e32 v2, 0xffff, v1
	v_or_b32_e32 v3, 0x10000, v1
	s_delay_alu instid0(VALU_DEP_2) | instskip(NEXT) | instid1(VALU_DEP_2)
	v_cmp_eq_u32_e32 vcc_lo, 0, v2
	v_cndmask_b32_e32 v2, v3, v1, vcc_lo
; %bb.34:
	s_or_b32 exec_lo, exec_lo, s2
	s_delay_alu instid0(VALU_DEP_1) | instskip(NEXT) | instid1(VALU_DEP_1)
	v_and_b32_e32 v1, 0xffff0000, v2
	v_add_f32_e32 v7, v7, v1
.LBB627_35:
	s_or_b32 exec_lo, exec_lo, s0
	v_and_b32_e32 v6, 31, v0
	v_cmp_gt_u32_e32 vcc_lo, 32, v0
	s_delay_alu instid0(VALU_DEP_2)
	v_lshlrev_b32_e32 v1, 2, v6
	s_and_saveexec_b32 s0, vcc_lo
	s_cbranch_execz .LBB627_37
; %bb.36:
	v_mov_b32_e32 v2, 0
	ds_store_b32 v1, v2
.LBB627_37:
	s_or_b32 exec_lo, exec_lo, s0
	v_mbcnt_lo_u32_b32 v8, -1, 0
	s_mov_b32 s2, exec_lo
	s_waitcnt lgkmcnt(0)
	s_barrier
	buffer_gl0_inv
	v_cmp_gt_u32_e64 s0, 16, v8
	s_delay_alu instid0(VALU_DEP_1) | instskip(SKIP_1) | instid1(VALU_DEP_2)
	v_cndmask_b32_e64 v2, 0, 1, s0
	v_cmp_gt_u32_e64 s0, 24, v8
	v_lshlrev_b32_e32 v2, 4, v2
	s_delay_alu instid0(VALU_DEP_2) | instskip(SKIP_1) | instid1(VALU_DEP_3)
	v_cndmask_b32_e64 v3, 0, 1, s0
	v_cmp_gt_u32_e64 s0, 28, v8
	v_add_lshl_u32 v2, v2, v8, 2
	s_delay_alu instid0(VALU_DEP_3)
	v_lshlrev_b32_e32 v3, 3, v3
	ds_bpermute_b32 v4, v2, v7
	v_add_lshl_u32 v3, v3, v8, 2
	s_waitcnt lgkmcnt(0)
	v_add_f32_e32 v5, v7, v4
	v_cndmask_b32_e64 v4, 0, 1, s0
	v_cmp_gt_u32_e64 s0, 30, v8
	ds_bpermute_b32 v7, v3, v5
	s_waitcnt lgkmcnt(0)
	v_dual_add_f32 v7, v5, v7 :: v_dual_lshlrev_b32 v4, 2, v4
	s_delay_alu instid0(VALU_DEP_1)
	v_add_lshl_u32 v4, v4, v8, 2
	v_cndmask_b32_e64 v5, 0, 1, s0
	v_cmp_ne_u32_e64 s0, 31, v8
	ds_bpermute_b32 v9, v4, v7
	v_lshlrev_b32_e32 v5, 1, v5
	v_add_co_ci_u32_e64 v10, s0, 0, v8, s0
	s_delay_alu instid0(VALU_DEP_2)
	v_add_lshl_u32 v5, v5, v8, 2
	s_waitcnt lgkmcnt(0)
	v_add_f32_e32 v7, v7, v9
	ds_bpermute_b32 v9, v5, v7
	s_waitcnt lgkmcnt(0)
	v_dual_add_f32 v8, v7, v9 :: v_dual_lshlrev_b32 v7, 2, v10
	ds_bpermute_b32 v9, v7, v8
	v_cmpx_eq_u32_e32 0, v6
	s_cbranch_execz .LBB627_39
; %bb.38:
	v_lshrrev_b32_e32 v6, 3, v0
	s_waitcnt lgkmcnt(0)
	v_add_f32_e32 v8, v8, v9
	s_delay_alu instid0(VALU_DEP_2)
	v_and_b32_e32 v6, 0x7c, v6
	ds_store_b32 v6, v8
.LBB627_39:
	s_or_b32 exec_lo, exec_lo, s2
	v_mov_b32_e32 v6, 0
	s_waitcnt lgkmcnt(0)
	s_barrier
	buffer_gl0_inv
	s_and_saveexec_b32 s0, vcc_lo
	s_cbranch_execz .LBB627_41
; %bb.40:
	ds_load_b32 v6, v1
.LBB627_41:
	s_or_b32 exec_lo, exec_lo, s0
	s_and_saveexec_b32 s0, vcc_lo
	s_cbranch_execz .LBB627_43
; %bb.42:
	s_waitcnt lgkmcnt(0)
	ds_bpermute_b32 v1, v2, v6
	s_waitcnt lgkmcnt(0)
	v_add_f32_e32 v1, v6, v1
	ds_bpermute_b32 v2, v3, v1
	s_waitcnt lgkmcnt(0)
	v_add_f32_e32 v1, v1, v2
	;; [unrolled: 3-line block ×5, first 2 shown]
.LBB627_43:
	s_or_b32 exec_lo, exec_lo, s0
	s_delay_alu instid0(SALU_CYCLE_1)
	s_mov_b32 s0, exec_lo
                                        ; implicit-def: $vgpr1
                                        ; implicit-def: $sgpr12_sgpr13
	v_cmpx_eq_u32_e32 0, v0
	s_cbranch_execz .LBB627_63
; %bb.44:
	v_cmp_eq_f32_e64 s2, s19, 0
	s_waitcnt lgkmcnt(0)
	v_mul_f32_e32 v0, s20, v6
	s_delay_alu instid0(VALU_DEP_2)
	s_and_b32 vcc_lo, exec_lo, s2
	s_cbranch_vccz .LBB627_50
; %bb.45:
	s_delay_alu instid0(VALU_DEP_1) | instskip(NEXT) | instid1(VALU_DEP_1)
	v_and_b32_e32 v1, 0x7f800000, v0
	v_cmp_ne_u32_e32 vcc_lo, 0x7f800000, v1
                                        ; implicit-def: $vgpr1
	s_and_saveexec_b32 s2, vcc_lo
	s_delay_alu instid0(SALU_CYCLE_1)
	s_xor_b32 s2, exec_lo, s2
; %bb.46:
	v_bfe_u32 v1, v0, 16, 1
	s_delay_alu instid0(VALU_DEP_1)
	v_add3_u32 v1, v0, v1, 0x7fff
; %bb.47:
	s_and_not1_saveexec_b32 s2, s2
; %bb.48:
	v_and_b32_e32 v1, 0xffff, v0
	v_or_b32_e32 v2, 0x10000, v0
	s_delay_alu instid0(VALU_DEP_2) | instskip(NEXT) | instid1(VALU_DEP_2)
	v_cmp_eq_u32_e32 vcc_lo, 0, v1
	v_cndmask_b32_e32 v1, v2, v0, vcc_lo
; %bb.49:
	s_or_b32 exec_lo, exec_lo, s2
	s_mov_b32 s6, 0
	s_branch .LBB627_51
.LBB627_50:
	s_mov_b32 s6, -1
                                        ; implicit-def: $vgpr1
.LBB627_51:
	s_mul_i32 s2, s14, s5
	s_mul_hi_u32 s3, s14, s4
	s_and_not1_b32 vcc_lo, exec_lo, s6
	s_mul_i32 s1, s1, s4
	s_mul_i32 s12, s14, s4
	s_cbranch_vccnz .LBB627_62
; %bb.52:
	s_add_i32 s4, s3, s2
	v_mov_b32_e32 v1, 0
	s_add_i32 s13, s4, s1
	s_delay_alu instid0(SALU_CYCLE_1) | instskip(NEXT) | instid1(SALU_CYCLE_1)
	s_lshl_b64 s[4:5], s[12:13], 1
	s_add_u32 s4, s15, s4
	s_addc_u32 s5, s18, s5
	global_load_u16 v1, v1, s[4:5]
	s_waitcnt vmcnt(0)
	v_lshlrev_b32_e32 v1, 16, v1
	s_delay_alu instid0(VALU_DEP_1) | instskip(NEXT) | instid1(VALU_DEP_1)
	v_mul_f32_e32 v1, s19, v1
	v_and_b32_e32 v2, 0x7f800000, v1
	v_readfirstlane_b32 s4, v1
	s_delay_alu instid0(VALU_DEP_2)
	v_cmp_eq_u32_e32 vcc_lo, 0x7f800000, v2
	s_cbranch_vccnz .LBB627_54
; %bb.53:
	s_delay_alu instid0(VALU_DEP_2) | instskip(SKIP_2) | instid1(SALU_CYCLE_1)
	s_bfe_u32 s5, s4, 0x10010
	s_mov_b32 s6, 0
	s_add_i32 s5, s4, s5
	s_addk_i32 s5, 0x7fff
	s_branch .LBB627_55
.LBB627_54:
	s_mov_b32 s6, -1
                                        ; implicit-def: $sgpr5
.LBB627_55:
	s_delay_alu instid0(SALU_CYCLE_1)
	s_and_not1_b32 vcc_lo, exec_lo, s6
	s_cbranch_vccnz .LBB627_57
; %bb.56:
	s_and_b32 s5, s4, 0xffff
	s_or_b32 s6, s4, 0x10000
	s_cmp_eq_u32 s5, 0
	s_cselect_b32 s5, s4, s6
.LBB627_57:
	s_delay_alu instid0(SALU_CYCLE_1) | instskip(NEXT) | instid1(SALU_CYCLE_1)
	s_and_b32 s4, s5, 0xffff0000
	v_add_f32_e32 v0, s4, v0
	s_delay_alu instid0(VALU_DEP_1) | instskip(NEXT) | instid1(VALU_DEP_1)
	v_and_b32_e32 v1, 0x7f800000, v0
	v_cmp_ne_u32_e32 vcc_lo, 0x7f800000, v1
                                        ; implicit-def: $vgpr1
	s_and_saveexec_b32 s4, vcc_lo
	s_delay_alu instid0(SALU_CYCLE_1)
	s_xor_b32 s4, exec_lo, s4
; %bb.58:
	v_bfe_u32 v1, v0, 16, 1
	s_delay_alu instid0(VALU_DEP_1)
	v_add3_u32 v1, v0, v1, 0x7fff
                                        ; implicit-def: $vgpr0
; %bb.59:
	s_and_not1_saveexec_b32 s4, s4
; %bb.60:
	v_and_b32_e32 v1, 0xffff, v0
	v_or_b32_e32 v2, 0x10000, v0
	s_delay_alu instid0(VALU_DEP_2) | instskip(NEXT) | instid1(VALU_DEP_2)
	v_cmp_eq_u32_e32 vcc_lo, 0, v1
	v_cndmask_b32_e32 v1, v2, v0, vcc_lo
; %bb.61:
	s_or_b32 exec_lo, exec_lo, s4
.LBB627_62:
	s_delay_alu instid0(VALU_DEP_1)
	v_lshrrev_b32_e32 v1, 16, v1
	s_add_i32 s2, s3, s2
	s_or_b32 s21, s21, exec_lo
	s_add_i32 s13, s2, s1
.LBB627_63:
	s_or_b32 exec_lo, exec_lo, s0
	s_and_saveexec_b32 s0, s21
	s_cbranch_execz .LBB627_65
.LBB627_64:
	s_lshl_b64 s[0:1], s[12:13], 1
	v_mov_b32_e32 v0, 0
	s_add_u32 s0, s15, s0
	s_addc_u32 s1, s18, s1
	global_store_b16 v0, v1, s[0:1]
.LBB627_65:
	s_nop 0
	s_sendmsg sendmsg(MSG_DEALLOC_VGPRS)
	s_endpgm
	.section	.rodata,"a",@progbits
	.p2align	6, 0x0
	.amdhsa_kernel _ZL32rocblas_gemvt_warp_reduce_kernelILb1ELi1024ElPK16rocblas_bfloat16fKPS0_EviiT3_lPKT2_lT1_lS8_lS9_lS5_lPT4_lS9_li
		.amdhsa_group_segment_fixed_size 128
		.amdhsa_private_segment_fixed_size 0
		.amdhsa_kernarg_size 140
		.amdhsa_user_sgpr_count 14
		.amdhsa_user_sgpr_dispatch_ptr 0
		.amdhsa_user_sgpr_queue_ptr 0
		.amdhsa_user_sgpr_kernarg_segment_ptr 1
		.amdhsa_user_sgpr_dispatch_id 0
		.amdhsa_user_sgpr_private_segment_size 0
		.amdhsa_wavefront_size32 1
		.amdhsa_uses_dynamic_stack 0
		.amdhsa_enable_private_segment 0
		.amdhsa_system_sgpr_workgroup_id_x 1
		.amdhsa_system_sgpr_workgroup_id_y 0
		.amdhsa_system_sgpr_workgroup_id_z 1
		.amdhsa_system_sgpr_workgroup_info 0
		.amdhsa_system_vgpr_workitem_id 0
		.amdhsa_next_free_vgpr 12
		.amdhsa_next_free_sgpr 28
		.amdhsa_reserve_vcc 1
		.amdhsa_float_round_mode_32 0
		.amdhsa_float_round_mode_16_64 0
		.amdhsa_float_denorm_mode_32 3
		.amdhsa_float_denorm_mode_16_64 3
		.amdhsa_dx10_clamp 1
		.amdhsa_ieee_mode 1
		.amdhsa_fp16_overflow 0
		.amdhsa_workgroup_processor_mode 1
		.amdhsa_memory_ordered 1
		.amdhsa_forward_progress 0
		.amdhsa_shared_vgpr_count 0
		.amdhsa_exception_fp_ieee_invalid_op 0
		.amdhsa_exception_fp_denorm_src 0
		.amdhsa_exception_fp_ieee_div_zero 0
		.amdhsa_exception_fp_ieee_overflow 0
		.amdhsa_exception_fp_ieee_underflow 0
		.amdhsa_exception_fp_ieee_inexact 0
		.amdhsa_exception_int_div_zero 0
	.end_amdhsa_kernel
	.section	.text._ZL32rocblas_gemvt_warp_reduce_kernelILb1ELi1024ElPK16rocblas_bfloat16fKPS0_EviiT3_lPKT2_lT1_lS8_lS9_lS5_lPT4_lS9_li,"axG",@progbits,_ZL32rocblas_gemvt_warp_reduce_kernelILb1ELi1024ElPK16rocblas_bfloat16fKPS0_EviiT3_lPKT2_lT1_lS8_lS9_lS5_lPT4_lS9_li,comdat
.Lfunc_end627:
	.size	_ZL32rocblas_gemvt_warp_reduce_kernelILb1ELi1024ElPK16rocblas_bfloat16fKPS0_EviiT3_lPKT2_lT1_lS8_lS9_lS5_lPT4_lS9_li, .Lfunc_end627-_ZL32rocblas_gemvt_warp_reduce_kernelILb1ELi1024ElPK16rocblas_bfloat16fKPS0_EviiT3_lPKT2_lT1_lS8_lS9_lS5_lPT4_lS9_li
                                        ; -- End function
	.section	.AMDGPU.csdata,"",@progbits
; Kernel info:
; codeLenInByte = 2272
; NumSgprs: 30
; NumVgprs: 12
; ScratchSize: 0
; MemoryBound: 0
; FloatMode: 240
; IeeeMode: 1
; LDSByteSize: 128 bytes/workgroup (compile time only)
; SGPRBlocks: 3
; VGPRBlocks: 1
; NumSGPRsForWavesPerEU: 30
; NumVGPRsForWavesPerEU: 12
; Occupancy: 16
; WaveLimiterHint : 1
; COMPUTE_PGM_RSRC2:SCRATCH_EN: 0
; COMPUTE_PGM_RSRC2:USER_SGPR: 14
; COMPUTE_PGM_RSRC2:TRAP_HANDLER: 0
; COMPUTE_PGM_RSRC2:TGID_X_EN: 1
; COMPUTE_PGM_RSRC2:TGID_Y_EN: 0
; COMPUTE_PGM_RSRC2:TGID_Z_EN: 1
; COMPUTE_PGM_RSRC2:TIDIG_COMP_CNT: 0
	.section	.text._ZL34rocblas_gemvn_sm_mn_batched_kernelILi32ELi24E16rocblas_bfloat16PKffEviiT2_lPKT1_lilS6_lilS3_lPT3_lili,"axG",@progbits,_ZL34rocblas_gemvn_sm_mn_batched_kernelILi32ELi24E16rocblas_bfloat16PKffEviiT2_lPKT1_lilS6_lilS3_lPT3_lili,comdat
	.globl	_ZL34rocblas_gemvn_sm_mn_batched_kernelILi32ELi24E16rocblas_bfloat16PKffEviiT2_lPKT1_lilS6_lilS3_lPT3_lili ; -- Begin function _ZL34rocblas_gemvn_sm_mn_batched_kernelILi32ELi24E16rocblas_bfloat16PKffEviiT2_lPKT1_lilS6_lilS3_lPT3_lili
	.p2align	8
	.type	_ZL34rocblas_gemvn_sm_mn_batched_kernelILi32ELi24E16rocblas_bfloat16PKffEviiT2_lPKT1_lilS6_lilS3_lPT3_lili,@function
_ZL34rocblas_gemvn_sm_mn_batched_kernelILi32ELi24E16rocblas_bfloat16PKffEviiT2_lPKT1_lilS6_lilS3_lPT3_lili: ; @_ZL34rocblas_gemvn_sm_mn_batched_kernelILi32ELi24E16rocblas_bfloat16PKffEviiT2_lPKT1_lilS6_lilS3_lPT3_lili
; %bb.0:
	s_endpgm
	.section	.rodata,"a",@progbits
	.p2align	6, 0x0
	.amdhsa_kernel _ZL34rocblas_gemvn_sm_mn_batched_kernelILi32ELi24E16rocblas_bfloat16PKffEviiT2_lPKT1_lilS6_lilS3_lPT3_lili
		.amdhsa_group_segment_fixed_size 0
		.amdhsa_private_segment_fixed_size 0
		.amdhsa_kernarg_size 140
		.amdhsa_user_sgpr_count 15
		.amdhsa_user_sgpr_dispatch_ptr 0
		.amdhsa_user_sgpr_queue_ptr 0
		.amdhsa_user_sgpr_kernarg_segment_ptr 1
		.amdhsa_user_sgpr_dispatch_id 0
		.amdhsa_user_sgpr_private_segment_size 0
		.amdhsa_wavefront_size32 1
		.amdhsa_uses_dynamic_stack 0
		.amdhsa_enable_private_segment 0
		.amdhsa_system_sgpr_workgroup_id_x 1
		.amdhsa_system_sgpr_workgroup_id_y 0
		.amdhsa_system_sgpr_workgroup_id_z 0
		.amdhsa_system_sgpr_workgroup_info 0
		.amdhsa_system_vgpr_workitem_id 0
		.amdhsa_next_free_vgpr 1
		.amdhsa_next_free_sgpr 1
		.amdhsa_reserve_vcc 0
		.amdhsa_float_round_mode_32 0
		.amdhsa_float_round_mode_16_64 0
		.amdhsa_float_denorm_mode_32 3
		.amdhsa_float_denorm_mode_16_64 3
		.amdhsa_dx10_clamp 1
		.amdhsa_ieee_mode 1
		.amdhsa_fp16_overflow 0
		.amdhsa_workgroup_processor_mode 1
		.amdhsa_memory_ordered 1
		.amdhsa_forward_progress 0
		.amdhsa_shared_vgpr_count 0
		.amdhsa_exception_fp_ieee_invalid_op 0
		.amdhsa_exception_fp_denorm_src 0
		.amdhsa_exception_fp_ieee_div_zero 0
		.amdhsa_exception_fp_ieee_overflow 0
		.amdhsa_exception_fp_ieee_underflow 0
		.amdhsa_exception_fp_ieee_inexact 0
		.amdhsa_exception_int_div_zero 0
	.end_amdhsa_kernel
	.section	.text._ZL34rocblas_gemvn_sm_mn_batched_kernelILi32ELi24E16rocblas_bfloat16PKffEviiT2_lPKT1_lilS6_lilS3_lPT3_lili,"axG",@progbits,_ZL34rocblas_gemvn_sm_mn_batched_kernelILi32ELi24E16rocblas_bfloat16PKffEviiT2_lPKT1_lilS6_lilS3_lPT3_lili,comdat
.Lfunc_end628:
	.size	_ZL34rocblas_gemvn_sm_mn_batched_kernelILi32ELi24E16rocblas_bfloat16PKffEviiT2_lPKT1_lilS6_lilS3_lPT3_lili, .Lfunc_end628-_ZL34rocblas_gemvn_sm_mn_batched_kernelILi32ELi24E16rocblas_bfloat16PKffEviiT2_lPKT1_lilS6_lilS3_lPT3_lili
                                        ; -- End function
	.section	.AMDGPU.csdata,"",@progbits
; Kernel info:
; codeLenInByte = 4
; NumSgprs: 0
; NumVgprs: 0
; ScratchSize: 0
; MemoryBound: 0
; FloatMode: 240
; IeeeMode: 1
; LDSByteSize: 0 bytes/workgroup (compile time only)
; SGPRBlocks: 0
; VGPRBlocks: 0
; NumSGPRsForWavesPerEU: 1
; NumVGPRsForWavesPerEU: 1
; Occupancy: 12
; WaveLimiterHint : 0
; COMPUTE_PGM_RSRC2:SCRATCH_EN: 0
; COMPUTE_PGM_RSRC2:USER_SGPR: 15
; COMPUTE_PGM_RSRC2:TRAP_HANDLER: 0
; COMPUTE_PGM_RSRC2:TGID_X_EN: 1
; COMPUTE_PGM_RSRC2:TGID_Y_EN: 0
; COMPUTE_PGM_RSRC2:TGID_Z_EN: 0
; COMPUTE_PGM_RSRC2:TIDIG_COMP_CNT: 0
	.section	.text._ZL34rocblas_gemvn_sm_mn_batched_kernelILi32ELi24E16rocblas_bfloat16ffEviiT2_lPKT1_lilS4_lilS1_lPT3_lili,"axG",@progbits,_ZL34rocblas_gemvn_sm_mn_batched_kernelILi32ELi24E16rocblas_bfloat16ffEviiT2_lPKT1_lilS4_lilS1_lPT3_lili,comdat
	.globl	_ZL34rocblas_gemvn_sm_mn_batched_kernelILi32ELi24E16rocblas_bfloat16ffEviiT2_lPKT1_lilS4_lilS1_lPT3_lili ; -- Begin function _ZL34rocblas_gemvn_sm_mn_batched_kernelILi32ELi24E16rocblas_bfloat16ffEviiT2_lPKT1_lilS4_lilS1_lPT3_lili
	.p2align	8
	.type	_ZL34rocblas_gemvn_sm_mn_batched_kernelILi32ELi24E16rocblas_bfloat16ffEviiT2_lPKT1_lilS4_lilS1_lPT3_lili,@function
_ZL34rocblas_gemvn_sm_mn_batched_kernelILi32ELi24E16rocblas_bfloat16ffEviiT2_lPKT1_lilS4_lilS1_lPT3_lili: ; @_ZL34rocblas_gemvn_sm_mn_batched_kernelILi32ELi24E16rocblas_bfloat16ffEviiT2_lPKT1_lilS4_lilS1_lPT3_lili
; %bb.0:
	s_endpgm
	.section	.rodata,"a",@progbits
	.p2align	6, 0x0
	.amdhsa_kernel _ZL34rocblas_gemvn_sm_mn_batched_kernelILi32ELi24E16rocblas_bfloat16ffEviiT2_lPKT1_lilS4_lilS1_lPT3_lili
		.amdhsa_group_segment_fixed_size 0
		.amdhsa_private_segment_fixed_size 0
		.amdhsa_kernarg_size 140
		.amdhsa_user_sgpr_count 15
		.amdhsa_user_sgpr_dispatch_ptr 0
		.amdhsa_user_sgpr_queue_ptr 0
		.amdhsa_user_sgpr_kernarg_segment_ptr 1
		.amdhsa_user_sgpr_dispatch_id 0
		.amdhsa_user_sgpr_private_segment_size 0
		.amdhsa_wavefront_size32 1
		.amdhsa_uses_dynamic_stack 0
		.amdhsa_enable_private_segment 0
		.amdhsa_system_sgpr_workgroup_id_x 1
		.amdhsa_system_sgpr_workgroup_id_y 0
		.amdhsa_system_sgpr_workgroup_id_z 0
		.amdhsa_system_sgpr_workgroup_info 0
		.amdhsa_system_vgpr_workitem_id 0
		.amdhsa_next_free_vgpr 1
		.amdhsa_next_free_sgpr 1
		.amdhsa_reserve_vcc 0
		.amdhsa_float_round_mode_32 0
		.amdhsa_float_round_mode_16_64 0
		.amdhsa_float_denorm_mode_32 3
		.amdhsa_float_denorm_mode_16_64 3
		.amdhsa_dx10_clamp 1
		.amdhsa_ieee_mode 1
		.amdhsa_fp16_overflow 0
		.amdhsa_workgroup_processor_mode 1
		.amdhsa_memory_ordered 1
		.amdhsa_forward_progress 0
		.amdhsa_shared_vgpr_count 0
		.amdhsa_exception_fp_ieee_invalid_op 0
		.amdhsa_exception_fp_denorm_src 0
		.amdhsa_exception_fp_ieee_div_zero 0
		.amdhsa_exception_fp_ieee_overflow 0
		.amdhsa_exception_fp_ieee_underflow 0
		.amdhsa_exception_fp_ieee_inexact 0
		.amdhsa_exception_int_div_zero 0
	.end_amdhsa_kernel
	.section	.text._ZL34rocblas_gemvn_sm_mn_batched_kernelILi32ELi24E16rocblas_bfloat16ffEviiT2_lPKT1_lilS4_lilS1_lPT3_lili,"axG",@progbits,_ZL34rocblas_gemvn_sm_mn_batched_kernelILi32ELi24E16rocblas_bfloat16ffEviiT2_lPKT1_lilS4_lilS1_lPT3_lili,comdat
.Lfunc_end629:
	.size	_ZL34rocblas_gemvn_sm_mn_batched_kernelILi32ELi24E16rocblas_bfloat16ffEviiT2_lPKT1_lilS4_lilS1_lPT3_lili, .Lfunc_end629-_ZL34rocblas_gemvn_sm_mn_batched_kernelILi32ELi24E16rocblas_bfloat16ffEviiT2_lPKT1_lilS4_lilS1_lPT3_lili
                                        ; -- End function
	.section	.AMDGPU.csdata,"",@progbits
; Kernel info:
; codeLenInByte = 4
; NumSgprs: 0
; NumVgprs: 0
; ScratchSize: 0
; MemoryBound: 0
; FloatMode: 240
; IeeeMode: 1
; LDSByteSize: 0 bytes/workgroup (compile time only)
; SGPRBlocks: 0
; VGPRBlocks: 0
; NumSGPRsForWavesPerEU: 1
; NumVGPRsForWavesPerEU: 1
; Occupancy: 12
; WaveLimiterHint : 0
; COMPUTE_PGM_RSRC2:SCRATCH_EN: 0
; COMPUTE_PGM_RSRC2:USER_SGPR: 15
; COMPUTE_PGM_RSRC2:TRAP_HANDLER: 0
; COMPUTE_PGM_RSRC2:TGID_X_EN: 1
; COMPUTE_PGM_RSRC2:TGID_Y_EN: 0
; COMPUTE_PGM_RSRC2:TGID_Z_EN: 0
; COMPUTE_PGM_RSRC2:TIDIG_COMP_CNT: 0
	.section	.text._ZL20rocblas_gemvn_kernelILi64ELi4Ei16rocblas_bfloat16PKffEviiT3_lPKT2_lT1_lS6_lS7_lS3_lPT4_lS7_li,"axG",@progbits,_ZL20rocblas_gemvn_kernelILi64ELi4Ei16rocblas_bfloat16PKffEviiT3_lPKT2_lT1_lS6_lS7_lS3_lPT4_lS7_li,comdat
	.globl	_ZL20rocblas_gemvn_kernelILi64ELi4Ei16rocblas_bfloat16PKffEviiT3_lPKT2_lT1_lS6_lS7_lS3_lPT4_lS7_li ; -- Begin function _ZL20rocblas_gemvn_kernelILi64ELi4Ei16rocblas_bfloat16PKffEviiT3_lPKT2_lT1_lS6_lS7_lS3_lPT4_lS7_li
	.p2align	8
	.type	_ZL20rocblas_gemvn_kernelILi64ELi4Ei16rocblas_bfloat16PKffEviiT3_lPKT2_lT1_lS6_lS7_lS3_lPT4_lS7_li,@function
_ZL20rocblas_gemvn_kernelILi64ELi4Ei16rocblas_bfloat16PKffEviiT3_lPKT2_lT1_lS6_lS7_lS3_lPT4_lS7_li: ; @_ZL20rocblas_gemvn_kernelILi64ELi4Ei16rocblas_bfloat16PKffEviiT3_lPKT2_lT1_lS6_lS7_lS3_lPT4_lS7_li
; %bb.0:
	s_load_b64 s[2:3], s[0:1], 0x9c
	s_waitcnt lgkmcnt(0)
	s_lshr_b32 s4, s2, 16
	s_and_b32 s2, s2, 0xffff
	s_and_b32 s3, s3, 0xffff
	s_mul_i32 s2, s4, s2
	s_delay_alu instid0(SALU_CYCLE_1) | instskip(NEXT) | instid1(SALU_CYCLE_1)
	s_mul_i32 s2, s2, s3
	s_cmpk_lg_i32 s2, 0x100
	s_cbranch_scc1 .LBB630_50
; %bb.1:
	s_clause 0x1
	s_load_b256 s[16:23], s[0:1], 0x8
	s_load_b256 s[4:11], s[0:1], 0x50
	s_waitcnt lgkmcnt(0)
	s_mul_i32 s3, s15, s19
	s_mul_hi_u32 s12, s15, s18
	s_mul_i32 s2, s15, s18
	s_add_i32 s3, s12, s3
	s_mul_i32 s9, s15, s9
	s_lshl_b64 s[2:3], s[2:3], 2
	s_mul_hi_u32 s12, s15, s8
	s_add_u32 s2, s16, s2
	s_addc_u32 s3, s17, s3
	s_add_i32 s9, s12, s9
	s_mul_i32 s8, s15, s8
	s_mov_b32 s16, 0
	s_lshl_b64 s[8:9], s[8:9], 2
	s_delay_alu instid0(SALU_CYCLE_1)
	s_add_u32 s6, s6, s8
	s_addc_u32 s7, s7, s9
	s_load_b32 s13, s[2:3], 0x0
	s_load_b32 s12, s[6:7], 0x0
	s_waitcnt lgkmcnt(0)
	v_cmp_eq_f32_e64 s2, s13, 0
	v_cmp_eq_f32_e64 s3, s12, 1.0
	s_delay_alu instid0(VALU_DEP_1) | instskip(NEXT) | instid1(SALU_CYCLE_1)
	s_and_b32 s2, s2, s3
	s_and_b32 vcc_lo, exec_lo, s2
	s_cbranch_vccnz .LBB630_50
; %bb.2:
	s_clause 0x3
	s_load_b64 s[2:3], s[0:1], 0x80
	s_load_b64 s[8:9], s[0:1], 0x70
	s_load_b32 s17, s[0:1], 0x78
	s_load_b64 s[6:7], s[0:1], 0x0
	v_and_b32_e32 v1, 0x3ff, v0
	v_bfe_u32 v13, v0, 10, 10
	s_delay_alu instid0(VALU_DEP_1)
	v_lshl_add_u32 v0, v13, 6, v1
	s_waitcnt lgkmcnt(0)
	s_mul_i32 s3, s15, s3
	s_mul_hi_u32 s18, s15, s2
	s_mul_i32 s2, s15, s2
	s_add_i32 s3, s18, s3
	v_cmp_neq_f32_e64 s18, s13, 0
	s_lshl_b64 s[2:3], s[2:3], 2
	s_delay_alu instid0(SALU_CYCLE_1) | instskip(SKIP_2) | instid1(SALU_CYCLE_1)
	s_add_u32 s10, s10, s2
	s_addc_u32 s11, s11, s3
	s_lshl_b64 s[2:3], s[8:9], 2
	s_add_u32 s8, s10, s2
	v_cmp_gt_u32_e64 s2, 0x100, v0
	s_addc_u32 s9, s11, s3
	s_and_b32 vcc_lo, exec_lo, s18
	s_cbranch_vccnz .LBB630_9
; %bb.3:
	s_mov_b32 s3, 0
                                        ; implicit-def: $vgpr3
                                        ; implicit-def: $vgpr4_vgpr5
	s_and_saveexec_b32 s10, s2
	s_cbranch_execz .LBB630_10
; %bb.4:
	v_lshl_or_b32 v2, s14, 8, v0
	v_mov_b32_e32 v3, 0
	s_ashr_i32 s19, s6, 31
	s_mov_b32 s18, s6
	s_mov_b32 s11, 0
	s_mov_b32 s2, exec_lo
                                        ; implicit-def: $vgpr4_vgpr5
	v_cmpx_gt_i64_e64 s[18:19], v[2:3]
	s_cbranch_execz .LBB630_8
; %bb.5:
	v_mad_u64_u32 v[4:5], null, s17, v2, 0
	s_ashr_i32 s11, s17, 31
	s_delay_alu instid0(VALU_DEP_1) | instid1(SALU_CYCLE_1)
	v_mad_u64_u32 v[6:7], null, s11, v2, v[5:6]
	v_cmp_eq_f32_e64 s11, s12, 0
	s_delay_alu instid0(VALU_DEP_1) | instskip(NEXT) | instid1(VALU_DEP_2)
	s_and_b32 vcc_lo, exec_lo, s11
	v_mov_b32_e32 v5, v6
	s_cbranch_vccnz .LBB630_7
; %bb.6:
	s_delay_alu instid0(VALU_DEP_1) | instskip(NEXT) | instid1(VALU_DEP_1)
	v_lshlrev_b64 v[2:3], 2, v[4:5]
	v_add_co_u32 v2, vcc_lo, s8, v2
	s_delay_alu instid0(VALU_DEP_2)
	v_add_co_ci_u32_e32 v3, vcc_lo, s9, v3, vcc_lo
	global_load_b32 v2, v[2:3], off
	s_waitcnt vmcnt(0)
	v_mul_f32_e32 v3, s12, v2
.LBB630_7:
	s_mov_b32 s11, exec_lo
.LBB630_8:
	s_or_b32 exec_lo, exec_lo, s2
	s_delay_alu instid0(SALU_CYCLE_1) | instskip(SKIP_1) | instid1(SALU_CYCLE_1)
	s_and_b32 s16, s11, exec_lo
	s_or_b32 exec_lo, exec_lo, s10
	s_and_b32 vcc_lo, exec_lo, s3
	s_cbranch_vccnz .LBB630_11
	s_branch .LBB630_48
.LBB630_9:
                                        ; implicit-def: $vgpr3
                                        ; implicit-def: $vgpr4_vgpr5
	s_cbranch_execnz .LBB630_11
	s_branch .LBB630_48
.LBB630_10:
	s_or_b32 exec_lo, exec_lo, s10
	s_delay_alu instid0(SALU_CYCLE_1)
	s_and_b32 vcc_lo, exec_lo, s3
	s_cbranch_vccz .LBB630_48
.LBB630_11:
	s_clause 0x2
	s_load_b128 s[24:27], s[0:1], 0x30
	s_load_b32 s18, s[0:1], 0x28
	s_load_b64 s[2:3], s[0:1], 0x40
	s_mul_i32 s5, s15, s5
	v_dual_mov_b32 v14, 0 :: v_dual_lshlrev_b32 v19, 2, v13
	v_dual_mov_b32 v15, 0 :: v_dual_mov_b32 v16, 0
	v_mov_b32_e32 v17, 0
	s_waitcnt lgkmcnt(0)
	s_mul_i32 s11, s15, s25
	s_mul_hi_u32 s19, s15, s24
	s_mul_i32 s10, s15, s24
	s_add_i32 s11, s19, s11
	s_mul_hi_u32 s19, s15, s4
	s_lshl_b64 s[10:11], s[10:11], 1
	s_delay_alu instid0(SALU_CYCLE_1) | instskip(SKIP_4) | instid1(SALU_CYCLE_1)
	s_add_u32 s24, s20, s10
	s_mul_i32 s20, s15, s4
	s_load_b32 s4, s[0:1], 0x48
	s_addc_u32 s21, s21, s11
	s_lshl_b64 s[10:11], s[22:23], 1
	s_add_u32 s10, s24, s10
	s_addc_u32 s11, s21, s11
	s_add_i32 s21, s19, s5
	s_delay_alu instid0(SALU_CYCLE_1) | instskip(SKIP_4) | instid1(SALU_CYCLE_1)
	s_lshl_b64 s[0:1], s[20:21], 1
	s_mov_b32 s20, exec_lo
	s_add_u32 s5, s26, s0
	s_addc_u32 s19, s27, s1
	s_lshl_b64 s[0:1], s[2:3], 1
	s_add_u32 s15, s5, s0
	s_addc_u32 s19, s19, s1
	s_ashr_i32 s0, s7, 31
	s_lshl_b32 s5, s14, 8
	s_lshr_b32 s0, s0, 28
	v_add_nc_u32_e32 v18, s5, v1
	s_add_i32 s0, s7, s0
	s_delay_alu instid0(SALU_CYCLE_1) | instskip(NEXT) | instid1(SALU_CYCLE_1)
	s_and_b32 s14, s0, -16
	v_cmpx_gt_i32_e64 s14, v19
	s_cbranch_execz .LBB630_23
; %bb.12:
	v_mul_lo_u32 v3, s18, v19
	v_dual_mov_b32 v15, 0 :: v_dual_add_nc_u32 v2, 64, v18
	v_add_nc_u32_e32 v6, 2, v19
	v_dual_mov_b32 v14, 0 :: v_dual_add_nc_u32 v5, 0xc0, v18
	s_delay_alu instid0(VALU_DEP_3)
	v_cmp_gt_i32_e64 s0, s6, v2
	v_dual_mov_b32 v17, 0 :: v_dual_add_nc_u32 v4, 0x80, v18
	v_add3_u32 v20, v3, s18, v1
	v_mad_u64_u32 v[2:3], null, s18, v6, v[1:2]
	v_cmp_gt_i32_e64 s2, s6, v5
	v_mul_lo_u32 v5, v13, s18
	v_dual_mov_b32 v16, 0 :: v_dual_add_nc_u32 v7, 3, v19
	s_waitcnt lgkmcnt(0)
	v_mul_lo_u32 v8, v13, s4
	v_cmp_gt_i32_e64 s1, s6, v4
	v_mul_lo_u32 v22, s4, v6
	v_mad_u64_u32 v[3:4], null, s18, v7, v[1:2]
	v_lshl_add_u32 v21, v5, 2, v1
	v_mad_u64_u32 v[4:5], null, s4, v19, s[4:5]
	v_mul_lo_u32 v23, s4, v7
	v_cmp_gt_i32_e32 vcc_lo, s6, v18
	v_lshlrev_b32_e32 v24, 2, v8
	s_lshl_b32 s21, s18, 4
	s_lshl_b32 s23, s4, 4
	s_mov_b32 s22, 0
	s_mov_b32 s24, 0
	s_branch .LBB630_17
.LBB630_13:                             ;   in Loop: Header=BB630_17 Depth=1
	s_or_b32 exec_lo, exec_lo, s27
	s_waitcnt vmcnt(2)
	v_lshlrev_b32_e32 v6, 16, v39
	v_lshlrev_b32_e32 v5, 16, v40
	s_waitcnt vmcnt(1)
	s_delay_alu instid0(VALU_DEP_1) | instskip(NEXT) | instid1(VALU_DEP_1)
	v_dual_fmac_f32 v16, v32, v5 :: v_dual_lshlrev_b32 v5, 16, v38
	v_fmac_f32_e32 v16, v30, v6
	s_delay_alu instid0(VALU_DEP_1) | instskip(SKIP_2) | instid1(VALU_DEP_1)
	v_fmac_f32_e32 v16, v28, v5
	s_waitcnt vmcnt(0)
	v_lshlrev_b32_e32 v5, 16, v37
	v_fmac_f32_e32 v16, v27, v5
.LBB630_14:                             ;   in Loop: Header=BB630_17 Depth=1
	s_or_b32 exec_lo, exec_lo, s26
	s_waitcnt vmcnt(3)
	v_lshlrev_b32_e32 v5, 16, v36
	s_waitcnt vmcnt(2)
	s_delay_alu instid0(VALU_DEP_1) | instskip(SKIP_2) | instid1(VALU_DEP_2)
	v_dual_fmac_f32 v15, v32, v5 :: v_dual_lshlrev_b32 v6, 16, v35
	s_waitcnt vmcnt(1)
	v_lshlrev_b32_e32 v5, 16, v34
	v_fmac_f32_e32 v15, v30, v6
	s_delay_alu instid0(VALU_DEP_1) | instskip(SKIP_2) | instid1(VALU_DEP_1)
	v_fmac_f32_e32 v15, v28, v5
	s_waitcnt vmcnt(0)
	v_lshlrev_b32_e32 v5, 16, v33
	v_fmac_f32_e32 v15, v27, v5
.LBB630_15:                             ;   in Loop: Header=BB630_17 Depth=1
	s_or_b32 exec_lo, exec_lo, s3
	s_waitcnt vmcnt(2)
	v_lshlrev_b32_e32 v6, 16, v29
	v_lshlrev_b32_e32 v5, 16, v31
	s_waitcnt vmcnt(1)
	s_delay_alu instid0(VALU_DEP_1) | instskip(NEXT) | instid1(VALU_DEP_1)
	v_dual_fmac_f32 v14, v32, v5 :: v_dual_lshlrev_b32 v5, 16, v26
	v_fmac_f32_e32 v14, v30, v6
	s_delay_alu instid0(VALU_DEP_1) | instskip(SKIP_2) | instid1(VALU_DEP_1)
	v_fmac_f32_e32 v14, v28, v5
	s_waitcnt vmcnt(0)
	v_lshlrev_b32_e32 v5, 16, v25
	v_fmac_f32_e32 v14, v27, v5
.LBB630_16:                             ;   in Loop: Header=BB630_17 Depth=1
	s_or_b32 exec_lo, exec_lo, s25
	v_add_nc_u32_e32 v19, 16, v19
	v_add_nc_u32_e32 v20, s21, v20
	;; [unrolled: 1-line block ×5, first 2 shown]
	v_cmp_le_i32_e64 s3, s14, v19
	s_add_i32 s24, s24, s23
	s_delay_alu instid0(VALU_DEP_1) | instskip(NEXT) | instid1(SALU_CYCLE_1)
	s_or_b32 s22, s3, s22
	s_and_not1_b32 exec_lo, exec_lo, s22
	s_cbranch_execz .LBB630_22
.LBB630_17:                             ; =>This Inner Loop Header: Depth=1
	s_and_saveexec_b32 s25, vcc_lo
	s_cbranch_execz .LBB630_16
; %bb.18:                               ;   in Loop: Header=BB630_17 Depth=1
	v_add_nc_u32_e32 v5, s24, v24
	v_add_nc_u32_e32 v7, s24, v4
	;; [unrolled: 1-line block ×5, first 2 shown]
	v_ashrrev_i32_e32 v6, 31, v5
	v_ashrrev_i32_e32 v8, 31, v7
	;; [unrolled: 1-line block ×4, first 2 shown]
	v_add_nc_u32_e32 v27, s5, v20
	v_lshlrev_b64 v[5:6], 1, v[5:6]
	v_lshlrev_b64 v[7:8], 1, v[7:8]
	;; [unrolled: 1-line block ×4, first 2 shown]
	v_ashrrev_i32_e32 v26, 31, v25
	v_ashrrev_i32_e32 v28, 31, v27
	v_add_co_u32 v5, s3, s15, v5
	s_delay_alu instid0(VALU_DEP_1) | instskip(SKIP_1) | instid1(VALU_DEP_1)
	v_add_co_ci_u32_e64 v6, s3, s19, v6, s3
	v_add_co_u32 v7, s3, s15, v7
	v_add_co_ci_u32_e64 v8, s3, s19, v8, s3
	v_add_co_u32 v9, s3, s15, v9
	s_delay_alu instid0(VALU_DEP_1)
	v_add_co_ci_u32_e64 v10, s3, s19, v10, s3
	v_add_co_u32 v11, s3, s15, v11
	v_add_nc_u32_e32 v29, s5, v2
	v_add_co_ci_u32_e64 v12, s3, s19, v12, s3
	v_lshlrev_b64 v[25:26], 1, v[25:26]
	s_clause 0x3
	global_load_u16 v32, v[5:6], off
	global_load_u16 v33, v[7:8], off
	;; [unrolled: 1-line block ×4, first 2 shown]
	v_add_nc_u32_e32 v11, s5, v3
	v_lshlrev_b64 v[5:6], 1, v[27:28]
	v_ashrrev_i32_e32 v30, 31, v29
	v_add_co_u32 v7, s3, s10, v25
	s_delay_alu instid0(VALU_DEP_4) | instskip(SKIP_1) | instid1(VALU_DEP_4)
	v_ashrrev_i32_e32 v12, 31, v11
	v_add_co_ci_u32_e64 v8, s3, s11, v26, s3
	v_lshlrev_b64 v[25:26], 1, v[29:30]
	v_add_co_u32 v9, s3, s10, v5
	s_delay_alu instid0(VALU_DEP_1) | instskip(SKIP_1) | instid1(VALU_DEP_4)
	v_add_co_ci_u32_e64 v10, s3, s11, v6, s3
	v_lshlrev_b64 v[5:6], 1, v[11:12]
	v_add_co_u32 v11, s3, s10, v25
	s_delay_alu instid0(VALU_DEP_1) | instskip(NEXT) | instid1(VALU_DEP_3)
	v_add_co_ci_u32_e64 v12, s3, s11, v26, s3
	v_add_co_u32 v5, s3, s10, v5
	s_delay_alu instid0(VALU_DEP_1)
	v_add_co_ci_u32_e64 v6, s3, s11, v6, s3
	s_clause 0x3
	global_load_u16 v31, v[7:8], off
	global_load_u16 v29, v[9:10], off
	;; [unrolled: 1-line block ×4, first 2 shown]
	s_waitcnt vmcnt(7)
	v_lshlrev_b32_e32 v32, 16, v32
	s_waitcnt vmcnt(6)
	v_lshlrev_b32_e32 v30, 16, v33
	;; [unrolled: 2-line block ×4, first 2 shown]
	s_and_saveexec_b32 s3, s0
	s_cbranch_execz .LBB630_15
; %bb.19:                               ;   in Loop: Header=BB630_17 Depth=1
	s_clause 0x3
	global_load_u16 v36, v[7:8], off offset:128
	global_load_u16 v35, v[9:10], off offset:128
	global_load_u16 v34, v[11:12], off offset:128
	global_load_u16 v33, v[5:6], off offset:128
	s_and_saveexec_b32 s26, s1
	s_cbranch_execz .LBB630_14
; %bb.20:                               ;   in Loop: Header=BB630_17 Depth=1
	s_clause 0x3
	global_load_u16 v40, v[7:8], off offset:256
	global_load_u16 v39, v[9:10], off offset:256
	global_load_u16 v38, v[11:12], off offset:256
	global_load_u16 v37, v[5:6], off offset:256
	;; [unrolled: 8-line block ×3, first 2 shown]
	s_waitcnt vmcnt(0)
	v_lshlrev_b32_e32 v5, 16, v5
	v_lshlrev_b32_e32 v6, 16, v7
	;; [unrolled: 1-line block ×3, first 2 shown]
	s_delay_alu instid0(VALU_DEP_2) | instskip(NEXT) | instid1(VALU_DEP_1)
	v_dual_fmac_f32 v17, v32, v6 :: v_dual_lshlrev_b32 v6, 16, v9
	v_fmac_f32_e32 v17, v30, v7
	s_delay_alu instid0(VALU_DEP_1) | instskip(NEXT) | instid1(VALU_DEP_1)
	v_fmac_f32_e32 v17, v28, v6
	v_fmac_f32_e32 v17, v27, v5
	s_branch .LBB630_13
.LBB630_22:
	s_or_b32 exec_lo, exec_lo, s22
.LBB630_23:
	s_delay_alu instid0(SALU_CYCLE_1) | instskip(SKIP_1) | instid1(SALU_CYCLE_1)
	s_or_b32 exec_lo, exec_lo, s20
	s_sub_i32 s0, s7, s14
	s_cmp_lt_i32 s0, 1
	s_cbranch_scc1 .LBB630_41
; %bb.24:
	v_cmp_gt_i32_e32 vcc_lo, s7, v19
	v_dual_mov_b32 v10, 0 :: v_dual_mov_b32 v11, 0
	v_or_b32_e32 v2, 1, v19
	v_mov_b32_e32 v12, 0
	v_mov_b32_e32 v20, 0
	s_and_saveexec_b32 s1, vcc_lo
	s_cbranch_execz .LBB630_32
; %bb.25:
	s_waitcnt lgkmcnt(0)
	v_mul_lo_u32 v3, v19, s4
	v_dual_mov_b32 v12, 0 :: v_dual_mov_b32 v11, 0
	v_mov_b32_e32 v10, 0
	s_mov_b32 s2, exec_lo
	s_delay_alu instid0(VALU_DEP_3) | instskip(NEXT) | instid1(VALU_DEP_1)
	v_ashrrev_i32_e32 v4, 31, v3
	v_lshlrev_b64 v[3:4], 1, v[3:4]
	s_delay_alu instid0(VALU_DEP_1) | instskip(NEXT) | instid1(VALU_DEP_1)
	v_add_co_u32 v3, s0, s15, v3
	v_add_co_ci_u32_e64 v4, s0, s19, v4, s0
	global_load_u16 v3, v[3:4], off
	v_cmpx_gt_i32_e64 s7, v2
	s_cbranch_execz .LBB630_31
; %bb.26:
	v_mul_lo_u32 v4, v2, s4
	v_dual_mov_b32 v11, 0 :: v_dual_mov_b32 v10, 0
	s_mov_b32 s3, exec_lo
	s_delay_alu instid0(VALU_DEP_2) | instskip(NEXT) | instid1(VALU_DEP_1)
	v_ashrrev_i32_e32 v5, 31, v4
	v_lshlrev_b64 v[4:5], 1, v[4:5]
	s_delay_alu instid0(VALU_DEP_1) | instskip(NEXT) | instid1(VALU_DEP_1)
	v_add_co_u32 v4, s0, s15, v4
	v_add_co_ci_u32_e64 v5, s0, s19, v5, s0
	global_load_u16 v4, v[4:5], off
	v_or_b32_e32 v5, 2, v19
	s_delay_alu instid0(VALU_DEP_1)
	v_cmpx_gt_i32_e64 s7, v5
	s_cbranch_execz .LBB630_30
; %bb.27:
	v_mul_lo_u32 v5, v5, s4
	v_mov_b32_e32 v10, 0
	s_mov_b32 s14, exec_lo
	s_delay_alu instid0(VALU_DEP_2) | instskip(NEXT) | instid1(VALU_DEP_1)
	v_ashrrev_i32_e32 v6, 31, v5
	v_lshlrev_b64 v[5:6], 1, v[5:6]
	s_delay_alu instid0(VALU_DEP_1) | instskip(NEXT) | instid1(VALU_DEP_1)
	v_add_co_u32 v5, s0, s15, v5
	v_add_co_ci_u32_e64 v6, s0, s19, v6, s0
	global_load_u16 v5, v[5:6], off
	v_or_b32_e32 v6, 3, v19
	s_delay_alu instid0(VALU_DEP_1)
	v_cmpx_gt_i32_e64 s7, v6
	s_cbranch_execz .LBB630_29
; %bb.28:
	v_mul_lo_u32 v6, v6, s4
	s_delay_alu instid0(VALU_DEP_1) | instskip(NEXT) | instid1(VALU_DEP_1)
	v_ashrrev_i32_e32 v7, 31, v6
	v_lshlrev_b64 v[6:7], 1, v[6:7]
	s_delay_alu instid0(VALU_DEP_1) | instskip(NEXT) | instid1(VALU_DEP_1)
	v_add_co_u32 v6, s0, s15, v6
	v_add_co_ci_u32_e64 v7, s0, s19, v7, s0
	global_load_u16 v6, v[6:7], off
	s_waitcnt vmcnt(0)
	v_lshlrev_b32_e32 v10, 16, v6
.LBB630_29:
	s_or_b32 exec_lo, exec_lo, s14
	s_waitcnt vmcnt(0)
	v_lshlrev_b32_e32 v11, 16, v5
.LBB630_30:
	s_or_b32 exec_lo, exec_lo, s3
	s_waitcnt vmcnt(0)
	v_lshlrev_b32_e32 v12, 16, v4
.LBB630_31:
	s_or_b32 exec_lo, exec_lo, s2
	s_waitcnt vmcnt(0)
	v_lshlrev_b32_e32 v20, 16, v3
.LBB630_32:
	s_or_b32 exec_lo, exec_lo, s1
	s_delay_alu instid0(SALU_CYCLE_1)
	s_mov_b32 s1, exec_lo
	v_cmpx_gt_i32_e64 s6, v18
	s_cbranch_execz .LBB630_40
; %bb.33:
	v_mul_lo_u32 v3, v19, s18
	v_mul_lo_u32 v4, v2, s18
	v_or_b32_e32 v5, 2, v19
	v_or_b32_e32 v6, 3, v19
	s_mov_b32 s0, exec_lo
	s_delay_alu instid0(VALU_DEP_2)
	v_mul_lo_u32 v7, v5, s18
	v_cndmask_b32_e32 v3, 0, v3, vcc_lo
	v_cmp_gt_i32_e32 vcc_lo, s7, v2
	v_mul_lo_u32 v8, v6, s18
	v_cndmask_b32_e32 v4, 0, v4, vcc_lo
	v_cmp_gt_i32_e32 vcc_lo, s7, v5
	v_add_nc_u32_e32 v2, v3, v18
	s_delay_alu instid0(VALU_DEP_3) | instskip(NEXT) | instid1(VALU_DEP_2)
	v_dual_cndmask_b32 v7, 0, v7 :: v_dual_add_nc_u32 v4, v4, v18
	v_ashrrev_i32_e32 v3, 31, v2
	v_cmp_gt_i32_e32 vcc_lo, s7, v6
	s_delay_alu instid0(VALU_DEP_3) | instskip(NEXT) | instid1(VALU_DEP_4)
	v_ashrrev_i32_e32 v5, 31, v4
	v_add_nc_u32_e32 v6, v7, v18
	s_delay_alu instid0(VALU_DEP_4) | instskip(SKIP_1) | instid1(VALU_DEP_4)
	v_lshlrev_b64 v[2:3], 1, v[2:3]
	v_cndmask_b32_e32 v8, 0, v8, vcc_lo
	v_lshlrev_b64 v[21:22], 1, v[4:5]
	s_delay_alu instid0(VALU_DEP_4) | instskip(NEXT) | instid1(VALU_DEP_4)
	v_ashrrev_i32_e32 v7, 31, v6
	v_add_co_u32 v4, vcc_lo, s10, v2
	v_add_co_ci_u32_e32 v5, vcc_lo, s11, v3, vcc_lo
	s_delay_alu instid0(VALU_DEP_4)
	v_add_co_u32 v2, vcc_lo, s10, v21
	v_add_co_ci_u32_e32 v3, vcc_lo, s11, v22, vcc_lo
	s_clause 0x1
	global_load_u16 v19, v[4:5], off
	global_load_u16 v23, v[2:3], off
	v_lshlrev_b64 v[6:7], 1, v[6:7]
	s_waitcnt vmcnt(1)
	v_lshlrev_b32_e32 v19, 16, v19
	v_add_nc_u32_e32 v8, v8, v18
	s_delay_alu instid0(VALU_DEP_1) | instskip(NEXT) | instid1(VALU_DEP_1)
	v_ashrrev_i32_e32 v9, 31, v8
	v_lshlrev_b64 v[21:22], 1, v[8:9]
	v_add_co_u32 v8, vcc_lo, s10, v6
	v_add_co_ci_u32_e32 v9, vcc_lo, s11, v7, vcc_lo
	s_delay_alu instid0(VALU_DEP_3) | instskip(NEXT) | instid1(VALU_DEP_4)
	v_add_co_u32 v6, vcc_lo, s10, v21
	v_add_co_ci_u32_e32 v7, vcc_lo, s11, v22, vcc_lo
	s_clause 0x1
	global_load_u16 v21, v[8:9], off
	global_load_u16 v22, v[6:7], off
	s_waitcnt vmcnt(1)
	v_dual_fmac_f32 v14, v20, v19 :: v_dual_lshlrev_b32 v21, 16, v21
	v_lshlrev_b32_e32 v23, 16, v23
	s_waitcnt vmcnt(0)
	s_delay_alu instid0(VALU_DEP_1) | instskip(NEXT) | instid1(VALU_DEP_1)
	v_dual_fmac_f32 v14, v12, v23 :: v_dual_lshlrev_b32 v19, 16, v22
	v_dual_fmac_f32 v14, v11, v21 :: v_dual_add_nc_u32 v23, 64, v18
	s_delay_alu instid0(VALU_DEP_1)
	v_cmpx_gt_i32_e64 s6, v23
	s_cbranch_execz .LBB630_39
; %bb.34:
	s_clause 0x3
	global_load_u16 v21, v[4:5], off offset:128
	global_load_u16 v22, v[2:3], off offset:128
	global_load_u16 v23, v[8:9], off offset:128
	global_load_u16 v24, v[6:7], off offset:128
	s_mov_b32 s2, exec_lo
	s_waitcnt vmcnt(3)
	v_lshlrev_b32_e32 v21, 16, v21
	s_waitcnt vmcnt(2)
	v_lshlrev_b32_e32 v22, 16, v22
	;; [unrolled: 2-line block ×3, first 2 shown]
	v_fmac_f32_e32 v15, v20, v21
	s_waitcnt vmcnt(0)
	v_lshlrev_b32_e32 v21, 16, v24
	s_delay_alu instid0(VALU_DEP_2) | instskip(NEXT) | instid1(VALU_DEP_1)
	v_fmac_f32_e32 v15, v12, v22
	v_dual_fmac_f32 v15, v11, v23 :: v_dual_add_nc_u32 v22, 0x80, v18
	s_delay_alu instid0(VALU_DEP_1)
	v_cmpx_gt_i32_e64 s6, v22
	s_cbranch_execz .LBB630_38
; %bb.35:
	s_clause 0x3
	global_load_u16 v22, v[4:5], off offset:256
	global_load_u16 v23, v[2:3], off offset:256
	;; [unrolled: 1-line block ×4, first 2 shown]
	s_mov_b32 s3, exec_lo
	s_waitcnt vmcnt(3)
	v_lshlrev_b32_e32 v22, 16, v22
	s_waitcnt vmcnt(2)
	s_delay_alu instid0(VALU_DEP_1) | instskip(SKIP_2) | instid1(VALU_DEP_2)
	v_dual_fmac_f32 v16, v20, v22 :: v_dual_lshlrev_b32 v23, 16, v23
	s_waitcnt vmcnt(1)
	v_lshlrev_b32_e32 v22, 16, v24
	v_dual_fmac_f32 v16, v12, v23 :: v_dual_add_nc_u32 v23, 0xc0, v18
	s_waitcnt vmcnt(0)
	v_lshlrev_b32_e32 v18, 16, v25
	s_delay_alu instid0(VALU_DEP_2) | instskip(NEXT) | instid1(VALU_DEP_3)
	v_fmac_f32_e32 v16, v11, v22
	v_cmpx_gt_i32_e64 s6, v23
	s_cbranch_execz .LBB630_37
; %bb.36:
	s_clause 0x3
	global_load_u16 v4, v[4:5], off offset:384
	global_load_u16 v2, v[2:3], off offset:384
	;; [unrolled: 1-line block ×4, first 2 shown]
	s_waitcnt vmcnt(2)
	v_lshlrev_b32_e32 v2, 16, v2
	v_lshlrev_b32_e32 v4, 16, v4
	s_waitcnt vmcnt(1)
	v_lshlrev_b32_e32 v3, 16, v3
	s_delay_alu instid0(VALU_DEP_2) | instskip(SKIP_1) | instid1(VALU_DEP_1)
	v_fmac_f32_e32 v17, v20, v4
	s_waitcnt vmcnt(0)
	v_dual_fmac_f32 v17, v12, v2 :: v_dual_lshlrev_b32 v2, 16, v5
	s_delay_alu instid0(VALU_DEP_1) | instskip(NEXT) | instid1(VALU_DEP_1)
	v_fmac_f32_e32 v17, v11, v3
	v_fmac_f32_e32 v17, v10, v2
.LBB630_37:
	s_or_b32 exec_lo, exec_lo, s3
	s_delay_alu instid0(VALU_DEP_2)
	v_fmac_f32_e32 v16, v10, v18
.LBB630_38:
	s_or_b32 exec_lo, exec_lo, s2
	s_delay_alu instid0(VALU_DEP_2)
	v_fmac_f32_e32 v15, v10, v21
.LBB630_39:
	s_or_b32 exec_lo, exec_lo, s0
	s_delay_alu instid0(VALU_DEP_2)
	v_fmac_f32_e32 v14, v10, v19
.LBB630_40:
	s_or_b32 exec_lo, exec_lo, s1
.LBB630_41:
	v_lshlrev_b32_e32 v2, 8, v13
	s_mov_b32 s0, exec_lo
                                        ; implicit-def: $vgpr3
                                        ; implicit-def: $vgpr4_vgpr5
	s_delay_alu instid0(VALU_DEP_1)
	v_add_lshl_u32 v1, v2, v1, 2
	ds_store_2addr_stride64_b32 v1, v14, v15 offset1:1
	ds_store_2addr_stride64_b32 v1, v16, v17 offset0:2 offset1:3
	s_waitcnt lgkmcnt(0)
	s_barrier
	buffer_gl0_inv
	v_cmpx_gt_u32_e32 0x100, v0
	s_cbranch_execz .LBB630_47
; %bb.42:
	v_lshlrev_b32_e32 v5, 2, v0
	s_mov_b32 s2, s16
	s_mov_b32 s1, exec_lo
	ds_load_2addr_stride64_b32 v[1:2], v5 offset1:4
	ds_load_2addr_stride64_b32 v[3:4], v5 offset0:8 offset1:12
	s_waitcnt lgkmcnt(1)
	v_add_f32_e32 v1, v1, v2
	s_waitcnt lgkmcnt(0)
	s_delay_alu instid0(VALU_DEP_1) | instskip(SKIP_1) | instid1(VALU_DEP_2)
	v_add_f32_e32 v2, v3, v1
	v_or_b32_e32 v1, s5, v0
                                        ; implicit-def: $vgpr3
	v_add_f32_e32 v0, v4, v2
	ds_store_b32 v5, v0
                                        ; implicit-def: $vgpr4_vgpr5
	v_cmpx_gt_i32_e64 s6, v1
	s_cbranch_execz .LBB630_46
; %bb.43:
	v_mul_lo_u32 v4, v1, s17
	v_cmp_eq_f32_e64 s2, s12, 0
	v_mul_f32_e32 v3, s13, v0
	s_delay_alu instid0(VALU_DEP_2) | instskip(NEXT) | instid1(VALU_DEP_3)
	s_and_b32 vcc_lo, exec_lo, s2
	v_ashrrev_i32_e32 v5, 31, v4
	s_cbranch_vccnz .LBB630_45
; %bb.44:
	s_delay_alu instid0(VALU_DEP_1) | instskip(NEXT) | instid1(VALU_DEP_1)
	v_lshlrev_b64 v[0:1], 2, v[4:5]
	v_add_co_u32 v0, vcc_lo, s8, v0
	s_delay_alu instid0(VALU_DEP_2)
	v_add_co_ci_u32_e32 v1, vcc_lo, s9, v1, vcc_lo
	global_load_b32 v0, v[0:1], off
	s_waitcnt vmcnt(0)
	v_fmac_f32_e32 v3, s12, v0
.LBB630_45:
	s_or_b32 s2, s16, exec_lo
.LBB630_46:
	s_or_b32 exec_lo, exec_lo, s1
	s_delay_alu instid0(SALU_CYCLE_1) | instskip(SKIP_1) | instid1(SALU_CYCLE_1)
	s_and_not1_b32 s1, s16, exec_lo
	s_and_b32 s2, s2, exec_lo
	s_or_b32 s16, s1, s2
.LBB630_47:
	s_or_b32 exec_lo, exec_lo, s0
.LBB630_48:
	s_and_saveexec_b32 s0, s16
	s_cbranch_execz .LBB630_50
; %bb.49:
	v_lshlrev_b64 v[0:1], 2, v[4:5]
	s_delay_alu instid0(VALU_DEP_1) | instskip(NEXT) | instid1(VALU_DEP_2)
	v_add_co_u32 v0, vcc_lo, s8, v0
	v_add_co_ci_u32_e32 v1, vcc_lo, s9, v1, vcc_lo
	global_store_b32 v[0:1], v3, off
.LBB630_50:
	s_nop 0
	s_sendmsg sendmsg(MSG_DEALLOC_VGPRS)
	s_endpgm
	.section	.rodata,"a",@progbits
	.p2align	6, 0x0
	.amdhsa_kernel _ZL20rocblas_gemvn_kernelILi64ELi4Ei16rocblas_bfloat16PKffEviiT3_lPKT2_lT1_lS6_lS7_lS3_lPT4_lS7_li
		.amdhsa_group_segment_fixed_size 4096
		.amdhsa_private_segment_fixed_size 0
		.amdhsa_kernarg_size 400
		.amdhsa_user_sgpr_count 14
		.amdhsa_user_sgpr_dispatch_ptr 0
		.amdhsa_user_sgpr_queue_ptr 0
		.amdhsa_user_sgpr_kernarg_segment_ptr 1
		.amdhsa_user_sgpr_dispatch_id 0
		.amdhsa_user_sgpr_private_segment_size 0
		.amdhsa_wavefront_size32 1
		.amdhsa_uses_dynamic_stack 0
		.amdhsa_enable_private_segment 0
		.amdhsa_system_sgpr_workgroup_id_x 1
		.amdhsa_system_sgpr_workgroup_id_y 0
		.amdhsa_system_sgpr_workgroup_id_z 1
		.amdhsa_system_sgpr_workgroup_info 0
		.amdhsa_system_vgpr_workitem_id 1
		.amdhsa_next_free_vgpr 41
		.amdhsa_next_free_sgpr 28
		.amdhsa_reserve_vcc 1
		.amdhsa_float_round_mode_32 0
		.amdhsa_float_round_mode_16_64 0
		.amdhsa_float_denorm_mode_32 3
		.amdhsa_float_denorm_mode_16_64 3
		.amdhsa_dx10_clamp 1
		.amdhsa_ieee_mode 1
		.amdhsa_fp16_overflow 0
		.amdhsa_workgroup_processor_mode 1
		.amdhsa_memory_ordered 1
		.amdhsa_forward_progress 0
		.amdhsa_shared_vgpr_count 0
		.amdhsa_exception_fp_ieee_invalid_op 0
		.amdhsa_exception_fp_denorm_src 0
		.amdhsa_exception_fp_ieee_div_zero 0
		.amdhsa_exception_fp_ieee_overflow 0
		.amdhsa_exception_fp_ieee_underflow 0
		.amdhsa_exception_fp_ieee_inexact 0
		.amdhsa_exception_int_div_zero 0
	.end_amdhsa_kernel
	.section	.text._ZL20rocblas_gemvn_kernelILi64ELi4Ei16rocblas_bfloat16PKffEviiT3_lPKT2_lT1_lS6_lS7_lS3_lPT4_lS7_li,"axG",@progbits,_ZL20rocblas_gemvn_kernelILi64ELi4Ei16rocblas_bfloat16PKffEviiT3_lPKT2_lT1_lS6_lS7_lS3_lPT4_lS7_li,comdat
.Lfunc_end630:
	.size	_ZL20rocblas_gemvn_kernelILi64ELi4Ei16rocblas_bfloat16PKffEviiT3_lPKT2_lT1_lS6_lS7_lS3_lPT4_lS7_li, .Lfunc_end630-_ZL20rocblas_gemvn_kernelILi64ELi4Ei16rocblas_bfloat16PKffEviiT3_lPKT2_lT1_lS6_lS7_lS3_lPT4_lS7_li
                                        ; -- End function
	.section	.AMDGPU.csdata,"",@progbits
; Kernel info:
; codeLenInByte = 3100
; NumSgprs: 30
; NumVgprs: 41
; ScratchSize: 0
; MemoryBound: 0
; FloatMode: 240
; IeeeMode: 1
; LDSByteSize: 4096 bytes/workgroup (compile time only)
; SGPRBlocks: 3
; VGPRBlocks: 5
; NumSGPRsForWavesPerEU: 30
; NumVGPRsForWavesPerEU: 41
; Occupancy: 16
; WaveLimiterHint : 1
; COMPUTE_PGM_RSRC2:SCRATCH_EN: 0
; COMPUTE_PGM_RSRC2:USER_SGPR: 14
; COMPUTE_PGM_RSRC2:TRAP_HANDLER: 0
; COMPUTE_PGM_RSRC2:TGID_X_EN: 1
; COMPUTE_PGM_RSRC2:TGID_Y_EN: 0
; COMPUTE_PGM_RSRC2:TGID_Z_EN: 1
; COMPUTE_PGM_RSRC2:TIDIG_COMP_CNT: 1
	.section	.text._ZL20rocblas_gemvn_kernelILi64ELi4El16rocblas_bfloat16PKffEviiT3_lPKT2_lT1_lS6_lS7_lS3_lPT4_lS7_li,"axG",@progbits,_ZL20rocblas_gemvn_kernelILi64ELi4El16rocblas_bfloat16PKffEviiT3_lPKT2_lT1_lS6_lS7_lS3_lPT4_lS7_li,comdat
	.globl	_ZL20rocblas_gemvn_kernelILi64ELi4El16rocblas_bfloat16PKffEviiT3_lPKT2_lT1_lS6_lS7_lS3_lPT4_lS7_li ; -- Begin function _ZL20rocblas_gemvn_kernelILi64ELi4El16rocblas_bfloat16PKffEviiT3_lPKT2_lT1_lS6_lS7_lS3_lPT4_lS7_li
	.p2align	8
	.type	_ZL20rocblas_gemvn_kernelILi64ELi4El16rocblas_bfloat16PKffEviiT3_lPKT2_lT1_lS6_lS7_lS3_lPT4_lS7_li,@function
_ZL20rocblas_gemvn_kernelILi64ELi4El16rocblas_bfloat16PKffEviiT3_lPKT2_lT1_lS6_lS7_lS3_lPT4_lS7_li: ; @_ZL20rocblas_gemvn_kernelILi64ELi4El16rocblas_bfloat16PKffEviiT3_lPKT2_lT1_lS6_lS7_lS3_lPT4_lS7_li
; %bb.0:
	s_load_b64 s[2:3], s[0:1], 0x9c
	s_waitcnt lgkmcnt(0)
	s_lshr_b32 s4, s2, 16
	s_and_b32 s2, s2, 0xffff
	s_and_b32 s3, s3, 0xffff
	s_mul_i32 s2, s4, s2
	s_delay_alu instid0(SALU_CYCLE_1) | instskip(NEXT) | instid1(SALU_CYCLE_1)
	s_mul_i32 s2, s2, s3
	s_cmpk_lg_i32 s2, 0x100
	s_cbranch_scc1 .LBB631_50
; %bb.1:
	s_clause 0x1
	s_load_b512 s[36:51], s[0:1], 0x8
	s_load_b512 s[16:31], s[0:1], 0x48
	s_waitcnt lgkmcnt(0)
	s_mul_i32 s3, s15, s39
	s_mul_hi_u32 s4, s15, s38
	s_mul_i32 s2, s15, s38
	s_add_i32 s3, s4, s3
	s_mul_i32 s4, s15, s23
	s_lshl_b64 s[2:3], s[2:3], 2
	s_mul_hi_u32 s5, s15, s22
	s_add_u32 s2, s36, s2
	s_addc_u32 s3, s37, s3
	s_add_i32 s5, s5, s4
	s_mul_i32 s4, s15, s22
	s_mov_b32 s23, 0
	s_lshl_b64 s[4:5], s[4:5], 2
	s_delay_alu instid0(SALU_CYCLE_1)
	s_add_u32 s4, s20, s4
	s_addc_u32 s5, s21, s5
	s_load_b32 s22, s[2:3], 0x0
	s_load_b32 s21, s[4:5], 0x0
	s_waitcnt lgkmcnt(0)
	v_cmp_eq_f32_e64 s2, s22, 0
	v_cmp_eq_f32_e64 s3, s21, 1.0
	s_delay_alu instid0(VALU_DEP_1) | instskip(NEXT) | instid1(SALU_CYCLE_1)
	s_and_b32 s2, s2, s3
	s_and_b32 vcc_lo, exec_lo, s2
	s_cbranch_vccnz .LBB631_50
; %bb.2:
	s_load_b64 s[6:7], s[0:1], 0x0
	v_and_b32_e32 v12, 0x3ff, v0
	v_bfe_u32 v13, v0, 10, 10
	s_mul_i32 s2, s15, s31
	s_mul_hi_u32 s3, s15, s30
	s_mul_i32 s0, s15, s30
	s_add_i32 s1, s3, s2
	v_lshl_add_u32 v11, v13, 6, v12
	s_lshl_b64 s[0:1], s[0:1], 2
	v_cmp_neq_f32_e64 s4, s22, 0
	s_add_u32 s2, s24, s0
	s_addc_u32 s3, s25, s1
	s_lshl_b64 s[0:1], s[26:27], 2
	s_delay_alu instid0(SALU_CYCLE_1)
	s_add_u32 s5, s2, s0
	v_cmp_gt_u32_e64 s0, 0x100, v11
	s_addc_u32 s20, s3, s1
	s_and_b32 vcc_lo, exec_lo, s4
	s_cbranch_vccnz .LBB631_9
; %bb.3:
	s_mov_b32 s1, 0
                                        ; implicit-def: $vgpr1
                                        ; implicit-def: $vgpr2_vgpr3
	s_and_saveexec_b32 s2, s0
	s_cbranch_execz .LBB631_10
; %bb.4:
	v_lshl_or_b32 v0, s14, 8, v11
	v_mov_b32_e32 v1, 0
	s_waitcnt lgkmcnt(0)
	s_ashr_i32 s9, s6, 31
	s_mov_b32 s8, s6
	s_mov_b32 s3, 0
	s_mov_b32 s0, exec_lo
                                        ; implicit-def: $vgpr2_vgpr3
	v_cmpx_gt_i64_e64 s[8:9], v[0:1]
	s_cbranch_execz .LBB631_8
; %bb.5:
	v_mad_u64_u32 v[2:3], null, v0, s28, 0
	v_cmp_eq_f32_e64 s3, s21, 0
	s_delay_alu instid0(VALU_DEP_1) | instskip(NEXT) | instid1(VALU_DEP_2)
	s_and_b32 vcc_lo, exec_lo, s3
	v_mad_u64_u32 v[4:5], null, v0, s29, v[3:4]
	s_delay_alu instid0(VALU_DEP_1)
	v_mov_b32_e32 v3, v4
	s_cbranch_vccnz .LBB631_7
; %bb.6:
	s_delay_alu instid0(VALU_DEP_1) | instskip(NEXT) | instid1(VALU_DEP_1)
	v_lshlrev_b64 v[0:1], 2, v[2:3]
	v_add_co_u32 v0, vcc_lo, s5, v0
	s_delay_alu instid0(VALU_DEP_2)
	v_add_co_ci_u32_e32 v1, vcc_lo, s20, v1, vcc_lo
	global_load_b32 v0, v[0:1], off
	s_waitcnt vmcnt(0)
	v_mul_f32_e32 v1, s21, v0
.LBB631_7:
	s_mov_b32 s3, exec_lo
.LBB631_8:
	s_or_b32 exec_lo, exec_lo, s0
	s_delay_alu instid0(SALU_CYCLE_1) | instskip(SKIP_1) | instid1(SALU_CYCLE_1)
	s_and_b32 s23, s3, exec_lo
	s_or_b32 exec_lo, exec_lo, s2
	s_and_b32 vcc_lo, exec_lo, s1
	s_cbranch_vccnz .LBB631_11
	s_branch .LBB631_48
.LBB631_9:
                                        ; implicit-def: $vgpr1
                                        ; implicit-def: $vgpr2_vgpr3
	s_cbranch_execnz .LBB631_11
	s_branch .LBB631_48
.LBB631_10:
	s_or_b32 exec_lo, exec_lo, s2
	s_delay_alu instid0(SALU_CYCLE_1)
	s_and_b32 vcc_lo, exec_lo, s1
	s_cbranch_vccz .LBB631_48
.LBB631_11:
	s_mul_i32 s0, s15, s47
	s_mul_hi_u32 s1, s15, s46
	s_lshl_b32 s24, s14, 8
	s_add_i32 s9, s1, s0
	s_waitcnt lgkmcnt(0)
	s_ashr_i32 s1, s7, 31
	v_dual_mov_b32 v15, 0 :: v_dual_lshlrev_b32 v18, 2, v13
	s_lshr_b32 s1, s1, 28
	v_dual_mov_b32 v17, 0 :: v_dual_add_nc_u32 v0, s24, v12
	v_mov_b32_e32 v14, 0
	v_mov_b32_e32 v16, 0
	s_mul_i32 s0, s15, s19
	s_mul_hi_u32 s2, s15, s18
	s_add_i32 s1, s7, s1
	s_mul_i32 s8, s15, s46
	s_and_b32 s25, s1, -16
	s_add_i32 s11, s2, s0
	s_mul_i32 s10, s15, s18
	s_mov_b32 s26, exec_lo
	v_cmpx_gt_i32_e64 s25, v18
	s_cbranch_execz .LBB631_23
; %bb.12:
	v_lshlrev_b32_e32 v29, 2, v13
	v_mad_u64_u32 v[2:3], null, s16, v13, 0
	v_add_nc_u32_e32 v15, 0x80, v0
	s_lshl_b64 s[0:1], s[10:11], 1
	s_delay_alu instid0(VALU_DEP_3)
	v_or_b32_e32 v16, 3, v29
	s_lshl_b64 s[12:13], s[50:51], 1
	s_add_u32 s4, s48, s0
	s_addc_u32 s27, s49, s1
	v_cmp_gt_i32_e64 s1, s6, v15
	v_mad_u64_u32 v[4:5], null, s44, v16, 0
	s_lshl_b64 s[18:19], s[42:43], 1
	s_lshl_b64 s[14:15], s[16:17], 5
	;; [unrolled: 1-line block ×3, first 2 shown]
	v_ashrrev_i32_e32 v1, 31, v0
	v_cmp_gt_i32_e32 vcc_lo, s6, v0
	s_delay_alu instid0(VALU_DEP_3) | instskip(SKIP_2) | instid1(VALU_DEP_3)
	v_mad_u64_u32 v[6:7], null, s17, v13, v[3:4]
	v_add_nc_u32_e32 v14, 64, v0
	v_mad_u64_u32 v[7:8], null, s16, v16, 0
	v_mov_b32_e32 v3, v6
	v_mad_u64_u32 v[9:10], null, s45, v16, v[5:6]
	s_delay_alu instid0(VALU_DEP_4) | instskip(NEXT) | instid1(VALU_DEP_3)
	v_cmp_gt_i32_e64 s0, s6, v14
	v_lshlrev_b64 v[14:15], 3, v[2:3]
	v_mov_b32_e32 v3, v8
	v_lshlrev_b64 v[1:2], 1, v[0:1]
	v_mov_b32_e32 v5, v9
	v_mad_u64_u32 v[9:10], null, s44, v13, 0
	v_add_co_u32 v19, s3, s4, v14
	s_delay_alu instid0(VALU_DEP_3) | instskip(SKIP_4) | instid1(VALU_DEP_2)
	v_lshlrev_b64 v[4:5], 1, v[4:5]
	v_add_co_ci_u32_e64 v20, s3, s27, v15, s3
	s_add_u32 s3, s40, s18
	s_addc_u32 s18, s41, s19
	s_add_u32 s19, s3, s30
	v_mad_u64_u32 v[14:15], null, s17, v16, v[3:4]
	v_mov_b32_e32 v3, v10
	s_addc_u32 s18, s18, s31
	v_add_co_u32 v21, s3, s19, v4
	s_delay_alu instid0(VALU_DEP_1) | instskip(NEXT) | instid1(VALU_DEP_4)
	v_add_co_ci_u32_e64 v22, s3, s18, v5, s3
	v_mov_b32_e32 v8, v14
	v_or_b32_e32 v23, 2, v29
	v_mad_u64_u32 v[31:32], null, s44, v29, s[44:45]
	s_delay_alu instid0(VALU_DEP_2) | instskip(SKIP_1) | instid1(VALU_DEP_2)
	v_mad_u64_u32 v[27:28], null, s16, v23, 0
	v_mad_u64_u32 v[14:15], null, s44, v23, 0
	v_dual_mov_b32 v6, v28 :: v_dual_add_nc_u32 v17, 0xc0, v0
	s_delay_alu instid0(VALU_DEP_1) | instskip(SKIP_3) | instid1(VALU_DEP_1)
	v_cmp_gt_i32_e64 s2, s6, v17
	v_mad_u64_u32 v[16:17], null, s45, v13, v[3:4]
	v_lshlrev_b64 v[4:5], 1, v[7:8]
	v_mov_b32_e32 v3, v15
	v_mad_u64_u32 v[7:8], null, s45, v23, v[3:4]
	s_delay_alu instid0(VALU_DEP_4) | instskip(SKIP_1) | instid1(VALU_DEP_3)
	v_mov_b32_e32 v10, v16
	v_mad_u64_u32 v[16:17], null, s16, v29, s[16:17]
	v_mad_u64_u32 v[25:26], null, s17, v23, v[6:7]
	v_add_co_u32 v23, s3, s4, v4
	s_delay_alu instid0(VALU_DEP_1) | instskip(SKIP_3) | instid1(VALU_DEP_3)
	v_add_co_ci_u32_e64 v24, s3, s27, v5, s3
	v_lshlrev_b64 v[4:5], 3, v[9:10]
	v_mov_b32_e32 v3, v17
	v_dual_mov_b32 v15, v7 :: v_dual_mov_b32 v28, v25
	v_add_co_u32 v25, s3, s19, v4
	s_delay_alu instid0(VALU_DEP_3) | instskip(SKIP_1) | instid1(VALU_DEP_4)
	v_mad_u64_u32 v[6:7], null, s17, v29, v[3:4]
	v_add_co_ci_u32_e64 v26, s3, s18, v5, s3
	v_lshlrev_b64 v[4:5], 1, v[14:15]
	v_dual_mov_b32 v3, v32 :: v_dual_mov_b32 v14, 0
	v_mov_b32_e32 v15, 0
	v_mov_b32_e32 v17, v6
	s_delay_alu instid0(VALU_DEP_3) | instskip(SKIP_2) | instid1(VALU_DEP_4)
	v_mad_u64_u32 v[7:8], null, s45, v29, v[3:4]
	v_lshlrev_b64 v[8:9], 1, v[27:28]
	v_add_co_u32 v27, s3, s19, v4
	v_lshlrev_b64 v[3:4], 1, v[16:17]
	v_mov_b32_e32 v16, 0
	v_add_co_ci_u32_e64 v28, s3, s18, v5, s3
	v_mov_b32_e32 v32, v7
	v_add_co_u32 v29, s3, s4, v8
	s_delay_alu instid0(VALU_DEP_1) | instskip(NEXT) | instid1(VALU_DEP_3)
	v_add_co_ci_u32_e64 v30, s3, s27, v9, s3
	v_lshlrev_b64 v[5:6], 1, v[31:32]
	v_add_co_u32 v31, s3, s4, v3
	s_delay_alu instid0(VALU_DEP_1) | instskip(SKIP_1) | instid1(VALU_DEP_4)
	v_add_co_ci_u32_e64 v32, s3, s27, v4, s3
	v_mov_b32_e32 v17, 0
	v_add_co_u32 v33, s3, s19, v5
	s_delay_alu instid0(VALU_DEP_1)
	v_add_co_ci_u32_e64 v34, s3, s18, v6, s3
	s_lshl_b64 s[18:19], s[44:45], 5
	s_mov_b32 s27, 0
	s_branch .LBB631_17
.LBB631_13:                             ;   in Loop: Header=BB631_17 Depth=1
	s_or_b32 exec_lo, exec_lo, s31
	s_waitcnt vmcnt(2)
	v_lshlrev_b32_e32 v4, 16, v49
	v_lshlrev_b32_e32 v3, 16, v50
	s_waitcnt vmcnt(1)
	s_delay_alu instid0(VALU_DEP_1) | instskip(NEXT) | instid1(VALU_DEP_1)
	v_dual_fmac_f32 v16, v42, v3 :: v_dual_lshlrev_b32 v3, 16, v48
	v_fmac_f32_e32 v16, v40, v4
	s_delay_alu instid0(VALU_DEP_1) | instskip(SKIP_2) | instid1(VALU_DEP_1)
	v_fmac_f32_e32 v16, v38, v3
	s_waitcnt vmcnt(0)
	v_lshlrev_b32_e32 v3, 16, v47
	v_fmac_f32_e32 v16, v37, v3
.LBB631_14:                             ;   in Loop: Header=BB631_17 Depth=1
	s_or_b32 exec_lo, exec_lo, s30
	s_waitcnt vmcnt(3)
	v_lshlrev_b32_e32 v3, 16, v46
	s_waitcnt vmcnt(2)
	s_delay_alu instid0(VALU_DEP_1) | instskip(SKIP_2) | instid1(VALU_DEP_2)
	v_dual_fmac_f32 v15, v42, v3 :: v_dual_lshlrev_b32 v4, 16, v45
	s_waitcnt vmcnt(1)
	v_lshlrev_b32_e32 v3, 16, v44
	v_fmac_f32_e32 v15, v40, v4
	s_delay_alu instid0(VALU_DEP_1) | instskip(SKIP_2) | instid1(VALU_DEP_1)
	v_fmac_f32_e32 v15, v38, v3
	s_waitcnt vmcnt(0)
	v_lshlrev_b32_e32 v3, 16, v43
	v_fmac_f32_e32 v15, v37, v3
.LBB631_15:                             ;   in Loop: Header=BB631_17 Depth=1
	s_or_b32 exec_lo, exec_lo, s3
	s_waitcnt vmcnt(2)
	v_lshlrev_b32_e32 v4, 16, v39
	v_lshlrev_b32_e32 v3, 16, v41
	s_waitcnt vmcnt(1)
	s_delay_alu instid0(VALU_DEP_1) | instskip(NEXT) | instid1(VALU_DEP_1)
	v_dual_fmac_f32 v14, v42, v3 :: v_dual_lshlrev_b32 v3, 16, v36
	v_fmac_f32_e32 v14, v40, v4
	s_delay_alu instid0(VALU_DEP_1) | instskip(SKIP_2) | instid1(VALU_DEP_1)
	v_fmac_f32_e32 v14, v38, v3
	s_waitcnt vmcnt(0)
	v_lshlrev_b32_e32 v3, 16, v35
	v_fmac_f32_e32 v14, v37, v3
.LBB631_16:                             ;   in Loop: Header=BB631_17 Depth=1
	s_or_b32 exec_lo, exec_lo, s4
	v_add_co_u32 v19, s3, v19, s14
	s_delay_alu instid0(VALU_DEP_1) | instskip(SKIP_1) | instid1(VALU_DEP_1)
	v_add_co_ci_u32_e64 v20, s3, s15, v20, s3
	v_add_co_u32 v21, s3, v21, s18
	v_add_co_ci_u32_e64 v22, s3, s19, v22, s3
	v_add_co_u32 v23, s3, v23, s14
	s_delay_alu instid0(VALU_DEP_1) | instskip(SKIP_1) | instid1(VALU_DEP_1)
	v_add_co_ci_u32_e64 v24, s3, s15, v24, s3
	v_add_co_u32 v25, s3, v25, s18
	v_add_co_ci_u32_e64 v26, s3, s19, v26, s3
	v_add_co_u32 v27, s3, v27, s18
	s_delay_alu instid0(VALU_DEP_1) | instskip(SKIP_4) | instid1(VALU_DEP_1)
	v_add_co_ci_u32_e64 v28, s3, s19, v28, s3
	v_add_co_u32 v29, s3, v29, s14
	v_add_nc_u32_e32 v18, 16, v18
	v_add_co_ci_u32_e64 v30, s3, s15, v30, s3
	v_add_co_u32 v31, s3, v31, s14
	v_add_co_ci_u32_e64 v32, s3, s15, v32, s3
	s_delay_alu instid0(VALU_DEP_4) | instskip(SKIP_1) | instid1(VALU_DEP_1)
	v_cmp_le_i32_e64 s3, s25, v18
	v_add_co_u32 v33, s4, v33, s18
	v_add_co_ci_u32_e64 v34, s4, s19, v34, s4
	s_delay_alu instid0(VALU_DEP_3) | instskip(NEXT) | instid1(SALU_CYCLE_1)
	s_or_b32 s27, s3, s27
	s_and_not1_b32 exec_lo, exec_lo, s27
	s_cbranch_execz .LBB631_22
.LBB631_17:                             ; =>This Inner Loop Header: Depth=1
	s_and_saveexec_b32 s4, vcc_lo
	s_cbranch_execz .LBB631_16
; %bb.18:                               ;   in Loop: Header=BB631_17 Depth=1
	v_add_co_u32 v3, s3, v19, s12
	s_delay_alu instid0(VALU_DEP_1) | instskip(SKIP_1) | instid1(VALU_DEP_1)
	v_add_co_ci_u32_e64 v4, s3, s13, v20, s3
	v_add_co_u32 v5, s3, v31, s12
	v_add_co_ci_u32_e64 v6, s3, s13, v32, s3
	v_add_co_u32 v7, s3, v29, s12
	s_delay_alu instid0(VALU_DEP_1) | instskip(SKIP_1) | instid1(VALU_DEP_1)
	v_add_co_ci_u32_e64 v8, s3, s13, v30, s3
	v_add_co_u32 v9, s3, v23, s12
	v_add_co_ci_u32_e64 v10, s3, s13, v24, s3
	global_load_u16 v37, v[3:4], off
	global_load_u16 v38, v[5:6], off
	;; [unrolled: 1-line block ×4, first 2 shown]
	v_add_co_u32 v3, s3, v25, v1
	s_delay_alu instid0(VALU_DEP_1) | instskip(SKIP_1) | instid1(VALU_DEP_1)
	v_add_co_ci_u32_e64 v4, s3, v26, v2, s3
	v_add_co_u32 v5, s3, v33, v1
	v_add_co_ci_u32_e64 v6, s3, v34, v2, s3
	v_add_co_u32 v7, s3, v27, v1
	s_delay_alu instid0(VALU_DEP_1) | instskip(SKIP_1) | instid1(VALU_DEP_1)
	v_add_co_ci_u32_e64 v8, s3, v28, v2, s3
	v_add_co_u32 v9, s3, v21, v1
	v_add_co_ci_u32_e64 v10, s3, v22, v2, s3
	global_load_u16 v41, v[3:4], off
	global_load_u16 v39, v[5:6], off
	;; [unrolled: 1-line block ×4, first 2 shown]
	s_waitcnt vmcnt(7)
	v_lshlrev_b32_e32 v42, 16, v37
	s_waitcnt vmcnt(6)
	v_lshlrev_b32_e32 v40, 16, v38
	;; [unrolled: 2-line block ×4, first 2 shown]
	s_and_saveexec_b32 s3, s0
	s_cbranch_execz .LBB631_15
; %bb.19:                               ;   in Loop: Header=BB631_17 Depth=1
	global_load_u16 v46, v[3:4], off offset:128
	global_load_u16 v45, v[5:6], off offset:128
	global_load_u16 v44, v[7:8], off offset:128
	global_load_u16 v43, v[9:10], off offset:128
	s_and_saveexec_b32 s30, s1
	s_cbranch_execz .LBB631_14
; %bb.20:                               ;   in Loop: Header=BB631_17 Depth=1
	global_load_u16 v50, v[3:4], off offset:256
	global_load_u16 v49, v[5:6], off offset:256
	global_load_u16 v48, v[7:8], off offset:256
	global_load_u16 v47, v[9:10], off offset:256
	;; [unrolled: 7-line block ×3, first 2 shown]
	s_waitcnt vmcnt(3)
	v_lshlrev_b32_e32 v3, 16, v3
	s_waitcnt vmcnt(2)
	s_delay_alu instid0(VALU_DEP_1) | instskip(SKIP_2) | instid1(VALU_DEP_2)
	v_dual_fmac_f32 v17, v42, v3 :: v_dual_lshlrev_b32 v4, 16, v4
	s_waitcnt vmcnt(1)
	v_lshlrev_b32_e32 v3, 16, v5
	v_fmac_f32_e32 v17, v40, v4
	s_delay_alu instid0(VALU_DEP_1) | instskip(SKIP_2) | instid1(VALU_DEP_1)
	v_fmac_f32_e32 v17, v38, v3
	s_waitcnt vmcnt(0)
	v_lshlrev_b32_e32 v3, 16, v6
	v_fmac_f32_e32 v17, v37, v3
	s_branch .LBB631_13
.LBB631_22:
	s_or_b32 exec_lo, exec_lo, s27
.LBB631_23:
	s_delay_alu instid0(SALU_CYCLE_1) | instskip(SKIP_1) | instid1(SALU_CYCLE_1)
	s_or_b32 exec_lo, exec_lo, s26
	s_sub_i32 s0, s7, s25
	s_cmp_lt_i32 s0, 1
	s_cbranch_scc1 .LBB631_41
; %bb.24:
	v_cmp_gt_i32_e32 vcc_lo, s7, v18
	v_dual_mov_b32 v9, 0 :: v_dual_mov_b32 v10, 0
	v_or_b32_e32 v2, 1, v18
	v_dual_mov_b32 v19, 0 :: v_dual_mov_b32 v20, 0
	s_and_saveexec_b32 s1, vcc_lo
	s_cbranch_execz .LBB631_32
; %bb.25:
	v_mad_u64_u32 v[3:4], null, v18, s16, 0
	s_lshl_b64 s[2:3], s[10:11], 1
	v_mov_b32_e32 v19, 0
	s_add_u32 s0, s48, s2
	s_addc_u32 s2, s49, s3
	s_lshl_b64 s[10:11], s[50:51], 1
	v_mov_b32_e32 v9, 0
	s_delay_alu instid0(VALU_DEP_3) | instskip(SKIP_3) | instid1(VALU_DEP_1)
	v_dual_mov_b32 v1, v4 :: v_dual_mov_b32 v10, 0
	s_add_u32 s3, s0, s10
	s_addc_u32 s4, s2, s11
	s_mov_b32 s2, exec_lo
	v_mad_u64_u32 v[4:5], null, v18, s17, v[1:2]
	s_delay_alu instid0(VALU_DEP_1) | instskip(NEXT) | instid1(VALU_DEP_1)
	v_lshlrev_b64 v[3:4], 1, v[3:4]
	v_add_co_u32 v3, s0, s3, v3
	s_delay_alu instid0(VALU_DEP_1)
	v_add_co_ci_u32_e64 v4, s0, s4, v4, s0
	global_load_u16 v1, v[3:4], off
	v_cmpx_gt_i32_e64 s7, v2
	s_cbranch_execz .LBB631_31
; %bb.26:
	v_mad_u64_u32 v[3:4], null, v2, s16, 0
	v_mov_b32_e32 v10, 0
	s_mov_b32 s10, exec_lo
	v_mov_b32_e32 v9, 0
	s_delay_alu instid0(VALU_DEP_3) | instskip(NEXT) | instid1(VALU_DEP_1)
	v_mad_u64_u32 v[5:6], null, v2, s17, v[4:5]
	v_mov_b32_e32 v4, v5
	s_delay_alu instid0(VALU_DEP_1) | instskip(NEXT) | instid1(VALU_DEP_1)
	v_lshlrev_b64 v[3:4], 1, v[3:4]
	v_add_co_u32 v3, s0, s3, v3
	s_delay_alu instid0(VALU_DEP_1) | instskip(SKIP_2) | instid1(VALU_DEP_1)
	v_add_co_ci_u32_e64 v4, s0, s4, v4, s0
	global_load_u16 v3, v[3:4], off
	v_or_b32_e32 v4, 2, v18
	v_cmpx_gt_i32_e64 s7, v4
	s_cbranch_execz .LBB631_30
; %bb.27:
	v_mad_u64_u32 v[5:6], null, v4, s16, 0
	s_mov_b32 s11, exec_lo
	v_mov_b32_e32 v9, 0
	s_delay_alu instid0(VALU_DEP_2) | instskip(NEXT) | instid1(VALU_DEP_1)
	v_mad_u64_u32 v[7:8], null, v4, s17, v[6:7]
	v_mov_b32_e32 v6, v7
	s_delay_alu instid0(VALU_DEP_1) | instskip(NEXT) | instid1(VALU_DEP_1)
	v_lshlrev_b64 v[4:5], 1, v[5:6]
	v_add_co_u32 v4, s0, s3, v4
	s_delay_alu instid0(VALU_DEP_1) | instskip(SKIP_2) | instid1(VALU_DEP_1)
	v_add_co_ci_u32_e64 v5, s0, s4, v5, s0
	global_load_u16 v4, v[4:5], off
	v_or_b32_e32 v5, 3, v18
	v_cmpx_gt_i32_e64 s7, v5
	s_cbranch_execz .LBB631_29
; %bb.28:
	v_mad_u64_u32 v[6:7], null, v5, s16, 0
	s_delay_alu instid0(VALU_DEP_1) | instskip(NEXT) | instid1(VALU_DEP_1)
	v_mad_u64_u32 v[8:9], null, v5, s17, v[7:8]
	v_mov_b32_e32 v7, v8
	s_delay_alu instid0(VALU_DEP_1) | instskip(NEXT) | instid1(VALU_DEP_1)
	v_lshlrev_b64 v[5:6], 1, v[6:7]
	v_add_co_u32 v5, s0, s3, v5
	s_delay_alu instid0(VALU_DEP_1)
	v_add_co_ci_u32_e64 v6, s0, s4, v6, s0
	global_load_u16 v5, v[5:6], off
	s_waitcnt vmcnt(0)
	v_lshlrev_b32_e32 v9, 16, v5
.LBB631_29:
	s_or_b32 exec_lo, exec_lo, s11
	s_waitcnt vmcnt(0)
	v_lshlrev_b32_e32 v10, 16, v4
.LBB631_30:
	s_or_b32 exec_lo, exec_lo, s10
	s_waitcnt vmcnt(0)
	v_lshlrev_b32_e32 v19, 16, v3
.LBB631_31:
	s_or_b32 exec_lo, exec_lo, s2
	s_waitcnt vmcnt(0)
	v_lshlrev_b32_e32 v20, 16, v1
.LBB631_32:
	s_or_b32 exec_lo, exec_lo, s1
	s_delay_alu instid0(SALU_CYCLE_1)
	s_mov_b32 s1, exec_lo
	v_cmpx_gt_i32_e64 s6, v0
	s_cbranch_execz .LBB631_40
; %bb.33:
	v_mad_u64_u32 v[3:4], null, v18, s44, 0
	v_mad_u64_u32 v[5:6], null, v2, s44, 0
	v_ashrrev_i32_e32 v1, 31, v0
	s_lshl_b64 s[2:3], s[8:9], 1
	v_or_b32_e32 v28, 2, v18
	s_add_u32 s0, s40, s2
	s_delay_alu instid0(VALU_DEP_4)
	v_cndmask_b32_e32 v3, 0, v3, vcc_lo
	v_lshlrev_b64 v[21:22], 1, v[0:1]
	v_mad_u64_u32 v[7:8], null, v18, s45, v[4:5]
	s_addc_u32 s4, s41, s3
	s_lshl_b64 s[2:3], s[42:43], 1
	v_or_b32_e32 v18, 3, v18
	s_add_u32 s2, s0, s2
	v_mov_b32_e32 v1, v6
	v_mad_u64_u32 v[23:24], null, v28, s44, 0
	s_delay_alu instid0(VALU_DEP_4) | instskip(SKIP_1) | instid1(VALU_DEP_4)
	v_cndmask_b32_e32 v4, 0, v7, vcc_lo
	v_cmp_gt_i32_e32 vcc_lo, s7, v2
	v_mad_u64_u32 v[25:26], null, v2, s45, v[1:2]
	s_addc_u32 s3, s4, s3
	v_mad_u64_u32 v[6:7], null, v18, s44, 0
	v_cndmask_b32_e32 v26, 0, v5, vcc_lo
	v_lshlrev_b64 v[3:4], 1, v[3:4]
	s_delay_alu instid0(VALU_DEP_4) | instskip(NEXT) | instid1(VALU_DEP_2)
	v_cndmask_b32_e32 v27, 0, v25, vcc_lo
	v_add_co_u32 v1, s0, s2, v3
	s_delay_alu instid0(VALU_DEP_1) | instskip(NEXT) | instid1(VALU_DEP_3)
	v_add_co_ci_u32_e64 v2, s0, s3, v4, s0
	v_lshlrev_b64 v[3:4], 1, v[26:27]
	s_delay_alu instid0(VALU_DEP_3) | instskip(NEXT) | instid1(VALU_DEP_3)
	v_add_co_u32 v1, vcc_lo, v1, v21
	v_add_co_ci_u32_e32 v2, vcc_lo, v2, v22, vcc_lo
	v_cmp_gt_i32_e32 vcc_lo, s7, v28
	v_mov_b32_e32 v5, v24
	v_add_co_u32 v3, s0, s2, v3
	s_delay_alu instid0(VALU_DEP_1) | instskip(NEXT) | instid1(VALU_DEP_3)
	v_add_co_ci_u32_e64 v4, s0, s3, v4, s0
	v_mad_u64_u32 v[24:25], null, v28, s45, v[5:6]
	s_delay_alu instid0(VALU_DEP_3) | instskip(SKIP_1) | instid1(VALU_DEP_4)
	v_add_co_u32 v3, s0, v3, v21
	v_mov_b32_e32 v5, v7
	v_add_co_ci_u32_e64 v4, s0, v4, v22, s0
	s_delay_alu instid0(VALU_DEP_4) | instskip(NEXT) | instid1(VALU_DEP_3)
	v_dual_cndmask_b32 v7, 0, v23 :: v_dual_cndmask_b32 v8, 0, v24
	v_mad_u64_u32 v[25:26], null, v18, s45, v[5:6]
	v_cmp_gt_i32_e32 vcc_lo, s7, v18
	s_clause 0x1
	global_load_u16 v18, v[1:2], off
	global_load_u16 v23, v[3:4], off
	s_mov_b32 s0, exec_lo
	s_waitcnt vmcnt(1)
	v_lshlrev_b32_e32 v18, 16, v18
	s_waitcnt vmcnt(0)
	s_delay_alu instid0(VALU_DEP_1) | instskip(SKIP_2) | instid1(VALU_DEP_3)
	v_dual_fmac_f32 v14, v20, v18 :: v_dual_lshlrev_b32 v23, 16, v23
	v_dual_cndmask_b32 v5, 0, v6 :: v_dual_cndmask_b32 v6, 0, v25
	v_lshlrev_b64 v[7:8], 1, v[7:8]
	v_dual_fmac_f32 v14, v19, v23 :: v_dual_add_nc_u32 v23, 64, v0
	s_delay_alu instid0(VALU_DEP_3) | instskip(NEXT) | instid1(VALU_DEP_3)
	v_lshlrev_b64 v[5:6], 1, v[5:6]
	v_add_co_u32 v7, vcc_lo, s2, v7
	s_delay_alu instid0(VALU_DEP_4) | instskip(NEXT) | instid1(VALU_DEP_3)
	v_add_co_ci_u32_e32 v8, vcc_lo, s3, v8, vcc_lo
	v_add_co_u32 v5, vcc_lo, s2, v5
	s_delay_alu instid0(VALU_DEP_4) | instskip(NEXT) | instid1(VALU_DEP_4)
	v_add_co_ci_u32_e32 v6, vcc_lo, s3, v6, vcc_lo
	v_add_co_u32 v7, vcc_lo, v7, v21
	s_delay_alu instid0(VALU_DEP_4) | instskip(NEXT) | instid1(VALU_DEP_4)
	v_add_co_ci_u32_e32 v8, vcc_lo, v8, v22, vcc_lo
	v_add_co_u32 v5, vcc_lo, v5, v21
	s_delay_alu instid0(VALU_DEP_4)
	v_add_co_ci_u32_e32 v6, vcc_lo, v6, v22, vcc_lo
	s_clause 0x1
	global_load_u16 v21, v[7:8], off
	global_load_u16 v22, v[5:6], off
	s_waitcnt vmcnt(1)
	v_lshlrev_b32_e32 v21, 16, v21
	s_waitcnt vmcnt(0)
	v_lshlrev_b32_e32 v18, 16, v22
	s_delay_alu instid0(VALU_DEP_2)
	v_fmac_f32_e32 v14, v10, v21
	v_cmpx_gt_i32_e64 s6, v23
	s_cbranch_execz .LBB631_39
; %bb.34:
	s_clause 0x3
	global_load_u16 v21, v[1:2], off offset:128
	global_load_u16 v22, v[3:4], off offset:128
	;; [unrolled: 1-line block ×4, first 2 shown]
	s_mov_b32 s2, exec_lo
	s_waitcnt vmcnt(3)
	v_lshlrev_b32_e32 v21, 16, v21
	s_waitcnt vmcnt(2)
	v_lshlrev_b32_e32 v22, 16, v22
	;; [unrolled: 2-line block ×3, first 2 shown]
	v_fmac_f32_e32 v15, v20, v21
	s_waitcnt vmcnt(0)
	v_lshlrev_b32_e32 v21, 16, v24
	s_delay_alu instid0(VALU_DEP_2) | instskip(NEXT) | instid1(VALU_DEP_1)
	v_dual_fmac_f32 v15, v19, v22 :: v_dual_add_nc_u32 v22, 0x80, v0
	v_fmac_f32_e32 v15, v10, v23
	s_delay_alu instid0(VALU_DEP_2)
	v_cmpx_gt_i32_e64 s6, v22
	s_cbranch_execz .LBB631_38
; %bb.35:
	s_clause 0x3
	global_load_u16 v22, v[1:2], off offset:256
	global_load_u16 v23, v[3:4], off offset:256
	global_load_u16 v24, v[7:8], off offset:256
	global_load_u16 v25, v[5:6], off offset:256
	s_mov_b32 s3, exec_lo
	s_waitcnt vmcnt(3)
	v_lshlrev_b32_e32 v22, 16, v22
	s_waitcnt vmcnt(2)
	s_delay_alu instid0(VALU_DEP_1) | instskip(SKIP_2) | instid1(VALU_DEP_2)
	v_dual_fmac_f32 v16, v20, v22 :: v_dual_lshlrev_b32 v23, 16, v23
	s_waitcnt vmcnt(1)
	v_lshlrev_b32_e32 v22, 16, v24
	v_dual_fmac_f32 v16, v19, v23 :: v_dual_add_nc_u32 v23, 0xc0, v0
	s_waitcnt vmcnt(0)
	v_lshlrev_b32_e32 v0, 16, v25
	s_delay_alu instid0(VALU_DEP_2) | instskip(NEXT) | instid1(VALU_DEP_3)
	v_fmac_f32_e32 v16, v10, v22
	v_cmpx_gt_i32_e64 s6, v23
	s_cbranch_execz .LBB631_37
; %bb.36:
	s_clause 0x3
	global_load_u16 v1, v[1:2], off offset:384
	global_load_u16 v2, v[3:4], off offset:384
	;; [unrolled: 1-line block ×4, first 2 shown]
	s_waitcnt vmcnt(3)
	v_lshlrev_b32_e32 v1, 16, v1
	s_waitcnt vmcnt(2)
	s_delay_alu instid0(VALU_DEP_1) | instskip(SKIP_2) | instid1(VALU_DEP_2)
	v_dual_fmac_f32 v17, v20, v1 :: v_dual_lshlrev_b32 v2, 16, v2
	s_waitcnt vmcnt(1)
	v_lshlrev_b32_e32 v1, 16, v3
	v_fmac_f32_e32 v17, v19, v2
	s_delay_alu instid0(VALU_DEP_1) | instskip(SKIP_2) | instid1(VALU_DEP_1)
	v_fmac_f32_e32 v17, v10, v1
	s_waitcnt vmcnt(0)
	v_lshlrev_b32_e32 v1, 16, v4
	v_fmac_f32_e32 v17, v9, v1
.LBB631_37:
	s_or_b32 exec_lo, exec_lo, s3
	s_delay_alu instid0(VALU_DEP_2)
	v_fmac_f32_e32 v16, v9, v0
.LBB631_38:
	s_or_b32 exec_lo, exec_lo, s2
	s_delay_alu instid0(VALU_DEP_2)
	v_fmac_f32_e32 v15, v9, v21
.LBB631_39:
	s_or_b32 exec_lo, exec_lo, s0
	s_delay_alu instid0(VALU_DEP_2)
	v_fmac_f32_e32 v14, v9, v18
.LBB631_40:
	s_or_b32 exec_lo, exec_lo, s1
.LBB631_41:
	v_lshlrev_b32_e32 v0, 8, v13
	s_mov_b32 s0, exec_lo
                                        ; implicit-def: $vgpr1
                                        ; implicit-def: $vgpr2_vgpr3
	s_delay_alu instid0(VALU_DEP_1)
	v_add_lshl_u32 v0, v0, v12, 2
	ds_store_2addr_stride64_b32 v0, v14, v15 offset1:1
	ds_store_2addr_stride64_b32 v0, v16, v17 offset0:2 offset1:3
	s_waitcnt lgkmcnt(0)
	s_barrier
	buffer_gl0_inv
	v_cmpx_gt_u32_e32 0x100, v11
	s_cbranch_execz .LBB631_47
; %bb.42:
	v_lshlrev_b32_e32 v5, 2, v11
	v_or_b32_e32 v4, s24, v11
	s_mov_b32 s2, s23
	s_mov_b32 s1, exec_lo
	ds_load_2addr_stride64_b32 v[0:1], v5 offset1:4
	ds_load_2addr_stride64_b32 v[2:3], v5 offset0:8 offset1:12
	s_waitcnt lgkmcnt(1)
	v_add_f32_e32 v0, v0, v1
                                        ; implicit-def: $vgpr1
	s_waitcnt lgkmcnt(0)
	s_delay_alu instid0(VALU_DEP_1) | instskip(NEXT) | instid1(VALU_DEP_1)
	v_add_f32_e32 v0, v2, v0
	v_add_f32_e32 v0, v3, v0
                                        ; implicit-def: $vgpr2_vgpr3
	ds_store_b32 v5, v0
	v_cmpx_gt_i32_e64 s6, v4
	s_cbranch_execz .LBB631_46
; %bb.43:
	v_ashrrev_i32_e32 v1, 31, v4
	v_mul_lo_u32 v5, v4, s29
	v_mad_u64_u32 v[2:3], null, v4, s28, 0
	v_cmp_eq_f32_e64 s2, s21, 0
	s_delay_alu instid0(VALU_DEP_4) | instskip(SKIP_1) | instid1(VALU_DEP_3)
	v_mul_lo_u32 v4, v1, s28
	v_mul_f32_e32 v1, s22, v0
	s_and_b32 vcc_lo, exec_lo, s2
	s_delay_alu instid0(VALU_DEP_2)
	v_add3_u32 v3, v3, v5, v4
	s_cbranch_vccnz .LBB631_45
; %bb.44:
	s_delay_alu instid0(VALU_DEP_1) | instskip(NEXT) | instid1(VALU_DEP_1)
	v_lshlrev_b64 v[4:5], 2, v[2:3]
	v_add_co_u32 v4, vcc_lo, s5, v4
	s_delay_alu instid0(VALU_DEP_2)
	v_add_co_ci_u32_e32 v5, vcc_lo, s20, v5, vcc_lo
	global_load_b32 v0, v[4:5], off
	s_waitcnt vmcnt(0)
	v_fmac_f32_e32 v1, s21, v0
.LBB631_45:
	s_or_b32 s2, s23, exec_lo
.LBB631_46:
	s_or_b32 exec_lo, exec_lo, s1
	s_delay_alu instid0(SALU_CYCLE_1) | instskip(SKIP_1) | instid1(SALU_CYCLE_1)
	s_and_not1_b32 s1, s23, exec_lo
	s_and_b32 s2, s2, exec_lo
	s_or_b32 s23, s1, s2
.LBB631_47:
	s_or_b32 exec_lo, exec_lo, s0
.LBB631_48:
	s_and_saveexec_b32 s0, s23
	s_cbranch_execz .LBB631_50
; %bb.49:
	v_lshlrev_b64 v[2:3], 2, v[2:3]
	s_delay_alu instid0(VALU_DEP_1) | instskip(NEXT) | instid1(VALU_DEP_2)
	v_add_co_u32 v2, vcc_lo, s5, v2
	v_add_co_ci_u32_e32 v3, vcc_lo, s20, v3, vcc_lo
	global_store_b32 v[2:3], v1, off
.LBB631_50:
	s_nop 0
	s_sendmsg sendmsg(MSG_DEALLOC_VGPRS)
	s_endpgm
	.section	.rodata,"a",@progbits
	.p2align	6, 0x0
	.amdhsa_kernel _ZL20rocblas_gemvn_kernelILi64ELi4El16rocblas_bfloat16PKffEviiT3_lPKT2_lT1_lS6_lS7_lS3_lPT4_lS7_li
		.amdhsa_group_segment_fixed_size 4096
		.amdhsa_private_segment_fixed_size 0
		.amdhsa_kernarg_size 400
		.amdhsa_user_sgpr_count 14
		.amdhsa_user_sgpr_dispatch_ptr 0
		.amdhsa_user_sgpr_queue_ptr 0
		.amdhsa_user_sgpr_kernarg_segment_ptr 1
		.amdhsa_user_sgpr_dispatch_id 0
		.amdhsa_user_sgpr_private_segment_size 0
		.amdhsa_wavefront_size32 1
		.amdhsa_uses_dynamic_stack 0
		.amdhsa_enable_private_segment 0
		.amdhsa_system_sgpr_workgroup_id_x 1
		.amdhsa_system_sgpr_workgroup_id_y 0
		.amdhsa_system_sgpr_workgroup_id_z 1
		.amdhsa_system_sgpr_workgroup_info 0
		.amdhsa_system_vgpr_workitem_id 1
		.amdhsa_next_free_vgpr 51
		.amdhsa_next_free_sgpr 52
		.amdhsa_reserve_vcc 1
		.amdhsa_float_round_mode_32 0
		.amdhsa_float_round_mode_16_64 0
		.amdhsa_float_denorm_mode_32 3
		.amdhsa_float_denorm_mode_16_64 3
		.amdhsa_dx10_clamp 1
		.amdhsa_ieee_mode 1
		.amdhsa_fp16_overflow 0
		.amdhsa_workgroup_processor_mode 1
		.amdhsa_memory_ordered 1
		.amdhsa_forward_progress 0
		.amdhsa_shared_vgpr_count 0
		.amdhsa_exception_fp_ieee_invalid_op 0
		.amdhsa_exception_fp_denorm_src 0
		.amdhsa_exception_fp_ieee_div_zero 0
		.amdhsa_exception_fp_ieee_overflow 0
		.amdhsa_exception_fp_ieee_underflow 0
		.amdhsa_exception_fp_ieee_inexact 0
		.amdhsa_exception_int_div_zero 0
	.end_amdhsa_kernel
	.section	.text._ZL20rocblas_gemvn_kernelILi64ELi4El16rocblas_bfloat16PKffEviiT3_lPKT2_lT1_lS6_lS7_lS3_lPT4_lS7_li,"axG",@progbits,_ZL20rocblas_gemvn_kernelILi64ELi4El16rocblas_bfloat16PKffEviiT3_lPKT2_lT1_lS6_lS7_lS3_lPT4_lS7_li,comdat
.Lfunc_end631:
	.size	_ZL20rocblas_gemvn_kernelILi64ELi4El16rocblas_bfloat16PKffEviiT3_lPKT2_lT1_lS6_lS7_lS3_lPT4_lS7_li, .Lfunc_end631-_ZL20rocblas_gemvn_kernelILi64ELi4El16rocblas_bfloat16PKffEviiT3_lPKT2_lT1_lS6_lS7_lS3_lPT4_lS7_li
                                        ; -- End function
	.section	.AMDGPU.csdata,"",@progbits
; Kernel info:
; codeLenInByte = 3580
; NumSgprs: 54
; NumVgprs: 51
; ScratchSize: 0
; MemoryBound: 0
; FloatMode: 240
; IeeeMode: 1
; LDSByteSize: 4096 bytes/workgroup (compile time only)
; SGPRBlocks: 6
; VGPRBlocks: 6
; NumSGPRsForWavesPerEU: 54
; NumVGPRsForWavesPerEU: 51
; Occupancy: 16
; WaveLimiterHint : 0
; COMPUTE_PGM_RSRC2:SCRATCH_EN: 0
; COMPUTE_PGM_RSRC2:USER_SGPR: 14
; COMPUTE_PGM_RSRC2:TRAP_HANDLER: 0
; COMPUTE_PGM_RSRC2:TGID_X_EN: 1
; COMPUTE_PGM_RSRC2:TGID_Y_EN: 0
; COMPUTE_PGM_RSRC2:TGID_Z_EN: 1
; COMPUTE_PGM_RSRC2:TIDIG_COMP_CNT: 1
	.section	.text._ZL20rocblas_gemvn_kernelILi64ELi4Ei16rocblas_bfloat16ffEviiT3_lPKT2_lT1_lS4_lS5_lS1_lPT4_lS5_li,"axG",@progbits,_ZL20rocblas_gemvn_kernelILi64ELi4Ei16rocblas_bfloat16ffEviiT3_lPKT2_lT1_lS4_lS5_lS1_lPT4_lS5_li,comdat
	.globl	_ZL20rocblas_gemvn_kernelILi64ELi4Ei16rocblas_bfloat16ffEviiT3_lPKT2_lT1_lS4_lS5_lS1_lPT4_lS5_li ; -- Begin function _ZL20rocblas_gemvn_kernelILi64ELi4Ei16rocblas_bfloat16ffEviiT3_lPKT2_lT1_lS4_lS5_lS1_lPT4_lS5_li
	.p2align	8
	.type	_ZL20rocblas_gemvn_kernelILi64ELi4Ei16rocblas_bfloat16ffEviiT3_lPKT2_lT1_lS4_lS5_lS1_lPT4_lS5_li,@function
_ZL20rocblas_gemvn_kernelILi64ELi4Ei16rocblas_bfloat16ffEviiT3_lPKT2_lT1_lS4_lS5_lS1_lPT4_lS5_li: ; @_ZL20rocblas_gemvn_kernelILi64ELi4Ei16rocblas_bfloat16ffEviiT3_lPKT2_lT1_lS4_lS5_lS1_lPT4_lS5_li
; %bb.0:
	s_load_b64 s[2:3], s[0:1], 0x9c
	s_waitcnt lgkmcnt(0)
	s_lshr_b32 s4, s2, 16
	s_and_b32 s2, s2, 0xffff
	s_and_b32 s3, s3, 0xffff
	s_mul_i32 s2, s4, s2
	s_delay_alu instid0(SALU_CYCLE_1) | instskip(NEXT) | instid1(SALU_CYCLE_1)
	s_mul_i32 s2, s2, s3
	s_cmpk_lg_i32 s2, 0x100
	s_cbranch_scc1 .LBB632_50
; %bb.1:
	s_clause 0x1
	s_load_b128 s[4:7], s[0:1], 0x0
	s_load_b32 s13, s[0:1], 0x58
	s_mov_b32 s16, 0
	s_waitcnt lgkmcnt(0)
	v_cmp_eq_f32_e64 s2, s6, 0
	v_cmp_eq_f32_e64 s3, s13, 1.0
	s_delay_alu instid0(VALU_DEP_1) | instskip(NEXT) | instid1(SALU_CYCLE_1)
	s_and_b32 s2, s2, s3
	s_and_b32 vcc_lo, exec_lo, s2
	s_cbranch_vccnz .LBB632_50
; %bb.2:
	s_clause 0x2
	s_load_b64 s[2:3], s[0:1], 0x80
	s_load_b128 s[8:11], s[0:1], 0x68
	s_load_b32 s17, s[0:1], 0x78
	v_and_b32_e32 v1, 0x3ff, v0
	v_bfe_u32 v13, v0, 10, 10
	v_cmp_neq_f32_e64 s18, s6, 0
	s_delay_alu instid0(VALU_DEP_2)
	v_lshl_add_u32 v0, v13, 6, v1
	s_waitcnt lgkmcnt(0)
	s_mul_i32 s3, s15, s3
	s_mul_hi_u32 s7, s15, s2
	s_mul_i32 s2, s15, s2
	s_add_i32 s3, s7, s3
	s_delay_alu instid0(SALU_CYCLE_1) | instskip(NEXT) | instid1(SALU_CYCLE_1)
	s_lshl_b64 s[2:3], s[2:3], 2
	s_add_u32 s7, s8, s2
	s_addc_u32 s8, s9, s3
	s_lshl_b64 s[2:3], s[10:11], 2
	s_delay_alu instid0(SALU_CYCLE_1)
	s_add_u32 s7, s7, s2
	v_cmp_gt_u32_e64 s2, 0x100, v0
	s_addc_u32 s12, s8, s3
	s_and_b32 vcc_lo, exec_lo, s18
	s_cbranch_vccnz .LBB632_9
; %bb.3:
	s_mov_b32 s3, 0
                                        ; implicit-def: $vgpr3
                                        ; implicit-def: $vgpr4_vgpr5
	s_and_saveexec_b32 s8, s2
	s_cbranch_execz .LBB632_10
; %bb.4:
	v_lshl_or_b32 v2, s14, 8, v0
	v_mov_b32_e32 v3, 0
	s_ashr_i32 s11, s4, 31
	s_mov_b32 s10, s4
	s_mov_b32 s9, 0
	s_mov_b32 s2, exec_lo
                                        ; implicit-def: $vgpr4_vgpr5
	v_cmpx_gt_i64_e64 s[10:11], v[2:3]
	s_cbranch_execz .LBB632_8
; %bb.5:
	v_mad_u64_u32 v[4:5], null, s17, v2, 0
	s_ashr_i32 s9, s17, 31
	s_delay_alu instid0(VALU_DEP_1) | instid1(SALU_CYCLE_1)
	v_mad_u64_u32 v[6:7], null, s9, v2, v[5:6]
	v_cmp_eq_f32_e64 s9, s13, 0
	s_delay_alu instid0(VALU_DEP_1) | instskip(NEXT) | instid1(VALU_DEP_2)
	s_and_b32 vcc_lo, exec_lo, s9
	v_mov_b32_e32 v5, v6
	s_cbranch_vccnz .LBB632_7
; %bb.6:
	s_delay_alu instid0(VALU_DEP_1) | instskip(NEXT) | instid1(VALU_DEP_1)
	v_lshlrev_b64 v[2:3], 2, v[4:5]
	v_add_co_u32 v2, vcc_lo, s7, v2
	s_delay_alu instid0(VALU_DEP_2)
	v_add_co_ci_u32_e32 v3, vcc_lo, s12, v3, vcc_lo
	global_load_b32 v2, v[2:3], off
	s_waitcnt vmcnt(0)
	v_mul_f32_e32 v3, s13, v2
.LBB632_7:
	s_mov_b32 s9, exec_lo
.LBB632_8:
	s_or_b32 exec_lo, exec_lo, s2
	s_delay_alu instid0(SALU_CYCLE_1) | instskip(SKIP_1) | instid1(SALU_CYCLE_1)
	s_and_b32 s16, s9, exec_lo
	s_or_b32 exec_lo, exec_lo, s8
	s_and_b32 vcc_lo, exec_lo, s3
	s_cbranch_vccnz .LBB632_11
	s_branch .LBB632_48
.LBB632_9:
                                        ; implicit-def: $vgpr3
                                        ; implicit-def: $vgpr4_vgpr5
	s_cbranch_execnz .LBB632_11
	s_branch .LBB632_48
.LBB632_10:
	s_or_b32 exec_lo, exec_lo, s8
	s_delay_alu instid0(SALU_CYCLE_1)
	s_and_b32 vcc_lo, exec_lo, s3
	s_cbranch_vccz .LBB632_48
.LBB632_11:
	s_clause 0x4
	s_load_b128 s[8:11], s[0:1], 0x30
	s_load_b64 s[2:3], s[0:1], 0x50
	s_load_b128 s[20:23], s[0:1], 0x18
	s_load_b32 s18, s[0:1], 0x28
	s_load_b64 s[24:25], s[0:1], 0x40
	v_dual_mov_b32 v14, 0 :: v_dual_lshlrev_b32 v19, 2, v13
	v_dual_mov_b32 v15, 0 :: v_dual_mov_b32 v16, 0
	v_mov_b32_e32 v17, 0
	s_waitcnt lgkmcnt(0)
	s_mul_i32 s9, s15, s9
	s_mul_hi_u32 s19, s15, s8
	s_mul_i32 s8, s15, s8
	s_add_i32 s9, s19, s9
	s_mul_i32 s3, s15, s3
	s_lshl_b64 s[8:9], s[8:9], 1
	s_mul_hi_u32 s26, s15, s2
	s_add_u32 s19, s20, s8
	s_addc_u32 s20, s21, s9
	s_lshl_b64 s[8:9], s[22:23], 1
	s_mul_i32 s2, s15, s2
	s_add_u32 s15, s19, s8
	s_load_b32 s8, s[0:1], 0x48
	s_addc_u32 s19, s20, s9
	s_add_i32 s3, s26, s3
	s_mov_b32 s20, exec_lo
	s_lshl_b64 s[0:1], s[2:3], 1
	s_delay_alu instid0(SALU_CYCLE_1) | instskip(SKIP_2) | instid1(SALU_CYCLE_1)
	s_add_u32 s2, s10, s0
	s_addc_u32 s3, s11, s1
	s_lshl_b64 s[0:1], s[24:25], 1
	s_add_u32 s10, s2, s0
	s_addc_u32 s11, s3, s1
	s_ashr_i32 s0, s5, 31
	s_lshl_b32 s9, s14, 8
	s_lshr_b32 s0, s0, 28
	v_add_nc_u32_e32 v18, s9, v1
	s_add_i32 s0, s5, s0
	s_delay_alu instid0(SALU_CYCLE_1) | instskip(NEXT) | instid1(SALU_CYCLE_1)
	s_and_b32 s14, s0, -16
	v_cmpx_gt_i32_e64 s14, v19
	s_cbranch_execz .LBB632_23
; %bb.12:
	v_mul_lo_u32 v3, s18, v19
	v_dual_mov_b32 v15, 0 :: v_dual_add_nc_u32 v2, 64, v18
	v_add_nc_u32_e32 v6, 2, v19
	v_dual_mov_b32 v14, 0 :: v_dual_add_nc_u32 v5, 0xc0, v18
	s_delay_alu instid0(VALU_DEP_3)
	v_cmp_gt_i32_e64 s0, s4, v2
	v_dual_mov_b32 v17, 0 :: v_dual_add_nc_u32 v4, 0x80, v18
	v_add3_u32 v20, v3, s18, v1
	v_mad_u64_u32 v[2:3], null, s18, v6, v[1:2]
	v_cmp_gt_i32_e64 s2, s4, v5
	v_mul_lo_u32 v5, v13, s18
	v_dual_mov_b32 v16, 0 :: v_dual_add_nc_u32 v7, 3, v19
	s_waitcnt lgkmcnt(0)
	v_mul_lo_u32 v8, v13, s8
	v_cmp_gt_i32_e64 s1, s4, v4
	v_mul_lo_u32 v22, s8, v6
	v_mad_u64_u32 v[3:4], null, s18, v7, v[1:2]
	v_lshl_add_u32 v21, v5, 2, v1
	v_mad_u64_u32 v[4:5], null, s8, v19, s[8:9]
	v_mul_lo_u32 v23, s8, v7
	v_cmp_gt_i32_e32 vcc_lo, s4, v18
	v_lshlrev_b32_e32 v24, 2, v8
	s_lshl_b32 s21, s18, 4
	s_lshl_b32 s23, s8, 4
	s_mov_b32 s22, 0
	s_mov_b32 s24, 0
	s_branch .LBB632_17
.LBB632_13:                             ;   in Loop: Header=BB632_17 Depth=1
	s_or_b32 exec_lo, exec_lo, s27
	s_waitcnt vmcnt(2)
	v_lshlrev_b32_e32 v6, 16, v39
	v_lshlrev_b32_e32 v5, 16, v40
	s_waitcnt vmcnt(1)
	s_delay_alu instid0(VALU_DEP_1) | instskip(NEXT) | instid1(VALU_DEP_1)
	v_dual_fmac_f32 v16, v32, v5 :: v_dual_lshlrev_b32 v5, 16, v38
	v_fmac_f32_e32 v16, v30, v6
	s_delay_alu instid0(VALU_DEP_1) | instskip(SKIP_2) | instid1(VALU_DEP_1)
	v_fmac_f32_e32 v16, v28, v5
	s_waitcnt vmcnt(0)
	v_lshlrev_b32_e32 v5, 16, v37
	v_fmac_f32_e32 v16, v27, v5
.LBB632_14:                             ;   in Loop: Header=BB632_17 Depth=1
	s_or_b32 exec_lo, exec_lo, s26
	s_waitcnt vmcnt(3)
	v_lshlrev_b32_e32 v5, 16, v36
	s_waitcnt vmcnt(2)
	s_delay_alu instid0(VALU_DEP_1) | instskip(SKIP_2) | instid1(VALU_DEP_2)
	v_dual_fmac_f32 v15, v32, v5 :: v_dual_lshlrev_b32 v6, 16, v35
	s_waitcnt vmcnt(1)
	v_lshlrev_b32_e32 v5, 16, v34
	v_fmac_f32_e32 v15, v30, v6
	s_delay_alu instid0(VALU_DEP_1) | instskip(SKIP_2) | instid1(VALU_DEP_1)
	v_fmac_f32_e32 v15, v28, v5
	s_waitcnt vmcnt(0)
	v_lshlrev_b32_e32 v5, 16, v33
	v_fmac_f32_e32 v15, v27, v5
.LBB632_15:                             ;   in Loop: Header=BB632_17 Depth=1
	s_or_b32 exec_lo, exec_lo, s3
	s_waitcnt vmcnt(2)
	v_lshlrev_b32_e32 v6, 16, v29
	v_lshlrev_b32_e32 v5, 16, v31
	s_waitcnt vmcnt(1)
	s_delay_alu instid0(VALU_DEP_1) | instskip(NEXT) | instid1(VALU_DEP_1)
	v_dual_fmac_f32 v14, v32, v5 :: v_dual_lshlrev_b32 v5, 16, v26
	v_fmac_f32_e32 v14, v30, v6
	s_delay_alu instid0(VALU_DEP_1) | instskip(SKIP_2) | instid1(VALU_DEP_1)
	v_fmac_f32_e32 v14, v28, v5
	s_waitcnt vmcnt(0)
	v_lshlrev_b32_e32 v5, 16, v25
	v_fmac_f32_e32 v14, v27, v5
.LBB632_16:                             ;   in Loop: Header=BB632_17 Depth=1
	s_or_b32 exec_lo, exec_lo, s25
	v_add_nc_u32_e32 v19, 16, v19
	v_add_nc_u32_e32 v20, s21, v20
	;; [unrolled: 1-line block ×5, first 2 shown]
	v_cmp_le_i32_e64 s3, s14, v19
	s_add_i32 s24, s24, s23
	s_delay_alu instid0(VALU_DEP_1) | instskip(NEXT) | instid1(SALU_CYCLE_1)
	s_or_b32 s22, s3, s22
	s_and_not1_b32 exec_lo, exec_lo, s22
	s_cbranch_execz .LBB632_22
.LBB632_17:                             ; =>This Inner Loop Header: Depth=1
	s_and_saveexec_b32 s25, vcc_lo
	s_cbranch_execz .LBB632_16
; %bb.18:                               ;   in Loop: Header=BB632_17 Depth=1
	v_add_nc_u32_e32 v5, s24, v24
	v_add_nc_u32_e32 v7, s24, v4
	v_add_nc_u32_e32 v9, s24, v22
	v_add_nc_u32_e32 v11, s24, v23
	v_add_nc_u32_e32 v25, s9, v21
	v_ashrrev_i32_e32 v6, 31, v5
	v_ashrrev_i32_e32 v8, 31, v7
	;; [unrolled: 1-line block ×4, first 2 shown]
	v_add_nc_u32_e32 v27, s9, v20
	v_lshlrev_b64 v[5:6], 1, v[5:6]
	v_lshlrev_b64 v[7:8], 1, v[7:8]
	;; [unrolled: 1-line block ×4, first 2 shown]
	v_ashrrev_i32_e32 v26, 31, v25
	v_ashrrev_i32_e32 v28, 31, v27
	v_add_co_u32 v5, s3, s10, v5
	s_delay_alu instid0(VALU_DEP_1) | instskip(SKIP_1) | instid1(VALU_DEP_1)
	v_add_co_ci_u32_e64 v6, s3, s11, v6, s3
	v_add_co_u32 v7, s3, s10, v7
	v_add_co_ci_u32_e64 v8, s3, s11, v8, s3
	v_add_co_u32 v9, s3, s10, v9
	s_delay_alu instid0(VALU_DEP_1)
	v_add_co_ci_u32_e64 v10, s3, s11, v10, s3
	v_add_co_u32 v11, s3, s10, v11
	v_add_nc_u32_e32 v29, s9, v2
	v_add_co_ci_u32_e64 v12, s3, s11, v12, s3
	v_lshlrev_b64 v[25:26], 1, v[25:26]
	s_clause 0x3
	global_load_u16 v32, v[5:6], off
	global_load_u16 v33, v[7:8], off
	;; [unrolled: 1-line block ×4, first 2 shown]
	v_add_nc_u32_e32 v11, s9, v3
	v_lshlrev_b64 v[5:6], 1, v[27:28]
	v_ashrrev_i32_e32 v30, 31, v29
	v_add_co_u32 v7, s3, s15, v25
	s_delay_alu instid0(VALU_DEP_4) | instskip(SKIP_1) | instid1(VALU_DEP_4)
	v_ashrrev_i32_e32 v12, 31, v11
	v_add_co_ci_u32_e64 v8, s3, s19, v26, s3
	v_lshlrev_b64 v[25:26], 1, v[29:30]
	v_add_co_u32 v9, s3, s15, v5
	s_delay_alu instid0(VALU_DEP_1) | instskip(SKIP_1) | instid1(VALU_DEP_4)
	v_add_co_ci_u32_e64 v10, s3, s19, v6, s3
	v_lshlrev_b64 v[5:6], 1, v[11:12]
	v_add_co_u32 v11, s3, s15, v25
	s_delay_alu instid0(VALU_DEP_1) | instskip(NEXT) | instid1(VALU_DEP_3)
	v_add_co_ci_u32_e64 v12, s3, s19, v26, s3
	v_add_co_u32 v5, s3, s15, v5
	s_delay_alu instid0(VALU_DEP_1)
	v_add_co_ci_u32_e64 v6, s3, s19, v6, s3
	s_clause 0x3
	global_load_u16 v31, v[7:8], off
	global_load_u16 v29, v[9:10], off
	;; [unrolled: 1-line block ×4, first 2 shown]
	s_waitcnt vmcnt(7)
	v_lshlrev_b32_e32 v32, 16, v32
	s_waitcnt vmcnt(6)
	v_lshlrev_b32_e32 v30, 16, v33
	;; [unrolled: 2-line block ×4, first 2 shown]
	s_and_saveexec_b32 s3, s0
	s_cbranch_execz .LBB632_15
; %bb.19:                               ;   in Loop: Header=BB632_17 Depth=1
	s_clause 0x3
	global_load_u16 v36, v[7:8], off offset:128
	global_load_u16 v35, v[9:10], off offset:128
	global_load_u16 v34, v[11:12], off offset:128
	global_load_u16 v33, v[5:6], off offset:128
	s_and_saveexec_b32 s26, s1
	s_cbranch_execz .LBB632_14
; %bb.20:                               ;   in Loop: Header=BB632_17 Depth=1
	s_clause 0x3
	global_load_u16 v40, v[7:8], off offset:256
	global_load_u16 v39, v[9:10], off offset:256
	global_load_u16 v38, v[11:12], off offset:256
	global_load_u16 v37, v[5:6], off offset:256
	;; [unrolled: 8-line block ×3, first 2 shown]
	s_waitcnt vmcnt(0)
	v_lshlrev_b32_e32 v5, 16, v5
	v_lshlrev_b32_e32 v6, 16, v7
	;; [unrolled: 1-line block ×3, first 2 shown]
	s_delay_alu instid0(VALU_DEP_2) | instskip(NEXT) | instid1(VALU_DEP_1)
	v_dual_fmac_f32 v17, v32, v6 :: v_dual_lshlrev_b32 v6, 16, v9
	v_fmac_f32_e32 v17, v30, v7
	s_delay_alu instid0(VALU_DEP_1) | instskip(NEXT) | instid1(VALU_DEP_1)
	v_fmac_f32_e32 v17, v28, v6
	v_fmac_f32_e32 v17, v27, v5
	s_branch .LBB632_13
.LBB632_22:
	s_or_b32 exec_lo, exec_lo, s22
.LBB632_23:
	s_delay_alu instid0(SALU_CYCLE_1) | instskip(SKIP_1) | instid1(SALU_CYCLE_1)
	s_or_b32 exec_lo, exec_lo, s20
	s_sub_i32 s0, s5, s14
	s_cmp_lt_i32 s0, 1
	s_cbranch_scc1 .LBB632_41
; %bb.24:
	v_cmp_gt_i32_e32 vcc_lo, s5, v19
	v_dual_mov_b32 v10, 0 :: v_dual_mov_b32 v11, 0
	v_or_b32_e32 v2, 1, v19
	v_mov_b32_e32 v12, 0
	v_mov_b32_e32 v20, 0
	s_and_saveexec_b32 s1, vcc_lo
	s_cbranch_execz .LBB632_32
; %bb.25:
	s_waitcnt lgkmcnt(0)
	v_mul_lo_u32 v3, v19, s8
	v_dual_mov_b32 v12, 0 :: v_dual_mov_b32 v11, 0
	v_mov_b32_e32 v10, 0
	s_mov_b32 s2, exec_lo
	s_delay_alu instid0(VALU_DEP_3) | instskip(NEXT) | instid1(VALU_DEP_1)
	v_ashrrev_i32_e32 v4, 31, v3
	v_lshlrev_b64 v[3:4], 1, v[3:4]
	s_delay_alu instid0(VALU_DEP_1) | instskip(NEXT) | instid1(VALU_DEP_1)
	v_add_co_u32 v3, s0, s10, v3
	v_add_co_ci_u32_e64 v4, s0, s11, v4, s0
	global_load_u16 v3, v[3:4], off
	v_cmpx_gt_i32_e64 s5, v2
	s_cbranch_execz .LBB632_31
; %bb.26:
	v_mul_lo_u32 v4, v2, s8
	v_dual_mov_b32 v11, 0 :: v_dual_mov_b32 v10, 0
	s_mov_b32 s3, exec_lo
	s_delay_alu instid0(VALU_DEP_2) | instskip(NEXT) | instid1(VALU_DEP_1)
	v_ashrrev_i32_e32 v5, 31, v4
	v_lshlrev_b64 v[4:5], 1, v[4:5]
	s_delay_alu instid0(VALU_DEP_1) | instskip(NEXT) | instid1(VALU_DEP_1)
	v_add_co_u32 v4, s0, s10, v4
	v_add_co_ci_u32_e64 v5, s0, s11, v5, s0
	global_load_u16 v4, v[4:5], off
	v_or_b32_e32 v5, 2, v19
	s_delay_alu instid0(VALU_DEP_1)
	v_cmpx_gt_i32_e64 s5, v5
	s_cbranch_execz .LBB632_30
; %bb.27:
	v_mul_lo_u32 v5, v5, s8
	v_mov_b32_e32 v10, 0
	s_mov_b32 s14, exec_lo
	s_delay_alu instid0(VALU_DEP_2) | instskip(NEXT) | instid1(VALU_DEP_1)
	v_ashrrev_i32_e32 v6, 31, v5
	v_lshlrev_b64 v[5:6], 1, v[5:6]
	s_delay_alu instid0(VALU_DEP_1) | instskip(NEXT) | instid1(VALU_DEP_1)
	v_add_co_u32 v5, s0, s10, v5
	v_add_co_ci_u32_e64 v6, s0, s11, v6, s0
	global_load_u16 v5, v[5:6], off
	v_or_b32_e32 v6, 3, v19
	s_delay_alu instid0(VALU_DEP_1)
	v_cmpx_gt_i32_e64 s5, v6
	s_cbranch_execz .LBB632_29
; %bb.28:
	v_mul_lo_u32 v6, v6, s8
	s_delay_alu instid0(VALU_DEP_1) | instskip(NEXT) | instid1(VALU_DEP_1)
	v_ashrrev_i32_e32 v7, 31, v6
	v_lshlrev_b64 v[6:7], 1, v[6:7]
	s_delay_alu instid0(VALU_DEP_1) | instskip(NEXT) | instid1(VALU_DEP_1)
	v_add_co_u32 v6, s0, s10, v6
	v_add_co_ci_u32_e64 v7, s0, s11, v7, s0
	global_load_u16 v6, v[6:7], off
	s_waitcnt vmcnt(0)
	v_lshlrev_b32_e32 v10, 16, v6
.LBB632_29:
	s_or_b32 exec_lo, exec_lo, s14
	s_waitcnt vmcnt(0)
	v_lshlrev_b32_e32 v11, 16, v5
.LBB632_30:
	s_or_b32 exec_lo, exec_lo, s3
	s_waitcnt vmcnt(0)
	v_lshlrev_b32_e32 v12, 16, v4
.LBB632_31:
	s_or_b32 exec_lo, exec_lo, s2
	s_waitcnt vmcnt(0)
	v_lshlrev_b32_e32 v20, 16, v3
.LBB632_32:
	s_or_b32 exec_lo, exec_lo, s1
	s_delay_alu instid0(SALU_CYCLE_1)
	s_mov_b32 s1, exec_lo
	v_cmpx_gt_i32_e64 s4, v18
	s_cbranch_execz .LBB632_40
; %bb.33:
	v_mul_lo_u32 v3, v19, s18
	v_mul_lo_u32 v4, v2, s18
	v_or_b32_e32 v5, 2, v19
	v_or_b32_e32 v6, 3, v19
	s_mov_b32 s0, exec_lo
	s_delay_alu instid0(VALU_DEP_2)
	v_mul_lo_u32 v7, v5, s18
	v_cndmask_b32_e32 v3, 0, v3, vcc_lo
	v_cmp_gt_i32_e32 vcc_lo, s5, v2
	v_mul_lo_u32 v8, v6, s18
	v_cndmask_b32_e32 v4, 0, v4, vcc_lo
	v_cmp_gt_i32_e32 vcc_lo, s5, v5
	v_add_nc_u32_e32 v2, v3, v18
	s_delay_alu instid0(VALU_DEP_3) | instskip(NEXT) | instid1(VALU_DEP_2)
	v_dual_cndmask_b32 v7, 0, v7 :: v_dual_add_nc_u32 v4, v4, v18
	v_ashrrev_i32_e32 v3, 31, v2
	v_cmp_gt_i32_e32 vcc_lo, s5, v6
	s_delay_alu instid0(VALU_DEP_3) | instskip(NEXT) | instid1(VALU_DEP_4)
	v_ashrrev_i32_e32 v5, 31, v4
	v_add_nc_u32_e32 v6, v7, v18
	s_delay_alu instid0(VALU_DEP_4) | instskip(SKIP_1) | instid1(VALU_DEP_4)
	v_lshlrev_b64 v[2:3], 1, v[2:3]
	v_cndmask_b32_e32 v8, 0, v8, vcc_lo
	v_lshlrev_b64 v[21:22], 1, v[4:5]
	s_delay_alu instid0(VALU_DEP_4) | instskip(NEXT) | instid1(VALU_DEP_4)
	v_ashrrev_i32_e32 v7, 31, v6
	v_add_co_u32 v4, vcc_lo, s15, v2
	v_add_co_ci_u32_e32 v5, vcc_lo, s19, v3, vcc_lo
	s_delay_alu instid0(VALU_DEP_4)
	v_add_co_u32 v2, vcc_lo, s15, v21
	v_add_co_ci_u32_e32 v3, vcc_lo, s19, v22, vcc_lo
	s_clause 0x1
	global_load_u16 v19, v[4:5], off
	global_load_u16 v23, v[2:3], off
	v_lshlrev_b64 v[6:7], 1, v[6:7]
	s_waitcnt vmcnt(1)
	v_lshlrev_b32_e32 v19, 16, v19
	v_add_nc_u32_e32 v8, v8, v18
	s_delay_alu instid0(VALU_DEP_1) | instskip(NEXT) | instid1(VALU_DEP_1)
	v_ashrrev_i32_e32 v9, 31, v8
	v_lshlrev_b64 v[21:22], 1, v[8:9]
	v_add_co_u32 v8, vcc_lo, s15, v6
	v_add_co_ci_u32_e32 v9, vcc_lo, s19, v7, vcc_lo
	s_delay_alu instid0(VALU_DEP_3) | instskip(NEXT) | instid1(VALU_DEP_4)
	v_add_co_u32 v6, vcc_lo, s15, v21
	v_add_co_ci_u32_e32 v7, vcc_lo, s19, v22, vcc_lo
	s_clause 0x1
	global_load_u16 v21, v[8:9], off
	global_load_u16 v22, v[6:7], off
	s_waitcnt vmcnt(1)
	v_dual_fmac_f32 v14, v20, v19 :: v_dual_lshlrev_b32 v21, 16, v21
	v_lshlrev_b32_e32 v23, 16, v23
	s_waitcnt vmcnt(0)
	s_delay_alu instid0(VALU_DEP_1) | instskip(NEXT) | instid1(VALU_DEP_1)
	v_dual_fmac_f32 v14, v12, v23 :: v_dual_lshlrev_b32 v19, 16, v22
	v_dual_fmac_f32 v14, v11, v21 :: v_dual_add_nc_u32 v23, 64, v18
	s_delay_alu instid0(VALU_DEP_1)
	v_cmpx_gt_i32_e64 s4, v23
	s_cbranch_execz .LBB632_39
; %bb.34:
	s_clause 0x3
	global_load_u16 v21, v[4:5], off offset:128
	global_load_u16 v22, v[2:3], off offset:128
	;; [unrolled: 1-line block ×4, first 2 shown]
	s_mov_b32 s2, exec_lo
	s_waitcnt vmcnt(3)
	v_lshlrev_b32_e32 v21, 16, v21
	s_waitcnt vmcnt(2)
	v_lshlrev_b32_e32 v22, 16, v22
	;; [unrolled: 2-line block ×3, first 2 shown]
	v_fmac_f32_e32 v15, v20, v21
	s_waitcnt vmcnt(0)
	v_lshlrev_b32_e32 v21, 16, v24
	s_delay_alu instid0(VALU_DEP_2) | instskip(NEXT) | instid1(VALU_DEP_1)
	v_fmac_f32_e32 v15, v12, v22
	v_dual_fmac_f32 v15, v11, v23 :: v_dual_add_nc_u32 v22, 0x80, v18
	s_delay_alu instid0(VALU_DEP_1)
	v_cmpx_gt_i32_e64 s4, v22
	s_cbranch_execz .LBB632_38
; %bb.35:
	s_clause 0x3
	global_load_u16 v22, v[4:5], off offset:256
	global_load_u16 v23, v[2:3], off offset:256
	;; [unrolled: 1-line block ×4, first 2 shown]
	s_mov_b32 s3, exec_lo
	s_waitcnt vmcnt(3)
	v_lshlrev_b32_e32 v22, 16, v22
	s_waitcnt vmcnt(2)
	s_delay_alu instid0(VALU_DEP_1) | instskip(SKIP_2) | instid1(VALU_DEP_2)
	v_dual_fmac_f32 v16, v20, v22 :: v_dual_lshlrev_b32 v23, 16, v23
	s_waitcnt vmcnt(1)
	v_lshlrev_b32_e32 v22, 16, v24
	v_dual_fmac_f32 v16, v12, v23 :: v_dual_add_nc_u32 v23, 0xc0, v18
	s_waitcnt vmcnt(0)
	v_lshlrev_b32_e32 v18, 16, v25
	s_delay_alu instid0(VALU_DEP_2) | instskip(NEXT) | instid1(VALU_DEP_3)
	v_fmac_f32_e32 v16, v11, v22
	v_cmpx_gt_i32_e64 s4, v23
	s_cbranch_execz .LBB632_37
; %bb.36:
	s_clause 0x3
	global_load_u16 v4, v[4:5], off offset:384
	global_load_u16 v2, v[2:3], off offset:384
	;; [unrolled: 1-line block ×4, first 2 shown]
	s_waitcnt vmcnt(2)
	v_lshlrev_b32_e32 v2, 16, v2
	v_lshlrev_b32_e32 v4, 16, v4
	s_waitcnt vmcnt(1)
	v_lshlrev_b32_e32 v3, 16, v3
	s_delay_alu instid0(VALU_DEP_2) | instskip(SKIP_1) | instid1(VALU_DEP_1)
	v_fmac_f32_e32 v17, v20, v4
	s_waitcnt vmcnt(0)
	v_dual_fmac_f32 v17, v12, v2 :: v_dual_lshlrev_b32 v2, 16, v5
	s_delay_alu instid0(VALU_DEP_1) | instskip(NEXT) | instid1(VALU_DEP_1)
	v_fmac_f32_e32 v17, v11, v3
	v_fmac_f32_e32 v17, v10, v2
.LBB632_37:
	s_or_b32 exec_lo, exec_lo, s3
	s_delay_alu instid0(VALU_DEP_2)
	v_fmac_f32_e32 v16, v10, v18
.LBB632_38:
	s_or_b32 exec_lo, exec_lo, s2
	s_delay_alu instid0(VALU_DEP_2)
	v_fmac_f32_e32 v15, v10, v21
.LBB632_39:
	s_or_b32 exec_lo, exec_lo, s0
	s_delay_alu instid0(VALU_DEP_2)
	v_fmac_f32_e32 v14, v10, v19
.LBB632_40:
	s_or_b32 exec_lo, exec_lo, s1
.LBB632_41:
	v_lshlrev_b32_e32 v2, 8, v13
	s_mov_b32 s0, exec_lo
                                        ; implicit-def: $vgpr3
                                        ; implicit-def: $vgpr4_vgpr5
	s_delay_alu instid0(VALU_DEP_1)
	v_add_lshl_u32 v1, v2, v1, 2
	ds_store_2addr_stride64_b32 v1, v14, v15 offset1:1
	ds_store_2addr_stride64_b32 v1, v16, v17 offset0:2 offset1:3
	s_waitcnt lgkmcnt(0)
	s_barrier
	buffer_gl0_inv
	v_cmpx_gt_u32_e32 0x100, v0
	s_cbranch_execz .LBB632_47
; %bb.42:
	v_lshlrev_b32_e32 v5, 2, v0
	s_mov_b32 s2, s16
	s_mov_b32 s1, exec_lo
	ds_load_2addr_stride64_b32 v[1:2], v5 offset1:4
	ds_load_2addr_stride64_b32 v[3:4], v5 offset0:8 offset1:12
	s_waitcnt lgkmcnt(1)
	v_add_f32_e32 v1, v1, v2
	s_waitcnt lgkmcnt(0)
	s_delay_alu instid0(VALU_DEP_1) | instskip(SKIP_1) | instid1(VALU_DEP_2)
	v_add_f32_e32 v2, v3, v1
	v_or_b32_e32 v1, s9, v0
                                        ; implicit-def: $vgpr3
	v_add_f32_e32 v0, v4, v2
	ds_store_b32 v5, v0
                                        ; implicit-def: $vgpr4_vgpr5
	v_cmpx_gt_i32_e64 s4, v1
	s_cbranch_execz .LBB632_46
; %bb.43:
	v_mul_lo_u32 v4, v1, s17
	v_cmp_eq_f32_e64 s2, s13, 0
	v_mul_f32_e32 v3, s6, v0
	s_delay_alu instid0(VALU_DEP_2) | instskip(NEXT) | instid1(VALU_DEP_3)
	s_and_b32 vcc_lo, exec_lo, s2
	v_ashrrev_i32_e32 v5, 31, v4
	s_cbranch_vccnz .LBB632_45
; %bb.44:
	s_delay_alu instid0(VALU_DEP_1) | instskip(NEXT) | instid1(VALU_DEP_1)
	v_lshlrev_b64 v[0:1], 2, v[4:5]
	v_add_co_u32 v0, vcc_lo, s7, v0
	s_delay_alu instid0(VALU_DEP_2)
	v_add_co_ci_u32_e32 v1, vcc_lo, s12, v1, vcc_lo
	global_load_b32 v0, v[0:1], off
	s_waitcnt vmcnt(0)
	v_fmac_f32_e32 v3, s13, v0
.LBB632_45:
	s_or_b32 s2, s16, exec_lo
.LBB632_46:
	s_or_b32 exec_lo, exec_lo, s1
	s_delay_alu instid0(SALU_CYCLE_1) | instskip(SKIP_1) | instid1(SALU_CYCLE_1)
	s_and_not1_b32 s1, s16, exec_lo
	s_and_b32 s2, s2, exec_lo
	s_or_b32 s16, s1, s2
.LBB632_47:
	s_or_b32 exec_lo, exec_lo, s0
.LBB632_48:
	s_and_saveexec_b32 s0, s16
	s_cbranch_execz .LBB632_50
; %bb.49:
	v_lshlrev_b64 v[0:1], 2, v[4:5]
	s_delay_alu instid0(VALU_DEP_1) | instskip(NEXT) | instid1(VALU_DEP_2)
	v_add_co_u32 v0, vcc_lo, s7, v0
	v_add_co_ci_u32_e32 v1, vcc_lo, s12, v1, vcc_lo
	global_store_b32 v[0:1], v3, off
.LBB632_50:
	s_nop 0
	s_sendmsg sendmsg(MSG_DEALLOC_VGPRS)
	s_endpgm
	.section	.rodata,"a",@progbits
	.p2align	6, 0x0
	.amdhsa_kernel _ZL20rocblas_gemvn_kernelILi64ELi4Ei16rocblas_bfloat16ffEviiT3_lPKT2_lT1_lS4_lS5_lS1_lPT4_lS5_li
		.amdhsa_group_segment_fixed_size 4096
		.amdhsa_private_segment_fixed_size 0
		.amdhsa_kernarg_size 400
		.amdhsa_user_sgpr_count 14
		.amdhsa_user_sgpr_dispatch_ptr 0
		.amdhsa_user_sgpr_queue_ptr 0
		.amdhsa_user_sgpr_kernarg_segment_ptr 1
		.amdhsa_user_sgpr_dispatch_id 0
		.amdhsa_user_sgpr_private_segment_size 0
		.amdhsa_wavefront_size32 1
		.amdhsa_uses_dynamic_stack 0
		.amdhsa_enable_private_segment 0
		.amdhsa_system_sgpr_workgroup_id_x 1
		.amdhsa_system_sgpr_workgroup_id_y 0
		.amdhsa_system_sgpr_workgroup_id_z 1
		.amdhsa_system_sgpr_workgroup_info 0
		.amdhsa_system_vgpr_workitem_id 1
		.amdhsa_next_free_vgpr 41
		.amdhsa_next_free_sgpr 28
		.amdhsa_reserve_vcc 1
		.amdhsa_float_round_mode_32 0
		.amdhsa_float_round_mode_16_64 0
		.amdhsa_float_denorm_mode_32 3
		.amdhsa_float_denorm_mode_16_64 3
		.amdhsa_dx10_clamp 1
		.amdhsa_ieee_mode 1
		.amdhsa_fp16_overflow 0
		.amdhsa_workgroup_processor_mode 1
		.amdhsa_memory_ordered 1
		.amdhsa_forward_progress 0
		.amdhsa_shared_vgpr_count 0
		.amdhsa_exception_fp_ieee_invalid_op 0
		.amdhsa_exception_fp_denorm_src 0
		.amdhsa_exception_fp_ieee_div_zero 0
		.amdhsa_exception_fp_ieee_overflow 0
		.amdhsa_exception_fp_ieee_underflow 0
		.amdhsa_exception_fp_ieee_inexact 0
		.amdhsa_exception_int_div_zero 0
	.end_amdhsa_kernel
	.section	.text._ZL20rocblas_gemvn_kernelILi64ELi4Ei16rocblas_bfloat16ffEviiT3_lPKT2_lT1_lS4_lS5_lS1_lPT4_lS5_li,"axG",@progbits,_ZL20rocblas_gemvn_kernelILi64ELi4Ei16rocblas_bfloat16ffEviiT3_lPKT2_lT1_lS4_lS5_lS1_lPT4_lS5_li,comdat
.Lfunc_end632:
	.size	_ZL20rocblas_gemvn_kernelILi64ELi4Ei16rocblas_bfloat16ffEviiT3_lPKT2_lT1_lS4_lS5_lS1_lPT4_lS5_li, .Lfunc_end632-_ZL20rocblas_gemvn_kernelILi64ELi4Ei16rocblas_bfloat16ffEviiT3_lPKT2_lT1_lS4_lS5_lS1_lPT4_lS5_li
                                        ; -- End function
	.section	.AMDGPU.csdata,"",@progbits
; Kernel info:
; codeLenInByte = 3028
; NumSgprs: 30
; NumVgprs: 41
; ScratchSize: 0
; MemoryBound: 0
; FloatMode: 240
; IeeeMode: 1
; LDSByteSize: 4096 bytes/workgroup (compile time only)
; SGPRBlocks: 3
; VGPRBlocks: 5
; NumSGPRsForWavesPerEU: 30
; NumVGPRsForWavesPerEU: 41
; Occupancy: 16
; WaveLimiterHint : 1
; COMPUTE_PGM_RSRC2:SCRATCH_EN: 0
; COMPUTE_PGM_RSRC2:USER_SGPR: 14
; COMPUTE_PGM_RSRC2:TRAP_HANDLER: 0
; COMPUTE_PGM_RSRC2:TGID_X_EN: 1
; COMPUTE_PGM_RSRC2:TGID_Y_EN: 0
; COMPUTE_PGM_RSRC2:TGID_Z_EN: 1
; COMPUTE_PGM_RSRC2:TIDIG_COMP_CNT: 1
	.section	.text._ZL20rocblas_gemvn_kernelILi64ELi4El16rocblas_bfloat16ffEviiT3_lPKT2_lT1_lS4_lS5_lS1_lPT4_lS5_li,"axG",@progbits,_ZL20rocblas_gemvn_kernelILi64ELi4El16rocblas_bfloat16ffEviiT3_lPKT2_lT1_lS4_lS5_lS1_lPT4_lS5_li,comdat
	.globl	_ZL20rocblas_gemvn_kernelILi64ELi4El16rocblas_bfloat16ffEviiT3_lPKT2_lT1_lS4_lS5_lS1_lPT4_lS5_li ; -- Begin function _ZL20rocblas_gemvn_kernelILi64ELi4El16rocblas_bfloat16ffEviiT3_lPKT2_lT1_lS4_lS5_lS1_lPT4_lS5_li
	.p2align	8
	.type	_ZL20rocblas_gemvn_kernelILi64ELi4El16rocblas_bfloat16ffEviiT3_lPKT2_lT1_lS4_lS5_lS1_lPT4_lS5_li,@function
_ZL20rocblas_gemvn_kernelILi64ELi4El16rocblas_bfloat16ffEviiT3_lPKT2_lT1_lS4_lS5_lS1_lPT4_lS5_li: ; @_ZL20rocblas_gemvn_kernelILi64ELi4El16rocblas_bfloat16ffEviiT3_lPKT2_lT1_lS4_lS5_lS1_lPT4_lS5_li
; %bb.0:
	s_load_b64 s[2:3], s[0:1], 0x9c
	s_waitcnt lgkmcnt(0)
	s_lshr_b32 s4, s2, 16
	s_and_b32 s2, s2, 0xffff
	s_and_b32 s3, s3, 0xffff
	s_mul_i32 s2, s4, s2
	s_delay_alu instid0(SALU_CYCLE_1) | instskip(NEXT) | instid1(SALU_CYCLE_1)
	s_mul_i32 s2, s2, s3
	s_cmpk_lg_i32 s2, 0x100
	s_cbranch_scc1 .LBB633_50
; %bb.1:
	s_clause 0x1
	s_load_b128 s[36:39], s[0:1], 0x0
	s_load_b32 s34, s[0:1], 0x58
	s_mov_b32 s35, 0
	s_waitcnt lgkmcnt(0)
	v_cmp_eq_f32_e64 s2, s38, 0
	v_cmp_eq_f32_e64 s3, s34, 1.0
	s_delay_alu instid0(VALU_DEP_1) | instskip(NEXT) | instid1(SALU_CYCLE_1)
	s_and_b32 s2, s2, s3
	s_and_b32 vcc_lo, exec_lo, s2
	s_cbranch_vccnz .LBB633_50
; %bb.2:
	s_load_b256 s[4:11], s[0:1], 0x68
	v_and_b32_e32 v12, 0x3ff, v0
	v_bfe_u32 v13, v0, 10, 10
	s_delay_alu instid0(VALU_DEP_1)
	v_lshl_add_u32 v11, v13, 6, v12
	s_waitcnt lgkmcnt(0)
	s_mul_i32 s3, s15, s11
	s_mul_hi_u32 s11, s15, s10
	s_mul_i32 s2, s15, s10
	s_add_i32 s3, s11, s3
	v_cmp_neq_f32_e64 s10, s38, 0
	s_lshl_b64 s[2:3], s[2:3], 2
	s_delay_alu instid0(SALU_CYCLE_1) | instskip(SKIP_2) | instid1(SALU_CYCLE_1)
	s_add_u32 s4, s4, s2
	s_addc_u32 s11, s5, s3
	s_lshl_b64 s[2:3], s[6:7], 2
	s_add_u32 s5, s4, s2
	v_cmp_gt_u32_e64 s2, 0x100, v11
	s_addc_u32 s33, s11, s3
	s_and_b32 vcc_lo, exec_lo, s10
	s_cbranch_vccnz .LBB633_9
; %bb.3:
	s_mov_b32 s3, 0
                                        ; implicit-def: $vgpr1
                                        ; implicit-def: $vgpr2_vgpr3
	s_and_saveexec_b32 s4, s2
	s_cbranch_execz .LBB633_10
; %bb.4:
	v_lshl_or_b32 v0, s14, 8, v11
	v_mov_b32_e32 v1, 0
	s_ashr_i32 s7, s36, 31
	s_mov_b32 s6, s36
                                        ; implicit-def: $vgpr2_vgpr3
	s_delay_alu instid0(VALU_DEP_1) | instid1(SALU_CYCLE_1)
	v_cmp_gt_i64_e32 vcc_lo, s[6:7], v[0:1]
	s_mov_b32 s6, 0
	s_and_saveexec_b32 s2, vcc_lo
	s_cbranch_execz .LBB633_8
; %bb.5:
	v_mad_u64_u32 v[2:3], null, v0, s8, 0
	v_cmp_eq_f32_e64 s6, s34, 0
	s_delay_alu instid0(VALU_DEP_1) | instskip(NEXT) | instid1(VALU_DEP_2)
	s_and_b32 vcc_lo, exec_lo, s6
	v_mad_u64_u32 v[4:5], null, v0, s9, v[3:4]
	s_delay_alu instid0(VALU_DEP_1)
	v_mov_b32_e32 v3, v4
	s_cbranch_vccnz .LBB633_7
; %bb.6:
	s_delay_alu instid0(VALU_DEP_1) | instskip(NEXT) | instid1(VALU_DEP_1)
	v_lshlrev_b64 v[0:1], 2, v[2:3]
	v_add_co_u32 v0, vcc_lo, s5, v0
	s_delay_alu instid0(VALU_DEP_2)
	v_add_co_ci_u32_e32 v1, vcc_lo, s33, v1, vcc_lo
	global_load_b32 v0, v[0:1], off
	s_waitcnt vmcnt(0)
	v_mul_f32_e32 v1, s34, v0
.LBB633_7:
	s_mov_b32 s6, exec_lo
.LBB633_8:
	s_or_b32 exec_lo, exec_lo, s2
	s_delay_alu instid0(SALU_CYCLE_1) | instskip(SKIP_1) | instid1(SALU_CYCLE_1)
	s_and_b32 s35, s6, exec_lo
	s_or_b32 exec_lo, exec_lo, s4
	s_and_b32 vcc_lo, exec_lo, s3
	s_cbranch_vccnz .LBB633_11
	s_branch .LBB633_48
.LBB633_9:
                                        ; implicit-def: $vgpr1
                                        ; implicit-def: $vgpr2_vgpr3
	s_cbranch_execnz .LBB633_11
	s_branch .LBB633_48
.LBB633_10:
	s_or_b32 exec_lo, exec_lo, s4
	s_delay_alu instid0(SALU_CYCLE_1)
	s_and_b32 vcc_lo, exec_lo, s3
	s_cbranch_vccz .LBB633_48
.LBB633_11:
	s_load_b512 s[16:31], s[0:1], 0x18
	s_ashr_i32 s0, s37, 31
	s_lshl_b32 s39, s14, 8
	s_lshr_b32 s0, s0, 28
	v_dual_mov_b32 v15, 0 :: v_dual_lshlrev_b32 v18, 2, v13
	s_add_i32 s0, s37, s0
	v_dual_mov_b32 v14, 0 :: v_dual_mov_b32 v17, 0
	v_mov_b32_e32 v16, 0
	v_add_nc_u32_e32 v0, s39, v12
	s_and_b32 s40, s0, -16
	s_waitcnt lgkmcnt(0)
	s_mul_i32 s0, s15, s23
	s_mul_hi_u32 s1, s15, s22
	s_mul_i32 s2, s15, s31
	s_mul_hi_u32 s3, s15, s30
	s_mul_i32 s6, s15, s22
	s_add_i32 s7, s1, s0
	s_add_i32 s11, s3, s2
	s_mul_i32 s10, s15, s30
	s_mov_b32 s30, exec_lo
	v_cmpx_gt_i32_e64 s40, v18
	s_cbranch_execz .LBB633_23
; %bb.12:
	v_lshlrev_b32_e32 v29, 2, v13
	v_mad_u64_u32 v[2:3], null, s28, v13, 0
	v_add_nc_u32_e32 v15, 0x80, v0
	s_lshl_b64 s[0:1], s[10:11], 1
	s_delay_alu instid0(VALU_DEP_3)
	v_or_b32_e32 v16, 3, v29
	s_lshl_b64 s[12:13], s[26:27], 1
	s_add_u32 s4, s24, s0
	s_addc_u32 s31, s25, s1
	v_cmp_gt_i32_e64 s1, s36, v15
	v_mad_u64_u32 v[4:5], null, s20, v16, 0
	s_lshl_b64 s[22:23], s[18:19], 1
	s_lshl_b64 s[14:15], s[28:29], 5
	;; [unrolled: 1-line block ×3, first 2 shown]
	v_ashrrev_i32_e32 v1, 31, v0
	v_cmp_gt_i32_e32 vcc_lo, s36, v0
	s_delay_alu instid0(VALU_DEP_3) | instskip(SKIP_2) | instid1(VALU_DEP_3)
	v_mad_u64_u32 v[6:7], null, s29, v13, v[3:4]
	v_add_nc_u32_e32 v14, 64, v0
	v_mad_u64_u32 v[7:8], null, s28, v16, 0
	v_mov_b32_e32 v3, v6
	v_mad_u64_u32 v[9:10], null, s21, v16, v[5:6]
	s_delay_alu instid0(VALU_DEP_4) | instskip(NEXT) | instid1(VALU_DEP_3)
	v_cmp_gt_i32_e64 s0, s36, v14
	v_lshlrev_b64 v[14:15], 3, v[2:3]
	v_mov_b32_e32 v3, v8
	v_lshlrev_b64 v[1:2], 1, v[0:1]
	v_mov_b32_e32 v5, v9
	v_mad_u64_u32 v[9:10], null, s20, v13, 0
	v_add_co_u32 v19, s3, s4, v14
	s_delay_alu instid0(VALU_DEP_3) | instskip(SKIP_4) | instid1(VALU_DEP_2)
	v_lshlrev_b64 v[4:5], 1, v[4:5]
	v_add_co_ci_u32_e64 v20, s3, s31, v15, s3
	s_add_u32 s3, s16, s22
	s_addc_u32 s22, s17, s23
	s_add_u32 s23, s3, s42
	v_mad_u64_u32 v[14:15], null, s29, v16, v[3:4]
	v_mov_b32_e32 v3, v10
	s_addc_u32 s22, s22, s43
	v_add_co_u32 v21, s3, s23, v4
	s_delay_alu instid0(VALU_DEP_1) | instskip(NEXT) | instid1(VALU_DEP_4)
	v_add_co_ci_u32_e64 v22, s3, s22, v5, s3
	v_mov_b32_e32 v8, v14
	v_or_b32_e32 v23, 2, v29
	v_mad_u64_u32 v[31:32], null, s20, v29, s[20:21]
	s_delay_alu instid0(VALU_DEP_2) | instskip(SKIP_1) | instid1(VALU_DEP_2)
	v_mad_u64_u32 v[27:28], null, s28, v23, 0
	v_mad_u64_u32 v[14:15], null, s20, v23, 0
	v_dual_mov_b32 v6, v28 :: v_dual_add_nc_u32 v17, 0xc0, v0
	s_delay_alu instid0(VALU_DEP_1) | instskip(SKIP_3) | instid1(VALU_DEP_1)
	v_cmp_gt_i32_e64 s2, s36, v17
	v_mad_u64_u32 v[16:17], null, s21, v13, v[3:4]
	v_lshlrev_b64 v[4:5], 1, v[7:8]
	v_mov_b32_e32 v3, v15
	v_mad_u64_u32 v[7:8], null, s21, v23, v[3:4]
	s_delay_alu instid0(VALU_DEP_4) | instskip(SKIP_1) | instid1(VALU_DEP_3)
	v_mov_b32_e32 v10, v16
	v_mad_u64_u32 v[16:17], null, s28, v29, s[28:29]
	v_mad_u64_u32 v[25:26], null, s29, v23, v[6:7]
	v_add_co_u32 v23, s3, s4, v4
	s_delay_alu instid0(VALU_DEP_1) | instskip(SKIP_3) | instid1(VALU_DEP_3)
	v_add_co_ci_u32_e64 v24, s3, s31, v5, s3
	v_lshlrev_b64 v[4:5], 3, v[9:10]
	v_mov_b32_e32 v3, v17
	v_dual_mov_b32 v15, v7 :: v_dual_mov_b32 v28, v25
	v_add_co_u32 v25, s3, s23, v4
	s_delay_alu instid0(VALU_DEP_3) | instskip(SKIP_1) | instid1(VALU_DEP_4)
	v_mad_u64_u32 v[6:7], null, s29, v29, v[3:4]
	v_add_co_ci_u32_e64 v26, s3, s22, v5, s3
	v_lshlrev_b64 v[4:5], 1, v[14:15]
	v_dual_mov_b32 v3, v32 :: v_dual_mov_b32 v14, 0
	v_mov_b32_e32 v15, 0
	v_mov_b32_e32 v17, v6
	s_delay_alu instid0(VALU_DEP_3) | instskip(SKIP_2) | instid1(VALU_DEP_4)
	v_mad_u64_u32 v[7:8], null, s21, v29, v[3:4]
	v_lshlrev_b64 v[8:9], 1, v[27:28]
	v_add_co_u32 v27, s3, s23, v4
	v_lshlrev_b64 v[3:4], 1, v[16:17]
	v_mov_b32_e32 v16, 0
	v_add_co_ci_u32_e64 v28, s3, s22, v5, s3
	v_mov_b32_e32 v32, v7
	v_add_co_u32 v29, s3, s4, v8
	s_delay_alu instid0(VALU_DEP_1) | instskip(NEXT) | instid1(VALU_DEP_3)
	v_add_co_ci_u32_e64 v30, s3, s31, v9, s3
	v_lshlrev_b64 v[5:6], 1, v[31:32]
	v_add_co_u32 v31, s3, s4, v3
	s_delay_alu instid0(VALU_DEP_1) | instskip(SKIP_1) | instid1(VALU_DEP_4)
	v_add_co_ci_u32_e64 v32, s3, s31, v4, s3
	v_mov_b32_e32 v17, 0
	v_add_co_u32 v33, s3, s23, v5
	s_delay_alu instid0(VALU_DEP_1)
	v_add_co_ci_u32_e64 v34, s3, s22, v6, s3
	s_lshl_b64 s[22:23], s[20:21], 5
	s_mov_b32 s31, 0
	s_branch .LBB633_17
.LBB633_13:                             ;   in Loop: Header=BB633_17 Depth=1
	s_or_b32 exec_lo, exec_lo, s42
	s_waitcnt vmcnt(2)
	v_lshlrev_b32_e32 v4, 16, v49
	v_lshlrev_b32_e32 v3, 16, v50
	s_waitcnt vmcnt(1)
	s_delay_alu instid0(VALU_DEP_1) | instskip(NEXT) | instid1(VALU_DEP_1)
	v_dual_fmac_f32 v16, v42, v3 :: v_dual_lshlrev_b32 v3, 16, v48
	v_fmac_f32_e32 v16, v40, v4
	s_delay_alu instid0(VALU_DEP_1) | instskip(SKIP_2) | instid1(VALU_DEP_1)
	v_fmac_f32_e32 v16, v38, v3
	s_waitcnt vmcnt(0)
	v_lshlrev_b32_e32 v3, 16, v47
	v_fmac_f32_e32 v16, v37, v3
.LBB633_14:                             ;   in Loop: Header=BB633_17 Depth=1
	s_or_b32 exec_lo, exec_lo, s41
	s_waitcnt vmcnt(3)
	v_lshlrev_b32_e32 v3, 16, v46
	s_waitcnt vmcnt(2)
	s_delay_alu instid0(VALU_DEP_1) | instskip(SKIP_2) | instid1(VALU_DEP_2)
	v_dual_fmac_f32 v15, v42, v3 :: v_dual_lshlrev_b32 v4, 16, v45
	s_waitcnt vmcnt(1)
	v_lshlrev_b32_e32 v3, 16, v44
	v_fmac_f32_e32 v15, v40, v4
	s_delay_alu instid0(VALU_DEP_1) | instskip(SKIP_2) | instid1(VALU_DEP_1)
	v_fmac_f32_e32 v15, v38, v3
	s_waitcnt vmcnt(0)
	v_lshlrev_b32_e32 v3, 16, v43
	v_fmac_f32_e32 v15, v37, v3
.LBB633_15:                             ;   in Loop: Header=BB633_17 Depth=1
	s_or_b32 exec_lo, exec_lo, s3
	s_waitcnt vmcnt(2)
	v_lshlrev_b32_e32 v4, 16, v39
	v_lshlrev_b32_e32 v3, 16, v41
	s_waitcnt vmcnt(1)
	s_delay_alu instid0(VALU_DEP_1) | instskip(NEXT) | instid1(VALU_DEP_1)
	v_dual_fmac_f32 v14, v42, v3 :: v_dual_lshlrev_b32 v3, 16, v36
	v_fmac_f32_e32 v14, v40, v4
	s_delay_alu instid0(VALU_DEP_1) | instskip(SKIP_2) | instid1(VALU_DEP_1)
	v_fmac_f32_e32 v14, v38, v3
	s_waitcnt vmcnt(0)
	v_lshlrev_b32_e32 v3, 16, v35
	v_fmac_f32_e32 v14, v37, v3
.LBB633_16:                             ;   in Loop: Header=BB633_17 Depth=1
	s_or_b32 exec_lo, exec_lo, s4
	v_add_co_u32 v19, s3, v19, s14
	s_delay_alu instid0(VALU_DEP_1) | instskip(SKIP_1) | instid1(VALU_DEP_1)
	v_add_co_ci_u32_e64 v20, s3, s15, v20, s3
	v_add_co_u32 v21, s3, v21, s22
	v_add_co_ci_u32_e64 v22, s3, s23, v22, s3
	v_add_co_u32 v23, s3, v23, s14
	s_delay_alu instid0(VALU_DEP_1) | instskip(SKIP_1) | instid1(VALU_DEP_1)
	v_add_co_ci_u32_e64 v24, s3, s15, v24, s3
	v_add_co_u32 v25, s3, v25, s22
	v_add_co_ci_u32_e64 v26, s3, s23, v26, s3
	v_add_co_u32 v27, s3, v27, s22
	s_delay_alu instid0(VALU_DEP_1) | instskip(SKIP_4) | instid1(VALU_DEP_1)
	v_add_co_ci_u32_e64 v28, s3, s23, v28, s3
	v_add_co_u32 v29, s3, v29, s14
	v_add_nc_u32_e32 v18, 16, v18
	v_add_co_ci_u32_e64 v30, s3, s15, v30, s3
	v_add_co_u32 v31, s3, v31, s14
	v_add_co_ci_u32_e64 v32, s3, s15, v32, s3
	s_delay_alu instid0(VALU_DEP_4) | instskip(SKIP_1) | instid1(VALU_DEP_1)
	v_cmp_le_i32_e64 s3, s40, v18
	v_add_co_u32 v33, s4, v33, s22
	v_add_co_ci_u32_e64 v34, s4, s23, v34, s4
	s_delay_alu instid0(VALU_DEP_3) | instskip(NEXT) | instid1(SALU_CYCLE_1)
	s_or_b32 s31, s3, s31
	s_and_not1_b32 exec_lo, exec_lo, s31
	s_cbranch_execz .LBB633_22
.LBB633_17:                             ; =>This Inner Loop Header: Depth=1
	s_and_saveexec_b32 s4, vcc_lo
	s_cbranch_execz .LBB633_16
; %bb.18:                               ;   in Loop: Header=BB633_17 Depth=1
	v_add_co_u32 v3, s3, v19, s12
	s_delay_alu instid0(VALU_DEP_1) | instskip(SKIP_1) | instid1(VALU_DEP_1)
	v_add_co_ci_u32_e64 v4, s3, s13, v20, s3
	v_add_co_u32 v5, s3, v31, s12
	v_add_co_ci_u32_e64 v6, s3, s13, v32, s3
	v_add_co_u32 v7, s3, v29, s12
	s_delay_alu instid0(VALU_DEP_1) | instskip(SKIP_1) | instid1(VALU_DEP_1)
	v_add_co_ci_u32_e64 v8, s3, s13, v30, s3
	v_add_co_u32 v9, s3, v23, s12
	v_add_co_ci_u32_e64 v10, s3, s13, v24, s3
	global_load_u16 v37, v[3:4], off
	global_load_u16 v38, v[5:6], off
	;; [unrolled: 1-line block ×4, first 2 shown]
	v_add_co_u32 v3, s3, v25, v1
	s_delay_alu instid0(VALU_DEP_1) | instskip(SKIP_1) | instid1(VALU_DEP_1)
	v_add_co_ci_u32_e64 v4, s3, v26, v2, s3
	v_add_co_u32 v5, s3, v33, v1
	v_add_co_ci_u32_e64 v6, s3, v34, v2, s3
	v_add_co_u32 v7, s3, v27, v1
	s_delay_alu instid0(VALU_DEP_1) | instskip(SKIP_1) | instid1(VALU_DEP_1)
	v_add_co_ci_u32_e64 v8, s3, v28, v2, s3
	v_add_co_u32 v9, s3, v21, v1
	v_add_co_ci_u32_e64 v10, s3, v22, v2, s3
	global_load_u16 v41, v[3:4], off
	global_load_u16 v39, v[5:6], off
	;; [unrolled: 1-line block ×4, first 2 shown]
	s_waitcnt vmcnt(7)
	v_lshlrev_b32_e32 v42, 16, v37
	s_waitcnt vmcnt(6)
	v_lshlrev_b32_e32 v40, 16, v38
	s_waitcnt vmcnt(5)
	v_lshlrev_b32_e32 v38, 16, v43
	s_waitcnt vmcnt(4)
	v_lshlrev_b32_e32 v37, 16, v44
	s_and_saveexec_b32 s3, s0
	s_cbranch_execz .LBB633_15
; %bb.19:                               ;   in Loop: Header=BB633_17 Depth=1
	global_load_u16 v46, v[3:4], off offset:128
	global_load_u16 v45, v[5:6], off offset:128
	global_load_u16 v44, v[7:8], off offset:128
	global_load_u16 v43, v[9:10], off offset:128
	s_and_saveexec_b32 s41, s1
	s_cbranch_execz .LBB633_14
; %bb.20:                               ;   in Loop: Header=BB633_17 Depth=1
	global_load_u16 v50, v[3:4], off offset:256
	global_load_u16 v49, v[5:6], off offset:256
	global_load_u16 v48, v[7:8], off offset:256
	global_load_u16 v47, v[9:10], off offset:256
	;; [unrolled: 7-line block ×3, first 2 shown]
	s_waitcnt vmcnt(3)
	v_lshlrev_b32_e32 v3, 16, v3
	s_waitcnt vmcnt(2)
	s_delay_alu instid0(VALU_DEP_1) | instskip(SKIP_2) | instid1(VALU_DEP_2)
	v_dual_fmac_f32 v17, v42, v3 :: v_dual_lshlrev_b32 v4, 16, v4
	s_waitcnt vmcnt(1)
	v_lshlrev_b32_e32 v3, 16, v5
	v_fmac_f32_e32 v17, v40, v4
	s_delay_alu instid0(VALU_DEP_1) | instskip(SKIP_2) | instid1(VALU_DEP_1)
	v_fmac_f32_e32 v17, v38, v3
	s_waitcnt vmcnt(0)
	v_lshlrev_b32_e32 v3, 16, v6
	v_fmac_f32_e32 v17, v37, v3
	s_branch .LBB633_13
.LBB633_22:
	s_or_b32 exec_lo, exec_lo, s31
.LBB633_23:
	s_delay_alu instid0(SALU_CYCLE_1) | instskip(SKIP_1) | instid1(SALU_CYCLE_1)
	s_or_b32 exec_lo, exec_lo, s30
	s_sub_i32 s0, s37, s40
	s_cmp_lt_i32 s0, 1
	s_cbranch_scc1 .LBB633_41
; %bb.24:
	v_cmp_gt_i32_e32 vcc_lo, s37, v18
	v_dual_mov_b32 v9, 0 :: v_dual_mov_b32 v10, 0
	v_or_b32_e32 v2, 1, v18
	v_dual_mov_b32 v19, 0 :: v_dual_mov_b32 v20, 0
	s_and_saveexec_b32 s1, vcc_lo
	s_cbranch_execz .LBB633_32
; %bb.25:
	v_mad_u64_u32 v[3:4], null, v18, s28, 0
	s_lshl_b64 s[2:3], s[10:11], 1
	v_mov_b32_e32 v19, 0
	s_add_u32 s0, s24, s2
	s_addc_u32 s2, s25, s3
	s_lshl_b64 s[10:11], s[26:27], 1
	v_mov_b32_e32 v9, 0
	s_delay_alu instid0(VALU_DEP_3) | instskip(SKIP_3) | instid1(VALU_DEP_1)
	v_dual_mov_b32 v1, v4 :: v_dual_mov_b32 v10, 0
	s_add_u32 s3, s0, s10
	s_addc_u32 s4, s2, s11
	s_mov_b32 s2, exec_lo
	v_mad_u64_u32 v[4:5], null, v18, s29, v[1:2]
	s_delay_alu instid0(VALU_DEP_1) | instskip(NEXT) | instid1(VALU_DEP_1)
	v_lshlrev_b64 v[3:4], 1, v[3:4]
	v_add_co_u32 v3, s0, s3, v3
	s_delay_alu instid0(VALU_DEP_1)
	v_add_co_ci_u32_e64 v4, s0, s4, v4, s0
	global_load_u16 v1, v[3:4], off
	v_cmpx_gt_i32_e64 s37, v2
	s_cbranch_execz .LBB633_31
; %bb.26:
	v_mad_u64_u32 v[3:4], null, v2, s28, 0
	v_mov_b32_e32 v10, 0
	s_mov_b32 s10, exec_lo
	v_mov_b32_e32 v9, 0
	s_delay_alu instid0(VALU_DEP_3) | instskip(NEXT) | instid1(VALU_DEP_1)
	v_mad_u64_u32 v[5:6], null, v2, s29, v[4:5]
	v_mov_b32_e32 v4, v5
	s_delay_alu instid0(VALU_DEP_1) | instskip(NEXT) | instid1(VALU_DEP_1)
	v_lshlrev_b64 v[3:4], 1, v[3:4]
	v_add_co_u32 v3, s0, s3, v3
	s_delay_alu instid0(VALU_DEP_1) | instskip(SKIP_2) | instid1(VALU_DEP_1)
	v_add_co_ci_u32_e64 v4, s0, s4, v4, s0
	global_load_u16 v3, v[3:4], off
	v_or_b32_e32 v4, 2, v18
	v_cmpx_gt_i32_e64 s37, v4
	s_cbranch_execz .LBB633_30
; %bb.27:
	v_mad_u64_u32 v[5:6], null, v4, s28, 0
	s_mov_b32 s11, exec_lo
	v_mov_b32_e32 v9, 0
	s_delay_alu instid0(VALU_DEP_2) | instskip(NEXT) | instid1(VALU_DEP_1)
	v_mad_u64_u32 v[7:8], null, v4, s29, v[6:7]
	v_mov_b32_e32 v6, v7
	s_delay_alu instid0(VALU_DEP_1) | instskip(NEXT) | instid1(VALU_DEP_1)
	v_lshlrev_b64 v[4:5], 1, v[5:6]
	v_add_co_u32 v4, s0, s3, v4
	s_delay_alu instid0(VALU_DEP_1) | instskip(SKIP_2) | instid1(VALU_DEP_1)
	v_add_co_ci_u32_e64 v5, s0, s4, v5, s0
	global_load_u16 v4, v[4:5], off
	v_or_b32_e32 v5, 3, v18
	v_cmpx_gt_i32_e64 s37, v5
	s_cbranch_execz .LBB633_29
; %bb.28:
	v_mad_u64_u32 v[6:7], null, v5, s28, 0
	s_delay_alu instid0(VALU_DEP_1) | instskip(NEXT) | instid1(VALU_DEP_1)
	v_mad_u64_u32 v[8:9], null, v5, s29, v[7:8]
	v_mov_b32_e32 v7, v8
	s_delay_alu instid0(VALU_DEP_1) | instskip(NEXT) | instid1(VALU_DEP_1)
	v_lshlrev_b64 v[5:6], 1, v[6:7]
	v_add_co_u32 v5, s0, s3, v5
	s_delay_alu instid0(VALU_DEP_1)
	v_add_co_ci_u32_e64 v6, s0, s4, v6, s0
	global_load_u16 v5, v[5:6], off
	s_waitcnt vmcnt(0)
	v_lshlrev_b32_e32 v9, 16, v5
.LBB633_29:
	s_or_b32 exec_lo, exec_lo, s11
	s_waitcnt vmcnt(0)
	v_lshlrev_b32_e32 v10, 16, v4
.LBB633_30:
	s_or_b32 exec_lo, exec_lo, s10
	s_waitcnt vmcnt(0)
	v_lshlrev_b32_e32 v19, 16, v3
.LBB633_31:
	s_or_b32 exec_lo, exec_lo, s2
	s_waitcnt vmcnt(0)
	v_lshlrev_b32_e32 v20, 16, v1
.LBB633_32:
	s_or_b32 exec_lo, exec_lo, s1
	s_delay_alu instid0(SALU_CYCLE_1)
	s_mov_b32 s1, exec_lo
	v_cmpx_gt_i32_e64 s36, v0
	s_cbranch_execz .LBB633_40
; %bb.33:
	v_mad_u64_u32 v[3:4], null, v18, s20, 0
	v_mad_u64_u32 v[5:6], null, v2, s20, 0
	v_ashrrev_i32_e32 v1, 31, v0
	s_lshl_b64 s[2:3], s[6:7], 1
	v_or_b32_e32 v28, 2, v18
	s_add_u32 s0, s16, s2
	s_delay_alu instid0(VALU_DEP_4)
	v_cndmask_b32_e32 v3, 0, v3, vcc_lo
	v_lshlrev_b64 v[21:22], 1, v[0:1]
	v_mad_u64_u32 v[7:8], null, v18, s21, v[4:5]
	s_addc_u32 s4, s17, s3
	s_lshl_b64 s[2:3], s[18:19], 1
	v_or_b32_e32 v18, 3, v18
	s_add_u32 s2, s0, s2
	v_mov_b32_e32 v1, v6
	v_mad_u64_u32 v[23:24], null, v28, s20, 0
	s_delay_alu instid0(VALU_DEP_4) | instskip(SKIP_1) | instid1(VALU_DEP_4)
	v_cndmask_b32_e32 v4, 0, v7, vcc_lo
	v_cmp_gt_i32_e32 vcc_lo, s37, v2
	v_mad_u64_u32 v[25:26], null, v2, s21, v[1:2]
	s_addc_u32 s3, s4, s3
	v_mad_u64_u32 v[6:7], null, v18, s20, 0
	v_cndmask_b32_e32 v26, 0, v5, vcc_lo
	v_lshlrev_b64 v[3:4], 1, v[3:4]
	s_delay_alu instid0(VALU_DEP_4) | instskip(NEXT) | instid1(VALU_DEP_2)
	v_cndmask_b32_e32 v27, 0, v25, vcc_lo
	v_add_co_u32 v1, s0, s2, v3
	s_delay_alu instid0(VALU_DEP_1) | instskip(NEXT) | instid1(VALU_DEP_3)
	v_add_co_ci_u32_e64 v2, s0, s3, v4, s0
	v_lshlrev_b64 v[3:4], 1, v[26:27]
	s_delay_alu instid0(VALU_DEP_3) | instskip(NEXT) | instid1(VALU_DEP_3)
	v_add_co_u32 v1, vcc_lo, v1, v21
	v_add_co_ci_u32_e32 v2, vcc_lo, v2, v22, vcc_lo
	v_cmp_gt_i32_e32 vcc_lo, s37, v28
	v_mov_b32_e32 v5, v24
	v_add_co_u32 v3, s0, s2, v3
	s_delay_alu instid0(VALU_DEP_1) | instskip(NEXT) | instid1(VALU_DEP_3)
	v_add_co_ci_u32_e64 v4, s0, s3, v4, s0
	v_mad_u64_u32 v[24:25], null, v28, s21, v[5:6]
	s_delay_alu instid0(VALU_DEP_3) | instskip(SKIP_1) | instid1(VALU_DEP_4)
	v_add_co_u32 v3, s0, v3, v21
	v_mov_b32_e32 v5, v7
	v_add_co_ci_u32_e64 v4, s0, v4, v22, s0
	s_delay_alu instid0(VALU_DEP_4) | instskip(NEXT) | instid1(VALU_DEP_3)
	v_dual_cndmask_b32 v7, 0, v23 :: v_dual_cndmask_b32 v8, 0, v24
	v_mad_u64_u32 v[25:26], null, v18, s21, v[5:6]
	v_cmp_gt_i32_e32 vcc_lo, s37, v18
	s_clause 0x1
	global_load_u16 v18, v[1:2], off
	global_load_u16 v23, v[3:4], off
	s_mov_b32 s0, exec_lo
	s_waitcnt vmcnt(1)
	v_lshlrev_b32_e32 v18, 16, v18
	s_waitcnt vmcnt(0)
	s_delay_alu instid0(VALU_DEP_1) | instskip(SKIP_2) | instid1(VALU_DEP_3)
	v_dual_fmac_f32 v14, v20, v18 :: v_dual_lshlrev_b32 v23, 16, v23
	v_dual_cndmask_b32 v5, 0, v6 :: v_dual_cndmask_b32 v6, 0, v25
	v_lshlrev_b64 v[7:8], 1, v[7:8]
	v_dual_fmac_f32 v14, v19, v23 :: v_dual_add_nc_u32 v23, 64, v0
	s_delay_alu instid0(VALU_DEP_3) | instskip(NEXT) | instid1(VALU_DEP_3)
	v_lshlrev_b64 v[5:6], 1, v[5:6]
	v_add_co_u32 v7, vcc_lo, s2, v7
	s_delay_alu instid0(VALU_DEP_4) | instskip(NEXT) | instid1(VALU_DEP_3)
	v_add_co_ci_u32_e32 v8, vcc_lo, s3, v8, vcc_lo
	v_add_co_u32 v5, vcc_lo, s2, v5
	s_delay_alu instid0(VALU_DEP_4) | instskip(NEXT) | instid1(VALU_DEP_4)
	v_add_co_ci_u32_e32 v6, vcc_lo, s3, v6, vcc_lo
	v_add_co_u32 v7, vcc_lo, v7, v21
	s_delay_alu instid0(VALU_DEP_4) | instskip(NEXT) | instid1(VALU_DEP_4)
	v_add_co_ci_u32_e32 v8, vcc_lo, v8, v22, vcc_lo
	v_add_co_u32 v5, vcc_lo, v5, v21
	s_delay_alu instid0(VALU_DEP_4)
	v_add_co_ci_u32_e32 v6, vcc_lo, v6, v22, vcc_lo
	s_clause 0x1
	global_load_u16 v21, v[7:8], off
	global_load_u16 v22, v[5:6], off
	s_waitcnt vmcnt(1)
	v_lshlrev_b32_e32 v21, 16, v21
	s_waitcnt vmcnt(0)
	v_lshlrev_b32_e32 v18, 16, v22
	s_delay_alu instid0(VALU_DEP_2)
	v_fmac_f32_e32 v14, v10, v21
	v_cmpx_gt_i32_e64 s36, v23
	s_cbranch_execz .LBB633_39
; %bb.34:
	s_clause 0x3
	global_load_u16 v21, v[1:2], off offset:128
	global_load_u16 v22, v[3:4], off offset:128
	;; [unrolled: 1-line block ×4, first 2 shown]
	s_mov_b32 s2, exec_lo
	s_waitcnt vmcnt(3)
	v_lshlrev_b32_e32 v21, 16, v21
	s_waitcnt vmcnt(2)
	v_lshlrev_b32_e32 v22, 16, v22
	;; [unrolled: 2-line block ×3, first 2 shown]
	v_fmac_f32_e32 v15, v20, v21
	s_waitcnt vmcnt(0)
	v_lshlrev_b32_e32 v21, 16, v24
	s_delay_alu instid0(VALU_DEP_2) | instskip(NEXT) | instid1(VALU_DEP_1)
	v_dual_fmac_f32 v15, v19, v22 :: v_dual_add_nc_u32 v22, 0x80, v0
	v_fmac_f32_e32 v15, v10, v23
	s_delay_alu instid0(VALU_DEP_2)
	v_cmpx_gt_i32_e64 s36, v22
	s_cbranch_execz .LBB633_38
; %bb.35:
	s_clause 0x3
	global_load_u16 v22, v[1:2], off offset:256
	global_load_u16 v23, v[3:4], off offset:256
	;; [unrolled: 1-line block ×4, first 2 shown]
	s_mov_b32 s3, exec_lo
	s_waitcnt vmcnt(3)
	v_lshlrev_b32_e32 v22, 16, v22
	s_waitcnt vmcnt(2)
	s_delay_alu instid0(VALU_DEP_1) | instskip(SKIP_2) | instid1(VALU_DEP_2)
	v_dual_fmac_f32 v16, v20, v22 :: v_dual_lshlrev_b32 v23, 16, v23
	s_waitcnt vmcnt(1)
	v_lshlrev_b32_e32 v22, 16, v24
	v_dual_fmac_f32 v16, v19, v23 :: v_dual_add_nc_u32 v23, 0xc0, v0
	s_waitcnt vmcnt(0)
	v_lshlrev_b32_e32 v0, 16, v25
	s_delay_alu instid0(VALU_DEP_2) | instskip(NEXT) | instid1(VALU_DEP_3)
	v_fmac_f32_e32 v16, v10, v22
	v_cmpx_gt_i32_e64 s36, v23
	s_cbranch_execz .LBB633_37
; %bb.36:
	s_clause 0x3
	global_load_u16 v1, v[1:2], off offset:384
	global_load_u16 v2, v[3:4], off offset:384
	;; [unrolled: 1-line block ×4, first 2 shown]
	s_waitcnt vmcnt(3)
	v_lshlrev_b32_e32 v1, 16, v1
	s_waitcnt vmcnt(2)
	s_delay_alu instid0(VALU_DEP_1) | instskip(SKIP_2) | instid1(VALU_DEP_2)
	v_dual_fmac_f32 v17, v20, v1 :: v_dual_lshlrev_b32 v2, 16, v2
	s_waitcnt vmcnt(1)
	v_lshlrev_b32_e32 v1, 16, v3
	v_fmac_f32_e32 v17, v19, v2
	s_delay_alu instid0(VALU_DEP_1) | instskip(SKIP_2) | instid1(VALU_DEP_1)
	v_fmac_f32_e32 v17, v10, v1
	s_waitcnt vmcnt(0)
	v_lshlrev_b32_e32 v1, 16, v4
	v_fmac_f32_e32 v17, v9, v1
.LBB633_37:
	s_or_b32 exec_lo, exec_lo, s3
	s_delay_alu instid0(VALU_DEP_2)
	v_fmac_f32_e32 v16, v9, v0
.LBB633_38:
	s_or_b32 exec_lo, exec_lo, s2
	s_delay_alu instid0(VALU_DEP_2)
	v_fmac_f32_e32 v15, v9, v21
.LBB633_39:
	s_or_b32 exec_lo, exec_lo, s0
	s_delay_alu instid0(VALU_DEP_2)
	v_fmac_f32_e32 v14, v9, v18
.LBB633_40:
	s_or_b32 exec_lo, exec_lo, s1
.LBB633_41:
	v_lshlrev_b32_e32 v0, 8, v13
	s_mov_b32 s0, exec_lo
                                        ; implicit-def: $vgpr1
                                        ; implicit-def: $vgpr2_vgpr3
	s_delay_alu instid0(VALU_DEP_1)
	v_add_lshl_u32 v0, v0, v12, 2
	ds_store_2addr_stride64_b32 v0, v14, v15 offset1:1
	ds_store_2addr_stride64_b32 v0, v16, v17 offset0:2 offset1:3
	s_waitcnt lgkmcnt(0)
	s_barrier
	buffer_gl0_inv
	v_cmpx_gt_u32_e32 0x100, v11
	s_cbranch_execz .LBB633_47
; %bb.42:
	v_lshlrev_b32_e32 v5, 2, v11
	v_or_b32_e32 v4, s39, v11
	s_mov_b32 s2, s35
	s_mov_b32 s1, exec_lo
	ds_load_2addr_stride64_b32 v[0:1], v5 offset1:4
	ds_load_2addr_stride64_b32 v[2:3], v5 offset0:8 offset1:12
	s_waitcnt lgkmcnt(1)
	v_add_f32_e32 v0, v0, v1
                                        ; implicit-def: $vgpr1
	s_waitcnt lgkmcnt(0)
	s_delay_alu instid0(VALU_DEP_1) | instskip(NEXT) | instid1(VALU_DEP_1)
	v_add_f32_e32 v0, v2, v0
	v_add_f32_e32 v0, v3, v0
                                        ; implicit-def: $vgpr2_vgpr3
	ds_store_b32 v5, v0
	v_cmpx_gt_i32_e64 s36, v4
	s_cbranch_execz .LBB633_46
; %bb.43:
	v_ashrrev_i32_e32 v1, 31, v4
	v_mul_lo_u32 v5, v4, s9
	v_mad_u64_u32 v[2:3], null, v4, s8, 0
	v_cmp_eq_f32_e64 s2, s34, 0
	s_delay_alu instid0(VALU_DEP_4) | instskip(SKIP_1) | instid1(VALU_DEP_3)
	v_mul_lo_u32 v4, v1, s8
	v_mul_f32_e32 v1, s38, v0
	s_and_b32 vcc_lo, exec_lo, s2
	s_delay_alu instid0(VALU_DEP_2)
	v_add3_u32 v3, v3, v5, v4
	s_cbranch_vccnz .LBB633_45
; %bb.44:
	s_delay_alu instid0(VALU_DEP_1) | instskip(NEXT) | instid1(VALU_DEP_1)
	v_lshlrev_b64 v[4:5], 2, v[2:3]
	v_add_co_u32 v4, vcc_lo, s5, v4
	s_delay_alu instid0(VALU_DEP_2)
	v_add_co_ci_u32_e32 v5, vcc_lo, s33, v5, vcc_lo
	global_load_b32 v0, v[4:5], off
	s_waitcnt vmcnt(0)
	v_fmac_f32_e32 v1, s34, v0
.LBB633_45:
	s_or_b32 s2, s35, exec_lo
.LBB633_46:
	s_or_b32 exec_lo, exec_lo, s1
	s_delay_alu instid0(SALU_CYCLE_1) | instskip(SKIP_1) | instid1(SALU_CYCLE_1)
	s_and_not1_b32 s1, s35, exec_lo
	s_and_b32 s2, s2, exec_lo
	s_or_b32 s35, s1, s2
.LBB633_47:
	s_or_b32 exec_lo, exec_lo, s0
.LBB633_48:
	s_and_saveexec_b32 s0, s35
	s_cbranch_execz .LBB633_50
; %bb.49:
	v_lshlrev_b64 v[2:3], 2, v[2:3]
	s_delay_alu instid0(VALU_DEP_1) | instskip(NEXT) | instid1(VALU_DEP_2)
	v_add_co_u32 v2, vcc_lo, s5, v2
	v_add_co_ci_u32_e32 v3, vcc_lo, s33, v3, vcc_lo
	global_store_b32 v[2:3], v1, off
.LBB633_50:
	s_nop 0
	s_sendmsg sendmsg(MSG_DEALLOC_VGPRS)
	s_endpgm
	.section	.rodata,"a",@progbits
	.p2align	6, 0x0
	.amdhsa_kernel _ZL20rocblas_gemvn_kernelILi64ELi4El16rocblas_bfloat16ffEviiT3_lPKT2_lT1_lS4_lS5_lS1_lPT4_lS5_li
		.amdhsa_group_segment_fixed_size 4096
		.amdhsa_private_segment_fixed_size 0
		.amdhsa_kernarg_size 400
		.amdhsa_user_sgpr_count 14
		.amdhsa_user_sgpr_dispatch_ptr 0
		.amdhsa_user_sgpr_queue_ptr 0
		.amdhsa_user_sgpr_kernarg_segment_ptr 1
		.amdhsa_user_sgpr_dispatch_id 0
		.amdhsa_user_sgpr_private_segment_size 0
		.amdhsa_wavefront_size32 1
		.amdhsa_uses_dynamic_stack 0
		.amdhsa_enable_private_segment 0
		.amdhsa_system_sgpr_workgroup_id_x 1
		.amdhsa_system_sgpr_workgroup_id_y 0
		.amdhsa_system_sgpr_workgroup_id_z 1
		.amdhsa_system_sgpr_workgroup_info 0
		.amdhsa_system_vgpr_workitem_id 1
		.amdhsa_next_free_vgpr 51
		.amdhsa_next_free_sgpr 44
		.amdhsa_reserve_vcc 1
		.amdhsa_float_round_mode_32 0
		.amdhsa_float_round_mode_16_64 0
		.amdhsa_float_denorm_mode_32 3
		.amdhsa_float_denorm_mode_16_64 3
		.amdhsa_dx10_clamp 1
		.amdhsa_ieee_mode 1
		.amdhsa_fp16_overflow 0
		.amdhsa_workgroup_processor_mode 1
		.amdhsa_memory_ordered 1
		.amdhsa_forward_progress 0
		.amdhsa_shared_vgpr_count 0
		.amdhsa_exception_fp_ieee_invalid_op 0
		.amdhsa_exception_fp_denorm_src 0
		.amdhsa_exception_fp_ieee_div_zero 0
		.amdhsa_exception_fp_ieee_overflow 0
		.amdhsa_exception_fp_ieee_underflow 0
		.amdhsa_exception_fp_ieee_inexact 0
		.amdhsa_exception_int_div_zero 0
	.end_amdhsa_kernel
	.section	.text._ZL20rocblas_gemvn_kernelILi64ELi4El16rocblas_bfloat16ffEviiT3_lPKT2_lT1_lS4_lS5_lS1_lPT4_lS5_li,"axG",@progbits,_ZL20rocblas_gemvn_kernelILi64ELi4El16rocblas_bfloat16ffEviiT3_lPKT2_lT1_lS4_lS5_lS1_lPT4_lS5_li,comdat
.Lfunc_end633:
	.size	_ZL20rocblas_gemvn_kernelILi64ELi4El16rocblas_bfloat16ffEviiT3_lPKT2_lT1_lS4_lS5_lS1_lPT4_lS5_li, .Lfunc_end633-_ZL20rocblas_gemvn_kernelILi64ELi4El16rocblas_bfloat16ffEviiT3_lPKT2_lT1_lS4_lS5_lS1_lPT4_lS5_li
                                        ; -- End function
	.section	.AMDGPU.csdata,"",@progbits
; Kernel info:
; codeLenInByte = 3512
; NumSgprs: 46
; NumVgprs: 51
; ScratchSize: 0
; MemoryBound: 0
; FloatMode: 240
; IeeeMode: 1
; LDSByteSize: 4096 bytes/workgroup (compile time only)
; SGPRBlocks: 5
; VGPRBlocks: 6
; NumSGPRsForWavesPerEU: 46
; NumVGPRsForWavesPerEU: 51
; Occupancy: 16
; WaveLimiterHint : 1
; COMPUTE_PGM_RSRC2:SCRATCH_EN: 0
; COMPUTE_PGM_RSRC2:USER_SGPR: 14
; COMPUTE_PGM_RSRC2:TRAP_HANDLER: 0
; COMPUTE_PGM_RSRC2:TGID_X_EN: 1
; COMPUTE_PGM_RSRC2:TGID_Y_EN: 0
; COMPUTE_PGM_RSRC2:TGID_Z_EN: 1
; COMPUTE_PGM_RSRC2:TIDIG_COMP_CNT: 1
	.section	.text._ZL20rocblas_gemvn_kernelILi32ELi16Ei16rocblas_bfloat16PKffEviiT3_lPKT2_lT1_lS6_lS7_lS3_lPT4_lS7_li,"axG",@progbits,_ZL20rocblas_gemvn_kernelILi32ELi16Ei16rocblas_bfloat16PKffEviiT3_lPKT2_lT1_lS6_lS7_lS3_lPT4_lS7_li,comdat
	.globl	_ZL20rocblas_gemvn_kernelILi32ELi16Ei16rocblas_bfloat16PKffEviiT3_lPKT2_lT1_lS6_lS7_lS3_lPT4_lS7_li ; -- Begin function _ZL20rocblas_gemvn_kernelILi32ELi16Ei16rocblas_bfloat16PKffEviiT3_lPKT2_lT1_lS6_lS7_lS3_lPT4_lS7_li
	.p2align	8
	.type	_ZL20rocblas_gemvn_kernelILi32ELi16Ei16rocblas_bfloat16PKffEviiT3_lPKT2_lT1_lS6_lS7_lS3_lPT4_lS7_li,@function
_ZL20rocblas_gemvn_kernelILi32ELi16Ei16rocblas_bfloat16PKffEviiT3_lPKT2_lT1_lS6_lS7_lS3_lPT4_lS7_li: ; @_ZL20rocblas_gemvn_kernelILi32ELi16Ei16rocblas_bfloat16PKffEviiT3_lPKT2_lT1_lS6_lS7_lS3_lPT4_lS7_li
; %bb.0:
	s_load_b64 s[2:3], s[0:1], 0x9c
	s_waitcnt lgkmcnt(0)
	s_lshr_b32 s4, s2, 16
	s_and_b32 s2, s2, 0xffff
	s_and_b32 s3, s3, 0xffff
	s_mul_i32 s2, s4, s2
	s_delay_alu instid0(SALU_CYCLE_1) | instskip(NEXT) | instid1(SALU_CYCLE_1)
	s_mul_i32 s2, s2, s3
	s_cmpk_lg_i32 s2, 0x200
	s_cbranch_scc1 .LBB634_50
; %bb.1:
	s_clause 0x1
	s_load_b256 s[16:23], s[0:1], 0x8
	s_load_b256 s[4:11], s[0:1], 0x50
	s_waitcnt lgkmcnt(0)
	s_mul_i32 s3, s15, s19
	s_mul_hi_u32 s12, s15, s18
	s_mul_i32 s2, s15, s18
	s_add_i32 s3, s12, s3
	s_mul_i32 s9, s15, s9
	s_lshl_b64 s[2:3], s[2:3], 2
	s_mul_hi_u32 s12, s15, s8
	s_add_u32 s2, s16, s2
	s_addc_u32 s3, s17, s3
	s_add_i32 s9, s12, s9
	s_mul_i32 s8, s15, s8
	s_mov_b32 s16, 0
	s_lshl_b64 s[8:9], s[8:9], 2
	s_delay_alu instid0(SALU_CYCLE_1)
	s_add_u32 s6, s6, s8
	s_addc_u32 s7, s7, s9
	s_load_b32 s13, s[2:3], 0x0
	s_load_b32 s12, s[6:7], 0x0
	s_waitcnt lgkmcnt(0)
	v_cmp_eq_f32_e64 s2, s13, 0
	v_cmp_eq_f32_e64 s3, s12, 1.0
	s_delay_alu instid0(VALU_DEP_1) | instskip(NEXT) | instid1(SALU_CYCLE_1)
	s_and_b32 s2, s2, s3
	s_and_b32 vcc_lo, exec_lo, s2
	s_cbranch_vccnz .LBB634_50
; %bb.2:
	s_clause 0x3
	s_load_b64 s[2:3], s[0:1], 0x80
	s_load_b64 s[8:9], s[0:1], 0x70
	s_load_b32 s17, s[0:1], 0x78
	s_load_b64 s[6:7], s[0:1], 0x0
	v_and_b32_e32 v1, 0x3ff, v0
	v_bfe_u32 v13, v0, 10, 10
	s_delay_alu instid0(VALU_DEP_1)
	v_lshl_add_u32 v0, v13, 5, v1
	s_waitcnt lgkmcnt(0)
	s_mul_i32 s3, s15, s3
	s_mul_hi_u32 s18, s15, s2
	s_mul_i32 s2, s15, s2
	s_add_i32 s3, s18, s3
	v_cmp_neq_f32_e64 s18, s13, 0
	s_lshl_b64 s[2:3], s[2:3], 2
	s_delay_alu instid0(SALU_CYCLE_1) | instskip(SKIP_2) | instid1(SALU_CYCLE_1)
	s_add_u32 s10, s10, s2
	s_addc_u32 s11, s11, s3
	s_lshl_b64 s[2:3], s[8:9], 2
	s_add_u32 s8, s10, s2
	v_cmp_gt_u32_e64 s2, 0x80, v0
	s_addc_u32 s9, s11, s3
	s_and_b32 vcc_lo, exec_lo, s18
	s_cbranch_vccnz .LBB634_9
; %bb.3:
	s_mov_b32 s3, 0
                                        ; implicit-def: $vgpr3
                                        ; implicit-def: $vgpr4_vgpr5
	s_and_saveexec_b32 s10, s2
	s_cbranch_execz .LBB634_10
; %bb.4:
	v_lshl_or_b32 v2, s14, 7, v0
	v_mov_b32_e32 v3, 0
	s_ashr_i32 s19, s6, 31
	s_mov_b32 s18, s6
	s_mov_b32 s11, 0
	s_mov_b32 s2, exec_lo
                                        ; implicit-def: $vgpr4_vgpr5
	v_cmpx_gt_i64_e64 s[18:19], v[2:3]
	s_cbranch_execz .LBB634_8
; %bb.5:
	v_mad_u64_u32 v[4:5], null, s17, v2, 0
	s_ashr_i32 s11, s17, 31
	s_delay_alu instid0(VALU_DEP_1) | instid1(SALU_CYCLE_1)
	v_mad_u64_u32 v[6:7], null, s11, v2, v[5:6]
	v_cmp_eq_f32_e64 s11, s12, 0
	s_delay_alu instid0(VALU_DEP_1) | instskip(NEXT) | instid1(VALU_DEP_2)
	s_and_b32 vcc_lo, exec_lo, s11
	v_mov_b32_e32 v5, v6
	s_cbranch_vccnz .LBB634_7
; %bb.6:
	s_delay_alu instid0(VALU_DEP_1) | instskip(NEXT) | instid1(VALU_DEP_1)
	v_lshlrev_b64 v[2:3], 2, v[4:5]
	v_add_co_u32 v2, vcc_lo, s8, v2
	s_delay_alu instid0(VALU_DEP_2)
	v_add_co_ci_u32_e32 v3, vcc_lo, s9, v3, vcc_lo
	global_load_b32 v2, v[2:3], off
	s_waitcnt vmcnt(0)
	v_mul_f32_e32 v3, s12, v2
.LBB634_7:
	s_mov_b32 s11, exec_lo
.LBB634_8:
	s_or_b32 exec_lo, exec_lo, s2
	s_delay_alu instid0(SALU_CYCLE_1) | instskip(SKIP_1) | instid1(SALU_CYCLE_1)
	s_and_b32 s16, s11, exec_lo
	s_or_b32 exec_lo, exec_lo, s10
	s_and_b32 vcc_lo, exec_lo, s3
	s_cbranch_vccnz .LBB634_11
	s_branch .LBB634_48
.LBB634_9:
                                        ; implicit-def: $vgpr3
                                        ; implicit-def: $vgpr4_vgpr5
	s_cbranch_execnz .LBB634_11
	s_branch .LBB634_48
.LBB634_10:
	s_or_b32 exec_lo, exec_lo, s10
	s_delay_alu instid0(SALU_CYCLE_1)
	s_and_b32 vcc_lo, exec_lo, s3
	s_cbranch_vccz .LBB634_48
.LBB634_11:
	s_clause 0x2
	s_load_b128 s[24:27], s[0:1], 0x30
	s_load_b32 s18, s[0:1], 0x28
	s_load_b64 s[2:3], s[0:1], 0x40
	s_mul_i32 s5, s15, s5
	v_dual_mov_b32 v14, 0 :: v_dual_lshlrev_b32 v19, 2, v13
	v_dual_mov_b32 v15, 0 :: v_dual_mov_b32 v16, 0
	v_mov_b32_e32 v17, 0
	s_waitcnt lgkmcnt(0)
	s_mul_i32 s11, s15, s25
	s_mul_hi_u32 s19, s15, s24
	s_mul_i32 s10, s15, s24
	s_add_i32 s11, s19, s11
	s_mul_hi_u32 s19, s15, s4
	s_lshl_b64 s[10:11], s[10:11], 1
	s_delay_alu instid0(SALU_CYCLE_1) | instskip(SKIP_4) | instid1(SALU_CYCLE_1)
	s_add_u32 s24, s20, s10
	s_mul_i32 s20, s15, s4
	s_load_b32 s4, s[0:1], 0x48
	s_addc_u32 s21, s21, s11
	s_lshl_b64 s[10:11], s[22:23], 1
	s_add_u32 s10, s24, s10
	s_addc_u32 s11, s21, s11
	s_add_i32 s21, s19, s5
	s_delay_alu instid0(SALU_CYCLE_1) | instskip(SKIP_4) | instid1(SALU_CYCLE_1)
	s_lshl_b64 s[0:1], s[20:21], 1
	s_mov_b32 s20, exec_lo
	s_add_u32 s5, s26, s0
	s_addc_u32 s19, s27, s1
	s_lshl_b64 s[0:1], s[2:3], 1
	s_add_u32 s15, s5, s0
	s_addc_u32 s19, s19, s1
	s_ashr_i32 s0, s7, 31
	s_lshl_b32 s5, s14, 7
	s_lshr_b32 s0, s0, 26
	v_add_nc_u32_e32 v18, s5, v1
	s_add_i32 s0, s7, s0
	s_delay_alu instid0(SALU_CYCLE_1) | instskip(NEXT) | instid1(SALU_CYCLE_1)
	s_and_b32 s14, s0, 0xffffffc0
	v_cmpx_gt_i32_e64 s14, v19
	s_cbranch_execz .LBB634_23
; %bb.12:
	v_mul_lo_u32 v3, s18, v19
	v_dual_mov_b32 v15, 0 :: v_dual_add_nc_u32 v2, 32, v18
	v_add_nc_u32_e32 v6, 2, v19
	v_dual_mov_b32 v14, 0 :: v_dual_add_nc_u32 v5, 0x60, v18
	s_delay_alu instid0(VALU_DEP_3)
	v_cmp_gt_i32_e64 s0, s6, v2
	v_dual_mov_b32 v17, 0 :: v_dual_add_nc_u32 v4, 64, v18
	v_add3_u32 v20, v3, s18, v1
	v_mad_u64_u32 v[2:3], null, s18, v6, v[1:2]
	v_cmp_gt_i32_e64 s2, s6, v5
	v_mul_lo_u32 v5, v13, s18
	v_dual_mov_b32 v16, 0 :: v_dual_add_nc_u32 v7, 3, v19
	s_waitcnt lgkmcnt(0)
	v_mul_lo_u32 v8, v13, s4
	v_cmp_gt_i32_e64 s1, s6, v4
	v_mul_lo_u32 v22, s4, v6
	v_mad_u64_u32 v[3:4], null, s18, v7, v[1:2]
	v_lshl_add_u32 v21, v5, 2, v1
	v_mad_u64_u32 v[4:5], null, s4, v19, s[4:5]
	v_mul_lo_u32 v23, s4, v7
	v_cmp_gt_i32_e32 vcc_lo, s6, v18
	v_lshlrev_b32_e32 v24, 2, v8
	s_lshl_b32 s21, s18, 6
	s_lshl_b32 s23, s4, 6
	s_mov_b32 s22, 0
	s_mov_b32 s24, 0
	s_branch .LBB634_17
.LBB634_13:                             ;   in Loop: Header=BB634_17 Depth=1
	s_or_b32 exec_lo, exec_lo, s27
	s_waitcnt vmcnt(2)
	v_lshlrev_b32_e32 v6, 16, v39
	v_lshlrev_b32_e32 v5, 16, v40
	s_waitcnt vmcnt(1)
	s_delay_alu instid0(VALU_DEP_1) | instskip(NEXT) | instid1(VALU_DEP_1)
	v_dual_fmac_f32 v16, v32, v5 :: v_dual_lshlrev_b32 v5, 16, v38
	v_fmac_f32_e32 v16, v30, v6
	s_delay_alu instid0(VALU_DEP_1) | instskip(SKIP_2) | instid1(VALU_DEP_1)
	v_fmac_f32_e32 v16, v28, v5
	s_waitcnt vmcnt(0)
	v_lshlrev_b32_e32 v5, 16, v37
	v_fmac_f32_e32 v16, v27, v5
.LBB634_14:                             ;   in Loop: Header=BB634_17 Depth=1
	s_or_b32 exec_lo, exec_lo, s26
	s_waitcnt vmcnt(3)
	v_lshlrev_b32_e32 v5, 16, v36
	s_waitcnt vmcnt(2)
	s_delay_alu instid0(VALU_DEP_1) | instskip(SKIP_2) | instid1(VALU_DEP_2)
	v_dual_fmac_f32 v15, v32, v5 :: v_dual_lshlrev_b32 v6, 16, v35
	s_waitcnt vmcnt(1)
	v_lshlrev_b32_e32 v5, 16, v34
	v_fmac_f32_e32 v15, v30, v6
	s_delay_alu instid0(VALU_DEP_1) | instskip(SKIP_2) | instid1(VALU_DEP_1)
	v_fmac_f32_e32 v15, v28, v5
	s_waitcnt vmcnt(0)
	v_lshlrev_b32_e32 v5, 16, v33
	v_fmac_f32_e32 v15, v27, v5
.LBB634_15:                             ;   in Loop: Header=BB634_17 Depth=1
	s_or_b32 exec_lo, exec_lo, s3
	s_waitcnt vmcnt(2)
	v_lshlrev_b32_e32 v6, 16, v29
	v_lshlrev_b32_e32 v5, 16, v31
	s_waitcnt vmcnt(1)
	s_delay_alu instid0(VALU_DEP_1) | instskip(NEXT) | instid1(VALU_DEP_1)
	v_dual_fmac_f32 v14, v32, v5 :: v_dual_lshlrev_b32 v5, 16, v26
	v_fmac_f32_e32 v14, v30, v6
	s_delay_alu instid0(VALU_DEP_1) | instskip(SKIP_2) | instid1(VALU_DEP_1)
	v_fmac_f32_e32 v14, v28, v5
	s_waitcnt vmcnt(0)
	v_lshlrev_b32_e32 v5, 16, v25
	v_fmac_f32_e32 v14, v27, v5
.LBB634_16:                             ;   in Loop: Header=BB634_17 Depth=1
	s_or_b32 exec_lo, exec_lo, s25
	v_add_nc_u32_e32 v19, 64, v19
	v_add_nc_u32_e32 v20, s21, v20
	;; [unrolled: 1-line block ×5, first 2 shown]
	v_cmp_le_i32_e64 s3, s14, v19
	s_add_i32 s24, s24, s23
	s_delay_alu instid0(VALU_DEP_1) | instskip(NEXT) | instid1(SALU_CYCLE_1)
	s_or_b32 s22, s3, s22
	s_and_not1_b32 exec_lo, exec_lo, s22
	s_cbranch_execz .LBB634_22
.LBB634_17:                             ; =>This Inner Loop Header: Depth=1
	s_and_saveexec_b32 s25, vcc_lo
	s_cbranch_execz .LBB634_16
; %bb.18:                               ;   in Loop: Header=BB634_17 Depth=1
	v_add_nc_u32_e32 v5, s24, v24
	v_add_nc_u32_e32 v7, s24, v4
	;; [unrolled: 1-line block ×5, first 2 shown]
	v_ashrrev_i32_e32 v6, 31, v5
	v_ashrrev_i32_e32 v8, 31, v7
	;; [unrolled: 1-line block ×4, first 2 shown]
	v_add_nc_u32_e32 v27, s5, v20
	v_lshlrev_b64 v[5:6], 1, v[5:6]
	v_lshlrev_b64 v[7:8], 1, v[7:8]
	;; [unrolled: 1-line block ×4, first 2 shown]
	v_ashrrev_i32_e32 v26, 31, v25
	v_ashrrev_i32_e32 v28, 31, v27
	v_add_co_u32 v5, s3, s15, v5
	s_delay_alu instid0(VALU_DEP_1) | instskip(SKIP_1) | instid1(VALU_DEP_1)
	v_add_co_ci_u32_e64 v6, s3, s19, v6, s3
	v_add_co_u32 v7, s3, s15, v7
	v_add_co_ci_u32_e64 v8, s3, s19, v8, s3
	v_add_co_u32 v9, s3, s15, v9
	s_delay_alu instid0(VALU_DEP_1)
	v_add_co_ci_u32_e64 v10, s3, s19, v10, s3
	v_add_co_u32 v11, s3, s15, v11
	v_add_nc_u32_e32 v29, s5, v2
	v_add_co_ci_u32_e64 v12, s3, s19, v12, s3
	v_lshlrev_b64 v[25:26], 1, v[25:26]
	s_clause 0x3
	global_load_u16 v32, v[5:6], off
	global_load_u16 v33, v[7:8], off
	global_load_u16 v34, v[9:10], off
	global_load_u16 v35, v[11:12], off
	v_add_nc_u32_e32 v11, s5, v3
	v_lshlrev_b64 v[5:6], 1, v[27:28]
	v_ashrrev_i32_e32 v30, 31, v29
	v_add_co_u32 v7, s3, s10, v25
	s_delay_alu instid0(VALU_DEP_4) | instskip(SKIP_1) | instid1(VALU_DEP_4)
	v_ashrrev_i32_e32 v12, 31, v11
	v_add_co_ci_u32_e64 v8, s3, s11, v26, s3
	v_lshlrev_b64 v[25:26], 1, v[29:30]
	v_add_co_u32 v9, s3, s10, v5
	s_delay_alu instid0(VALU_DEP_1) | instskip(SKIP_1) | instid1(VALU_DEP_4)
	v_add_co_ci_u32_e64 v10, s3, s11, v6, s3
	v_lshlrev_b64 v[5:6], 1, v[11:12]
	v_add_co_u32 v11, s3, s10, v25
	s_delay_alu instid0(VALU_DEP_1) | instskip(NEXT) | instid1(VALU_DEP_3)
	v_add_co_ci_u32_e64 v12, s3, s11, v26, s3
	v_add_co_u32 v5, s3, s10, v5
	s_delay_alu instid0(VALU_DEP_1)
	v_add_co_ci_u32_e64 v6, s3, s11, v6, s3
	s_clause 0x3
	global_load_u16 v31, v[7:8], off
	global_load_u16 v29, v[9:10], off
	;; [unrolled: 1-line block ×4, first 2 shown]
	s_waitcnt vmcnt(7)
	v_lshlrev_b32_e32 v32, 16, v32
	s_waitcnt vmcnt(6)
	v_lshlrev_b32_e32 v30, 16, v33
	;; [unrolled: 2-line block ×4, first 2 shown]
	s_and_saveexec_b32 s3, s0
	s_cbranch_execz .LBB634_15
; %bb.19:                               ;   in Loop: Header=BB634_17 Depth=1
	s_clause 0x3
	global_load_u16 v36, v[7:8], off offset:64
	global_load_u16 v35, v[9:10], off offset:64
	global_load_u16 v34, v[11:12], off offset:64
	global_load_u16 v33, v[5:6], off offset:64
	s_and_saveexec_b32 s26, s1
	s_cbranch_execz .LBB634_14
; %bb.20:                               ;   in Loop: Header=BB634_17 Depth=1
	s_clause 0x3
	global_load_u16 v40, v[7:8], off offset:128
	global_load_u16 v39, v[9:10], off offset:128
	global_load_u16 v38, v[11:12], off offset:128
	global_load_u16 v37, v[5:6], off offset:128
	;; [unrolled: 8-line block ×3, first 2 shown]
	s_waitcnt vmcnt(0)
	v_lshlrev_b32_e32 v5, 16, v5
	v_lshlrev_b32_e32 v6, 16, v7
	;; [unrolled: 1-line block ×3, first 2 shown]
	s_delay_alu instid0(VALU_DEP_2) | instskip(NEXT) | instid1(VALU_DEP_1)
	v_dual_fmac_f32 v17, v32, v6 :: v_dual_lshlrev_b32 v6, 16, v9
	v_fmac_f32_e32 v17, v30, v7
	s_delay_alu instid0(VALU_DEP_1) | instskip(NEXT) | instid1(VALU_DEP_1)
	v_fmac_f32_e32 v17, v28, v6
	v_fmac_f32_e32 v17, v27, v5
	s_branch .LBB634_13
.LBB634_22:
	s_or_b32 exec_lo, exec_lo, s22
.LBB634_23:
	s_delay_alu instid0(SALU_CYCLE_1) | instskip(SKIP_1) | instid1(SALU_CYCLE_1)
	s_or_b32 exec_lo, exec_lo, s20
	s_sub_i32 s0, s7, s14
	s_cmp_lt_i32 s0, 1
	s_cbranch_scc1 .LBB634_41
; %bb.24:
	v_cmp_gt_i32_e32 vcc_lo, s7, v19
	v_dual_mov_b32 v10, 0 :: v_dual_mov_b32 v11, 0
	v_or_b32_e32 v2, 1, v19
	v_mov_b32_e32 v12, 0
	v_mov_b32_e32 v20, 0
	s_and_saveexec_b32 s1, vcc_lo
	s_cbranch_execz .LBB634_32
; %bb.25:
	s_waitcnt lgkmcnt(0)
	v_mul_lo_u32 v3, v19, s4
	v_dual_mov_b32 v12, 0 :: v_dual_mov_b32 v11, 0
	v_mov_b32_e32 v10, 0
	s_mov_b32 s2, exec_lo
	s_delay_alu instid0(VALU_DEP_3) | instskip(NEXT) | instid1(VALU_DEP_1)
	v_ashrrev_i32_e32 v4, 31, v3
	v_lshlrev_b64 v[3:4], 1, v[3:4]
	s_delay_alu instid0(VALU_DEP_1) | instskip(NEXT) | instid1(VALU_DEP_1)
	v_add_co_u32 v3, s0, s15, v3
	v_add_co_ci_u32_e64 v4, s0, s19, v4, s0
	global_load_u16 v3, v[3:4], off
	v_cmpx_gt_i32_e64 s7, v2
	s_cbranch_execz .LBB634_31
; %bb.26:
	v_mul_lo_u32 v4, v2, s4
	v_dual_mov_b32 v11, 0 :: v_dual_mov_b32 v10, 0
	s_mov_b32 s3, exec_lo
	s_delay_alu instid0(VALU_DEP_2) | instskip(NEXT) | instid1(VALU_DEP_1)
	v_ashrrev_i32_e32 v5, 31, v4
	v_lshlrev_b64 v[4:5], 1, v[4:5]
	s_delay_alu instid0(VALU_DEP_1) | instskip(NEXT) | instid1(VALU_DEP_1)
	v_add_co_u32 v4, s0, s15, v4
	v_add_co_ci_u32_e64 v5, s0, s19, v5, s0
	global_load_u16 v4, v[4:5], off
	v_or_b32_e32 v5, 2, v19
	s_delay_alu instid0(VALU_DEP_1)
	v_cmpx_gt_i32_e64 s7, v5
	s_cbranch_execz .LBB634_30
; %bb.27:
	v_mul_lo_u32 v5, v5, s4
	v_mov_b32_e32 v10, 0
	s_mov_b32 s14, exec_lo
	s_delay_alu instid0(VALU_DEP_2) | instskip(NEXT) | instid1(VALU_DEP_1)
	v_ashrrev_i32_e32 v6, 31, v5
	v_lshlrev_b64 v[5:6], 1, v[5:6]
	s_delay_alu instid0(VALU_DEP_1) | instskip(NEXT) | instid1(VALU_DEP_1)
	v_add_co_u32 v5, s0, s15, v5
	v_add_co_ci_u32_e64 v6, s0, s19, v6, s0
	global_load_u16 v5, v[5:6], off
	v_or_b32_e32 v6, 3, v19
	s_delay_alu instid0(VALU_DEP_1)
	v_cmpx_gt_i32_e64 s7, v6
	s_cbranch_execz .LBB634_29
; %bb.28:
	v_mul_lo_u32 v6, v6, s4
	s_delay_alu instid0(VALU_DEP_1) | instskip(NEXT) | instid1(VALU_DEP_1)
	v_ashrrev_i32_e32 v7, 31, v6
	v_lshlrev_b64 v[6:7], 1, v[6:7]
	s_delay_alu instid0(VALU_DEP_1) | instskip(NEXT) | instid1(VALU_DEP_1)
	v_add_co_u32 v6, s0, s15, v6
	v_add_co_ci_u32_e64 v7, s0, s19, v7, s0
	global_load_u16 v6, v[6:7], off
	s_waitcnt vmcnt(0)
	v_lshlrev_b32_e32 v10, 16, v6
.LBB634_29:
	s_or_b32 exec_lo, exec_lo, s14
	s_waitcnt vmcnt(0)
	v_lshlrev_b32_e32 v11, 16, v5
.LBB634_30:
	s_or_b32 exec_lo, exec_lo, s3
	s_waitcnt vmcnt(0)
	v_lshlrev_b32_e32 v12, 16, v4
.LBB634_31:
	s_or_b32 exec_lo, exec_lo, s2
	s_waitcnt vmcnt(0)
	v_lshlrev_b32_e32 v20, 16, v3
.LBB634_32:
	s_or_b32 exec_lo, exec_lo, s1
	s_delay_alu instid0(SALU_CYCLE_1)
	s_mov_b32 s1, exec_lo
	v_cmpx_gt_i32_e64 s6, v18
	s_cbranch_execz .LBB634_40
; %bb.33:
	v_mul_lo_u32 v3, v19, s18
	v_mul_lo_u32 v4, v2, s18
	v_or_b32_e32 v5, 2, v19
	v_or_b32_e32 v6, 3, v19
	s_mov_b32 s0, exec_lo
	s_delay_alu instid0(VALU_DEP_2)
	v_mul_lo_u32 v7, v5, s18
	v_cndmask_b32_e32 v3, 0, v3, vcc_lo
	v_cmp_gt_i32_e32 vcc_lo, s7, v2
	v_mul_lo_u32 v8, v6, s18
	v_cndmask_b32_e32 v4, 0, v4, vcc_lo
	v_cmp_gt_i32_e32 vcc_lo, s7, v5
	v_add_nc_u32_e32 v2, v3, v18
	s_delay_alu instid0(VALU_DEP_3) | instskip(NEXT) | instid1(VALU_DEP_2)
	v_dual_cndmask_b32 v7, 0, v7 :: v_dual_add_nc_u32 v4, v4, v18
	v_ashrrev_i32_e32 v3, 31, v2
	v_cmp_gt_i32_e32 vcc_lo, s7, v6
	s_delay_alu instid0(VALU_DEP_3) | instskip(NEXT) | instid1(VALU_DEP_4)
	v_ashrrev_i32_e32 v5, 31, v4
	v_add_nc_u32_e32 v6, v7, v18
	s_delay_alu instid0(VALU_DEP_4) | instskip(SKIP_1) | instid1(VALU_DEP_4)
	v_lshlrev_b64 v[2:3], 1, v[2:3]
	v_cndmask_b32_e32 v8, 0, v8, vcc_lo
	v_lshlrev_b64 v[21:22], 1, v[4:5]
	s_delay_alu instid0(VALU_DEP_4) | instskip(NEXT) | instid1(VALU_DEP_4)
	v_ashrrev_i32_e32 v7, 31, v6
	v_add_co_u32 v4, vcc_lo, s10, v2
	v_add_co_ci_u32_e32 v5, vcc_lo, s11, v3, vcc_lo
	s_delay_alu instid0(VALU_DEP_4)
	v_add_co_u32 v2, vcc_lo, s10, v21
	v_add_co_ci_u32_e32 v3, vcc_lo, s11, v22, vcc_lo
	s_clause 0x1
	global_load_u16 v19, v[4:5], off
	global_load_u16 v23, v[2:3], off
	v_lshlrev_b64 v[6:7], 1, v[6:7]
	s_waitcnt vmcnt(1)
	v_lshlrev_b32_e32 v19, 16, v19
	v_add_nc_u32_e32 v8, v8, v18
	s_delay_alu instid0(VALU_DEP_1) | instskip(NEXT) | instid1(VALU_DEP_1)
	v_ashrrev_i32_e32 v9, 31, v8
	v_lshlrev_b64 v[21:22], 1, v[8:9]
	v_add_co_u32 v8, vcc_lo, s10, v6
	v_add_co_ci_u32_e32 v9, vcc_lo, s11, v7, vcc_lo
	s_delay_alu instid0(VALU_DEP_3) | instskip(NEXT) | instid1(VALU_DEP_4)
	v_add_co_u32 v6, vcc_lo, s10, v21
	v_add_co_ci_u32_e32 v7, vcc_lo, s11, v22, vcc_lo
	s_clause 0x1
	global_load_u16 v21, v[8:9], off
	global_load_u16 v22, v[6:7], off
	s_waitcnt vmcnt(1)
	v_dual_fmac_f32 v14, v20, v19 :: v_dual_lshlrev_b32 v21, 16, v21
	v_lshlrev_b32_e32 v23, 16, v23
	s_waitcnt vmcnt(0)
	s_delay_alu instid0(VALU_DEP_1) | instskip(NEXT) | instid1(VALU_DEP_1)
	v_dual_fmac_f32 v14, v12, v23 :: v_dual_lshlrev_b32 v19, 16, v22
	v_dual_fmac_f32 v14, v11, v21 :: v_dual_add_nc_u32 v23, 32, v18
	s_delay_alu instid0(VALU_DEP_1)
	v_cmpx_gt_i32_e64 s6, v23
	s_cbranch_execz .LBB634_39
; %bb.34:
	s_clause 0x3
	global_load_u16 v21, v[4:5], off offset:64
	global_load_u16 v22, v[2:3], off offset:64
	;; [unrolled: 1-line block ×4, first 2 shown]
	s_mov_b32 s2, exec_lo
	s_waitcnt vmcnt(3)
	v_lshlrev_b32_e32 v21, 16, v21
	s_waitcnt vmcnt(2)
	v_lshlrev_b32_e32 v22, 16, v22
	;; [unrolled: 2-line block ×3, first 2 shown]
	v_fmac_f32_e32 v15, v20, v21
	s_waitcnt vmcnt(0)
	v_lshlrev_b32_e32 v21, 16, v24
	s_delay_alu instid0(VALU_DEP_2) | instskip(NEXT) | instid1(VALU_DEP_1)
	v_fmac_f32_e32 v15, v12, v22
	v_dual_fmac_f32 v15, v11, v23 :: v_dual_add_nc_u32 v22, 64, v18
	s_delay_alu instid0(VALU_DEP_1)
	v_cmpx_gt_i32_e64 s6, v22
	s_cbranch_execz .LBB634_38
; %bb.35:
	s_clause 0x3
	global_load_u16 v22, v[4:5], off offset:128
	global_load_u16 v23, v[2:3], off offset:128
	global_load_u16 v24, v[8:9], off offset:128
	global_load_u16 v25, v[6:7], off offset:128
	s_mov_b32 s3, exec_lo
	s_waitcnt vmcnt(3)
	v_lshlrev_b32_e32 v22, 16, v22
	s_waitcnt vmcnt(2)
	s_delay_alu instid0(VALU_DEP_1) | instskip(SKIP_2) | instid1(VALU_DEP_2)
	v_dual_fmac_f32 v16, v20, v22 :: v_dual_lshlrev_b32 v23, 16, v23
	s_waitcnt vmcnt(1)
	v_lshlrev_b32_e32 v22, 16, v24
	v_dual_fmac_f32 v16, v12, v23 :: v_dual_add_nc_u32 v23, 0x60, v18
	s_waitcnt vmcnt(0)
	v_lshlrev_b32_e32 v18, 16, v25
	s_delay_alu instid0(VALU_DEP_2) | instskip(NEXT) | instid1(VALU_DEP_3)
	v_fmac_f32_e32 v16, v11, v22
	v_cmpx_gt_i32_e64 s6, v23
	s_cbranch_execz .LBB634_37
; %bb.36:
	s_clause 0x3
	global_load_u16 v4, v[4:5], off offset:192
	global_load_u16 v2, v[2:3], off offset:192
	;; [unrolled: 1-line block ×4, first 2 shown]
	s_waitcnt vmcnt(2)
	v_lshlrev_b32_e32 v2, 16, v2
	v_lshlrev_b32_e32 v4, 16, v4
	s_waitcnt vmcnt(1)
	v_lshlrev_b32_e32 v3, 16, v3
	s_delay_alu instid0(VALU_DEP_2) | instskip(SKIP_1) | instid1(VALU_DEP_1)
	v_fmac_f32_e32 v17, v20, v4
	s_waitcnt vmcnt(0)
	v_dual_fmac_f32 v17, v12, v2 :: v_dual_lshlrev_b32 v2, 16, v5
	s_delay_alu instid0(VALU_DEP_1) | instskip(NEXT) | instid1(VALU_DEP_1)
	v_fmac_f32_e32 v17, v11, v3
	v_fmac_f32_e32 v17, v10, v2
.LBB634_37:
	s_or_b32 exec_lo, exec_lo, s3
	s_delay_alu instid0(VALU_DEP_2)
	v_fmac_f32_e32 v16, v10, v18
.LBB634_38:
	s_or_b32 exec_lo, exec_lo, s2
	s_delay_alu instid0(VALU_DEP_2)
	v_fmac_f32_e32 v15, v10, v21
.LBB634_39:
	s_or_b32 exec_lo, exec_lo, s0
	s_delay_alu instid0(VALU_DEP_2)
	v_fmac_f32_e32 v14, v10, v19
.LBB634_40:
	s_or_b32 exec_lo, exec_lo, s1
.LBB634_41:
	v_lshlrev_b32_e32 v2, 7, v13
	s_mov_b32 s0, exec_lo
                                        ; implicit-def: $vgpr3
                                        ; implicit-def: $vgpr4_vgpr5
	s_delay_alu instid0(VALU_DEP_1)
	v_add_lshl_u32 v1, v2, v1, 2
	ds_store_2addr_b32 v1, v14, v15 offset1:32
	ds_store_2addr_b32 v1, v16, v17 offset0:64 offset1:96
	s_waitcnt lgkmcnt(0)
	s_barrier
	buffer_gl0_inv
	v_cmpx_gt_u32_e32 0x80, v0
	s_cbranch_execz .LBB634_47
; %bb.42:
	v_lshlrev_b32_e32 v7, 2, v0
	s_mov_b32 s2, s16
	s_mov_b32 s1, exec_lo
	ds_load_2addr_stride64_b32 v[1:2], v7 offset1:2
	ds_load_2addr_stride64_b32 v[3:4], v7 offset0:4 offset1:6
	ds_load_2addr_stride64_b32 v[5:6], v7 offset0:8 offset1:10
	s_waitcnt lgkmcnt(2)
	v_add_f32_e32 v8, v1, v2
	ds_load_2addr_stride64_b32 v[1:2], v7 offset0:12 offset1:14
	s_waitcnt lgkmcnt(2)
	v_add_f32_e32 v3, v3, v8
	s_delay_alu instid0(VALU_DEP_1) | instskip(SKIP_3) | instid1(VALU_DEP_1)
	v_add_f32_e32 v8, v4, v3
	ds_load_2addr_stride64_b32 v[3:4], v7 offset0:16 offset1:18
	s_waitcnt lgkmcnt(2)
	v_add_f32_e32 v5, v5, v8
	v_add_f32_e32 v8, v6, v5
	ds_load_2addr_stride64_b32 v[5:6], v7 offset0:20 offset1:22
	s_waitcnt lgkmcnt(2)
	v_add_f32_e32 v1, v1, v8
	s_delay_alu instid0(VALU_DEP_1) | instskip(SKIP_1) | instid1(VALU_DEP_1)
	v_add_f32_e32 v1, v2, v1
	s_waitcnt lgkmcnt(1)
	v_add_f32_e32 v3, v3, v1
	ds_load_2addr_stride64_b32 v[1:2], v7 offset0:24 offset1:26
	v_add_f32_e32 v3, v4, v3
	s_waitcnt lgkmcnt(1)
	s_delay_alu instid0(VALU_DEP_1) | instskip(SKIP_3) | instid1(VALU_DEP_1)
	v_add_f32_e32 v5, v5, v3
	ds_load_2addr_stride64_b32 v[3:4], v7 offset0:28 offset1:30
	v_add_f32_e32 v5, v6, v5
	s_waitcnt lgkmcnt(1)
	v_add_f32_e32 v1, v1, v5
	s_delay_alu instid0(VALU_DEP_1) | instskip(SKIP_1) | instid1(VALU_DEP_1)
	v_add_f32_e32 v1, v2, v1
	s_waitcnt lgkmcnt(0)
	v_add_f32_e32 v2, v3, v1
	v_or_b32_e32 v1, s5, v0
                                        ; implicit-def: $vgpr3
	s_delay_alu instid0(VALU_DEP_2)
	v_add_f32_e32 v0, v4, v2
                                        ; implicit-def: $vgpr4_vgpr5
	ds_store_b32 v7, v0
	v_cmpx_gt_i32_e64 s6, v1
	s_cbranch_execz .LBB634_46
; %bb.43:
	v_mul_lo_u32 v4, v1, s17
	v_cmp_eq_f32_e64 s2, s12, 0
	v_mul_f32_e32 v3, s13, v0
	s_delay_alu instid0(VALU_DEP_2) | instskip(NEXT) | instid1(VALU_DEP_3)
	s_and_b32 vcc_lo, exec_lo, s2
	v_ashrrev_i32_e32 v5, 31, v4
	s_cbranch_vccnz .LBB634_45
; %bb.44:
	s_delay_alu instid0(VALU_DEP_1) | instskip(NEXT) | instid1(VALU_DEP_1)
	v_lshlrev_b64 v[0:1], 2, v[4:5]
	v_add_co_u32 v0, vcc_lo, s8, v0
	s_delay_alu instid0(VALU_DEP_2)
	v_add_co_ci_u32_e32 v1, vcc_lo, s9, v1, vcc_lo
	global_load_b32 v0, v[0:1], off
	s_waitcnt vmcnt(0)
	v_fmac_f32_e32 v3, s12, v0
.LBB634_45:
	s_or_b32 s2, s16, exec_lo
.LBB634_46:
	s_or_b32 exec_lo, exec_lo, s1
	s_delay_alu instid0(SALU_CYCLE_1) | instskip(SKIP_1) | instid1(SALU_CYCLE_1)
	s_and_not1_b32 s1, s16, exec_lo
	s_and_b32 s2, s2, exec_lo
	s_or_b32 s16, s1, s2
.LBB634_47:
	s_or_b32 exec_lo, exec_lo, s0
.LBB634_48:
	s_and_saveexec_b32 s0, s16
	s_cbranch_execz .LBB634_50
; %bb.49:
	v_lshlrev_b64 v[0:1], 2, v[4:5]
	s_delay_alu instid0(VALU_DEP_1) | instskip(NEXT) | instid1(VALU_DEP_2)
	v_add_co_u32 v0, vcc_lo, s8, v0
	v_add_co_ci_u32_e32 v1, vcc_lo, s9, v1, vcc_lo
	global_store_b32 v[0:1], v3, off
.LBB634_50:
	s_nop 0
	s_sendmsg sendmsg(MSG_DEALLOC_VGPRS)
	s_endpgm
	.section	.rodata,"a",@progbits
	.p2align	6, 0x0
	.amdhsa_kernel _ZL20rocblas_gemvn_kernelILi32ELi16Ei16rocblas_bfloat16PKffEviiT3_lPKT2_lT1_lS6_lS7_lS3_lPT4_lS7_li
		.amdhsa_group_segment_fixed_size 8192
		.amdhsa_private_segment_fixed_size 0
		.amdhsa_kernarg_size 400
		.amdhsa_user_sgpr_count 14
		.amdhsa_user_sgpr_dispatch_ptr 0
		.amdhsa_user_sgpr_queue_ptr 0
		.amdhsa_user_sgpr_kernarg_segment_ptr 1
		.amdhsa_user_sgpr_dispatch_id 0
		.amdhsa_user_sgpr_private_segment_size 0
		.amdhsa_wavefront_size32 1
		.amdhsa_uses_dynamic_stack 0
		.amdhsa_enable_private_segment 0
		.amdhsa_system_sgpr_workgroup_id_x 1
		.amdhsa_system_sgpr_workgroup_id_y 0
		.amdhsa_system_sgpr_workgroup_id_z 1
		.amdhsa_system_sgpr_workgroup_info 0
		.amdhsa_system_vgpr_workitem_id 1
		.amdhsa_next_free_vgpr 41
		.amdhsa_next_free_sgpr 28
		.amdhsa_reserve_vcc 1
		.amdhsa_float_round_mode_32 0
		.amdhsa_float_round_mode_16_64 0
		.amdhsa_float_denorm_mode_32 3
		.amdhsa_float_denorm_mode_16_64 3
		.amdhsa_dx10_clamp 1
		.amdhsa_ieee_mode 1
		.amdhsa_fp16_overflow 0
		.amdhsa_workgroup_processor_mode 1
		.amdhsa_memory_ordered 1
		.amdhsa_forward_progress 0
		.amdhsa_shared_vgpr_count 0
		.amdhsa_exception_fp_ieee_invalid_op 0
		.amdhsa_exception_fp_denorm_src 0
		.amdhsa_exception_fp_ieee_div_zero 0
		.amdhsa_exception_fp_ieee_overflow 0
		.amdhsa_exception_fp_ieee_underflow 0
		.amdhsa_exception_fp_ieee_inexact 0
		.amdhsa_exception_int_div_zero 0
	.end_amdhsa_kernel
	.section	.text._ZL20rocblas_gemvn_kernelILi32ELi16Ei16rocblas_bfloat16PKffEviiT3_lPKT2_lT1_lS6_lS7_lS3_lPT4_lS7_li,"axG",@progbits,_ZL20rocblas_gemvn_kernelILi32ELi16Ei16rocblas_bfloat16PKffEviiT3_lPKT2_lT1_lS6_lS7_lS3_lPT4_lS7_li,comdat
.Lfunc_end634:
	.size	_ZL20rocblas_gemvn_kernelILi32ELi16Ei16rocblas_bfloat16PKffEviiT3_lPKT2_lT1_lS6_lS7_lS3_lPT4_lS7_li, .Lfunc_end634-_ZL20rocblas_gemvn_kernelILi32ELi16Ei16rocblas_bfloat16PKffEviiT3_lPKT2_lT1_lS6_lS7_lS3_lPT4_lS7_li
                                        ; -- End function
	.section	.AMDGPU.csdata,"",@progbits
; Kernel info:
; codeLenInByte = 3232
; NumSgprs: 30
; NumVgprs: 41
; ScratchSize: 0
; MemoryBound: 0
; FloatMode: 240
; IeeeMode: 1
; LDSByteSize: 8192 bytes/workgroup (compile time only)
; SGPRBlocks: 3
; VGPRBlocks: 5
; NumSGPRsForWavesPerEU: 30
; NumVGPRsForWavesPerEU: 41
; Occupancy: 16
; WaveLimiterHint : 1
; COMPUTE_PGM_RSRC2:SCRATCH_EN: 0
; COMPUTE_PGM_RSRC2:USER_SGPR: 14
; COMPUTE_PGM_RSRC2:TRAP_HANDLER: 0
; COMPUTE_PGM_RSRC2:TGID_X_EN: 1
; COMPUTE_PGM_RSRC2:TGID_Y_EN: 0
; COMPUTE_PGM_RSRC2:TGID_Z_EN: 1
; COMPUTE_PGM_RSRC2:TIDIG_COMP_CNT: 1
	.section	.text._ZL20rocblas_gemvn_kernelILi32ELi16El16rocblas_bfloat16PKffEviiT3_lPKT2_lT1_lS6_lS7_lS3_lPT4_lS7_li,"axG",@progbits,_ZL20rocblas_gemvn_kernelILi32ELi16El16rocblas_bfloat16PKffEviiT3_lPKT2_lT1_lS6_lS7_lS3_lPT4_lS7_li,comdat
	.globl	_ZL20rocblas_gemvn_kernelILi32ELi16El16rocblas_bfloat16PKffEviiT3_lPKT2_lT1_lS6_lS7_lS3_lPT4_lS7_li ; -- Begin function _ZL20rocblas_gemvn_kernelILi32ELi16El16rocblas_bfloat16PKffEviiT3_lPKT2_lT1_lS6_lS7_lS3_lPT4_lS7_li
	.p2align	8
	.type	_ZL20rocblas_gemvn_kernelILi32ELi16El16rocblas_bfloat16PKffEviiT3_lPKT2_lT1_lS6_lS7_lS3_lPT4_lS7_li,@function
_ZL20rocblas_gemvn_kernelILi32ELi16El16rocblas_bfloat16PKffEviiT3_lPKT2_lT1_lS6_lS7_lS3_lPT4_lS7_li: ; @_ZL20rocblas_gemvn_kernelILi32ELi16El16rocblas_bfloat16PKffEviiT3_lPKT2_lT1_lS6_lS7_lS3_lPT4_lS7_li
; %bb.0:
	s_load_b64 s[2:3], s[0:1], 0x9c
	s_waitcnt lgkmcnt(0)
	s_lshr_b32 s4, s2, 16
	s_and_b32 s2, s2, 0xffff
	s_and_b32 s3, s3, 0xffff
	s_mul_i32 s2, s4, s2
	s_delay_alu instid0(SALU_CYCLE_1) | instskip(NEXT) | instid1(SALU_CYCLE_1)
	s_mul_i32 s2, s2, s3
	s_cmpk_lg_i32 s2, 0x200
	s_cbranch_scc1 .LBB635_50
; %bb.1:
	s_clause 0x1
	s_load_b512 s[36:51], s[0:1], 0x8
	s_load_b512 s[16:31], s[0:1], 0x48
	s_waitcnt lgkmcnt(0)
	s_mul_i32 s3, s15, s39
	s_mul_hi_u32 s4, s15, s38
	s_mul_i32 s2, s15, s38
	s_add_i32 s3, s4, s3
	s_mul_i32 s4, s15, s23
	s_lshl_b64 s[2:3], s[2:3], 2
	s_mul_hi_u32 s5, s15, s22
	s_add_u32 s2, s36, s2
	s_addc_u32 s3, s37, s3
	s_add_i32 s5, s5, s4
	s_mul_i32 s4, s15, s22
	s_mov_b32 s23, 0
	s_lshl_b64 s[4:5], s[4:5], 2
	s_delay_alu instid0(SALU_CYCLE_1)
	s_add_u32 s4, s20, s4
	s_addc_u32 s5, s21, s5
	s_load_b32 s22, s[2:3], 0x0
	s_load_b32 s21, s[4:5], 0x0
	s_waitcnt lgkmcnt(0)
	v_cmp_eq_f32_e64 s2, s22, 0
	v_cmp_eq_f32_e64 s3, s21, 1.0
	s_delay_alu instid0(VALU_DEP_1) | instskip(NEXT) | instid1(SALU_CYCLE_1)
	s_and_b32 s2, s2, s3
	s_and_b32 vcc_lo, exec_lo, s2
	s_cbranch_vccnz .LBB635_50
; %bb.2:
	s_load_b64 s[6:7], s[0:1], 0x0
	v_and_b32_e32 v12, 0x3ff, v0
	v_bfe_u32 v13, v0, 10, 10
	s_mul_i32 s2, s15, s31
	s_mul_hi_u32 s3, s15, s30
	s_mul_i32 s0, s15, s30
	s_add_i32 s1, s3, s2
	v_lshl_add_u32 v11, v13, 5, v12
	s_lshl_b64 s[0:1], s[0:1], 2
	v_cmp_neq_f32_e64 s4, s22, 0
	s_add_u32 s2, s24, s0
	s_addc_u32 s3, s25, s1
	s_lshl_b64 s[0:1], s[26:27], 2
	s_delay_alu instid0(SALU_CYCLE_1)
	s_add_u32 s5, s2, s0
	v_cmp_gt_u32_e64 s0, 0x80, v11
	s_addc_u32 s20, s3, s1
	s_and_b32 vcc_lo, exec_lo, s4
	s_cbranch_vccnz .LBB635_9
; %bb.3:
	s_mov_b32 s1, 0
                                        ; implicit-def: $vgpr1
                                        ; implicit-def: $vgpr2_vgpr3
	s_and_saveexec_b32 s2, s0
	s_cbranch_execz .LBB635_10
; %bb.4:
	v_lshl_or_b32 v0, s14, 7, v11
	v_mov_b32_e32 v1, 0
	s_waitcnt lgkmcnt(0)
	s_ashr_i32 s9, s6, 31
	s_mov_b32 s8, s6
	s_mov_b32 s3, 0
	s_mov_b32 s0, exec_lo
                                        ; implicit-def: $vgpr2_vgpr3
	v_cmpx_gt_i64_e64 s[8:9], v[0:1]
	s_cbranch_execz .LBB635_8
; %bb.5:
	v_mad_u64_u32 v[2:3], null, v0, s28, 0
	v_cmp_eq_f32_e64 s3, s21, 0
	s_delay_alu instid0(VALU_DEP_1) | instskip(NEXT) | instid1(VALU_DEP_2)
	s_and_b32 vcc_lo, exec_lo, s3
	v_mad_u64_u32 v[4:5], null, v0, s29, v[3:4]
	s_delay_alu instid0(VALU_DEP_1)
	v_mov_b32_e32 v3, v4
	s_cbranch_vccnz .LBB635_7
; %bb.6:
	s_delay_alu instid0(VALU_DEP_1) | instskip(NEXT) | instid1(VALU_DEP_1)
	v_lshlrev_b64 v[0:1], 2, v[2:3]
	v_add_co_u32 v0, vcc_lo, s5, v0
	s_delay_alu instid0(VALU_DEP_2)
	v_add_co_ci_u32_e32 v1, vcc_lo, s20, v1, vcc_lo
	global_load_b32 v0, v[0:1], off
	s_waitcnt vmcnt(0)
	v_mul_f32_e32 v1, s21, v0
.LBB635_7:
	s_mov_b32 s3, exec_lo
.LBB635_8:
	s_or_b32 exec_lo, exec_lo, s0
	s_delay_alu instid0(SALU_CYCLE_1) | instskip(SKIP_1) | instid1(SALU_CYCLE_1)
	s_and_b32 s23, s3, exec_lo
	s_or_b32 exec_lo, exec_lo, s2
	s_and_b32 vcc_lo, exec_lo, s1
	s_cbranch_vccnz .LBB635_11
	s_branch .LBB635_48
.LBB635_9:
                                        ; implicit-def: $vgpr1
                                        ; implicit-def: $vgpr2_vgpr3
	s_cbranch_execnz .LBB635_11
	s_branch .LBB635_48
.LBB635_10:
	s_or_b32 exec_lo, exec_lo, s2
	s_delay_alu instid0(SALU_CYCLE_1)
	s_and_b32 vcc_lo, exec_lo, s1
	s_cbranch_vccz .LBB635_48
.LBB635_11:
	s_mul_i32 s0, s15, s47
	s_mul_hi_u32 s1, s15, s46
	s_lshl_b32 s24, s14, 7
	s_add_i32 s9, s1, s0
	s_waitcnt lgkmcnt(0)
	s_ashr_i32 s1, s7, 31
	v_dual_mov_b32 v15, 0 :: v_dual_lshlrev_b32 v18, 2, v13
	s_lshr_b32 s1, s1, 26
	v_dual_mov_b32 v17, 0 :: v_dual_add_nc_u32 v0, s24, v12
	v_mov_b32_e32 v14, 0
	v_mov_b32_e32 v16, 0
	s_mul_i32 s0, s15, s19
	s_mul_hi_u32 s2, s15, s18
	s_add_i32 s25, s7, s1
	s_mul_i32 s8, s15, s46
	s_and_not1_b32 s25, s25, 63
	s_add_i32 s11, s2, s0
	s_mul_i32 s10, s15, s18
	s_mov_b32 s26, exec_lo
	v_cmpx_gt_i32_e64 s25, v18
	s_cbranch_execz .LBB635_23
; %bb.12:
	v_lshlrev_b32_e32 v29, 2, v13
	v_mad_u64_u32 v[2:3], null, s16, v13, 0
	v_add_nc_u32_e32 v15, 64, v0
	s_lshl_b64 s[0:1], s[10:11], 1
	s_delay_alu instid0(VALU_DEP_3)
	v_or_b32_e32 v16, 3, v29
	s_lshl_b64 s[12:13], s[50:51], 1
	s_add_u32 s4, s48, s0
	s_addc_u32 s27, s49, s1
	v_cmp_gt_i32_e64 s1, s6, v15
	v_mad_u64_u32 v[4:5], null, s44, v16, 0
	s_lshl_b64 s[18:19], s[42:43], 1
	s_lshl_b64 s[14:15], s[16:17], 7
	;; [unrolled: 1-line block ×3, first 2 shown]
	v_ashrrev_i32_e32 v1, 31, v0
	v_cmp_gt_i32_e32 vcc_lo, s6, v0
	s_delay_alu instid0(VALU_DEP_3) | instskip(SKIP_2) | instid1(VALU_DEP_3)
	v_mad_u64_u32 v[6:7], null, s17, v13, v[3:4]
	v_add_nc_u32_e32 v14, 32, v0
	v_mad_u64_u32 v[7:8], null, s16, v16, 0
	v_mov_b32_e32 v3, v6
	v_mad_u64_u32 v[9:10], null, s45, v16, v[5:6]
	s_delay_alu instid0(VALU_DEP_4) | instskip(NEXT) | instid1(VALU_DEP_3)
	v_cmp_gt_i32_e64 s0, s6, v14
	v_lshlrev_b64 v[14:15], 3, v[2:3]
	v_mov_b32_e32 v3, v8
	v_lshlrev_b64 v[1:2], 1, v[0:1]
	v_mov_b32_e32 v5, v9
	v_mad_u64_u32 v[9:10], null, s44, v13, 0
	v_add_co_u32 v19, s3, s4, v14
	s_delay_alu instid0(VALU_DEP_3) | instskip(SKIP_4) | instid1(VALU_DEP_2)
	v_lshlrev_b64 v[4:5], 1, v[4:5]
	v_add_co_ci_u32_e64 v20, s3, s27, v15, s3
	s_add_u32 s3, s40, s18
	s_addc_u32 s18, s41, s19
	s_add_u32 s19, s3, s30
	v_mad_u64_u32 v[14:15], null, s17, v16, v[3:4]
	v_mov_b32_e32 v3, v10
	s_addc_u32 s18, s18, s31
	v_add_co_u32 v21, s3, s19, v4
	s_delay_alu instid0(VALU_DEP_1) | instskip(NEXT) | instid1(VALU_DEP_4)
	v_add_co_ci_u32_e64 v22, s3, s18, v5, s3
	v_mov_b32_e32 v8, v14
	v_or_b32_e32 v23, 2, v29
	v_mad_u64_u32 v[31:32], null, s44, v29, s[44:45]
	s_delay_alu instid0(VALU_DEP_2) | instskip(SKIP_1) | instid1(VALU_DEP_2)
	v_mad_u64_u32 v[27:28], null, s16, v23, 0
	v_mad_u64_u32 v[14:15], null, s44, v23, 0
	v_dual_mov_b32 v6, v28 :: v_dual_add_nc_u32 v17, 0x60, v0
	s_delay_alu instid0(VALU_DEP_1) | instskip(SKIP_3) | instid1(VALU_DEP_1)
	v_cmp_gt_i32_e64 s2, s6, v17
	v_mad_u64_u32 v[16:17], null, s45, v13, v[3:4]
	v_lshlrev_b64 v[4:5], 1, v[7:8]
	v_mov_b32_e32 v3, v15
	v_mad_u64_u32 v[7:8], null, s45, v23, v[3:4]
	s_delay_alu instid0(VALU_DEP_4) | instskip(SKIP_1) | instid1(VALU_DEP_3)
	v_mov_b32_e32 v10, v16
	v_mad_u64_u32 v[16:17], null, s16, v29, s[16:17]
	v_mad_u64_u32 v[25:26], null, s17, v23, v[6:7]
	v_add_co_u32 v23, s3, s4, v4
	s_delay_alu instid0(VALU_DEP_1) | instskip(SKIP_3) | instid1(VALU_DEP_3)
	v_add_co_ci_u32_e64 v24, s3, s27, v5, s3
	v_lshlrev_b64 v[4:5], 3, v[9:10]
	v_mov_b32_e32 v3, v17
	v_dual_mov_b32 v15, v7 :: v_dual_mov_b32 v28, v25
	v_add_co_u32 v25, s3, s19, v4
	s_delay_alu instid0(VALU_DEP_3) | instskip(SKIP_1) | instid1(VALU_DEP_4)
	v_mad_u64_u32 v[6:7], null, s17, v29, v[3:4]
	v_add_co_ci_u32_e64 v26, s3, s18, v5, s3
	v_lshlrev_b64 v[4:5], 1, v[14:15]
	v_dual_mov_b32 v3, v32 :: v_dual_mov_b32 v14, 0
	v_mov_b32_e32 v15, 0
	v_mov_b32_e32 v17, v6
	s_delay_alu instid0(VALU_DEP_3) | instskip(SKIP_2) | instid1(VALU_DEP_4)
	v_mad_u64_u32 v[7:8], null, s45, v29, v[3:4]
	v_lshlrev_b64 v[8:9], 1, v[27:28]
	v_add_co_u32 v27, s3, s19, v4
	v_lshlrev_b64 v[3:4], 1, v[16:17]
	v_mov_b32_e32 v16, 0
	v_add_co_ci_u32_e64 v28, s3, s18, v5, s3
	v_mov_b32_e32 v32, v7
	v_add_co_u32 v29, s3, s4, v8
	s_delay_alu instid0(VALU_DEP_1) | instskip(NEXT) | instid1(VALU_DEP_3)
	v_add_co_ci_u32_e64 v30, s3, s27, v9, s3
	v_lshlrev_b64 v[5:6], 1, v[31:32]
	v_add_co_u32 v31, s3, s4, v3
	s_delay_alu instid0(VALU_DEP_1) | instskip(SKIP_1) | instid1(VALU_DEP_4)
	v_add_co_ci_u32_e64 v32, s3, s27, v4, s3
	v_mov_b32_e32 v17, 0
	v_add_co_u32 v33, s3, s19, v5
	s_delay_alu instid0(VALU_DEP_1)
	v_add_co_ci_u32_e64 v34, s3, s18, v6, s3
	s_lshl_b64 s[18:19], s[44:45], 7
	s_mov_b32 s27, 0
	s_branch .LBB635_17
.LBB635_13:                             ;   in Loop: Header=BB635_17 Depth=1
	s_or_b32 exec_lo, exec_lo, s31
	s_waitcnt vmcnt(2)
	v_lshlrev_b32_e32 v4, 16, v49
	v_lshlrev_b32_e32 v3, 16, v50
	s_waitcnt vmcnt(1)
	s_delay_alu instid0(VALU_DEP_1) | instskip(NEXT) | instid1(VALU_DEP_1)
	v_dual_fmac_f32 v16, v42, v3 :: v_dual_lshlrev_b32 v3, 16, v48
	v_fmac_f32_e32 v16, v40, v4
	s_delay_alu instid0(VALU_DEP_1) | instskip(SKIP_2) | instid1(VALU_DEP_1)
	v_fmac_f32_e32 v16, v38, v3
	s_waitcnt vmcnt(0)
	v_lshlrev_b32_e32 v3, 16, v47
	v_fmac_f32_e32 v16, v37, v3
.LBB635_14:                             ;   in Loop: Header=BB635_17 Depth=1
	s_or_b32 exec_lo, exec_lo, s30
	s_waitcnt vmcnt(3)
	v_lshlrev_b32_e32 v3, 16, v46
	s_waitcnt vmcnt(2)
	s_delay_alu instid0(VALU_DEP_1) | instskip(SKIP_2) | instid1(VALU_DEP_2)
	v_dual_fmac_f32 v15, v42, v3 :: v_dual_lshlrev_b32 v4, 16, v45
	s_waitcnt vmcnt(1)
	v_lshlrev_b32_e32 v3, 16, v44
	v_fmac_f32_e32 v15, v40, v4
	s_delay_alu instid0(VALU_DEP_1) | instskip(SKIP_2) | instid1(VALU_DEP_1)
	v_fmac_f32_e32 v15, v38, v3
	s_waitcnt vmcnt(0)
	v_lshlrev_b32_e32 v3, 16, v43
	v_fmac_f32_e32 v15, v37, v3
.LBB635_15:                             ;   in Loop: Header=BB635_17 Depth=1
	s_or_b32 exec_lo, exec_lo, s3
	s_waitcnt vmcnt(2)
	v_lshlrev_b32_e32 v4, 16, v39
	v_lshlrev_b32_e32 v3, 16, v41
	s_waitcnt vmcnt(1)
	s_delay_alu instid0(VALU_DEP_1) | instskip(NEXT) | instid1(VALU_DEP_1)
	v_dual_fmac_f32 v14, v42, v3 :: v_dual_lshlrev_b32 v3, 16, v36
	v_fmac_f32_e32 v14, v40, v4
	s_delay_alu instid0(VALU_DEP_1) | instskip(SKIP_2) | instid1(VALU_DEP_1)
	v_fmac_f32_e32 v14, v38, v3
	s_waitcnt vmcnt(0)
	v_lshlrev_b32_e32 v3, 16, v35
	v_fmac_f32_e32 v14, v37, v3
.LBB635_16:                             ;   in Loop: Header=BB635_17 Depth=1
	s_or_b32 exec_lo, exec_lo, s4
	v_add_co_u32 v19, s3, v19, s14
	s_delay_alu instid0(VALU_DEP_1) | instskip(SKIP_1) | instid1(VALU_DEP_1)
	v_add_co_ci_u32_e64 v20, s3, s15, v20, s3
	v_add_co_u32 v21, s3, v21, s18
	v_add_co_ci_u32_e64 v22, s3, s19, v22, s3
	v_add_co_u32 v23, s3, v23, s14
	s_delay_alu instid0(VALU_DEP_1) | instskip(SKIP_1) | instid1(VALU_DEP_1)
	v_add_co_ci_u32_e64 v24, s3, s15, v24, s3
	v_add_co_u32 v25, s3, v25, s18
	v_add_co_ci_u32_e64 v26, s3, s19, v26, s3
	v_add_co_u32 v27, s3, v27, s18
	s_delay_alu instid0(VALU_DEP_1) | instskip(SKIP_4) | instid1(VALU_DEP_1)
	v_add_co_ci_u32_e64 v28, s3, s19, v28, s3
	v_add_co_u32 v29, s3, v29, s14
	v_add_nc_u32_e32 v18, 64, v18
	v_add_co_ci_u32_e64 v30, s3, s15, v30, s3
	v_add_co_u32 v31, s3, v31, s14
	v_add_co_ci_u32_e64 v32, s3, s15, v32, s3
	s_delay_alu instid0(VALU_DEP_4) | instskip(SKIP_1) | instid1(VALU_DEP_1)
	v_cmp_le_i32_e64 s3, s25, v18
	v_add_co_u32 v33, s4, v33, s18
	v_add_co_ci_u32_e64 v34, s4, s19, v34, s4
	s_delay_alu instid0(VALU_DEP_3) | instskip(NEXT) | instid1(SALU_CYCLE_1)
	s_or_b32 s27, s3, s27
	s_and_not1_b32 exec_lo, exec_lo, s27
	s_cbranch_execz .LBB635_22
.LBB635_17:                             ; =>This Inner Loop Header: Depth=1
	s_and_saveexec_b32 s4, vcc_lo
	s_cbranch_execz .LBB635_16
; %bb.18:                               ;   in Loop: Header=BB635_17 Depth=1
	v_add_co_u32 v3, s3, v19, s12
	s_delay_alu instid0(VALU_DEP_1) | instskip(SKIP_1) | instid1(VALU_DEP_1)
	v_add_co_ci_u32_e64 v4, s3, s13, v20, s3
	v_add_co_u32 v5, s3, v31, s12
	v_add_co_ci_u32_e64 v6, s3, s13, v32, s3
	v_add_co_u32 v7, s3, v29, s12
	s_delay_alu instid0(VALU_DEP_1) | instskip(SKIP_1) | instid1(VALU_DEP_1)
	v_add_co_ci_u32_e64 v8, s3, s13, v30, s3
	v_add_co_u32 v9, s3, v23, s12
	v_add_co_ci_u32_e64 v10, s3, s13, v24, s3
	global_load_u16 v37, v[3:4], off
	global_load_u16 v38, v[5:6], off
	;; [unrolled: 1-line block ×4, first 2 shown]
	v_add_co_u32 v3, s3, v25, v1
	s_delay_alu instid0(VALU_DEP_1) | instskip(SKIP_1) | instid1(VALU_DEP_1)
	v_add_co_ci_u32_e64 v4, s3, v26, v2, s3
	v_add_co_u32 v5, s3, v33, v1
	v_add_co_ci_u32_e64 v6, s3, v34, v2, s3
	v_add_co_u32 v7, s3, v27, v1
	s_delay_alu instid0(VALU_DEP_1) | instskip(SKIP_1) | instid1(VALU_DEP_1)
	v_add_co_ci_u32_e64 v8, s3, v28, v2, s3
	v_add_co_u32 v9, s3, v21, v1
	v_add_co_ci_u32_e64 v10, s3, v22, v2, s3
	global_load_u16 v41, v[3:4], off
	global_load_u16 v39, v[5:6], off
	;; [unrolled: 1-line block ×4, first 2 shown]
	s_waitcnt vmcnt(7)
	v_lshlrev_b32_e32 v42, 16, v37
	s_waitcnt vmcnt(6)
	v_lshlrev_b32_e32 v40, 16, v38
	;; [unrolled: 2-line block ×4, first 2 shown]
	s_and_saveexec_b32 s3, s0
	s_cbranch_execz .LBB635_15
; %bb.19:                               ;   in Loop: Header=BB635_17 Depth=1
	global_load_u16 v46, v[3:4], off offset:64
	global_load_u16 v45, v[5:6], off offset:64
	global_load_u16 v44, v[7:8], off offset:64
	global_load_u16 v43, v[9:10], off offset:64
	s_and_saveexec_b32 s30, s1
	s_cbranch_execz .LBB635_14
; %bb.20:                               ;   in Loop: Header=BB635_17 Depth=1
	global_load_u16 v50, v[3:4], off offset:128
	global_load_u16 v49, v[5:6], off offset:128
	global_load_u16 v48, v[7:8], off offset:128
	global_load_u16 v47, v[9:10], off offset:128
	;; [unrolled: 7-line block ×3, first 2 shown]
	s_waitcnt vmcnt(3)
	v_lshlrev_b32_e32 v3, 16, v3
	s_waitcnt vmcnt(2)
	s_delay_alu instid0(VALU_DEP_1) | instskip(SKIP_2) | instid1(VALU_DEP_2)
	v_dual_fmac_f32 v17, v42, v3 :: v_dual_lshlrev_b32 v4, 16, v4
	s_waitcnt vmcnt(1)
	v_lshlrev_b32_e32 v3, 16, v5
	v_fmac_f32_e32 v17, v40, v4
	s_delay_alu instid0(VALU_DEP_1) | instskip(SKIP_2) | instid1(VALU_DEP_1)
	v_fmac_f32_e32 v17, v38, v3
	s_waitcnt vmcnt(0)
	v_lshlrev_b32_e32 v3, 16, v6
	v_fmac_f32_e32 v17, v37, v3
	s_branch .LBB635_13
.LBB635_22:
	s_or_b32 exec_lo, exec_lo, s27
.LBB635_23:
	s_delay_alu instid0(SALU_CYCLE_1) | instskip(SKIP_1) | instid1(SALU_CYCLE_1)
	s_or_b32 exec_lo, exec_lo, s26
	s_sub_i32 s0, s7, s25
	s_cmp_lt_i32 s0, 1
	s_cbranch_scc1 .LBB635_41
; %bb.24:
	v_cmp_gt_i32_e32 vcc_lo, s7, v18
	v_dual_mov_b32 v9, 0 :: v_dual_mov_b32 v10, 0
	v_or_b32_e32 v2, 1, v18
	v_dual_mov_b32 v19, 0 :: v_dual_mov_b32 v20, 0
	s_and_saveexec_b32 s1, vcc_lo
	s_cbranch_execz .LBB635_32
; %bb.25:
	v_mad_u64_u32 v[3:4], null, v18, s16, 0
	s_lshl_b64 s[2:3], s[10:11], 1
	v_mov_b32_e32 v19, 0
	s_add_u32 s0, s48, s2
	s_addc_u32 s2, s49, s3
	s_lshl_b64 s[10:11], s[50:51], 1
	v_mov_b32_e32 v9, 0
	s_delay_alu instid0(VALU_DEP_3) | instskip(SKIP_3) | instid1(VALU_DEP_1)
	v_dual_mov_b32 v1, v4 :: v_dual_mov_b32 v10, 0
	s_add_u32 s3, s0, s10
	s_addc_u32 s4, s2, s11
	s_mov_b32 s2, exec_lo
	v_mad_u64_u32 v[4:5], null, v18, s17, v[1:2]
	s_delay_alu instid0(VALU_DEP_1) | instskip(NEXT) | instid1(VALU_DEP_1)
	v_lshlrev_b64 v[3:4], 1, v[3:4]
	v_add_co_u32 v3, s0, s3, v3
	s_delay_alu instid0(VALU_DEP_1)
	v_add_co_ci_u32_e64 v4, s0, s4, v4, s0
	global_load_u16 v1, v[3:4], off
	v_cmpx_gt_i32_e64 s7, v2
	s_cbranch_execz .LBB635_31
; %bb.26:
	v_mad_u64_u32 v[3:4], null, v2, s16, 0
	v_mov_b32_e32 v10, 0
	s_mov_b32 s10, exec_lo
	v_mov_b32_e32 v9, 0
	s_delay_alu instid0(VALU_DEP_3) | instskip(NEXT) | instid1(VALU_DEP_1)
	v_mad_u64_u32 v[5:6], null, v2, s17, v[4:5]
	v_mov_b32_e32 v4, v5
	s_delay_alu instid0(VALU_DEP_1) | instskip(NEXT) | instid1(VALU_DEP_1)
	v_lshlrev_b64 v[3:4], 1, v[3:4]
	v_add_co_u32 v3, s0, s3, v3
	s_delay_alu instid0(VALU_DEP_1) | instskip(SKIP_2) | instid1(VALU_DEP_1)
	v_add_co_ci_u32_e64 v4, s0, s4, v4, s0
	global_load_u16 v3, v[3:4], off
	v_or_b32_e32 v4, 2, v18
	v_cmpx_gt_i32_e64 s7, v4
	s_cbranch_execz .LBB635_30
; %bb.27:
	v_mad_u64_u32 v[5:6], null, v4, s16, 0
	s_mov_b32 s11, exec_lo
	v_mov_b32_e32 v9, 0
	s_delay_alu instid0(VALU_DEP_2) | instskip(NEXT) | instid1(VALU_DEP_1)
	v_mad_u64_u32 v[7:8], null, v4, s17, v[6:7]
	v_mov_b32_e32 v6, v7
	s_delay_alu instid0(VALU_DEP_1) | instskip(NEXT) | instid1(VALU_DEP_1)
	v_lshlrev_b64 v[4:5], 1, v[5:6]
	v_add_co_u32 v4, s0, s3, v4
	s_delay_alu instid0(VALU_DEP_1) | instskip(SKIP_2) | instid1(VALU_DEP_1)
	v_add_co_ci_u32_e64 v5, s0, s4, v5, s0
	global_load_u16 v4, v[4:5], off
	v_or_b32_e32 v5, 3, v18
	v_cmpx_gt_i32_e64 s7, v5
	s_cbranch_execz .LBB635_29
; %bb.28:
	v_mad_u64_u32 v[6:7], null, v5, s16, 0
	s_delay_alu instid0(VALU_DEP_1) | instskip(NEXT) | instid1(VALU_DEP_1)
	v_mad_u64_u32 v[8:9], null, v5, s17, v[7:8]
	v_mov_b32_e32 v7, v8
	s_delay_alu instid0(VALU_DEP_1) | instskip(NEXT) | instid1(VALU_DEP_1)
	v_lshlrev_b64 v[5:6], 1, v[6:7]
	v_add_co_u32 v5, s0, s3, v5
	s_delay_alu instid0(VALU_DEP_1)
	v_add_co_ci_u32_e64 v6, s0, s4, v6, s0
	global_load_u16 v5, v[5:6], off
	s_waitcnt vmcnt(0)
	v_lshlrev_b32_e32 v9, 16, v5
.LBB635_29:
	s_or_b32 exec_lo, exec_lo, s11
	s_waitcnt vmcnt(0)
	v_lshlrev_b32_e32 v10, 16, v4
.LBB635_30:
	s_or_b32 exec_lo, exec_lo, s10
	s_waitcnt vmcnt(0)
	v_lshlrev_b32_e32 v19, 16, v3
.LBB635_31:
	s_or_b32 exec_lo, exec_lo, s2
	s_waitcnt vmcnt(0)
	v_lshlrev_b32_e32 v20, 16, v1
.LBB635_32:
	s_or_b32 exec_lo, exec_lo, s1
	s_delay_alu instid0(SALU_CYCLE_1)
	s_mov_b32 s1, exec_lo
	v_cmpx_gt_i32_e64 s6, v0
	s_cbranch_execz .LBB635_40
; %bb.33:
	v_mad_u64_u32 v[3:4], null, v18, s44, 0
	v_mad_u64_u32 v[5:6], null, v2, s44, 0
	v_ashrrev_i32_e32 v1, 31, v0
	s_lshl_b64 s[2:3], s[8:9], 1
	v_or_b32_e32 v28, 2, v18
	s_add_u32 s0, s40, s2
	s_delay_alu instid0(VALU_DEP_4)
	v_cndmask_b32_e32 v3, 0, v3, vcc_lo
	v_lshlrev_b64 v[21:22], 1, v[0:1]
	v_mad_u64_u32 v[7:8], null, v18, s45, v[4:5]
	s_addc_u32 s4, s41, s3
	s_lshl_b64 s[2:3], s[42:43], 1
	v_or_b32_e32 v18, 3, v18
	s_add_u32 s2, s0, s2
	v_mov_b32_e32 v1, v6
	v_mad_u64_u32 v[23:24], null, v28, s44, 0
	s_delay_alu instid0(VALU_DEP_4) | instskip(SKIP_1) | instid1(VALU_DEP_4)
	v_cndmask_b32_e32 v4, 0, v7, vcc_lo
	v_cmp_gt_i32_e32 vcc_lo, s7, v2
	v_mad_u64_u32 v[25:26], null, v2, s45, v[1:2]
	s_addc_u32 s3, s4, s3
	v_mad_u64_u32 v[6:7], null, v18, s44, 0
	v_cndmask_b32_e32 v26, 0, v5, vcc_lo
	v_lshlrev_b64 v[3:4], 1, v[3:4]
	s_delay_alu instid0(VALU_DEP_4) | instskip(NEXT) | instid1(VALU_DEP_2)
	v_cndmask_b32_e32 v27, 0, v25, vcc_lo
	v_add_co_u32 v1, s0, s2, v3
	s_delay_alu instid0(VALU_DEP_1) | instskip(NEXT) | instid1(VALU_DEP_3)
	v_add_co_ci_u32_e64 v2, s0, s3, v4, s0
	v_lshlrev_b64 v[3:4], 1, v[26:27]
	s_delay_alu instid0(VALU_DEP_3) | instskip(NEXT) | instid1(VALU_DEP_3)
	v_add_co_u32 v1, vcc_lo, v1, v21
	v_add_co_ci_u32_e32 v2, vcc_lo, v2, v22, vcc_lo
	v_cmp_gt_i32_e32 vcc_lo, s7, v28
	v_mov_b32_e32 v5, v24
	v_add_co_u32 v3, s0, s2, v3
	s_delay_alu instid0(VALU_DEP_1) | instskip(NEXT) | instid1(VALU_DEP_3)
	v_add_co_ci_u32_e64 v4, s0, s3, v4, s0
	v_mad_u64_u32 v[24:25], null, v28, s45, v[5:6]
	s_delay_alu instid0(VALU_DEP_3) | instskip(SKIP_1) | instid1(VALU_DEP_4)
	v_add_co_u32 v3, s0, v3, v21
	v_mov_b32_e32 v5, v7
	v_add_co_ci_u32_e64 v4, s0, v4, v22, s0
	s_delay_alu instid0(VALU_DEP_4) | instskip(NEXT) | instid1(VALU_DEP_3)
	v_dual_cndmask_b32 v7, 0, v23 :: v_dual_cndmask_b32 v8, 0, v24
	v_mad_u64_u32 v[25:26], null, v18, s45, v[5:6]
	v_cmp_gt_i32_e32 vcc_lo, s7, v18
	s_clause 0x1
	global_load_u16 v18, v[1:2], off
	global_load_u16 v23, v[3:4], off
	s_mov_b32 s0, exec_lo
	s_waitcnt vmcnt(1)
	v_lshlrev_b32_e32 v18, 16, v18
	s_waitcnt vmcnt(0)
	s_delay_alu instid0(VALU_DEP_1) | instskip(SKIP_2) | instid1(VALU_DEP_3)
	v_dual_fmac_f32 v14, v20, v18 :: v_dual_lshlrev_b32 v23, 16, v23
	v_dual_cndmask_b32 v5, 0, v6 :: v_dual_cndmask_b32 v6, 0, v25
	v_lshlrev_b64 v[7:8], 1, v[7:8]
	v_dual_fmac_f32 v14, v19, v23 :: v_dual_add_nc_u32 v23, 32, v0
	s_delay_alu instid0(VALU_DEP_3) | instskip(NEXT) | instid1(VALU_DEP_3)
	v_lshlrev_b64 v[5:6], 1, v[5:6]
	v_add_co_u32 v7, vcc_lo, s2, v7
	s_delay_alu instid0(VALU_DEP_4) | instskip(NEXT) | instid1(VALU_DEP_3)
	v_add_co_ci_u32_e32 v8, vcc_lo, s3, v8, vcc_lo
	v_add_co_u32 v5, vcc_lo, s2, v5
	s_delay_alu instid0(VALU_DEP_4) | instskip(NEXT) | instid1(VALU_DEP_4)
	v_add_co_ci_u32_e32 v6, vcc_lo, s3, v6, vcc_lo
	v_add_co_u32 v7, vcc_lo, v7, v21
	s_delay_alu instid0(VALU_DEP_4) | instskip(NEXT) | instid1(VALU_DEP_4)
	v_add_co_ci_u32_e32 v8, vcc_lo, v8, v22, vcc_lo
	v_add_co_u32 v5, vcc_lo, v5, v21
	s_delay_alu instid0(VALU_DEP_4)
	v_add_co_ci_u32_e32 v6, vcc_lo, v6, v22, vcc_lo
	s_clause 0x1
	global_load_u16 v21, v[7:8], off
	global_load_u16 v22, v[5:6], off
	s_waitcnt vmcnt(1)
	v_lshlrev_b32_e32 v21, 16, v21
	s_waitcnt vmcnt(0)
	v_lshlrev_b32_e32 v18, 16, v22
	s_delay_alu instid0(VALU_DEP_2)
	v_fmac_f32_e32 v14, v10, v21
	v_cmpx_gt_i32_e64 s6, v23
	s_cbranch_execz .LBB635_39
; %bb.34:
	s_clause 0x3
	global_load_u16 v21, v[1:2], off offset:64
	global_load_u16 v22, v[3:4], off offset:64
	;; [unrolled: 1-line block ×4, first 2 shown]
	s_mov_b32 s2, exec_lo
	s_waitcnt vmcnt(3)
	v_lshlrev_b32_e32 v21, 16, v21
	s_waitcnt vmcnt(2)
	v_lshlrev_b32_e32 v22, 16, v22
	;; [unrolled: 2-line block ×3, first 2 shown]
	v_fmac_f32_e32 v15, v20, v21
	s_waitcnt vmcnt(0)
	v_lshlrev_b32_e32 v21, 16, v24
	s_delay_alu instid0(VALU_DEP_2) | instskip(NEXT) | instid1(VALU_DEP_1)
	v_dual_fmac_f32 v15, v19, v22 :: v_dual_add_nc_u32 v22, 64, v0
	v_fmac_f32_e32 v15, v10, v23
	s_delay_alu instid0(VALU_DEP_2)
	v_cmpx_gt_i32_e64 s6, v22
	s_cbranch_execz .LBB635_38
; %bb.35:
	s_clause 0x3
	global_load_u16 v22, v[1:2], off offset:128
	global_load_u16 v23, v[3:4], off offset:128
	global_load_u16 v24, v[7:8], off offset:128
	global_load_u16 v25, v[5:6], off offset:128
	s_mov_b32 s3, exec_lo
	s_waitcnt vmcnt(3)
	v_lshlrev_b32_e32 v22, 16, v22
	s_waitcnt vmcnt(2)
	s_delay_alu instid0(VALU_DEP_1) | instskip(SKIP_2) | instid1(VALU_DEP_2)
	v_dual_fmac_f32 v16, v20, v22 :: v_dual_lshlrev_b32 v23, 16, v23
	s_waitcnt vmcnt(1)
	v_lshlrev_b32_e32 v22, 16, v24
	v_dual_fmac_f32 v16, v19, v23 :: v_dual_add_nc_u32 v23, 0x60, v0
	s_waitcnt vmcnt(0)
	v_lshlrev_b32_e32 v0, 16, v25
	s_delay_alu instid0(VALU_DEP_2) | instskip(NEXT) | instid1(VALU_DEP_3)
	v_fmac_f32_e32 v16, v10, v22
	v_cmpx_gt_i32_e64 s6, v23
	s_cbranch_execz .LBB635_37
; %bb.36:
	s_clause 0x3
	global_load_u16 v1, v[1:2], off offset:192
	global_load_u16 v2, v[3:4], off offset:192
	global_load_u16 v3, v[7:8], off offset:192
	global_load_u16 v4, v[5:6], off offset:192
	s_waitcnt vmcnt(3)
	v_lshlrev_b32_e32 v1, 16, v1
	s_waitcnt vmcnt(2)
	s_delay_alu instid0(VALU_DEP_1) | instskip(SKIP_2) | instid1(VALU_DEP_2)
	v_dual_fmac_f32 v17, v20, v1 :: v_dual_lshlrev_b32 v2, 16, v2
	s_waitcnt vmcnt(1)
	v_lshlrev_b32_e32 v1, 16, v3
	v_fmac_f32_e32 v17, v19, v2
	s_delay_alu instid0(VALU_DEP_1) | instskip(SKIP_2) | instid1(VALU_DEP_1)
	v_fmac_f32_e32 v17, v10, v1
	s_waitcnt vmcnt(0)
	v_lshlrev_b32_e32 v1, 16, v4
	v_fmac_f32_e32 v17, v9, v1
.LBB635_37:
	s_or_b32 exec_lo, exec_lo, s3
	s_delay_alu instid0(VALU_DEP_2)
	v_fmac_f32_e32 v16, v9, v0
.LBB635_38:
	s_or_b32 exec_lo, exec_lo, s2
	s_delay_alu instid0(VALU_DEP_2)
	v_fmac_f32_e32 v15, v9, v21
.LBB635_39:
	s_or_b32 exec_lo, exec_lo, s0
	s_delay_alu instid0(VALU_DEP_2)
	v_fmac_f32_e32 v14, v9, v18
.LBB635_40:
	s_or_b32 exec_lo, exec_lo, s1
.LBB635_41:
	v_lshlrev_b32_e32 v0, 7, v13
	s_mov_b32 s0, exec_lo
                                        ; implicit-def: $vgpr1
                                        ; implicit-def: $vgpr2_vgpr3
	s_delay_alu instid0(VALU_DEP_1)
	v_add_lshl_u32 v0, v0, v12, 2
	ds_store_2addr_b32 v0, v14, v15 offset1:32
	ds_store_2addr_b32 v0, v16, v17 offset0:64 offset1:96
	s_waitcnt lgkmcnt(0)
	s_barrier
	buffer_gl0_inv
	v_cmpx_gt_u32_e32 0x80, v11
	s_cbranch_execz .LBB635_47
; %bb.42:
	v_lshlrev_b32_e32 v6, 2, v11
	s_mov_b32 s2, s23
	s_mov_b32 s1, exec_lo
	ds_load_2addr_stride64_b32 v[0:1], v6 offset1:2
	ds_load_2addr_stride64_b32 v[2:3], v6 offset0:4 offset1:6
	ds_load_2addr_stride64_b32 v[4:5], v6 offset0:8 offset1:10
	s_waitcnt lgkmcnt(2)
	v_add_f32_e32 v7, v0, v1
	ds_load_2addr_stride64_b32 v[0:1], v6 offset0:12 offset1:14
	s_waitcnt lgkmcnt(2)
	v_add_f32_e32 v2, v2, v7
	s_delay_alu instid0(VALU_DEP_1) | instskip(SKIP_3) | instid1(VALU_DEP_1)
	v_add_f32_e32 v7, v3, v2
	ds_load_2addr_stride64_b32 v[2:3], v6 offset0:16 offset1:18
	s_waitcnt lgkmcnt(2)
	v_add_f32_e32 v4, v4, v7
	v_add_f32_e32 v7, v5, v4
	ds_load_2addr_stride64_b32 v[4:5], v6 offset0:20 offset1:22
	s_waitcnt lgkmcnt(2)
	v_add_f32_e32 v0, v0, v7
	s_delay_alu instid0(VALU_DEP_1) | instskip(SKIP_1) | instid1(VALU_DEP_1)
	v_add_f32_e32 v0, v1, v0
	s_waitcnt lgkmcnt(1)
	v_add_f32_e32 v2, v2, v0
	ds_load_2addr_stride64_b32 v[0:1], v6 offset0:24 offset1:26
	v_add_f32_e32 v2, v3, v2
	s_waitcnt lgkmcnt(1)
	s_delay_alu instid0(VALU_DEP_1) | instskip(SKIP_3) | instid1(VALU_DEP_1)
	v_add_f32_e32 v4, v4, v2
	ds_load_2addr_stride64_b32 v[2:3], v6 offset0:28 offset1:30
	v_add_f32_e32 v4, v5, v4
	s_waitcnt lgkmcnt(1)
	v_add_f32_e32 v0, v0, v4
	v_or_b32_e32 v4, s24, v11
	s_delay_alu instid0(VALU_DEP_2) | instskip(SKIP_1) | instid1(VALU_DEP_1)
	v_add_f32_e32 v0, v1, v0
                                        ; implicit-def: $vgpr1
	s_waitcnt lgkmcnt(0)
	v_add_f32_e32 v0, v2, v0
	s_delay_alu instid0(VALU_DEP_1)
	v_add_f32_e32 v0, v3, v0
                                        ; implicit-def: $vgpr2_vgpr3
	ds_store_b32 v6, v0
	v_cmpx_gt_i32_e64 s6, v4
	s_cbranch_execz .LBB635_46
; %bb.43:
	v_ashrrev_i32_e32 v1, 31, v4
	v_mul_lo_u32 v5, v4, s29
	v_mad_u64_u32 v[2:3], null, v4, s28, 0
	v_cmp_eq_f32_e64 s2, s21, 0
	s_delay_alu instid0(VALU_DEP_4) | instskip(SKIP_1) | instid1(VALU_DEP_3)
	v_mul_lo_u32 v4, v1, s28
	v_mul_f32_e32 v1, s22, v0
	s_and_b32 vcc_lo, exec_lo, s2
	s_delay_alu instid0(VALU_DEP_2)
	v_add3_u32 v3, v3, v5, v4
	s_cbranch_vccnz .LBB635_45
; %bb.44:
	s_delay_alu instid0(VALU_DEP_1) | instskip(NEXT) | instid1(VALU_DEP_1)
	v_lshlrev_b64 v[4:5], 2, v[2:3]
	v_add_co_u32 v4, vcc_lo, s5, v4
	s_delay_alu instid0(VALU_DEP_2)
	v_add_co_ci_u32_e32 v5, vcc_lo, s20, v5, vcc_lo
	global_load_b32 v0, v[4:5], off
	s_waitcnt vmcnt(0)
	v_fmac_f32_e32 v1, s21, v0
.LBB635_45:
	s_or_b32 s2, s23, exec_lo
.LBB635_46:
	s_or_b32 exec_lo, exec_lo, s1
	s_delay_alu instid0(SALU_CYCLE_1) | instskip(SKIP_1) | instid1(SALU_CYCLE_1)
	s_and_not1_b32 s1, s23, exec_lo
	s_and_b32 s2, s2, exec_lo
	s_or_b32 s23, s1, s2
.LBB635_47:
	s_or_b32 exec_lo, exec_lo, s0
.LBB635_48:
	s_and_saveexec_b32 s0, s23
	s_cbranch_execz .LBB635_50
; %bb.49:
	v_lshlrev_b64 v[2:3], 2, v[2:3]
	s_delay_alu instid0(VALU_DEP_1) | instskip(NEXT) | instid1(VALU_DEP_2)
	v_add_co_u32 v2, vcc_lo, s5, v2
	v_add_co_ci_u32_e32 v3, vcc_lo, s20, v3, vcc_lo
	global_store_b32 v[2:3], v1, off
.LBB635_50:
	s_nop 0
	s_sendmsg sendmsg(MSG_DEALLOC_VGPRS)
	s_endpgm
	.section	.rodata,"a",@progbits
	.p2align	6, 0x0
	.amdhsa_kernel _ZL20rocblas_gemvn_kernelILi32ELi16El16rocblas_bfloat16PKffEviiT3_lPKT2_lT1_lS6_lS7_lS3_lPT4_lS7_li
		.amdhsa_group_segment_fixed_size 8192
		.amdhsa_private_segment_fixed_size 0
		.amdhsa_kernarg_size 400
		.amdhsa_user_sgpr_count 14
		.amdhsa_user_sgpr_dispatch_ptr 0
		.amdhsa_user_sgpr_queue_ptr 0
		.amdhsa_user_sgpr_kernarg_segment_ptr 1
		.amdhsa_user_sgpr_dispatch_id 0
		.amdhsa_user_sgpr_private_segment_size 0
		.amdhsa_wavefront_size32 1
		.amdhsa_uses_dynamic_stack 0
		.amdhsa_enable_private_segment 0
		.amdhsa_system_sgpr_workgroup_id_x 1
		.amdhsa_system_sgpr_workgroup_id_y 0
		.amdhsa_system_sgpr_workgroup_id_z 1
		.amdhsa_system_sgpr_workgroup_info 0
		.amdhsa_system_vgpr_workitem_id 1
		.amdhsa_next_free_vgpr 51
		.amdhsa_next_free_sgpr 52
		.amdhsa_reserve_vcc 1
		.amdhsa_float_round_mode_32 0
		.amdhsa_float_round_mode_16_64 0
		.amdhsa_float_denorm_mode_32 3
		.amdhsa_float_denorm_mode_16_64 3
		.amdhsa_dx10_clamp 1
		.amdhsa_ieee_mode 1
		.amdhsa_fp16_overflow 0
		.amdhsa_workgroup_processor_mode 1
		.amdhsa_memory_ordered 1
		.amdhsa_forward_progress 0
		.amdhsa_shared_vgpr_count 0
		.amdhsa_exception_fp_ieee_invalid_op 0
		.amdhsa_exception_fp_denorm_src 0
		.amdhsa_exception_fp_ieee_div_zero 0
		.amdhsa_exception_fp_ieee_overflow 0
		.amdhsa_exception_fp_ieee_underflow 0
		.amdhsa_exception_fp_ieee_inexact 0
		.amdhsa_exception_int_div_zero 0
	.end_amdhsa_kernel
	.section	.text._ZL20rocblas_gemvn_kernelILi32ELi16El16rocblas_bfloat16PKffEviiT3_lPKT2_lT1_lS6_lS7_lS3_lPT4_lS7_li,"axG",@progbits,_ZL20rocblas_gemvn_kernelILi32ELi16El16rocblas_bfloat16PKffEviiT3_lPKT2_lT1_lS6_lS7_lS3_lPT4_lS7_li,comdat
.Lfunc_end635:
	.size	_ZL20rocblas_gemvn_kernelILi32ELi16El16rocblas_bfloat16PKffEviiT3_lPKT2_lT1_lS6_lS7_lS3_lPT4_lS7_li, .Lfunc_end635-_ZL20rocblas_gemvn_kernelILi32ELi16El16rocblas_bfloat16PKffEviiT3_lPKT2_lT1_lS6_lS7_lS3_lPT4_lS7_li
                                        ; -- End function
	.section	.AMDGPU.csdata,"",@progbits
; Kernel info:
; codeLenInByte = 3708
; NumSgprs: 54
; NumVgprs: 51
; ScratchSize: 0
; MemoryBound: 0
; FloatMode: 240
; IeeeMode: 1
; LDSByteSize: 8192 bytes/workgroup (compile time only)
; SGPRBlocks: 6
; VGPRBlocks: 6
; NumSGPRsForWavesPerEU: 54
; NumVGPRsForWavesPerEU: 51
; Occupancy: 16
; WaveLimiterHint : 0
; COMPUTE_PGM_RSRC2:SCRATCH_EN: 0
; COMPUTE_PGM_RSRC2:USER_SGPR: 14
; COMPUTE_PGM_RSRC2:TRAP_HANDLER: 0
; COMPUTE_PGM_RSRC2:TGID_X_EN: 1
; COMPUTE_PGM_RSRC2:TGID_Y_EN: 0
; COMPUTE_PGM_RSRC2:TGID_Z_EN: 1
; COMPUTE_PGM_RSRC2:TIDIG_COMP_CNT: 1
	.section	.text._ZL20rocblas_gemvn_kernelILi32ELi16Ei16rocblas_bfloat16ffEviiT3_lPKT2_lT1_lS4_lS5_lS1_lPT4_lS5_li,"axG",@progbits,_ZL20rocblas_gemvn_kernelILi32ELi16Ei16rocblas_bfloat16ffEviiT3_lPKT2_lT1_lS4_lS5_lS1_lPT4_lS5_li,comdat
	.globl	_ZL20rocblas_gemvn_kernelILi32ELi16Ei16rocblas_bfloat16ffEviiT3_lPKT2_lT1_lS4_lS5_lS1_lPT4_lS5_li ; -- Begin function _ZL20rocblas_gemvn_kernelILi32ELi16Ei16rocblas_bfloat16ffEviiT3_lPKT2_lT1_lS4_lS5_lS1_lPT4_lS5_li
	.p2align	8
	.type	_ZL20rocblas_gemvn_kernelILi32ELi16Ei16rocblas_bfloat16ffEviiT3_lPKT2_lT1_lS4_lS5_lS1_lPT4_lS5_li,@function
_ZL20rocblas_gemvn_kernelILi32ELi16Ei16rocblas_bfloat16ffEviiT3_lPKT2_lT1_lS4_lS5_lS1_lPT4_lS5_li: ; @_ZL20rocblas_gemvn_kernelILi32ELi16Ei16rocblas_bfloat16ffEviiT3_lPKT2_lT1_lS4_lS5_lS1_lPT4_lS5_li
; %bb.0:
	s_load_b64 s[2:3], s[0:1], 0x9c
	s_waitcnt lgkmcnt(0)
	s_lshr_b32 s4, s2, 16
	s_and_b32 s2, s2, 0xffff
	s_and_b32 s3, s3, 0xffff
	s_mul_i32 s2, s4, s2
	s_delay_alu instid0(SALU_CYCLE_1) | instskip(NEXT) | instid1(SALU_CYCLE_1)
	s_mul_i32 s2, s2, s3
	s_cmpk_lg_i32 s2, 0x200
	s_cbranch_scc1 .LBB636_50
; %bb.1:
	s_clause 0x1
	s_load_b128 s[4:7], s[0:1], 0x0
	s_load_b32 s13, s[0:1], 0x58
	s_mov_b32 s16, 0
	s_waitcnt lgkmcnt(0)
	v_cmp_eq_f32_e64 s2, s6, 0
	v_cmp_eq_f32_e64 s3, s13, 1.0
	s_delay_alu instid0(VALU_DEP_1) | instskip(NEXT) | instid1(SALU_CYCLE_1)
	s_and_b32 s2, s2, s3
	s_and_b32 vcc_lo, exec_lo, s2
	s_cbranch_vccnz .LBB636_50
; %bb.2:
	s_clause 0x2
	s_load_b64 s[2:3], s[0:1], 0x80
	s_load_b128 s[8:11], s[0:1], 0x68
	s_load_b32 s17, s[0:1], 0x78
	v_and_b32_e32 v1, 0x3ff, v0
	v_bfe_u32 v13, v0, 10, 10
	v_cmp_neq_f32_e64 s18, s6, 0
	s_delay_alu instid0(VALU_DEP_2)
	v_lshl_add_u32 v0, v13, 5, v1
	s_waitcnt lgkmcnt(0)
	s_mul_i32 s3, s15, s3
	s_mul_hi_u32 s7, s15, s2
	s_mul_i32 s2, s15, s2
	s_add_i32 s3, s7, s3
	s_delay_alu instid0(SALU_CYCLE_1) | instskip(NEXT) | instid1(SALU_CYCLE_1)
	s_lshl_b64 s[2:3], s[2:3], 2
	s_add_u32 s7, s8, s2
	s_addc_u32 s8, s9, s3
	s_lshl_b64 s[2:3], s[10:11], 2
	s_delay_alu instid0(SALU_CYCLE_1)
	s_add_u32 s7, s7, s2
	v_cmp_gt_u32_e64 s2, 0x80, v0
	s_addc_u32 s12, s8, s3
	s_and_b32 vcc_lo, exec_lo, s18
	s_cbranch_vccnz .LBB636_9
; %bb.3:
	s_mov_b32 s3, 0
                                        ; implicit-def: $vgpr3
                                        ; implicit-def: $vgpr4_vgpr5
	s_and_saveexec_b32 s8, s2
	s_cbranch_execz .LBB636_10
; %bb.4:
	v_lshl_or_b32 v2, s14, 7, v0
	v_mov_b32_e32 v3, 0
	s_ashr_i32 s11, s4, 31
	s_mov_b32 s10, s4
	s_mov_b32 s9, 0
	s_mov_b32 s2, exec_lo
                                        ; implicit-def: $vgpr4_vgpr5
	v_cmpx_gt_i64_e64 s[10:11], v[2:3]
	s_cbranch_execz .LBB636_8
; %bb.5:
	v_mad_u64_u32 v[4:5], null, s17, v2, 0
	s_ashr_i32 s9, s17, 31
	s_delay_alu instid0(VALU_DEP_1) | instid1(SALU_CYCLE_1)
	v_mad_u64_u32 v[6:7], null, s9, v2, v[5:6]
	v_cmp_eq_f32_e64 s9, s13, 0
	s_delay_alu instid0(VALU_DEP_1) | instskip(NEXT) | instid1(VALU_DEP_2)
	s_and_b32 vcc_lo, exec_lo, s9
	v_mov_b32_e32 v5, v6
	s_cbranch_vccnz .LBB636_7
; %bb.6:
	s_delay_alu instid0(VALU_DEP_1) | instskip(NEXT) | instid1(VALU_DEP_1)
	v_lshlrev_b64 v[2:3], 2, v[4:5]
	v_add_co_u32 v2, vcc_lo, s7, v2
	s_delay_alu instid0(VALU_DEP_2)
	v_add_co_ci_u32_e32 v3, vcc_lo, s12, v3, vcc_lo
	global_load_b32 v2, v[2:3], off
	s_waitcnt vmcnt(0)
	v_mul_f32_e32 v3, s13, v2
.LBB636_7:
	s_mov_b32 s9, exec_lo
.LBB636_8:
	s_or_b32 exec_lo, exec_lo, s2
	s_delay_alu instid0(SALU_CYCLE_1) | instskip(SKIP_1) | instid1(SALU_CYCLE_1)
	s_and_b32 s16, s9, exec_lo
	s_or_b32 exec_lo, exec_lo, s8
	s_and_b32 vcc_lo, exec_lo, s3
	s_cbranch_vccnz .LBB636_11
	s_branch .LBB636_48
.LBB636_9:
                                        ; implicit-def: $vgpr3
                                        ; implicit-def: $vgpr4_vgpr5
	s_cbranch_execnz .LBB636_11
	s_branch .LBB636_48
.LBB636_10:
	s_or_b32 exec_lo, exec_lo, s8
	s_delay_alu instid0(SALU_CYCLE_1)
	s_and_b32 vcc_lo, exec_lo, s3
	s_cbranch_vccz .LBB636_48
.LBB636_11:
	s_clause 0x4
	s_load_b128 s[8:11], s[0:1], 0x30
	s_load_b64 s[2:3], s[0:1], 0x50
	s_load_b128 s[20:23], s[0:1], 0x18
	s_load_b32 s18, s[0:1], 0x28
	s_load_b64 s[24:25], s[0:1], 0x40
	v_dual_mov_b32 v14, 0 :: v_dual_lshlrev_b32 v19, 2, v13
	v_dual_mov_b32 v15, 0 :: v_dual_mov_b32 v16, 0
	v_mov_b32_e32 v17, 0
	s_waitcnt lgkmcnt(0)
	s_mul_i32 s9, s15, s9
	s_mul_hi_u32 s19, s15, s8
	s_mul_i32 s8, s15, s8
	s_add_i32 s9, s19, s9
	s_mul_i32 s3, s15, s3
	s_lshl_b64 s[8:9], s[8:9], 1
	s_mul_hi_u32 s26, s15, s2
	s_add_u32 s19, s20, s8
	s_addc_u32 s20, s21, s9
	s_lshl_b64 s[8:9], s[22:23], 1
	s_mul_i32 s2, s15, s2
	s_add_u32 s15, s19, s8
	s_load_b32 s8, s[0:1], 0x48
	s_addc_u32 s19, s20, s9
	s_add_i32 s3, s26, s3
	s_mov_b32 s20, exec_lo
	s_lshl_b64 s[0:1], s[2:3], 1
	s_delay_alu instid0(SALU_CYCLE_1) | instskip(SKIP_2) | instid1(SALU_CYCLE_1)
	s_add_u32 s2, s10, s0
	s_addc_u32 s3, s11, s1
	s_lshl_b64 s[0:1], s[24:25], 1
	s_add_u32 s10, s2, s0
	s_addc_u32 s11, s3, s1
	s_ashr_i32 s0, s5, 31
	s_lshl_b32 s9, s14, 7
	s_lshr_b32 s0, s0, 26
	v_add_nc_u32_e32 v18, s9, v1
	s_add_i32 s0, s5, s0
	s_delay_alu instid0(SALU_CYCLE_1) | instskip(NEXT) | instid1(SALU_CYCLE_1)
	s_and_b32 s14, s0, 0xffffffc0
	v_cmpx_gt_i32_e64 s14, v19
	s_cbranch_execz .LBB636_23
; %bb.12:
	v_mul_lo_u32 v3, s18, v19
	v_dual_mov_b32 v15, 0 :: v_dual_add_nc_u32 v2, 32, v18
	v_add_nc_u32_e32 v6, 2, v19
	v_dual_mov_b32 v14, 0 :: v_dual_add_nc_u32 v5, 0x60, v18
	s_delay_alu instid0(VALU_DEP_3)
	v_cmp_gt_i32_e64 s0, s4, v2
	v_dual_mov_b32 v17, 0 :: v_dual_add_nc_u32 v4, 64, v18
	v_add3_u32 v20, v3, s18, v1
	v_mad_u64_u32 v[2:3], null, s18, v6, v[1:2]
	v_cmp_gt_i32_e64 s2, s4, v5
	v_mul_lo_u32 v5, v13, s18
	v_dual_mov_b32 v16, 0 :: v_dual_add_nc_u32 v7, 3, v19
	s_waitcnt lgkmcnt(0)
	v_mul_lo_u32 v8, v13, s8
	v_cmp_gt_i32_e64 s1, s4, v4
	v_mul_lo_u32 v22, s8, v6
	v_mad_u64_u32 v[3:4], null, s18, v7, v[1:2]
	v_lshl_add_u32 v21, v5, 2, v1
	v_mad_u64_u32 v[4:5], null, s8, v19, s[8:9]
	v_mul_lo_u32 v23, s8, v7
	v_cmp_gt_i32_e32 vcc_lo, s4, v18
	v_lshlrev_b32_e32 v24, 2, v8
	s_lshl_b32 s21, s18, 6
	s_lshl_b32 s23, s8, 6
	s_mov_b32 s22, 0
	s_mov_b32 s24, 0
	s_branch .LBB636_17
.LBB636_13:                             ;   in Loop: Header=BB636_17 Depth=1
	s_or_b32 exec_lo, exec_lo, s27
	s_waitcnt vmcnt(2)
	v_lshlrev_b32_e32 v6, 16, v39
	v_lshlrev_b32_e32 v5, 16, v40
	s_waitcnt vmcnt(1)
	s_delay_alu instid0(VALU_DEP_1) | instskip(NEXT) | instid1(VALU_DEP_1)
	v_dual_fmac_f32 v16, v32, v5 :: v_dual_lshlrev_b32 v5, 16, v38
	v_fmac_f32_e32 v16, v30, v6
	s_delay_alu instid0(VALU_DEP_1) | instskip(SKIP_2) | instid1(VALU_DEP_1)
	v_fmac_f32_e32 v16, v28, v5
	s_waitcnt vmcnt(0)
	v_lshlrev_b32_e32 v5, 16, v37
	v_fmac_f32_e32 v16, v27, v5
.LBB636_14:                             ;   in Loop: Header=BB636_17 Depth=1
	s_or_b32 exec_lo, exec_lo, s26
	s_waitcnt vmcnt(3)
	v_lshlrev_b32_e32 v5, 16, v36
	s_waitcnt vmcnt(2)
	s_delay_alu instid0(VALU_DEP_1) | instskip(SKIP_2) | instid1(VALU_DEP_2)
	v_dual_fmac_f32 v15, v32, v5 :: v_dual_lshlrev_b32 v6, 16, v35
	s_waitcnt vmcnt(1)
	v_lshlrev_b32_e32 v5, 16, v34
	v_fmac_f32_e32 v15, v30, v6
	s_delay_alu instid0(VALU_DEP_1) | instskip(SKIP_2) | instid1(VALU_DEP_1)
	v_fmac_f32_e32 v15, v28, v5
	s_waitcnt vmcnt(0)
	v_lshlrev_b32_e32 v5, 16, v33
	v_fmac_f32_e32 v15, v27, v5
.LBB636_15:                             ;   in Loop: Header=BB636_17 Depth=1
	s_or_b32 exec_lo, exec_lo, s3
	s_waitcnt vmcnt(2)
	v_lshlrev_b32_e32 v6, 16, v29
	v_lshlrev_b32_e32 v5, 16, v31
	s_waitcnt vmcnt(1)
	s_delay_alu instid0(VALU_DEP_1) | instskip(NEXT) | instid1(VALU_DEP_1)
	v_dual_fmac_f32 v14, v32, v5 :: v_dual_lshlrev_b32 v5, 16, v26
	v_fmac_f32_e32 v14, v30, v6
	s_delay_alu instid0(VALU_DEP_1) | instskip(SKIP_2) | instid1(VALU_DEP_1)
	v_fmac_f32_e32 v14, v28, v5
	s_waitcnt vmcnt(0)
	v_lshlrev_b32_e32 v5, 16, v25
	v_fmac_f32_e32 v14, v27, v5
.LBB636_16:                             ;   in Loop: Header=BB636_17 Depth=1
	s_or_b32 exec_lo, exec_lo, s25
	v_add_nc_u32_e32 v19, 64, v19
	v_add_nc_u32_e32 v20, s21, v20
	;; [unrolled: 1-line block ×5, first 2 shown]
	v_cmp_le_i32_e64 s3, s14, v19
	s_add_i32 s24, s24, s23
	s_delay_alu instid0(VALU_DEP_1) | instskip(NEXT) | instid1(SALU_CYCLE_1)
	s_or_b32 s22, s3, s22
	s_and_not1_b32 exec_lo, exec_lo, s22
	s_cbranch_execz .LBB636_22
.LBB636_17:                             ; =>This Inner Loop Header: Depth=1
	s_and_saveexec_b32 s25, vcc_lo
	s_cbranch_execz .LBB636_16
; %bb.18:                               ;   in Loop: Header=BB636_17 Depth=1
	v_add_nc_u32_e32 v5, s24, v24
	v_add_nc_u32_e32 v7, s24, v4
	v_add_nc_u32_e32 v9, s24, v22
	v_add_nc_u32_e32 v11, s24, v23
	v_add_nc_u32_e32 v25, s9, v21
	v_ashrrev_i32_e32 v6, 31, v5
	v_ashrrev_i32_e32 v8, 31, v7
	;; [unrolled: 1-line block ×4, first 2 shown]
	v_add_nc_u32_e32 v27, s9, v20
	v_lshlrev_b64 v[5:6], 1, v[5:6]
	v_lshlrev_b64 v[7:8], 1, v[7:8]
	;; [unrolled: 1-line block ×4, first 2 shown]
	v_ashrrev_i32_e32 v26, 31, v25
	v_ashrrev_i32_e32 v28, 31, v27
	v_add_co_u32 v5, s3, s10, v5
	s_delay_alu instid0(VALU_DEP_1) | instskip(SKIP_1) | instid1(VALU_DEP_1)
	v_add_co_ci_u32_e64 v6, s3, s11, v6, s3
	v_add_co_u32 v7, s3, s10, v7
	v_add_co_ci_u32_e64 v8, s3, s11, v8, s3
	v_add_co_u32 v9, s3, s10, v9
	s_delay_alu instid0(VALU_DEP_1)
	v_add_co_ci_u32_e64 v10, s3, s11, v10, s3
	v_add_co_u32 v11, s3, s10, v11
	v_add_nc_u32_e32 v29, s9, v2
	v_add_co_ci_u32_e64 v12, s3, s11, v12, s3
	v_lshlrev_b64 v[25:26], 1, v[25:26]
	s_clause 0x3
	global_load_u16 v32, v[5:6], off
	global_load_u16 v33, v[7:8], off
	;; [unrolled: 1-line block ×4, first 2 shown]
	v_add_nc_u32_e32 v11, s9, v3
	v_lshlrev_b64 v[5:6], 1, v[27:28]
	v_ashrrev_i32_e32 v30, 31, v29
	v_add_co_u32 v7, s3, s15, v25
	s_delay_alu instid0(VALU_DEP_4) | instskip(SKIP_1) | instid1(VALU_DEP_4)
	v_ashrrev_i32_e32 v12, 31, v11
	v_add_co_ci_u32_e64 v8, s3, s19, v26, s3
	v_lshlrev_b64 v[25:26], 1, v[29:30]
	v_add_co_u32 v9, s3, s15, v5
	s_delay_alu instid0(VALU_DEP_1) | instskip(SKIP_1) | instid1(VALU_DEP_4)
	v_add_co_ci_u32_e64 v10, s3, s19, v6, s3
	v_lshlrev_b64 v[5:6], 1, v[11:12]
	v_add_co_u32 v11, s3, s15, v25
	s_delay_alu instid0(VALU_DEP_1) | instskip(NEXT) | instid1(VALU_DEP_3)
	v_add_co_ci_u32_e64 v12, s3, s19, v26, s3
	v_add_co_u32 v5, s3, s15, v5
	s_delay_alu instid0(VALU_DEP_1)
	v_add_co_ci_u32_e64 v6, s3, s19, v6, s3
	s_clause 0x3
	global_load_u16 v31, v[7:8], off
	global_load_u16 v29, v[9:10], off
	;; [unrolled: 1-line block ×4, first 2 shown]
	s_waitcnt vmcnt(7)
	v_lshlrev_b32_e32 v32, 16, v32
	s_waitcnt vmcnt(6)
	v_lshlrev_b32_e32 v30, 16, v33
	s_waitcnt vmcnt(5)
	v_lshlrev_b32_e32 v28, 16, v34
	s_waitcnt vmcnt(4)
	v_lshlrev_b32_e32 v27, 16, v35
	s_and_saveexec_b32 s3, s0
	s_cbranch_execz .LBB636_15
; %bb.19:                               ;   in Loop: Header=BB636_17 Depth=1
	s_clause 0x3
	global_load_u16 v36, v[7:8], off offset:64
	global_load_u16 v35, v[9:10], off offset:64
	global_load_u16 v34, v[11:12], off offset:64
	global_load_u16 v33, v[5:6], off offset:64
	s_and_saveexec_b32 s26, s1
	s_cbranch_execz .LBB636_14
; %bb.20:                               ;   in Loop: Header=BB636_17 Depth=1
	s_clause 0x3
	global_load_u16 v40, v[7:8], off offset:128
	global_load_u16 v39, v[9:10], off offset:128
	global_load_u16 v38, v[11:12], off offset:128
	global_load_u16 v37, v[5:6], off offset:128
	;; [unrolled: 8-line block ×3, first 2 shown]
	s_waitcnt vmcnt(0)
	v_lshlrev_b32_e32 v5, 16, v5
	v_lshlrev_b32_e32 v6, 16, v7
	;; [unrolled: 1-line block ×3, first 2 shown]
	s_delay_alu instid0(VALU_DEP_2) | instskip(NEXT) | instid1(VALU_DEP_1)
	v_dual_fmac_f32 v17, v32, v6 :: v_dual_lshlrev_b32 v6, 16, v9
	v_fmac_f32_e32 v17, v30, v7
	s_delay_alu instid0(VALU_DEP_1) | instskip(NEXT) | instid1(VALU_DEP_1)
	v_fmac_f32_e32 v17, v28, v6
	v_fmac_f32_e32 v17, v27, v5
	s_branch .LBB636_13
.LBB636_22:
	s_or_b32 exec_lo, exec_lo, s22
.LBB636_23:
	s_delay_alu instid0(SALU_CYCLE_1) | instskip(SKIP_1) | instid1(SALU_CYCLE_1)
	s_or_b32 exec_lo, exec_lo, s20
	s_sub_i32 s0, s5, s14
	s_cmp_lt_i32 s0, 1
	s_cbranch_scc1 .LBB636_41
; %bb.24:
	v_cmp_gt_i32_e32 vcc_lo, s5, v19
	v_dual_mov_b32 v10, 0 :: v_dual_mov_b32 v11, 0
	v_or_b32_e32 v2, 1, v19
	v_mov_b32_e32 v12, 0
	v_mov_b32_e32 v20, 0
	s_and_saveexec_b32 s1, vcc_lo
	s_cbranch_execz .LBB636_32
; %bb.25:
	s_waitcnt lgkmcnt(0)
	v_mul_lo_u32 v3, v19, s8
	v_dual_mov_b32 v12, 0 :: v_dual_mov_b32 v11, 0
	v_mov_b32_e32 v10, 0
	s_mov_b32 s2, exec_lo
	s_delay_alu instid0(VALU_DEP_3) | instskip(NEXT) | instid1(VALU_DEP_1)
	v_ashrrev_i32_e32 v4, 31, v3
	v_lshlrev_b64 v[3:4], 1, v[3:4]
	s_delay_alu instid0(VALU_DEP_1) | instskip(NEXT) | instid1(VALU_DEP_1)
	v_add_co_u32 v3, s0, s10, v3
	v_add_co_ci_u32_e64 v4, s0, s11, v4, s0
	global_load_u16 v3, v[3:4], off
	v_cmpx_gt_i32_e64 s5, v2
	s_cbranch_execz .LBB636_31
; %bb.26:
	v_mul_lo_u32 v4, v2, s8
	v_dual_mov_b32 v11, 0 :: v_dual_mov_b32 v10, 0
	s_mov_b32 s3, exec_lo
	s_delay_alu instid0(VALU_DEP_2) | instskip(NEXT) | instid1(VALU_DEP_1)
	v_ashrrev_i32_e32 v5, 31, v4
	v_lshlrev_b64 v[4:5], 1, v[4:5]
	s_delay_alu instid0(VALU_DEP_1) | instskip(NEXT) | instid1(VALU_DEP_1)
	v_add_co_u32 v4, s0, s10, v4
	v_add_co_ci_u32_e64 v5, s0, s11, v5, s0
	global_load_u16 v4, v[4:5], off
	v_or_b32_e32 v5, 2, v19
	s_delay_alu instid0(VALU_DEP_1)
	v_cmpx_gt_i32_e64 s5, v5
	s_cbranch_execz .LBB636_30
; %bb.27:
	v_mul_lo_u32 v5, v5, s8
	v_mov_b32_e32 v10, 0
	s_mov_b32 s14, exec_lo
	s_delay_alu instid0(VALU_DEP_2) | instskip(NEXT) | instid1(VALU_DEP_1)
	v_ashrrev_i32_e32 v6, 31, v5
	v_lshlrev_b64 v[5:6], 1, v[5:6]
	s_delay_alu instid0(VALU_DEP_1) | instskip(NEXT) | instid1(VALU_DEP_1)
	v_add_co_u32 v5, s0, s10, v5
	v_add_co_ci_u32_e64 v6, s0, s11, v6, s0
	global_load_u16 v5, v[5:6], off
	v_or_b32_e32 v6, 3, v19
	s_delay_alu instid0(VALU_DEP_1)
	v_cmpx_gt_i32_e64 s5, v6
	s_cbranch_execz .LBB636_29
; %bb.28:
	v_mul_lo_u32 v6, v6, s8
	s_delay_alu instid0(VALU_DEP_1) | instskip(NEXT) | instid1(VALU_DEP_1)
	v_ashrrev_i32_e32 v7, 31, v6
	v_lshlrev_b64 v[6:7], 1, v[6:7]
	s_delay_alu instid0(VALU_DEP_1) | instskip(NEXT) | instid1(VALU_DEP_1)
	v_add_co_u32 v6, s0, s10, v6
	v_add_co_ci_u32_e64 v7, s0, s11, v7, s0
	global_load_u16 v6, v[6:7], off
	s_waitcnt vmcnt(0)
	v_lshlrev_b32_e32 v10, 16, v6
.LBB636_29:
	s_or_b32 exec_lo, exec_lo, s14
	s_waitcnt vmcnt(0)
	v_lshlrev_b32_e32 v11, 16, v5
.LBB636_30:
	s_or_b32 exec_lo, exec_lo, s3
	s_waitcnt vmcnt(0)
	v_lshlrev_b32_e32 v12, 16, v4
.LBB636_31:
	s_or_b32 exec_lo, exec_lo, s2
	s_waitcnt vmcnt(0)
	v_lshlrev_b32_e32 v20, 16, v3
.LBB636_32:
	s_or_b32 exec_lo, exec_lo, s1
	s_delay_alu instid0(SALU_CYCLE_1)
	s_mov_b32 s1, exec_lo
	v_cmpx_gt_i32_e64 s4, v18
	s_cbranch_execz .LBB636_40
; %bb.33:
	v_mul_lo_u32 v3, v19, s18
	v_mul_lo_u32 v4, v2, s18
	v_or_b32_e32 v5, 2, v19
	v_or_b32_e32 v6, 3, v19
	s_mov_b32 s0, exec_lo
	s_delay_alu instid0(VALU_DEP_2)
	v_mul_lo_u32 v7, v5, s18
	v_cndmask_b32_e32 v3, 0, v3, vcc_lo
	v_cmp_gt_i32_e32 vcc_lo, s5, v2
	v_mul_lo_u32 v8, v6, s18
	v_cndmask_b32_e32 v4, 0, v4, vcc_lo
	v_cmp_gt_i32_e32 vcc_lo, s5, v5
	v_add_nc_u32_e32 v2, v3, v18
	s_delay_alu instid0(VALU_DEP_3) | instskip(NEXT) | instid1(VALU_DEP_2)
	v_dual_cndmask_b32 v7, 0, v7 :: v_dual_add_nc_u32 v4, v4, v18
	v_ashrrev_i32_e32 v3, 31, v2
	v_cmp_gt_i32_e32 vcc_lo, s5, v6
	s_delay_alu instid0(VALU_DEP_3) | instskip(NEXT) | instid1(VALU_DEP_4)
	v_ashrrev_i32_e32 v5, 31, v4
	v_add_nc_u32_e32 v6, v7, v18
	s_delay_alu instid0(VALU_DEP_4) | instskip(SKIP_1) | instid1(VALU_DEP_4)
	v_lshlrev_b64 v[2:3], 1, v[2:3]
	v_cndmask_b32_e32 v8, 0, v8, vcc_lo
	v_lshlrev_b64 v[21:22], 1, v[4:5]
	s_delay_alu instid0(VALU_DEP_4) | instskip(NEXT) | instid1(VALU_DEP_4)
	v_ashrrev_i32_e32 v7, 31, v6
	v_add_co_u32 v4, vcc_lo, s15, v2
	v_add_co_ci_u32_e32 v5, vcc_lo, s19, v3, vcc_lo
	s_delay_alu instid0(VALU_DEP_4)
	v_add_co_u32 v2, vcc_lo, s15, v21
	v_add_co_ci_u32_e32 v3, vcc_lo, s19, v22, vcc_lo
	s_clause 0x1
	global_load_u16 v19, v[4:5], off
	global_load_u16 v23, v[2:3], off
	v_lshlrev_b64 v[6:7], 1, v[6:7]
	s_waitcnt vmcnt(1)
	v_lshlrev_b32_e32 v19, 16, v19
	v_add_nc_u32_e32 v8, v8, v18
	s_delay_alu instid0(VALU_DEP_1) | instskip(NEXT) | instid1(VALU_DEP_1)
	v_ashrrev_i32_e32 v9, 31, v8
	v_lshlrev_b64 v[21:22], 1, v[8:9]
	v_add_co_u32 v8, vcc_lo, s15, v6
	v_add_co_ci_u32_e32 v9, vcc_lo, s19, v7, vcc_lo
	s_delay_alu instid0(VALU_DEP_3) | instskip(NEXT) | instid1(VALU_DEP_4)
	v_add_co_u32 v6, vcc_lo, s15, v21
	v_add_co_ci_u32_e32 v7, vcc_lo, s19, v22, vcc_lo
	s_clause 0x1
	global_load_u16 v21, v[8:9], off
	global_load_u16 v22, v[6:7], off
	s_waitcnt vmcnt(1)
	v_dual_fmac_f32 v14, v20, v19 :: v_dual_lshlrev_b32 v21, 16, v21
	v_lshlrev_b32_e32 v23, 16, v23
	s_waitcnt vmcnt(0)
	s_delay_alu instid0(VALU_DEP_1) | instskip(NEXT) | instid1(VALU_DEP_1)
	v_dual_fmac_f32 v14, v12, v23 :: v_dual_lshlrev_b32 v19, 16, v22
	v_dual_fmac_f32 v14, v11, v21 :: v_dual_add_nc_u32 v23, 32, v18
	s_delay_alu instid0(VALU_DEP_1)
	v_cmpx_gt_i32_e64 s4, v23
	s_cbranch_execz .LBB636_39
; %bb.34:
	s_clause 0x3
	global_load_u16 v21, v[4:5], off offset:64
	global_load_u16 v22, v[2:3], off offset:64
	;; [unrolled: 1-line block ×4, first 2 shown]
	s_mov_b32 s2, exec_lo
	s_waitcnt vmcnt(3)
	v_lshlrev_b32_e32 v21, 16, v21
	s_waitcnt vmcnt(2)
	v_lshlrev_b32_e32 v22, 16, v22
	;; [unrolled: 2-line block ×3, first 2 shown]
	v_fmac_f32_e32 v15, v20, v21
	s_waitcnt vmcnt(0)
	v_lshlrev_b32_e32 v21, 16, v24
	s_delay_alu instid0(VALU_DEP_2) | instskip(NEXT) | instid1(VALU_DEP_1)
	v_fmac_f32_e32 v15, v12, v22
	v_dual_fmac_f32 v15, v11, v23 :: v_dual_add_nc_u32 v22, 64, v18
	s_delay_alu instid0(VALU_DEP_1)
	v_cmpx_gt_i32_e64 s4, v22
	s_cbranch_execz .LBB636_38
; %bb.35:
	s_clause 0x3
	global_load_u16 v22, v[4:5], off offset:128
	global_load_u16 v23, v[2:3], off offset:128
	;; [unrolled: 1-line block ×4, first 2 shown]
	s_mov_b32 s3, exec_lo
	s_waitcnt vmcnt(3)
	v_lshlrev_b32_e32 v22, 16, v22
	s_waitcnt vmcnt(2)
	s_delay_alu instid0(VALU_DEP_1) | instskip(SKIP_2) | instid1(VALU_DEP_2)
	v_dual_fmac_f32 v16, v20, v22 :: v_dual_lshlrev_b32 v23, 16, v23
	s_waitcnt vmcnt(1)
	v_lshlrev_b32_e32 v22, 16, v24
	v_dual_fmac_f32 v16, v12, v23 :: v_dual_add_nc_u32 v23, 0x60, v18
	s_waitcnt vmcnt(0)
	v_lshlrev_b32_e32 v18, 16, v25
	s_delay_alu instid0(VALU_DEP_2) | instskip(NEXT) | instid1(VALU_DEP_3)
	v_fmac_f32_e32 v16, v11, v22
	v_cmpx_gt_i32_e64 s4, v23
	s_cbranch_execz .LBB636_37
; %bb.36:
	s_clause 0x3
	global_load_u16 v4, v[4:5], off offset:192
	global_load_u16 v2, v[2:3], off offset:192
	global_load_u16 v3, v[8:9], off offset:192
	global_load_u16 v5, v[6:7], off offset:192
	s_waitcnt vmcnt(2)
	v_lshlrev_b32_e32 v2, 16, v2
	v_lshlrev_b32_e32 v4, 16, v4
	s_waitcnt vmcnt(1)
	v_lshlrev_b32_e32 v3, 16, v3
	s_delay_alu instid0(VALU_DEP_2) | instskip(SKIP_1) | instid1(VALU_DEP_1)
	v_fmac_f32_e32 v17, v20, v4
	s_waitcnt vmcnt(0)
	v_dual_fmac_f32 v17, v12, v2 :: v_dual_lshlrev_b32 v2, 16, v5
	s_delay_alu instid0(VALU_DEP_1) | instskip(NEXT) | instid1(VALU_DEP_1)
	v_fmac_f32_e32 v17, v11, v3
	v_fmac_f32_e32 v17, v10, v2
.LBB636_37:
	s_or_b32 exec_lo, exec_lo, s3
	s_delay_alu instid0(VALU_DEP_2)
	v_fmac_f32_e32 v16, v10, v18
.LBB636_38:
	s_or_b32 exec_lo, exec_lo, s2
	s_delay_alu instid0(VALU_DEP_2)
	v_fmac_f32_e32 v15, v10, v21
.LBB636_39:
	s_or_b32 exec_lo, exec_lo, s0
	s_delay_alu instid0(VALU_DEP_2)
	v_fmac_f32_e32 v14, v10, v19
.LBB636_40:
	s_or_b32 exec_lo, exec_lo, s1
.LBB636_41:
	v_lshlrev_b32_e32 v2, 7, v13
	s_mov_b32 s0, exec_lo
                                        ; implicit-def: $vgpr3
                                        ; implicit-def: $vgpr4_vgpr5
	s_delay_alu instid0(VALU_DEP_1)
	v_add_lshl_u32 v1, v2, v1, 2
	ds_store_2addr_b32 v1, v14, v15 offset1:32
	ds_store_2addr_b32 v1, v16, v17 offset0:64 offset1:96
	s_waitcnt lgkmcnt(0)
	s_barrier
	buffer_gl0_inv
	v_cmpx_gt_u32_e32 0x80, v0
	s_cbranch_execz .LBB636_47
; %bb.42:
	v_lshlrev_b32_e32 v7, 2, v0
	s_mov_b32 s2, s16
	s_mov_b32 s1, exec_lo
	ds_load_2addr_stride64_b32 v[1:2], v7 offset1:2
	ds_load_2addr_stride64_b32 v[3:4], v7 offset0:4 offset1:6
	ds_load_2addr_stride64_b32 v[5:6], v7 offset0:8 offset1:10
	s_waitcnt lgkmcnt(2)
	v_add_f32_e32 v8, v1, v2
	ds_load_2addr_stride64_b32 v[1:2], v7 offset0:12 offset1:14
	s_waitcnt lgkmcnt(2)
	v_add_f32_e32 v3, v3, v8
	s_delay_alu instid0(VALU_DEP_1) | instskip(SKIP_3) | instid1(VALU_DEP_1)
	v_add_f32_e32 v8, v4, v3
	ds_load_2addr_stride64_b32 v[3:4], v7 offset0:16 offset1:18
	s_waitcnt lgkmcnt(2)
	v_add_f32_e32 v5, v5, v8
	v_add_f32_e32 v8, v6, v5
	ds_load_2addr_stride64_b32 v[5:6], v7 offset0:20 offset1:22
	s_waitcnt lgkmcnt(2)
	v_add_f32_e32 v1, v1, v8
	s_delay_alu instid0(VALU_DEP_1) | instskip(SKIP_1) | instid1(VALU_DEP_1)
	v_add_f32_e32 v1, v2, v1
	s_waitcnt lgkmcnt(1)
	v_add_f32_e32 v3, v3, v1
	ds_load_2addr_stride64_b32 v[1:2], v7 offset0:24 offset1:26
	v_add_f32_e32 v3, v4, v3
	s_waitcnt lgkmcnt(1)
	s_delay_alu instid0(VALU_DEP_1) | instskip(SKIP_3) | instid1(VALU_DEP_1)
	v_add_f32_e32 v5, v5, v3
	ds_load_2addr_stride64_b32 v[3:4], v7 offset0:28 offset1:30
	v_add_f32_e32 v5, v6, v5
	s_waitcnt lgkmcnt(1)
	v_add_f32_e32 v1, v1, v5
	s_delay_alu instid0(VALU_DEP_1) | instskip(SKIP_1) | instid1(VALU_DEP_1)
	v_add_f32_e32 v1, v2, v1
	s_waitcnt lgkmcnt(0)
	v_add_f32_e32 v2, v3, v1
	v_or_b32_e32 v1, s9, v0
                                        ; implicit-def: $vgpr3
	s_delay_alu instid0(VALU_DEP_2)
	v_add_f32_e32 v0, v4, v2
                                        ; implicit-def: $vgpr4_vgpr5
	ds_store_b32 v7, v0
	v_cmpx_gt_i32_e64 s4, v1
	s_cbranch_execz .LBB636_46
; %bb.43:
	v_mul_lo_u32 v4, v1, s17
	v_cmp_eq_f32_e64 s2, s13, 0
	v_mul_f32_e32 v3, s6, v0
	s_delay_alu instid0(VALU_DEP_2) | instskip(NEXT) | instid1(VALU_DEP_3)
	s_and_b32 vcc_lo, exec_lo, s2
	v_ashrrev_i32_e32 v5, 31, v4
	s_cbranch_vccnz .LBB636_45
; %bb.44:
	s_delay_alu instid0(VALU_DEP_1) | instskip(NEXT) | instid1(VALU_DEP_1)
	v_lshlrev_b64 v[0:1], 2, v[4:5]
	v_add_co_u32 v0, vcc_lo, s7, v0
	s_delay_alu instid0(VALU_DEP_2)
	v_add_co_ci_u32_e32 v1, vcc_lo, s12, v1, vcc_lo
	global_load_b32 v0, v[0:1], off
	s_waitcnt vmcnt(0)
	v_fmac_f32_e32 v3, s13, v0
.LBB636_45:
	s_or_b32 s2, s16, exec_lo
.LBB636_46:
	s_or_b32 exec_lo, exec_lo, s1
	s_delay_alu instid0(SALU_CYCLE_1) | instskip(SKIP_1) | instid1(SALU_CYCLE_1)
	s_and_not1_b32 s1, s16, exec_lo
	s_and_b32 s2, s2, exec_lo
	s_or_b32 s16, s1, s2
.LBB636_47:
	s_or_b32 exec_lo, exec_lo, s0
.LBB636_48:
	s_and_saveexec_b32 s0, s16
	s_cbranch_execz .LBB636_50
; %bb.49:
	v_lshlrev_b64 v[0:1], 2, v[4:5]
	s_delay_alu instid0(VALU_DEP_1) | instskip(NEXT) | instid1(VALU_DEP_2)
	v_add_co_u32 v0, vcc_lo, s7, v0
	v_add_co_ci_u32_e32 v1, vcc_lo, s12, v1, vcc_lo
	global_store_b32 v[0:1], v3, off
.LBB636_50:
	s_nop 0
	s_sendmsg sendmsg(MSG_DEALLOC_VGPRS)
	s_endpgm
	.section	.rodata,"a",@progbits
	.p2align	6, 0x0
	.amdhsa_kernel _ZL20rocblas_gemvn_kernelILi32ELi16Ei16rocblas_bfloat16ffEviiT3_lPKT2_lT1_lS4_lS5_lS1_lPT4_lS5_li
		.amdhsa_group_segment_fixed_size 8192
		.amdhsa_private_segment_fixed_size 0
		.amdhsa_kernarg_size 400
		.amdhsa_user_sgpr_count 14
		.amdhsa_user_sgpr_dispatch_ptr 0
		.amdhsa_user_sgpr_queue_ptr 0
		.amdhsa_user_sgpr_kernarg_segment_ptr 1
		.amdhsa_user_sgpr_dispatch_id 0
		.amdhsa_user_sgpr_private_segment_size 0
		.amdhsa_wavefront_size32 1
		.amdhsa_uses_dynamic_stack 0
		.amdhsa_enable_private_segment 0
		.amdhsa_system_sgpr_workgroup_id_x 1
		.amdhsa_system_sgpr_workgroup_id_y 0
		.amdhsa_system_sgpr_workgroup_id_z 1
		.amdhsa_system_sgpr_workgroup_info 0
		.amdhsa_system_vgpr_workitem_id 1
		.amdhsa_next_free_vgpr 41
		.amdhsa_next_free_sgpr 28
		.amdhsa_reserve_vcc 1
		.amdhsa_float_round_mode_32 0
		.amdhsa_float_round_mode_16_64 0
		.amdhsa_float_denorm_mode_32 3
		.amdhsa_float_denorm_mode_16_64 3
		.amdhsa_dx10_clamp 1
		.amdhsa_ieee_mode 1
		.amdhsa_fp16_overflow 0
		.amdhsa_workgroup_processor_mode 1
		.amdhsa_memory_ordered 1
		.amdhsa_forward_progress 0
		.amdhsa_shared_vgpr_count 0
		.amdhsa_exception_fp_ieee_invalid_op 0
		.amdhsa_exception_fp_denorm_src 0
		.amdhsa_exception_fp_ieee_div_zero 0
		.amdhsa_exception_fp_ieee_overflow 0
		.amdhsa_exception_fp_ieee_underflow 0
		.amdhsa_exception_fp_ieee_inexact 0
		.amdhsa_exception_int_div_zero 0
	.end_amdhsa_kernel
	.section	.text._ZL20rocblas_gemvn_kernelILi32ELi16Ei16rocblas_bfloat16ffEviiT3_lPKT2_lT1_lS4_lS5_lS1_lPT4_lS5_li,"axG",@progbits,_ZL20rocblas_gemvn_kernelILi32ELi16Ei16rocblas_bfloat16ffEviiT3_lPKT2_lT1_lS4_lS5_lS1_lPT4_lS5_li,comdat
.Lfunc_end636:
	.size	_ZL20rocblas_gemvn_kernelILi32ELi16Ei16rocblas_bfloat16ffEviiT3_lPKT2_lT1_lS4_lS5_lS1_lPT4_lS5_li, .Lfunc_end636-_ZL20rocblas_gemvn_kernelILi32ELi16Ei16rocblas_bfloat16ffEviiT3_lPKT2_lT1_lS4_lS5_lS1_lPT4_lS5_li
                                        ; -- End function
	.section	.AMDGPU.csdata,"",@progbits
; Kernel info:
; codeLenInByte = 3160
; NumSgprs: 30
; NumVgprs: 41
; ScratchSize: 0
; MemoryBound: 0
; FloatMode: 240
; IeeeMode: 1
; LDSByteSize: 8192 bytes/workgroup (compile time only)
; SGPRBlocks: 3
; VGPRBlocks: 5
; NumSGPRsForWavesPerEU: 30
; NumVGPRsForWavesPerEU: 41
; Occupancy: 16
; WaveLimiterHint : 1
; COMPUTE_PGM_RSRC2:SCRATCH_EN: 0
; COMPUTE_PGM_RSRC2:USER_SGPR: 14
; COMPUTE_PGM_RSRC2:TRAP_HANDLER: 0
; COMPUTE_PGM_RSRC2:TGID_X_EN: 1
; COMPUTE_PGM_RSRC2:TGID_Y_EN: 0
; COMPUTE_PGM_RSRC2:TGID_Z_EN: 1
; COMPUTE_PGM_RSRC2:TIDIG_COMP_CNT: 1
	.section	.text._ZL20rocblas_gemvn_kernelILi32ELi16El16rocblas_bfloat16ffEviiT3_lPKT2_lT1_lS4_lS5_lS1_lPT4_lS5_li,"axG",@progbits,_ZL20rocblas_gemvn_kernelILi32ELi16El16rocblas_bfloat16ffEviiT3_lPKT2_lT1_lS4_lS5_lS1_lPT4_lS5_li,comdat
	.globl	_ZL20rocblas_gemvn_kernelILi32ELi16El16rocblas_bfloat16ffEviiT3_lPKT2_lT1_lS4_lS5_lS1_lPT4_lS5_li ; -- Begin function _ZL20rocblas_gemvn_kernelILi32ELi16El16rocblas_bfloat16ffEviiT3_lPKT2_lT1_lS4_lS5_lS1_lPT4_lS5_li
	.p2align	8
	.type	_ZL20rocblas_gemvn_kernelILi32ELi16El16rocblas_bfloat16ffEviiT3_lPKT2_lT1_lS4_lS5_lS1_lPT4_lS5_li,@function
_ZL20rocblas_gemvn_kernelILi32ELi16El16rocblas_bfloat16ffEviiT3_lPKT2_lT1_lS4_lS5_lS1_lPT4_lS5_li: ; @_ZL20rocblas_gemvn_kernelILi32ELi16El16rocblas_bfloat16ffEviiT3_lPKT2_lT1_lS4_lS5_lS1_lPT4_lS5_li
; %bb.0:
	s_load_b64 s[2:3], s[0:1], 0x9c
	s_waitcnt lgkmcnt(0)
	s_lshr_b32 s4, s2, 16
	s_and_b32 s2, s2, 0xffff
	s_and_b32 s3, s3, 0xffff
	s_mul_i32 s2, s4, s2
	s_delay_alu instid0(SALU_CYCLE_1) | instskip(NEXT) | instid1(SALU_CYCLE_1)
	s_mul_i32 s2, s2, s3
	s_cmpk_lg_i32 s2, 0x200
	s_cbranch_scc1 .LBB637_50
; %bb.1:
	s_clause 0x1
	s_load_b128 s[36:39], s[0:1], 0x0
	s_load_b32 s34, s[0:1], 0x58
	s_mov_b32 s35, 0
	s_waitcnt lgkmcnt(0)
	v_cmp_eq_f32_e64 s2, s38, 0
	v_cmp_eq_f32_e64 s3, s34, 1.0
	s_delay_alu instid0(VALU_DEP_1) | instskip(NEXT) | instid1(SALU_CYCLE_1)
	s_and_b32 s2, s2, s3
	s_and_b32 vcc_lo, exec_lo, s2
	s_cbranch_vccnz .LBB637_50
; %bb.2:
	s_load_b256 s[4:11], s[0:1], 0x68
	v_and_b32_e32 v12, 0x3ff, v0
	v_bfe_u32 v13, v0, 10, 10
	s_delay_alu instid0(VALU_DEP_1)
	v_lshl_add_u32 v11, v13, 5, v12
	s_waitcnt lgkmcnt(0)
	s_mul_i32 s3, s15, s11
	s_mul_hi_u32 s11, s15, s10
	s_mul_i32 s2, s15, s10
	s_add_i32 s3, s11, s3
	v_cmp_neq_f32_e64 s10, s38, 0
	s_lshl_b64 s[2:3], s[2:3], 2
	s_delay_alu instid0(SALU_CYCLE_1) | instskip(SKIP_2) | instid1(SALU_CYCLE_1)
	s_add_u32 s4, s4, s2
	s_addc_u32 s11, s5, s3
	s_lshl_b64 s[2:3], s[6:7], 2
	s_add_u32 s5, s4, s2
	v_cmp_gt_u32_e64 s2, 0x80, v11
	s_addc_u32 s33, s11, s3
	s_and_b32 vcc_lo, exec_lo, s10
	s_cbranch_vccnz .LBB637_9
; %bb.3:
	s_mov_b32 s3, 0
                                        ; implicit-def: $vgpr1
                                        ; implicit-def: $vgpr2_vgpr3
	s_and_saveexec_b32 s4, s2
	s_cbranch_execz .LBB637_10
; %bb.4:
	v_lshl_or_b32 v0, s14, 7, v11
	v_mov_b32_e32 v1, 0
	s_ashr_i32 s7, s36, 31
	s_mov_b32 s6, s36
                                        ; implicit-def: $vgpr2_vgpr3
	s_delay_alu instid0(VALU_DEP_1) | instid1(SALU_CYCLE_1)
	v_cmp_gt_i64_e32 vcc_lo, s[6:7], v[0:1]
	s_mov_b32 s6, 0
	s_and_saveexec_b32 s2, vcc_lo
	s_cbranch_execz .LBB637_8
; %bb.5:
	v_mad_u64_u32 v[2:3], null, v0, s8, 0
	v_cmp_eq_f32_e64 s6, s34, 0
	s_delay_alu instid0(VALU_DEP_1) | instskip(NEXT) | instid1(VALU_DEP_2)
	s_and_b32 vcc_lo, exec_lo, s6
	v_mad_u64_u32 v[4:5], null, v0, s9, v[3:4]
	s_delay_alu instid0(VALU_DEP_1)
	v_mov_b32_e32 v3, v4
	s_cbranch_vccnz .LBB637_7
; %bb.6:
	s_delay_alu instid0(VALU_DEP_1) | instskip(NEXT) | instid1(VALU_DEP_1)
	v_lshlrev_b64 v[0:1], 2, v[2:3]
	v_add_co_u32 v0, vcc_lo, s5, v0
	s_delay_alu instid0(VALU_DEP_2)
	v_add_co_ci_u32_e32 v1, vcc_lo, s33, v1, vcc_lo
	global_load_b32 v0, v[0:1], off
	s_waitcnt vmcnt(0)
	v_mul_f32_e32 v1, s34, v0
.LBB637_7:
	s_mov_b32 s6, exec_lo
.LBB637_8:
	s_or_b32 exec_lo, exec_lo, s2
	s_delay_alu instid0(SALU_CYCLE_1) | instskip(SKIP_1) | instid1(SALU_CYCLE_1)
	s_and_b32 s35, s6, exec_lo
	s_or_b32 exec_lo, exec_lo, s4
	s_and_b32 vcc_lo, exec_lo, s3
	s_cbranch_vccnz .LBB637_11
	s_branch .LBB637_48
.LBB637_9:
                                        ; implicit-def: $vgpr1
                                        ; implicit-def: $vgpr2_vgpr3
	s_cbranch_execnz .LBB637_11
	s_branch .LBB637_48
.LBB637_10:
	s_or_b32 exec_lo, exec_lo, s4
	s_delay_alu instid0(SALU_CYCLE_1)
	s_and_b32 vcc_lo, exec_lo, s3
	s_cbranch_vccz .LBB637_48
.LBB637_11:
	s_load_b512 s[16:31], s[0:1], 0x18
	s_ashr_i32 s0, s37, 31
	s_lshl_b32 s39, s14, 7
	s_lshr_b32 s0, s0, 26
	v_dual_mov_b32 v15, 0 :: v_dual_lshlrev_b32 v18, 2, v13
	v_dual_mov_b32 v14, 0 :: v_dual_mov_b32 v17, 0
	v_mov_b32_e32 v16, 0
	v_add_nc_u32_e32 v0, s39, v12
	s_add_i32 s40, s37, s0
	s_delay_alu instid0(SALU_CYCLE_1)
	s_and_not1_b32 s40, s40, 63
	s_waitcnt lgkmcnt(0)
	s_mul_i32 s0, s15, s23
	s_mul_hi_u32 s1, s15, s22
	s_mul_i32 s2, s15, s31
	s_mul_hi_u32 s3, s15, s30
	s_mul_i32 s6, s15, s22
	s_add_i32 s7, s1, s0
	s_add_i32 s11, s3, s2
	s_mul_i32 s10, s15, s30
	s_mov_b32 s30, exec_lo
	v_cmpx_gt_i32_e64 s40, v18
	s_cbranch_execz .LBB637_23
; %bb.12:
	v_lshlrev_b32_e32 v29, 2, v13
	v_mad_u64_u32 v[2:3], null, s28, v13, 0
	v_add_nc_u32_e32 v15, 64, v0
	s_lshl_b64 s[0:1], s[10:11], 1
	s_delay_alu instid0(VALU_DEP_3)
	v_or_b32_e32 v16, 3, v29
	s_lshl_b64 s[12:13], s[26:27], 1
	s_add_u32 s4, s24, s0
	s_addc_u32 s31, s25, s1
	v_cmp_gt_i32_e64 s1, s36, v15
	v_mad_u64_u32 v[4:5], null, s20, v16, 0
	s_lshl_b64 s[22:23], s[18:19], 1
	s_lshl_b64 s[14:15], s[28:29], 7
	s_lshl_b64 s[42:43], s[6:7], 1
	v_ashrrev_i32_e32 v1, 31, v0
	v_cmp_gt_i32_e32 vcc_lo, s36, v0
	s_delay_alu instid0(VALU_DEP_3) | instskip(SKIP_2) | instid1(VALU_DEP_3)
	v_mad_u64_u32 v[6:7], null, s29, v13, v[3:4]
	v_add_nc_u32_e32 v14, 32, v0
	v_mad_u64_u32 v[7:8], null, s28, v16, 0
	v_mov_b32_e32 v3, v6
	v_mad_u64_u32 v[9:10], null, s21, v16, v[5:6]
	s_delay_alu instid0(VALU_DEP_4) | instskip(NEXT) | instid1(VALU_DEP_3)
	v_cmp_gt_i32_e64 s0, s36, v14
	v_lshlrev_b64 v[14:15], 3, v[2:3]
	v_mov_b32_e32 v3, v8
	v_lshlrev_b64 v[1:2], 1, v[0:1]
	v_mov_b32_e32 v5, v9
	v_mad_u64_u32 v[9:10], null, s20, v13, 0
	v_add_co_u32 v19, s3, s4, v14
	s_delay_alu instid0(VALU_DEP_3) | instskip(SKIP_4) | instid1(VALU_DEP_2)
	v_lshlrev_b64 v[4:5], 1, v[4:5]
	v_add_co_ci_u32_e64 v20, s3, s31, v15, s3
	s_add_u32 s3, s16, s22
	s_addc_u32 s22, s17, s23
	s_add_u32 s23, s3, s42
	v_mad_u64_u32 v[14:15], null, s29, v16, v[3:4]
	v_mov_b32_e32 v3, v10
	s_addc_u32 s22, s22, s43
	v_add_co_u32 v21, s3, s23, v4
	s_delay_alu instid0(VALU_DEP_1) | instskip(NEXT) | instid1(VALU_DEP_4)
	v_add_co_ci_u32_e64 v22, s3, s22, v5, s3
	v_mov_b32_e32 v8, v14
	v_or_b32_e32 v23, 2, v29
	v_mad_u64_u32 v[31:32], null, s20, v29, s[20:21]
	s_delay_alu instid0(VALU_DEP_2) | instskip(SKIP_1) | instid1(VALU_DEP_2)
	v_mad_u64_u32 v[27:28], null, s28, v23, 0
	v_mad_u64_u32 v[14:15], null, s20, v23, 0
	v_dual_mov_b32 v6, v28 :: v_dual_add_nc_u32 v17, 0x60, v0
	s_delay_alu instid0(VALU_DEP_1) | instskip(SKIP_3) | instid1(VALU_DEP_1)
	v_cmp_gt_i32_e64 s2, s36, v17
	v_mad_u64_u32 v[16:17], null, s21, v13, v[3:4]
	v_lshlrev_b64 v[4:5], 1, v[7:8]
	v_mov_b32_e32 v3, v15
	v_mad_u64_u32 v[7:8], null, s21, v23, v[3:4]
	s_delay_alu instid0(VALU_DEP_4) | instskip(SKIP_1) | instid1(VALU_DEP_3)
	v_mov_b32_e32 v10, v16
	v_mad_u64_u32 v[16:17], null, s28, v29, s[28:29]
	v_mad_u64_u32 v[25:26], null, s29, v23, v[6:7]
	v_add_co_u32 v23, s3, s4, v4
	s_delay_alu instid0(VALU_DEP_1) | instskip(SKIP_3) | instid1(VALU_DEP_3)
	v_add_co_ci_u32_e64 v24, s3, s31, v5, s3
	v_lshlrev_b64 v[4:5], 3, v[9:10]
	v_mov_b32_e32 v3, v17
	v_dual_mov_b32 v15, v7 :: v_dual_mov_b32 v28, v25
	v_add_co_u32 v25, s3, s23, v4
	s_delay_alu instid0(VALU_DEP_3) | instskip(SKIP_1) | instid1(VALU_DEP_4)
	v_mad_u64_u32 v[6:7], null, s29, v29, v[3:4]
	v_add_co_ci_u32_e64 v26, s3, s22, v5, s3
	v_lshlrev_b64 v[4:5], 1, v[14:15]
	v_dual_mov_b32 v3, v32 :: v_dual_mov_b32 v14, 0
	v_mov_b32_e32 v15, 0
	v_mov_b32_e32 v17, v6
	s_delay_alu instid0(VALU_DEP_3) | instskip(SKIP_2) | instid1(VALU_DEP_4)
	v_mad_u64_u32 v[7:8], null, s21, v29, v[3:4]
	v_lshlrev_b64 v[8:9], 1, v[27:28]
	v_add_co_u32 v27, s3, s23, v4
	v_lshlrev_b64 v[3:4], 1, v[16:17]
	v_mov_b32_e32 v16, 0
	v_add_co_ci_u32_e64 v28, s3, s22, v5, s3
	v_mov_b32_e32 v32, v7
	v_add_co_u32 v29, s3, s4, v8
	s_delay_alu instid0(VALU_DEP_1) | instskip(NEXT) | instid1(VALU_DEP_3)
	v_add_co_ci_u32_e64 v30, s3, s31, v9, s3
	v_lshlrev_b64 v[5:6], 1, v[31:32]
	v_add_co_u32 v31, s3, s4, v3
	s_delay_alu instid0(VALU_DEP_1) | instskip(SKIP_1) | instid1(VALU_DEP_4)
	v_add_co_ci_u32_e64 v32, s3, s31, v4, s3
	v_mov_b32_e32 v17, 0
	v_add_co_u32 v33, s3, s23, v5
	s_delay_alu instid0(VALU_DEP_1)
	v_add_co_ci_u32_e64 v34, s3, s22, v6, s3
	s_lshl_b64 s[22:23], s[20:21], 7
	s_mov_b32 s31, 0
	s_branch .LBB637_17
.LBB637_13:                             ;   in Loop: Header=BB637_17 Depth=1
	s_or_b32 exec_lo, exec_lo, s42
	s_waitcnt vmcnt(2)
	v_lshlrev_b32_e32 v4, 16, v49
	v_lshlrev_b32_e32 v3, 16, v50
	s_waitcnt vmcnt(1)
	s_delay_alu instid0(VALU_DEP_1) | instskip(NEXT) | instid1(VALU_DEP_1)
	v_dual_fmac_f32 v16, v42, v3 :: v_dual_lshlrev_b32 v3, 16, v48
	v_fmac_f32_e32 v16, v40, v4
	s_delay_alu instid0(VALU_DEP_1) | instskip(SKIP_2) | instid1(VALU_DEP_1)
	v_fmac_f32_e32 v16, v38, v3
	s_waitcnt vmcnt(0)
	v_lshlrev_b32_e32 v3, 16, v47
	v_fmac_f32_e32 v16, v37, v3
.LBB637_14:                             ;   in Loop: Header=BB637_17 Depth=1
	s_or_b32 exec_lo, exec_lo, s41
	s_waitcnt vmcnt(3)
	v_lshlrev_b32_e32 v3, 16, v46
	s_waitcnt vmcnt(2)
	s_delay_alu instid0(VALU_DEP_1) | instskip(SKIP_2) | instid1(VALU_DEP_2)
	v_dual_fmac_f32 v15, v42, v3 :: v_dual_lshlrev_b32 v4, 16, v45
	s_waitcnt vmcnt(1)
	v_lshlrev_b32_e32 v3, 16, v44
	v_fmac_f32_e32 v15, v40, v4
	s_delay_alu instid0(VALU_DEP_1) | instskip(SKIP_2) | instid1(VALU_DEP_1)
	v_fmac_f32_e32 v15, v38, v3
	s_waitcnt vmcnt(0)
	v_lshlrev_b32_e32 v3, 16, v43
	v_fmac_f32_e32 v15, v37, v3
.LBB637_15:                             ;   in Loop: Header=BB637_17 Depth=1
	s_or_b32 exec_lo, exec_lo, s3
	s_waitcnt vmcnt(2)
	v_lshlrev_b32_e32 v4, 16, v39
	v_lshlrev_b32_e32 v3, 16, v41
	s_waitcnt vmcnt(1)
	s_delay_alu instid0(VALU_DEP_1) | instskip(NEXT) | instid1(VALU_DEP_1)
	v_dual_fmac_f32 v14, v42, v3 :: v_dual_lshlrev_b32 v3, 16, v36
	v_fmac_f32_e32 v14, v40, v4
	s_delay_alu instid0(VALU_DEP_1) | instskip(SKIP_2) | instid1(VALU_DEP_1)
	v_fmac_f32_e32 v14, v38, v3
	s_waitcnt vmcnt(0)
	v_lshlrev_b32_e32 v3, 16, v35
	v_fmac_f32_e32 v14, v37, v3
.LBB637_16:                             ;   in Loop: Header=BB637_17 Depth=1
	s_or_b32 exec_lo, exec_lo, s4
	v_add_co_u32 v19, s3, v19, s14
	s_delay_alu instid0(VALU_DEP_1) | instskip(SKIP_1) | instid1(VALU_DEP_1)
	v_add_co_ci_u32_e64 v20, s3, s15, v20, s3
	v_add_co_u32 v21, s3, v21, s22
	v_add_co_ci_u32_e64 v22, s3, s23, v22, s3
	v_add_co_u32 v23, s3, v23, s14
	s_delay_alu instid0(VALU_DEP_1) | instskip(SKIP_1) | instid1(VALU_DEP_1)
	v_add_co_ci_u32_e64 v24, s3, s15, v24, s3
	v_add_co_u32 v25, s3, v25, s22
	v_add_co_ci_u32_e64 v26, s3, s23, v26, s3
	v_add_co_u32 v27, s3, v27, s22
	s_delay_alu instid0(VALU_DEP_1) | instskip(SKIP_4) | instid1(VALU_DEP_1)
	v_add_co_ci_u32_e64 v28, s3, s23, v28, s3
	v_add_co_u32 v29, s3, v29, s14
	v_add_nc_u32_e32 v18, 64, v18
	v_add_co_ci_u32_e64 v30, s3, s15, v30, s3
	v_add_co_u32 v31, s3, v31, s14
	v_add_co_ci_u32_e64 v32, s3, s15, v32, s3
	s_delay_alu instid0(VALU_DEP_4) | instskip(SKIP_1) | instid1(VALU_DEP_1)
	v_cmp_le_i32_e64 s3, s40, v18
	v_add_co_u32 v33, s4, v33, s22
	v_add_co_ci_u32_e64 v34, s4, s23, v34, s4
	s_delay_alu instid0(VALU_DEP_3) | instskip(NEXT) | instid1(SALU_CYCLE_1)
	s_or_b32 s31, s3, s31
	s_and_not1_b32 exec_lo, exec_lo, s31
	s_cbranch_execz .LBB637_22
.LBB637_17:                             ; =>This Inner Loop Header: Depth=1
	s_and_saveexec_b32 s4, vcc_lo
	s_cbranch_execz .LBB637_16
; %bb.18:                               ;   in Loop: Header=BB637_17 Depth=1
	v_add_co_u32 v3, s3, v19, s12
	s_delay_alu instid0(VALU_DEP_1) | instskip(SKIP_1) | instid1(VALU_DEP_1)
	v_add_co_ci_u32_e64 v4, s3, s13, v20, s3
	v_add_co_u32 v5, s3, v31, s12
	v_add_co_ci_u32_e64 v6, s3, s13, v32, s3
	v_add_co_u32 v7, s3, v29, s12
	s_delay_alu instid0(VALU_DEP_1) | instskip(SKIP_1) | instid1(VALU_DEP_1)
	v_add_co_ci_u32_e64 v8, s3, s13, v30, s3
	v_add_co_u32 v9, s3, v23, s12
	v_add_co_ci_u32_e64 v10, s3, s13, v24, s3
	global_load_u16 v37, v[3:4], off
	global_load_u16 v38, v[5:6], off
	;; [unrolled: 1-line block ×4, first 2 shown]
	v_add_co_u32 v3, s3, v25, v1
	s_delay_alu instid0(VALU_DEP_1) | instskip(SKIP_1) | instid1(VALU_DEP_1)
	v_add_co_ci_u32_e64 v4, s3, v26, v2, s3
	v_add_co_u32 v5, s3, v33, v1
	v_add_co_ci_u32_e64 v6, s3, v34, v2, s3
	v_add_co_u32 v7, s3, v27, v1
	s_delay_alu instid0(VALU_DEP_1) | instskip(SKIP_1) | instid1(VALU_DEP_1)
	v_add_co_ci_u32_e64 v8, s3, v28, v2, s3
	v_add_co_u32 v9, s3, v21, v1
	v_add_co_ci_u32_e64 v10, s3, v22, v2, s3
	global_load_u16 v41, v[3:4], off
	global_load_u16 v39, v[5:6], off
	;; [unrolled: 1-line block ×4, first 2 shown]
	s_waitcnt vmcnt(7)
	v_lshlrev_b32_e32 v42, 16, v37
	s_waitcnt vmcnt(6)
	v_lshlrev_b32_e32 v40, 16, v38
	;; [unrolled: 2-line block ×4, first 2 shown]
	s_and_saveexec_b32 s3, s0
	s_cbranch_execz .LBB637_15
; %bb.19:                               ;   in Loop: Header=BB637_17 Depth=1
	global_load_u16 v46, v[3:4], off offset:64
	global_load_u16 v45, v[5:6], off offset:64
	global_load_u16 v44, v[7:8], off offset:64
	global_load_u16 v43, v[9:10], off offset:64
	s_and_saveexec_b32 s41, s1
	s_cbranch_execz .LBB637_14
; %bb.20:                               ;   in Loop: Header=BB637_17 Depth=1
	global_load_u16 v50, v[3:4], off offset:128
	global_load_u16 v49, v[5:6], off offset:128
	global_load_u16 v48, v[7:8], off offset:128
	global_load_u16 v47, v[9:10], off offset:128
	;; [unrolled: 7-line block ×3, first 2 shown]
	s_waitcnt vmcnt(3)
	v_lshlrev_b32_e32 v3, 16, v3
	s_waitcnt vmcnt(2)
	s_delay_alu instid0(VALU_DEP_1) | instskip(SKIP_2) | instid1(VALU_DEP_2)
	v_dual_fmac_f32 v17, v42, v3 :: v_dual_lshlrev_b32 v4, 16, v4
	s_waitcnt vmcnt(1)
	v_lshlrev_b32_e32 v3, 16, v5
	v_fmac_f32_e32 v17, v40, v4
	s_delay_alu instid0(VALU_DEP_1) | instskip(SKIP_2) | instid1(VALU_DEP_1)
	v_fmac_f32_e32 v17, v38, v3
	s_waitcnt vmcnt(0)
	v_lshlrev_b32_e32 v3, 16, v6
	v_fmac_f32_e32 v17, v37, v3
	s_branch .LBB637_13
.LBB637_22:
	s_or_b32 exec_lo, exec_lo, s31
.LBB637_23:
	s_delay_alu instid0(SALU_CYCLE_1) | instskip(SKIP_1) | instid1(SALU_CYCLE_1)
	s_or_b32 exec_lo, exec_lo, s30
	s_sub_i32 s0, s37, s40
	s_cmp_lt_i32 s0, 1
	s_cbranch_scc1 .LBB637_41
; %bb.24:
	v_cmp_gt_i32_e32 vcc_lo, s37, v18
	v_dual_mov_b32 v9, 0 :: v_dual_mov_b32 v10, 0
	v_or_b32_e32 v2, 1, v18
	v_dual_mov_b32 v19, 0 :: v_dual_mov_b32 v20, 0
	s_and_saveexec_b32 s1, vcc_lo
	s_cbranch_execz .LBB637_32
; %bb.25:
	v_mad_u64_u32 v[3:4], null, v18, s28, 0
	s_lshl_b64 s[2:3], s[10:11], 1
	v_mov_b32_e32 v19, 0
	s_add_u32 s0, s24, s2
	s_addc_u32 s2, s25, s3
	s_lshl_b64 s[10:11], s[26:27], 1
	v_mov_b32_e32 v9, 0
	s_delay_alu instid0(VALU_DEP_3) | instskip(SKIP_3) | instid1(VALU_DEP_1)
	v_dual_mov_b32 v1, v4 :: v_dual_mov_b32 v10, 0
	s_add_u32 s3, s0, s10
	s_addc_u32 s4, s2, s11
	s_mov_b32 s2, exec_lo
	v_mad_u64_u32 v[4:5], null, v18, s29, v[1:2]
	s_delay_alu instid0(VALU_DEP_1) | instskip(NEXT) | instid1(VALU_DEP_1)
	v_lshlrev_b64 v[3:4], 1, v[3:4]
	v_add_co_u32 v3, s0, s3, v3
	s_delay_alu instid0(VALU_DEP_1)
	v_add_co_ci_u32_e64 v4, s0, s4, v4, s0
	global_load_u16 v1, v[3:4], off
	v_cmpx_gt_i32_e64 s37, v2
	s_cbranch_execz .LBB637_31
; %bb.26:
	v_mad_u64_u32 v[3:4], null, v2, s28, 0
	v_mov_b32_e32 v10, 0
	s_mov_b32 s10, exec_lo
	v_mov_b32_e32 v9, 0
	s_delay_alu instid0(VALU_DEP_3) | instskip(NEXT) | instid1(VALU_DEP_1)
	v_mad_u64_u32 v[5:6], null, v2, s29, v[4:5]
	v_mov_b32_e32 v4, v5
	s_delay_alu instid0(VALU_DEP_1) | instskip(NEXT) | instid1(VALU_DEP_1)
	v_lshlrev_b64 v[3:4], 1, v[3:4]
	v_add_co_u32 v3, s0, s3, v3
	s_delay_alu instid0(VALU_DEP_1) | instskip(SKIP_2) | instid1(VALU_DEP_1)
	v_add_co_ci_u32_e64 v4, s0, s4, v4, s0
	global_load_u16 v3, v[3:4], off
	v_or_b32_e32 v4, 2, v18
	v_cmpx_gt_i32_e64 s37, v4
	s_cbranch_execz .LBB637_30
; %bb.27:
	v_mad_u64_u32 v[5:6], null, v4, s28, 0
	s_mov_b32 s11, exec_lo
	v_mov_b32_e32 v9, 0
	s_delay_alu instid0(VALU_DEP_2) | instskip(NEXT) | instid1(VALU_DEP_1)
	v_mad_u64_u32 v[7:8], null, v4, s29, v[6:7]
	v_mov_b32_e32 v6, v7
	s_delay_alu instid0(VALU_DEP_1) | instskip(NEXT) | instid1(VALU_DEP_1)
	v_lshlrev_b64 v[4:5], 1, v[5:6]
	v_add_co_u32 v4, s0, s3, v4
	s_delay_alu instid0(VALU_DEP_1) | instskip(SKIP_2) | instid1(VALU_DEP_1)
	v_add_co_ci_u32_e64 v5, s0, s4, v5, s0
	global_load_u16 v4, v[4:5], off
	v_or_b32_e32 v5, 3, v18
	v_cmpx_gt_i32_e64 s37, v5
	s_cbranch_execz .LBB637_29
; %bb.28:
	v_mad_u64_u32 v[6:7], null, v5, s28, 0
	s_delay_alu instid0(VALU_DEP_1) | instskip(NEXT) | instid1(VALU_DEP_1)
	v_mad_u64_u32 v[8:9], null, v5, s29, v[7:8]
	v_mov_b32_e32 v7, v8
	s_delay_alu instid0(VALU_DEP_1) | instskip(NEXT) | instid1(VALU_DEP_1)
	v_lshlrev_b64 v[5:6], 1, v[6:7]
	v_add_co_u32 v5, s0, s3, v5
	s_delay_alu instid0(VALU_DEP_1)
	v_add_co_ci_u32_e64 v6, s0, s4, v6, s0
	global_load_u16 v5, v[5:6], off
	s_waitcnt vmcnt(0)
	v_lshlrev_b32_e32 v9, 16, v5
.LBB637_29:
	s_or_b32 exec_lo, exec_lo, s11
	s_waitcnt vmcnt(0)
	v_lshlrev_b32_e32 v10, 16, v4
.LBB637_30:
	s_or_b32 exec_lo, exec_lo, s10
	s_waitcnt vmcnt(0)
	v_lshlrev_b32_e32 v19, 16, v3
.LBB637_31:
	s_or_b32 exec_lo, exec_lo, s2
	s_waitcnt vmcnt(0)
	v_lshlrev_b32_e32 v20, 16, v1
.LBB637_32:
	s_or_b32 exec_lo, exec_lo, s1
	s_delay_alu instid0(SALU_CYCLE_1)
	s_mov_b32 s1, exec_lo
	v_cmpx_gt_i32_e64 s36, v0
	s_cbranch_execz .LBB637_40
; %bb.33:
	v_mad_u64_u32 v[3:4], null, v18, s20, 0
	v_mad_u64_u32 v[5:6], null, v2, s20, 0
	v_ashrrev_i32_e32 v1, 31, v0
	s_lshl_b64 s[2:3], s[6:7], 1
	v_or_b32_e32 v28, 2, v18
	s_add_u32 s0, s16, s2
	s_delay_alu instid0(VALU_DEP_4)
	v_cndmask_b32_e32 v3, 0, v3, vcc_lo
	v_lshlrev_b64 v[21:22], 1, v[0:1]
	v_mad_u64_u32 v[7:8], null, v18, s21, v[4:5]
	s_addc_u32 s4, s17, s3
	s_lshl_b64 s[2:3], s[18:19], 1
	v_or_b32_e32 v18, 3, v18
	s_add_u32 s2, s0, s2
	v_mov_b32_e32 v1, v6
	v_mad_u64_u32 v[23:24], null, v28, s20, 0
	s_delay_alu instid0(VALU_DEP_4) | instskip(SKIP_1) | instid1(VALU_DEP_4)
	v_cndmask_b32_e32 v4, 0, v7, vcc_lo
	v_cmp_gt_i32_e32 vcc_lo, s37, v2
	v_mad_u64_u32 v[25:26], null, v2, s21, v[1:2]
	s_addc_u32 s3, s4, s3
	v_mad_u64_u32 v[6:7], null, v18, s20, 0
	v_cndmask_b32_e32 v26, 0, v5, vcc_lo
	v_lshlrev_b64 v[3:4], 1, v[3:4]
	s_delay_alu instid0(VALU_DEP_4) | instskip(NEXT) | instid1(VALU_DEP_2)
	v_cndmask_b32_e32 v27, 0, v25, vcc_lo
	v_add_co_u32 v1, s0, s2, v3
	s_delay_alu instid0(VALU_DEP_1) | instskip(NEXT) | instid1(VALU_DEP_3)
	v_add_co_ci_u32_e64 v2, s0, s3, v4, s0
	v_lshlrev_b64 v[3:4], 1, v[26:27]
	s_delay_alu instid0(VALU_DEP_3) | instskip(NEXT) | instid1(VALU_DEP_3)
	v_add_co_u32 v1, vcc_lo, v1, v21
	v_add_co_ci_u32_e32 v2, vcc_lo, v2, v22, vcc_lo
	v_cmp_gt_i32_e32 vcc_lo, s37, v28
	v_mov_b32_e32 v5, v24
	v_add_co_u32 v3, s0, s2, v3
	s_delay_alu instid0(VALU_DEP_1) | instskip(NEXT) | instid1(VALU_DEP_3)
	v_add_co_ci_u32_e64 v4, s0, s3, v4, s0
	v_mad_u64_u32 v[24:25], null, v28, s21, v[5:6]
	s_delay_alu instid0(VALU_DEP_3) | instskip(SKIP_1) | instid1(VALU_DEP_4)
	v_add_co_u32 v3, s0, v3, v21
	v_mov_b32_e32 v5, v7
	v_add_co_ci_u32_e64 v4, s0, v4, v22, s0
	s_delay_alu instid0(VALU_DEP_4) | instskip(NEXT) | instid1(VALU_DEP_3)
	v_dual_cndmask_b32 v7, 0, v23 :: v_dual_cndmask_b32 v8, 0, v24
	v_mad_u64_u32 v[25:26], null, v18, s21, v[5:6]
	v_cmp_gt_i32_e32 vcc_lo, s37, v18
	s_clause 0x1
	global_load_u16 v18, v[1:2], off
	global_load_u16 v23, v[3:4], off
	s_mov_b32 s0, exec_lo
	s_waitcnt vmcnt(1)
	v_lshlrev_b32_e32 v18, 16, v18
	s_waitcnt vmcnt(0)
	s_delay_alu instid0(VALU_DEP_1) | instskip(SKIP_2) | instid1(VALU_DEP_3)
	v_dual_fmac_f32 v14, v20, v18 :: v_dual_lshlrev_b32 v23, 16, v23
	v_dual_cndmask_b32 v5, 0, v6 :: v_dual_cndmask_b32 v6, 0, v25
	v_lshlrev_b64 v[7:8], 1, v[7:8]
	v_dual_fmac_f32 v14, v19, v23 :: v_dual_add_nc_u32 v23, 32, v0
	s_delay_alu instid0(VALU_DEP_3) | instskip(NEXT) | instid1(VALU_DEP_3)
	v_lshlrev_b64 v[5:6], 1, v[5:6]
	v_add_co_u32 v7, vcc_lo, s2, v7
	s_delay_alu instid0(VALU_DEP_4) | instskip(NEXT) | instid1(VALU_DEP_3)
	v_add_co_ci_u32_e32 v8, vcc_lo, s3, v8, vcc_lo
	v_add_co_u32 v5, vcc_lo, s2, v5
	s_delay_alu instid0(VALU_DEP_4) | instskip(NEXT) | instid1(VALU_DEP_4)
	v_add_co_ci_u32_e32 v6, vcc_lo, s3, v6, vcc_lo
	v_add_co_u32 v7, vcc_lo, v7, v21
	s_delay_alu instid0(VALU_DEP_4) | instskip(NEXT) | instid1(VALU_DEP_4)
	v_add_co_ci_u32_e32 v8, vcc_lo, v8, v22, vcc_lo
	v_add_co_u32 v5, vcc_lo, v5, v21
	s_delay_alu instid0(VALU_DEP_4)
	v_add_co_ci_u32_e32 v6, vcc_lo, v6, v22, vcc_lo
	s_clause 0x1
	global_load_u16 v21, v[7:8], off
	global_load_u16 v22, v[5:6], off
	s_waitcnt vmcnt(1)
	v_lshlrev_b32_e32 v21, 16, v21
	s_waitcnt vmcnt(0)
	v_lshlrev_b32_e32 v18, 16, v22
	s_delay_alu instid0(VALU_DEP_2)
	v_fmac_f32_e32 v14, v10, v21
	v_cmpx_gt_i32_e64 s36, v23
	s_cbranch_execz .LBB637_39
; %bb.34:
	s_clause 0x3
	global_load_u16 v21, v[1:2], off offset:64
	global_load_u16 v22, v[3:4], off offset:64
	;; [unrolled: 1-line block ×4, first 2 shown]
	s_mov_b32 s2, exec_lo
	s_waitcnt vmcnt(3)
	v_lshlrev_b32_e32 v21, 16, v21
	s_waitcnt vmcnt(2)
	v_lshlrev_b32_e32 v22, 16, v22
	;; [unrolled: 2-line block ×3, first 2 shown]
	v_fmac_f32_e32 v15, v20, v21
	s_waitcnt vmcnt(0)
	v_lshlrev_b32_e32 v21, 16, v24
	s_delay_alu instid0(VALU_DEP_2) | instskip(NEXT) | instid1(VALU_DEP_1)
	v_dual_fmac_f32 v15, v19, v22 :: v_dual_add_nc_u32 v22, 64, v0
	v_fmac_f32_e32 v15, v10, v23
	s_delay_alu instid0(VALU_DEP_2)
	v_cmpx_gt_i32_e64 s36, v22
	s_cbranch_execz .LBB637_38
; %bb.35:
	s_clause 0x3
	global_load_u16 v22, v[1:2], off offset:128
	global_load_u16 v23, v[3:4], off offset:128
	;; [unrolled: 1-line block ×4, first 2 shown]
	s_mov_b32 s3, exec_lo
	s_waitcnt vmcnt(3)
	v_lshlrev_b32_e32 v22, 16, v22
	s_waitcnt vmcnt(2)
	s_delay_alu instid0(VALU_DEP_1) | instskip(SKIP_2) | instid1(VALU_DEP_2)
	v_dual_fmac_f32 v16, v20, v22 :: v_dual_lshlrev_b32 v23, 16, v23
	s_waitcnt vmcnt(1)
	v_lshlrev_b32_e32 v22, 16, v24
	v_dual_fmac_f32 v16, v19, v23 :: v_dual_add_nc_u32 v23, 0x60, v0
	s_waitcnt vmcnt(0)
	v_lshlrev_b32_e32 v0, 16, v25
	s_delay_alu instid0(VALU_DEP_2) | instskip(NEXT) | instid1(VALU_DEP_3)
	v_fmac_f32_e32 v16, v10, v22
	v_cmpx_gt_i32_e64 s36, v23
	s_cbranch_execz .LBB637_37
; %bb.36:
	s_clause 0x3
	global_load_u16 v1, v[1:2], off offset:192
	global_load_u16 v2, v[3:4], off offset:192
	;; [unrolled: 1-line block ×4, first 2 shown]
	s_waitcnt vmcnt(3)
	v_lshlrev_b32_e32 v1, 16, v1
	s_waitcnt vmcnt(2)
	s_delay_alu instid0(VALU_DEP_1) | instskip(SKIP_2) | instid1(VALU_DEP_2)
	v_dual_fmac_f32 v17, v20, v1 :: v_dual_lshlrev_b32 v2, 16, v2
	s_waitcnt vmcnt(1)
	v_lshlrev_b32_e32 v1, 16, v3
	v_fmac_f32_e32 v17, v19, v2
	s_delay_alu instid0(VALU_DEP_1) | instskip(SKIP_2) | instid1(VALU_DEP_1)
	v_fmac_f32_e32 v17, v10, v1
	s_waitcnt vmcnt(0)
	v_lshlrev_b32_e32 v1, 16, v4
	v_fmac_f32_e32 v17, v9, v1
.LBB637_37:
	s_or_b32 exec_lo, exec_lo, s3
	s_delay_alu instid0(VALU_DEP_2)
	v_fmac_f32_e32 v16, v9, v0
.LBB637_38:
	s_or_b32 exec_lo, exec_lo, s2
	s_delay_alu instid0(VALU_DEP_2)
	v_fmac_f32_e32 v15, v9, v21
.LBB637_39:
	s_or_b32 exec_lo, exec_lo, s0
	s_delay_alu instid0(VALU_DEP_2)
	v_fmac_f32_e32 v14, v9, v18
.LBB637_40:
	s_or_b32 exec_lo, exec_lo, s1
.LBB637_41:
	v_lshlrev_b32_e32 v0, 7, v13
	s_mov_b32 s0, exec_lo
                                        ; implicit-def: $vgpr1
                                        ; implicit-def: $vgpr2_vgpr3
	s_delay_alu instid0(VALU_DEP_1)
	v_add_lshl_u32 v0, v0, v12, 2
	ds_store_2addr_b32 v0, v14, v15 offset1:32
	ds_store_2addr_b32 v0, v16, v17 offset0:64 offset1:96
	s_waitcnt lgkmcnt(0)
	s_barrier
	buffer_gl0_inv
	v_cmpx_gt_u32_e32 0x80, v11
	s_cbranch_execz .LBB637_47
; %bb.42:
	v_lshlrev_b32_e32 v6, 2, v11
	s_mov_b32 s2, s35
	s_mov_b32 s1, exec_lo
	ds_load_2addr_stride64_b32 v[0:1], v6 offset1:2
	ds_load_2addr_stride64_b32 v[2:3], v6 offset0:4 offset1:6
	ds_load_2addr_stride64_b32 v[4:5], v6 offset0:8 offset1:10
	s_waitcnt lgkmcnt(2)
	v_add_f32_e32 v7, v0, v1
	ds_load_2addr_stride64_b32 v[0:1], v6 offset0:12 offset1:14
	s_waitcnt lgkmcnt(2)
	v_add_f32_e32 v2, v2, v7
	s_delay_alu instid0(VALU_DEP_1) | instskip(SKIP_3) | instid1(VALU_DEP_1)
	v_add_f32_e32 v7, v3, v2
	ds_load_2addr_stride64_b32 v[2:3], v6 offset0:16 offset1:18
	s_waitcnt lgkmcnt(2)
	v_add_f32_e32 v4, v4, v7
	v_add_f32_e32 v7, v5, v4
	ds_load_2addr_stride64_b32 v[4:5], v6 offset0:20 offset1:22
	s_waitcnt lgkmcnt(2)
	v_add_f32_e32 v0, v0, v7
	s_delay_alu instid0(VALU_DEP_1) | instskip(SKIP_1) | instid1(VALU_DEP_1)
	v_add_f32_e32 v0, v1, v0
	s_waitcnt lgkmcnt(1)
	v_add_f32_e32 v2, v2, v0
	ds_load_2addr_stride64_b32 v[0:1], v6 offset0:24 offset1:26
	v_add_f32_e32 v2, v3, v2
	s_waitcnt lgkmcnt(1)
	s_delay_alu instid0(VALU_DEP_1) | instskip(SKIP_3) | instid1(VALU_DEP_1)
	v_add_f32_e32 v4, v4, v2
	ds_load_2addr_stride64_b32 v[2:3], v6 offset0:28 offset1:30
	v_add_f32_e32 v4, v5, v4
	s_waitcnt lgkmcnt(1)
	v_add_f32_e32 v0, v0, v4
	v_or_b32_e32 v4, s39, v11
	s_delay_alu instid0(VALU_DEP_2) | instskip(SKIP_1) | instid1(VALU_DEP_1)
	v_add_f32_e32 v0, v1, v0
                                        ; implicit-def: $vgpr1
	s_waitcnt lgkmcnt(0)
	v_add_f32_e32 v0, v2, v0
	s_delay_alu instid0(VALU_DEP_1)
	v_add_f32_e32 v0, v3, v0
                                        ; implicit-def: $vgpr2_vgpr3
	ds_store_b32 v6, v0
	v_cmpx_gt_i32_e64 s36, v4
	s_cbranch_execz .LBB637_46
; %bb.43:
	v_ashrrev_i32_e32 v1, 31, v4
	v_mul_lo_u32 v5, v4, s9
	v_mad_u64_u32 v[2:3], null, v4, s8, 0
	v_cmp_eq_f32_e64 s2, s34, 0
	s_delay_alu instid0(VALU_DEP_4) | instskip(SKIP_1) | instid1(VALU_DEP_3)
	v_mul_lo_u32 v4, v1, s8
	v_mul_f32_e32 v1, s38, v0
	s_and_b32 vcc_lo, exec_lo, s2
	s_delay_alu instid0(VALU_DEP_2)
	v_add3_u32 v3, v3, v5, v4
	s_cbranch_vccnz .LBB637_45
; %bb.44:
	s_delay_alu instid0(VALU_DEP_1) | instskip(NEXT) | instid1(VALU_DEP_1)
	v_lshlrev_b64 v[4:5], 2, v[2:3]
	v_add_co_u32 v4, vcc_lo, s5, v4
	s_delay_alu instid0(VALU_DEP_2)
	v_add_co_ci_u32_e32 v5, vcc_lo, s33, v5, vcc_lo
	global_load_b32 v0, v[4:5], off
	s_waitcnt vmcnt(0)
	v_fmac_f32_e32 v1, s34, v0
.LBB637_45:
	s_or_b32 s2, s35, exec_lo
.LBB637_46:
	s_or_b32 exec_lo, exec_lo, s1
	s_delay_alu instid0(SALU_CYCLE_1) | instskip(SKIP_1) | instid1(SALU_CYCLE_1)
	s_and_not1_b32 s1, s35, exec_lo
	s_and_b32 s2, s2, exec_lo
	s_or_b32 s35, s1, s2
.LBB637_47:
	s_or_b32 exec_lo, exec_lo, s0
.LBB637_48:
	s_and_saveexec_b32 s0, s35
	s_cbranch_execz .LBB637_50
; %bb.49:
	v_lshlrev_b64 v[2:3], 2, v[2:3]
	s_delay_alu instid0(VALU_DEP_1) | instskip(NEXT) | instid1(VALU_DEP_2)
	v_add_co_u32 v2, vcc_lo, s5, v2
	v_add_co_ci_u32_e32 v3, vcc_lo, s33, v3, vcc_lo
	global_store_b32 v[2:3], v1, off
.LBB637_50:
	s_nop 0
	s_sendmsg sendmsg(MSG_DEALLOC_VGPRS)
	s_endpgm
	.section	.rodata,"a",@progbits
	.p2align	6, 0x0
	.amdhsa_kernel _ZL20rocblas_gemvn_kernelILi32ELi16El16rocblas_bfloat16ffEviiT3_lPKT2_lT1_lS4_lS5_lS1_lPT4_lS5_li
		.amdhsa_group_segment_fixed_size 8192
		.amdhsa_private_segment_fixed_size 0
		.amdhsa_kernarg_size 400
		.amdhsa_user_sgpr_count 14
		.amdhsa_user_sgpr_dispatch_ptr 0
		.amdhsa_user_sgpr_queue_ptr 0
		.amdhsa_user_sgpr_kernarg_segment_ptr 1
		.amdhsa_user_sgpr_dispatch_id 0
		.amdhsa_user_sgpr_private_segment_size 0
		.amdhsa_wavefront_size32 1
		.amdhsa_uses_dynamic_stack 0
		.amdhsa_enable_private_segment 0
		.amdhsa_system_sgpr_workgroup_id_x 1
		.amdhsa_system_sgpr_workgroup_id_y 0
		.amdhsa_system_sgpr_workgroup_id_z 1
		.amdhsa_system_sgpr_workgroup_info 0
		.amdhsa_system_vgpr_workitem_id 1
		.amdhsa_next_free_vgpr 51
		.amdhsa_next_free_sgpr 44
		.amdhsa_reserve_vcc 1
		.amdhsa_float_round_mode_32 0
		.amdhsa_float_round_mode_16_64 0
		.amdhsa_float_denorm_mode_32 3
		.amdhsa_float_denorm_mode_16_64 3
		.amdhsa_dx10_clamp 1
		.amdhsa_ieee_mode 1
		.amdhsa_fp16_overflow 0
		.amdhsa_workgroup_processor_mode 1
		.amdhsa_memory_ordered 1
		.amdhsa_forward_progress 0
		.amdhsa_shared_vgpr_count 0
		.amdhsa_exception_fp_ieee_invalid_op 0
		.amdhsa_exception_fp_denorm_src 0
		.amdhsa_exception_fp_ieee_div_zero 0
		.amdhsa_exception_fp_ieee_overflow 0
		.amdhsa_exception_fp_ieee_underflow 0
		.amdhsa_exception_fp_ieee_inexact 0
		.amdhsa_exception_int_div_zero 0
	.end_amdhsa_kernel
	.section	.text._ZL20rocblas_gemvn_kernelILi32ELi16El16rocblas_bfloat16ffEviiT3_lPKT2_lT1_lS4_lS5_lS1_lPT4_lS5_li,"axG",@progbits,_ZL20rocblas_gemvn_kernelILi32ELi16El16rocblas_bfloat16ffEviiT3_lPKT2_lT1_lS4_lS5_lS1_lPT4_lS5_li,comdat
.Lfunc_end637:
	.size	_ZL20rocblas_gemvn_kernelILi32ELi16El16rocblas_bfloat16ffEviiT3_lPKT2_lT1_lS4_lS5_lS1_lPT4_lS5_li, .Lfunc_end637-_ZL20rocblas_gemvn_kernelILi32ELi16El16rocblas_bfloat16ffEviiT3_lPKT2_lT1_lS4_lS5_lS1_lPT4_lS5_li
                                        ; -- End function
	.section	.AMDGPU.csdata,"",@progbits
; Kernel info:
; codeLenInByte = 3644
; NumSgprs: 46
; NumVgprs: 51
; ScratchSize: 0
; MemoryBound: 0
; FloatMode: 240
; IeeeMode: 1
; LDSByteSize: 8192 bytes/workgroup (compile time only)
; SGPRBlocks: 5
; VGPRBlocks: 6
; NumSGPRsForWavesPerEU: 46
; NumVGPRsForWavesPerEU: 51
; Occupancy: 16
; WaveLimiterHint : 1
; COMPUTE_PGM_RSRC2:SCRATCH_EN: 0
; COMPUTE_PGM_RSRC2:USER_SGPR: 14
; COMPUTE_PGM_RSRC2:TRAP_HANDLER: 0
; COMPUTE_PGM_RSRC2:TGID_X_EN: 1
; COMPUTE_PGM_RSRC2:TGID_Y_EN: 0
; COMPUTE_PGM_RSRC2:TGID_Z_EN: 1
; COMPUTE_PGM_RSRC2:TIDIG_COMP_CNT: 1
	.section	.text._ZL20rocblas_gemvn_kernelILi64ELi16Ei16rocblas_bfloat16PKffEviiT3_lPKT2_lT1_lS6_lS7_lS3_lPT4_lS7_li,"axG",@progbits,_ZL20rocblas_gemvn_kernelILi64ELi16Ei16rocblas_bfloat16PKffEviiT3_lPKT2_lT1_lS6_lS7_lS3_lPT4_lS7_li,comdat
	.globl	_ZL20rocblas_gemvn_kernelILi64ELi16Ei16rocblas_bfloat16PKffEviiT3_lPKT2_lT1_lS6_lS7_lS3_lPT4_lS7_li ; -- Begin function _ZL20rocblas_gemvn_kernelILi64ELi16Ei16rocblas_bfloat16PKffEviiT3_lPKT2_lT1_lS6_lS7_lS3_lPT4_lS7_li
	.p2align	8
	.type	_ZL20rocblas_gemvn_kernelILi64ELi16Ei16rocblas_bfloat16PKffEviiT3_lPKT2_lT1_lS6_lS7_lS3_lPT4_lS7_li,@function
_ZL20rocblas_gemvn_kernelILi64ELi16Ei16rocblas_bfloat16PKffEviiT3_lPKT2_lT1_lS6_lS7_lS3_lPT4_lS7_li: ; @_ZL20rocblas_gemvn_kernelILi64ELi16Ei16rocblas_bfloat16PKffEviiT3_lPKT2_lT1_lS6_lS7_lS3_lPT4_lS7_li
; %bb.0:
	s_load_b64 s[2:3], s[0:1], 0x9c
	s_waitcnt lgkmcnt(0)
	s_lshr_b32 s4, s2, 16
	s_and_b32 s2, s2, 0xffff
	s_and_b32 s3, s3, 0xffff
	s_mul_i32 s2, s4, s2
	s_delay_alu instid0(SALU_CYCLE_1) | instskip(NEXT) | instid1(SALU_CYCLE_1)
	s_mul_i32 s2, s2, s3
	s_cmpk_lg_i32 s2, 0x400
	s_cbranch_scc1 .LBB638_50
; %bb.1:
	s_clause 0x1
	s_load_b256 s[16:23], s[0:1], 0x8
	s_load_b256 s[4:11], s[0:1], 0x50
	s_waitcnt lgkmcnt(0)
	s_mul_i32 s3, s15, s19
	s_mul_hi_u32 s12, s15, s18
	s_mul_i32 s2, s15, s18
	s_add_i32 s3, s12, s3
	s_mul_i32 s9, s15, s9
	s_lshl_b64 s[2:3], s[2:3], 2
	s_mul_hi_u32 s12, s15, s8
	s_add_u32 s2, s16, s2
	s_addc_u32 s3, s17, s3
	s_add_i32 s9, s12, s9
	s_mul_i32 s8, s15, s8
	s_mov_b32 s16, 0
	s_lshl_b64 s[8:9], s[8:9], 2
	s_delay_alu instid0(SALU_CYCLE_1)
	s_add_u32 s6, s6, s8
	s_addc_u32 s7, s7, s9
	s_load_b32 s13, s[2:3], 0x0
	s_load_b32 s12, s[6:7], 0x0
	s_waitcnt lgkmcnt(0)
	v_cmp_eq_f32_e64 s2, s13, 0
	v_cmp_eq_f32_e64 s3, s12, 1.0
	s_delay_alu instid0(VALU_DEP_1) | instskip(NEXT) | instid1(SALU_CYCLE_1)
	s_and_b32 s2, s2, s3
	s_and_b32 vcc_lo, exec_lo, s2
	s_cbranch_vccnz .LBB638_50
; %bb.2:
	s_clause 0x3
	s_load_b64 s[2:3], s[0:1], 0x80
	s_load_b64 s[8:9], s[0:1], 0x70
	s_load_b32 s17, s[0:1], 0x78
	s_load_b64 s[6:7], s[0:1], 0x0
	v_and_b32_e32 v1, 0x3ff, v0
	v_bfe_u32 v13, v0, 10, 10
	s_delay_alu instid0(VALU_DEP_1)
	v_lshl_add_u32 v0, v13, 6, v1
	s_waitcnt lgkmcnt(0)
	s_mul_i32 s3, s15, s3
	s_mul_hi_u32 s18, s15, s2
	s_mul_i32 s2, s15, s2
	s_add_i32 s3, s18, s3
	v_cmp_neq_f32_e64 s18, s13, 0
	s_lshl_b64 s[2:3], s[2:3], 2
	s_delay_alu instid0(SALU_CYCLE_1) | instskip(SKIP_2) | instid1(SALU_CYCLE_1)
	s_add_u32 s10, s10, s2
	s_addc_u32 s11, s11, s3
	s_lshl_b64 s[2:3], s[8:9], 2
	s_add_u32 s8, s10, s2
	v_cmp_gt_u32_e64 s2, 0x100, v0
	s_addc_u32 s9, s11, s3
	s_and_b32 vcc_lo, exec_lo, s18
	s_cbranch_vccnz .LBB638_9
; %bb.3:
	s_mov_b32 s3, 0
                                        ; implicit-def: $vgpr3
                                        ; implicit-def: $vgpr4_vgpr5
	s_and_saveexec_b32 s10, s2
	s_cbranch_execz .LBB638_10
; %bb.4:
	v_lshl_or_b32 v2, s14, 8, v0
	v_mov_b32_e32 v3, 0
	s_ashr_i32 s19, s6, 31
	s_mov_b32 s18, s6
	s_mov_b32 s11, 0
	s_mov_b32 s2, exec_lo
                                        ; implicit-def: $vgpr4_vgpr5
	v_cmpx_gt_i64_e64 s[18:19], v[2:3]
	s_cbranch_execz .LBB638_8
; %bb.5:
	v_mad_u64_u32 v[4:5], null, s17, v2, 0
	s_ashr_i32 s11, s17, 31
	s_delay_alu instid0(VALU_DEP_1) | instid1(SALU_CYCLE_1)
	v_mad_u64_u32 v[6:7], null, s11, v2, v[5:6]
	v_cmp_eq_f32_e64 s11, s12, 0
	s_delay_alu instid0(VALU_DEP_1) | instskip(NEXT) | instid1(VALU_DEP_2)
	s_and_b32 vcc_lo, exec_lo, s11
	v_mov_b32_e32 v5, v6
	s_cbranch_vccnz .LBB638_7
; %bb.6:
	s_delay_alu instid0(VALU_DEP_1) | instskip(NEXT) | instid1(VALU_DEP_1)
	v_lshlrev_b64 v[2:3], 2, v[4:5]
	v_add_co_u32 v2, vcc_lo, s8, v2
	s_delay_alu instid0(VALU_DEP_2)
	v_add_co_ci_u32_e32 v3, vcc_lo, s9, v3, vcc_lo
	global_load_b32 v2, v[2:3], off
	s_waitcnt vmcnt(0)
	v_mul_f32_e32 v3, s12, v2
.LBB638_7:
	s_mov_b32 s11, exec_lo
.LBB638_8:
	s_or_b32 exec_lo, exec_lo, s2
	s_delay_alu instid0(SALU_CYCLE_1) | instskip(SKIP_1) | instid1(SALU_CYCLE_1)
	s_and_b32 s16, s11, exec_lo
	s_or_b32 exec_lo, exec_lo, s10
	s_and_b32 vcc_lo, exec_lo, s3
	s_cbranch_vccnz .LBB638_11
	s_branch .LBB638_48
.LBB638_9:
                                        ; implicit-def: $vgpr3
                                        ; implicit-def: $vgpr4_vgpr5
	s_cbranch_execnz .LBB638_11
	s_branch .LBB638_48
.LBB638_10:
	s_or_b32 exec_lo, exec_lo, s10
	s_delay_alu instid0(SALU_CYCLE_1)
	s_and_b32 vcc_lo, exec_lo, s3
	s_cbranch_vccz .LBB638_48
.LBB638_11:
	s_clause 0x2
	s_load_b128 s[24:27], s[0:1], 0x30
	s_load_b32 s18, s[0:1], 0x28
	s_load_b64 s[2:3], s[0:1], 0x40
	s_mul_i32 s5, s15, s5
	v_dual_mov_b32 v14, 0 :: v_dual_lshlrev_b32 v19, 2, v13
	v_dual_mov_b32 v15, 0 :: v_dual_mov_b32 v16, 0
	v_mov_b32_e32 v17, 0
	s_waitcnt lgkmcnt(0)
	s_mul_i32 s11, s15, s25
	s_mul_hi_u32 s19, s15, s24
	s_mul_i32 s10, s15, s24
	s_add_i32 s11, s19, s11
	s_mul_hi_u32 s19, s15, s4
	s_lshl_b64 s[10:11], s[10:11], 1
	s_delay_alu instid0(SALU_CYCLE_1) | instskip(SKIP_4) | instid1(SALU_CYCLE_1)
	s_add_u32 s24, s20, s10
	s_mul_i32 s20, s15, s4
	s_load_b32 s4, s[0:1], 0x48
	s_addc_u32 s21, s21, s11
	s_lshl_b64 s[10:11], s[22:23], 1
	s_add_u32 s10, s24, s10
	s_addc_u32 s11, s21, s11
	s_add_i32 s21, s19, s5
	s_delay_alu instid0(SALU_CYCLE_1) | instskip(SKIP_4) | instid1(SALU_CYCLE_1)
	s_lshl_b64 s[0:1], s[20:21], 1
	s_mov_b32 s20, exec_lo
	s_add_u32 s5, s26, s0
	s_addc_u32 s19, s27, s1
	s_lshl_b64 s[0:1], s[2:3], 1
	s_add_u32 s15, s5, s0
	s_addc_u32 s19, s19, s1
	s_ashr_i32 s0, s7, 31
	s_lshl_b32 s5, s14, 8
	s_lshr_b32 s0, s0, 26
	v_add_nc_u32_e32 v18, s5, v1
	s_add_i32 s0, s7, s0
	s_delay_alu instid0(SALU_CYCLE_1) | instskip(NEXT) | instid1(SALU_CYCLE_1)
	s_and_b32 s14, s0, 0xffffffc0
	v_cmpx_gt_i32_e64 s14, v19
	s_cbranch_execz .LBB638_23
; %bb.12:
	v_mul_lo_u32 v3, s18, v19
	v_dual_mov_b32 v15, 0 :: v_dual_add_nc_u32 v2, 64, v18
	v_add_nc_u32_e32 v6, 2, v19
	v_dual_mov_b32 v14, 0 :: v_dual_add_nc_u32 v5, 0xc0, v18
	s_delay_alu instid0(VALU_DEP_3)
	v_cmp_gt_i32_e64 s0, s6, v2
	v_dual_mov_b32 v17, 0 :: v_dual_add_nc_u32 v4, 0x80, v18
	v_add3_u32 v20, v3, s18, v1
	v_mad_u64_u32 v[2:3], null, s18, v6, v[1:2]
	v_cmp_gt_i32_e64 s2, s6, v5
	v_mul_lo_u32 v5, v13, s18
	v_dual_mov_b32 v16, 0 :: v_dual_add_nc_u32 v7, 3, v19
	s_waitcnt lgkmcnt(0)
	v_mul_lo_u32 v8, v13, s4
	v_cmp_gt_i32_e64 s1, s6, v4
	v_mul_lo_u32 v22, s4, v6
	v_mad_u64_u32 v[3:4], null, s18, v7, v[1:2]
	v_lshl_add_u32 v21, v5, 2, v1
	v_mad_u64_u32 v[4:5], null, s4, v19, s[4:5]
	v_mul_lo_u32 v23, s4, v7
	v_cmp_gt_i32_e32 vcc_lo, s6, v18
	v_lshlrev_b32_e32 v24, 2, v8
	s_lshl_b32 s21, s18, 6
	s_lshl_b32 s23, s4, 6
	s_mov_b32 s22, 0
	s_mov_b32 s24, 0
	s_branch .LBB638_17
.LBB638_13:                             ;   in Loop: Header=BB638_17 Depth=1
	s_or_b32 exec_lo, exec_lo, s27
	s_waitcnt vmcnt(2)
	v_lshlrev_b32_e32 v6, 16, v39
	v_lshlrev_b32_e32 v5, 16, v40
	s_waitcnt vmcnt(1)
	s_delay_alu instid0(VALU_DEP_1) | instskip(NEXT) | instid1(VALU_DEP_1)
	v_dual_fmac_f32 v16, v32, v5 :: v_dual_lshlrev_b32 v5, 16, v38
	v_fmac_f32_e32 v16, v30, v6
	s_delay_alu instid0(VALU_DEP_1) | instskip(SKIP_2) | instid1(VALU_DEP_1)
	v_fmac_f32_e32 v16, v28, v5
	s_waitcnt vmcnt(0)
	v_lshlrev_b32_e32 v5, 16, v37
	v_fmac_f32_e32 v16, v27, v5
.LBB638_14:                             ;   in Loop: Header=BB638_17 Depth=1
	s_or_b32 exec_lo, exec_lo, s26
	s_waitcnt vmcnt(3)
	v_lshlrev_b32_e32 v5, 16, v36
	s_waitcnt vmcnt(2)
	s_delay_alu instid0(VALU_DEP_1) | instskip(SKIP_2) | instid1(VALU_DEP_2)
	v_dual_fmac_f32 v15, v32, v5 :: v_dual_lshlrev_b32 v6, 16, v35
	s_waitcnt vmcnt(1)
	v_lshlrev_b32_e32 v5, 16, v34
	v_fmac_f32_e32 v15, v30, v6
	s_delay_alu instid0(VALU_DEP_1) | instskip(SKIP_2) | instid1(VALU_DEP_1)
	v_fmac_f32_e32 v15, v28, v5
	s_waitcnt vmcnt(0)
	v_lshlrev_b32_e32 v5, 16, v33
	v_fmac_f32_e32 v15, v27, v5
.LBB638_15:                             ;   in Loop: Header=BB638_17 Depth=1
	s_or_b32 exec_lo, exec_lo, s3
	s_waitcnt vmcnt(2)
	v_lshlrev_b32_e32 v6, 16, v29
	v_lshlrev_b32_e32 v5, 16, v31
	s_waitcnt vmcnt(1)
	s_delay_alu instid0(VALU_DEP_1) | instskip(NEXT) | instid1(VALU_DEP_1)
	v_dual_fmac_f32 v14, v32, v5 :: v_dual_lshlrev_b32 v5, 16, v26
	v_fmac_f32_e32 v14, v30, v6
	s_delay_alu instid0(VALU_DEP_1) | instskip(SKIP_2) | instid1(VALU_DEP_1)
	v_fmac_f32_e32 v14, v28, v5
	s_waitcnt vmcnt(0)
	v_lshlrev_b32_e32 v5, 16, v25
	v_fmac_f32_e32 v14, v27, v5
.LBB638_16:                             ;   in Loop: Header=BB638_17 Depth=1
	s_or_b32 exec_lo, exec_lo, s25
	v_add_nc_u32_e32 v19, 64, v19
	v_add_nc_u32_e32 v20, s21, v20
	;; [unrolled: 1-line block ×5, first 2 shown]
	v_cmp_le_i32_e64 s3, s14, v19
	s_add_i32 s24, s24, s23
	s_delay_alu instid0(VALU_DEP_1) | instskip(NEXT) | instid1(SALU_CYCLE_1)
	s_or_b32 s22, s3, s22
	s_and_not1_b32 exec_lo, exec_lo, s22
	s_cbranch_execz .LBB638_22
.LBB638_17:                             ; =>This Inner Loop Header: Depth=1
	s_and_saveexec_b32 s25, vcc_lo
	s_cbranch_execz .LBB638_16
; %bb.18:                               ;   in Loop: Header=BB638_17 Depth=1
	v_add_nc_u32_e32 v5, s24, v24
	v_add_nc_u32_e32 v7, s24, v4
	;; [unrolled: 1-line block ×5, first 2 shown]
	v_ashrrev_i32_e32 v6, 31, v5
	v_ashrrev_i32_e32 v8, 31, v7
	;; [unrolled: 1-line block ×4, first 2 shown]
	v_add_nc_u32_e32 v27, s5, v20
	v_lshlrev_b64 v[5:6], 1, v[5:6]
	v_lshlrev_b64 v[7:8], 1, v[7:8]
	;; [unrolled: 1-line block ×4, first 2 shown]
	v_ashrrev_i32_e32 v26, 31, v25
	v_ashrrev_i32_e32 v28, 31, v27
	v_add_co_u32 v5, s3, s15, v5
	s_delay_alu instid0(VALU_DEP_1) | instskip(SKIP_1) | instid1(VALU_DEP_1)
	v_add_co_ci_u32_e64 v6, s3, s19, v6, s3
	v_add_co_u32 v7, s3, s15, v7
	v_add_co_ci_u32_e64 v8, s3, s19, v8, s3
	v_add_co_u32 v9, s3, s15, v9
	s_delay_alu instid0(VALU_DEP_1)
	v_add_co_ci_u32_e64 v10, s3, s19, v10, s3
	v_add_co_u32 v11, s3, s15, v11
	v_add_nc_u32_e32 v29, s5, v2
	v_add_co_ci_u32_e64 v12, s3, s19, v12, s3
	v_lshlrev_b64 v[25:26], 1, v[25:26]
	s_clause 0x3
	global_load_u16 v32, v[5:6], off
	global_load_u16 v33, v[7:8], off
	;; [unrolled: 1-line block ×4, first 2 shown]
	v_add_nc_u32_e32 v11, s5, v3
	v_lshlrev_b64 v[5:6], 1, v[27:28]
	v_ashrrev_i32_e32 v30, 31, v29
	v_add_co_u32 v7, s3, s10, v25
	s_delay_alu instid0(VALU_DEP_4) | instskip(SKIP_1) | instid1(VALU_DEP_4)
	v_ashrrev_i32_e32 v12, 31, v11
	v_add_co_ci_u32_e64 v8, s3, s11, v26, s3
	v_lshlrev_b64 v[25:26], 1, v[29:30]
	v_add_co_u32 v9, s3, s10, v5
	s_delay_alu instid0(VALU_DEP_1) | instskip(SKIP_1) | instid1(VALU_DEP_4)
	v_add_co_ci_u32_e64 v10, s3, s11, v6, s3
	v_lshlrev_b64 v[5:6], 1, v[11:12]
	v_add_co_u32 v11, s3, s10, v25
	s_delay_alu instid0(VALU_DEP_1) | instskip(NEXT) | instid1(VALU_DEP_3)
	v_add_co_ci_u32_e64 v12, s3, s11, v26, s3
	v_add_co_u32 v5, s3, s10, v5
	s_delay_alu instid0(VALU_DEP_1)
	v_add_co_ci_u32_e64 v6, s3, s11, v6, s3
	s_clause 0x3
	global_load_u16 v31, v[7:8], off
	global_load_u16 v29, v[9:10], off
	;; [unrolled: 1-line block ×4, first 2 shown]
	s_waitcnt vmcnt(7)
	v_lshlrev_b32_e32 v32, 16, v32
	s_waitcnt vmcnt(6)
	v_lshlrev_b32_e32 v30, 16, v33
	;; [unrolled: 2-line block ×4, first 2 shown]
	s_and_saveexec_b32 s3, s0
	s_cbranch_execz .LBB638_15
; %bb.19:                               ;   in Loop: Header=BB638_17 Depth=1
	s_clause 0x3
	global_load_u16 v36, v[7:8], off offset:128
	global_load_u16 v35, v[9:10], off offset:128
	global_load_u16 v34, v[11:12], off offset:128
	global_load_u16 v33, v[5:6], off offset:128
	s_and_saveexec_b32 s26, s1
	s_cbranch_execz .LBB638_14
; %bb.20:                               ;   in Loop: Header=BB638_17 Depth=1
	s_clause 0x3
	global_load_u16 v40, v[7:8], off offset:256
	global_load_u16 v39, v[9:10], off offset:256
	global_load_u16 v38, v[11:12], off offset:256
	global_load_u16 v37, v[5:6], off offset:256
	;; [unrolled: 8-line block ×3, first 2 shown]
	s_waitcnt vmcnt(0)
	v_lshlrev_b32_e32 v5, 16, v5
	v_lshlrev_b32_e32 v6, 16, v7
	;; [unrolled: 1-line block ×3, first 2 shown]
	s_delay_alu instid0(VALU_DEP_2) | instskip(NEXT) | instid1(VALU_DEP_1)
	v_dual_fmac_f32 v17, v32, v6 :: v_dual_lshlrev_b32 v6, 16, v9
	v_fmac_f32_e32 v17, v30, v7
	s_delay_alu instid0(VALU_DEP_1) | instskip(NEXT) | instid1(VALU_DEP_1)
	v_fmac_f32_e32 v17, v28, v6
	v_fmac_f32_e32 v17, v27, v5
	s_branch .LBB638_13
.LBB638_22:
	s_or_b32 exec_lo, exec_lo, s22
.LBB638_23:
	s_delay_alu instid0(SALU_CYCLE_1) | instskip(SKIP_1) | instid1(SALU_CYCLE_1)
	s_or_b32 exec_lo, exec_lo, s20
	s_sub_i32 s0, s7, s14
	s_cmp_lt_i32 s0, 1
	s_cbranch_scc1 .LBB638_41
; %bb.24:
	v_cmp_gt_i32_e32 vcc_lo, s7, v19
	v_dual_mov_b32 v10, 0 :: v_dual_mov_b32 v11, 0
	v_or_b32_e32 v2, 1, v19
	v_mov_b32_e32 v12, 0
	v_mov_b32_e32 v20, 0
	s_and_saveexec_b32 s1, vcc_lo
	s_cbranch_execz .LBB638_32
; %bb.25:
	s_waitcnt lgkmcnt(0)
	v_mul_lo_u32 v3, v19, s4
	v_dual_mov_b32 v12, 0 :: v_dual_mov_b32 v11, 0
	v_mov_b32_e32 v10, 0
	s_mov_b32 s2, exec_lo
	s_delay_alu instid0(VALU_DEP_3) | instskip(NEXT) | instid1(VALU_DEP_1)
	v_ashrrev_i32_e32 v4, 31, v3
	v_lshlrev_b64 v[3:4], 1, v[3:4]
	s_delay_alu instid0(VALU_DEP_1) | instskip(NEXT) | instid1(VALU_DEP_1)
	v_add_co_u32 v3, s0, s15, v3
	v_add_co_ci_u32_e64 v4, s0, s19, v4, s0
	global_load_u16 v3, v[3:4], off
	v_cmpx_gt_i32_e64 s7, v2
	s_cbranch_execz .LBB638_31
; %bb.26:
	v_mul_lo_u32 v4, v2, s4
	v_dual_mov_b32 v11, 0 :: v_dual_mov_b32 v10, 0
	s_mov_b32 s3, exec_lo
	s_delay_alu instid0(VALU_DEP_2) | instskip(NEXT) | instid1(VALU_DEP_1)
	v_ashrrev_i32_e32 v5, 31, v4
	v_lshlrev_b64 v[4:5], 1, v[4:5]
	s_delay_alu instid0(VALU_DEP_1) | instskip(NEXT) | instid1(VALU_DEP_1)
	v_add_co_u32 v4, s0, s15, v4
	v_add_co_ci_u32_e64 v5, s0, s19, v5, s0
	global_load_u16 v4, v[4:5], off
	v_or_b32_e32 v5, 2, v19
	s_delay_alu instid0(VALU_DEP_1)
	v_cmpx_gt_i32_e64 s7, v5
	s_cbranch_execz .LBB638_30
; %bb.27:
	v_mul_lo_u32 v5, v5, s4
	v_mov_b32_e32 v10, 0
	s_mov_b32 s14, exec_lo
	s_delay_alu instid0(VALU_DEP_2) | instskip(NEXT) | instid1(VALU_DEP_1)
	v_ashrrev_i32_e32 v6, 31, v5
	v_lshlrev_b64 v[5:6], 1, v[5:6]
	s_delay_alu instid0(VALU_DEP_1) | instskip(NEXT) | instid1(VALU_DEP_1)
	v_add_co_u32 v5, s0, s15, v5
	v_add_co_ci_u32_e64 v6, s0, s19, v6, s0
	global_load_u16 v5, v[5:6], off
	v_or_b32_e32 v6, 3, v19
	s_delay_alu instid0(VALU_DEP_1)
	v_cmpx_gt_i32_e64 s7, v6
	s_cbranch_execz .LBB638_29
; %bb.28:
	v_mul_lo_u32 v6, v6, s4
	s_delay_alu instid0(VALU_DEP_1) | instskip(NEXT) | instid1(VALU_DEP_1)
	v_ashrrev_i32_e32 v7, 31, v6
	v_lshlrev_b64 v[6:7], 1, v[6:7]
	s_delay_alu instid0(VALU_DEP_1) | instskip(NEXT) | instid1(VALU_DEP_1)
	v_add_co_u32 v6, s0, s15, v6
	v_add_co_ci_u32_e64 v7, s0, s19, v7, s0
	global_load_u16 v6, v[6:7], off
	s_waitcnt vmcnt(0)
	v_lshlrev_b32_e32 v10, 16, v6
.LBB638_29:
	s_or_b32 exec_lo, exec_lo, s14
	s_waitcnt vmcnt(0)
	v_lshlrev_b32_e32 v11, 16, v5
.LBB638_30:
	s_or_b32 exec_lo, exec_lo, s3
	s_waitcnt vmcnt(0)
	v_lshlrev_b32_e32 v12, 16, v4
.LBB638_31:
	s_or_b32 exec_lo, exec_lo, s2
	s_waitcnt vmcnt(0)
	v_lshlrev_b32_e32 v20, 16, v3
.LBB638_32:
	s_or_b32 exec_lo, exec_lo, s1
	s_delay_alu instid0(SALU_CYCLE_1)
	s_mov_b32 s1, exec_lo
	v_cmpx_gt_i32_e64 s6, v18
	s_cbranch_execz .LBB638_40
; %bb.33:
	v_mul_lo_u32 v3, v19, s18
	v_mul_lo_u32 v4, v2, s18
	v_or_b32_e32 v5, 2, v19
	v_or_b32_e32 v6, 3, v19
	s_mov_b32 s0, exec_lo
	s_delay_alu instid0(VALU_DEP_2)
	v_mul_lo_u32 v7, v5, s18
	v_cndmask_b32_e32 v3, 0, v3, vcc_lo
	v_cmp_gt_i32_e32 vcc_lo, s7, v2
	v_mul_lo_u32 v8, v6, s18
	v_cndmask_b32_e32 v4, 0, v4, vcc_lo
	v_cmp_gt_i32_e32 vcc_lo, s7, v5
	v_add_nc_u32_e32 v2, v3, v18
	s_delay_alu instid0(VALU_DEP_3) | instskip(NEXT) | instid1(VALU_DEP_2)
	v_dual_cndmask_b32 v7, 0, v7 :: v_dual_add_nc_u32 v4, v4, v18
	v_ashrrev_i32_e32 v3, 31, v2
	v_cmp_gt_i32_e32 vcc_lo, s7, v6
	s_delay_alu instid0(VALU_DEP_3) | instskip(NEXT) | instid1(VALU_DEP_4)
	v_ashrrev_i32_e32 v5, 31, v4
	v_add_nc_u32_e32 v6, v7, v18
	s_delay_alu instid0(VALU_DEP_4) | instskip(SKIP_1) | instid1(VALU_DEP_4)
	v_lshlrev_b64 v[2:3], 1, v[2:3]
	v_cndmask_b32_e32 v8, 0, v8, vcc_lo
	v_lshlrev_b64 v[21:22], 1, v[4:5]
	s_delay_alu instid0(VALU_DEP_4) | instskip(NEXT) | instid1(VALU_DEP_4)
	v_ashrrev_i32_e32 v7, 31, v6
	v_add_co_u32 v4, vcc_lo, s10, v2
	v_add_co_ci_u32_e32 v5, vcc_lo, s11, v3, vcc_lo
	s_delay_alu instid0(VALU_DEP_4)
	v_add_co_u32 v2, vcc_lo, s10, v21
	v_add_co_ci_u32_e32 v3, vcc_lo, s11, v22, vcc_lo
	s_clause 0x1
	global_load_u16 v19, v[4:5], off
	global_load_u16 v23, v[2:3], off
	v_lshlrev_b64 v[6:7], 1, v[6:7]
	s_waitcnt vmcnt(1)
	v_lshlrev_b32_e32 v19, 16, v19
	v_add_nc_u32_e32 v8, v8, v18
	s_delay_alu instid0(VALU_DEP_1) | instskip(NEXT) | instid1(VALU_DEP_1)
	v_ashrrev_i32_e32 v9, 31, v8
	v_lshlrev_b64 v[21:22], 1, v[8:9]
	v_add_co_u32 v8, vcc_lo, s10, v6
	v_add_co_ci_u32_e32 v9, vcc_lo, s11, v7, vcc_lo
	s_delay_alu instid0(VALU_DEP_3) | instskip(NEXT) | instid1(VALU_DEP_4)
	v_add_co_u32 v6, vcc_lo, s10, v21
	v_add_co_ci_u32_e32 v7, vcc_lo, s11, v22, vcc_lo
	s_clause 0x1
	global_load_u16 v21, v[8:9], off
	global_load_u16 v22, v[6:7], off
	s_waitcnt vmcnt(1)
	v_dual_fmac_f32 v14, v20, v19 :: v_dual_lshlrev_b32 v21, 16, v21
	v_lshlrev_b32_e32 v23, 16, v23
	s_waitcnt vmcnt(0)
	s_delay_alu instid0(VALU_DEP_1) | instskip(NEXT) | instid1(VALU_DEP_1)
	v_dual_fmac_f32 v14, v12, v23 :: v_dual_lshlrev_b32 v19, 16, v22
	v_dual_fmac_f32 v14, v11, v21 :: v_dual_add_nc_u32 v23, 64, v18
	s_delay_alu instid0(VALU_DEP_1)
	v_cmpx_gt_i32_e64 s6, v23
	s_cbranch_execz .LBB638_39
; %bb.34:
	s_clause 0x3
	global_load_u16 v21, v[4:5], off offset:128
	global_load_u16 v22, v[2:3], off offset:128
	;; [unrolled: 1-line block ×4, first 2 shown]
	s_mov_b32 s2, exec_lo
	s_waitcnt vmcnt(3)
	v_lshlrev_b32_e32 v21, 16, v21
	s_waitcnt vmcnt(2)
	v_lshlrev_b32_e32 v22, 16, v22
	;; [unrolled: 2-line block ×3, first 2 shown]
	v_fmac_f32_e32 v15, v20, v21
	s_waitcnt vmcnt(0)
	v_lshlrev_b32_e32 v21, 16, v24
	s_delay_alu instid0(VALU_DEP_2) | instskip(NEXT) | instid1(VALU_DEP_1)
	v_fmac_f32_e32 v15, v12, v22
	v_dual_fmac_f32 v15, v11, v23 :: v_dual_add_nc_u32 v22, 0x80, v18
	s_delay_alu instid0(VALU_DEP_1)
	v_cmpx_gt_i32_e64 s6, v22
	s_cbranch_execz .LBB638_38
; %bb.35:
	s_clause 0x3
	global_load_u16 v22, v[4:5], off offset:256
	global_load_u16 v23, v[2:3], off offset:256
	;; [unrolled: 1-line block ×4, first 2 shown]
	s_mov_b32 s3, exec_lo
	s_waitcnt vmcnt(3)
	v_lshlrev_b32_e32 v22, 16, v22
	s_waitcnt vmcnt(2)
	s_delay_alu instid0(VALU_DEP_1) | instskip(SKIP_2) | instid1(VALU_DEP_2)
	v_dual_fmac_f32 v16, v20, v22 :: v_dual_lshlrev_b32 v23, 16, v23
	s_waitcnt vmcnt(1)
	v_lshlrev_b32_e32 v22, 16, v24
	v_dual_fmac_f32 v16, v12, v23 :: v_dual_add_nc_u32 v23, 0xc0, v18
	s_waitcnt vmcnt(0)
	v_lshlrev_b32_e32 v18, 16, v25
	s_delay_alu instid0(VALU_DEP_2) | instskip(NEXT) | instid1(VALU_DEP_3)
	v_fmac_f32_e32 v16, v11, v22
	v_cmpx_gt_i32_e64 s6, v23
	s_cbranch_execz .LBB638_37
; %bb.36:
	s_clause 0x3
	global_load_u16 v4, v[4:5], off offset:384
	global_load_u16 v2, v[2:3], off offset:384
	;; [unrolled: 1-line block ×4, first 2 shown]
	s_waitcnt vmcnt(2)
	v_lshlrev_b32_e32 v2, 16, v2
	v_lshlrev_b32_e32 v4, 16, v4
	s_waitcnt vmcnt(1)
	v_lshlrev_b32_e32 v3, 16, v3
	s_delay_alu instid0(VALU_DEP_2) | instskip(SKIP_1) | instid1(VALU_DEP_1)
	v_fmac_f32_e32 v17, v20, v4
	s_waitcnt vmcnt(0)
	v_dual_fmac_f32 v17, v12, v2 :: v_dual_lshlrev_b32 v2, 16, v5
	s_delay_alu instid0(VALU_DEP_1) | instskip(NEXT) | instid1(VALU_DEP_1)
	v_fmac_f32_e32 v17, v11, v3
	v_fmac_f32_e32 v17, v10, v2
.LBB638_37:
	s_or_b32 exec_lo, exec_lo, s3
	s_delay_alu instid0(VALU_DEP_2)
	v_fmac_f32_e32 v16, v10, v18
.LBB638_38:
	s_or_b32 exec_lo, exec_lo, s2
	s_delay_alu instid0(VALU_DEP_2)
	v_fmac_f32_e32 v15, v10, v21
.LBB638_39:
	s_or_b32 exec_lo, exec_lo, s0
	s_delay_alu instid0(VALU_DEP_2)
	v_fmac_f32_e32 v14, v10, v19
.LBB638_40:
	s_or_b32 exec_lo, exec_lo, s1
.LBB638_41:
	v_lshlrev_b32_e32 v2, 8, v13
	s_mov_b32 s0, exec_lo
                                        ; implicit-def: $vgpr3
                                        ; implicit-def: $vgpr4_vgpr5
	s_delay_alu instid0(VALU_DEP_1)
	v_add_lshl_u32 v1, v2, v1, 2
	ds_store_2addr_stride64_b32 v1, v14, v15 offset1:1
	ds_store_2addr_stride64_b32 v1, v16, v17 offset0:2 offset1:3
	s_waitcnt lgkmcnt(0)
	s_barrier
	buffer_gl0_inv
	v_cmpx_gt_u32_e32 0x100, v0
	s_cbranch_execz .LBB638_47
; %bb.42:
	v_lshlrev_b32_e32 v7, 2, v0
	s_mov_b32 s2, s16
	s_mov_b32 s1, exec_lo
	ds_load_2addr_stride64_b32 v[1:2], v7 offset1:4
	ds_load_2addr_stride64_b32 v[3:4], v7 offset0:8 offset1:12
	ds_load_2addr_stride64_b32 v[5:6], v7 offset0:16 offset1:20
	s_waitcnt lgkmcnt(2)
	v_add_f32_e32 v8, v1, v2
	ds_load_2addr_stride64_b32 v[1:2], v7 offset0:24 offset1:28
	s_waitcnt lgkmcnt(2)
	v_add_f32_e32 v3, v3, v8
	s_delay_alu instid0(VALU_DEP_1) | instskip(SKIP_3) | instid1(VALU_DEP_1)
	v_add_f32_e32 v8, v4, v3
	ds_load_2addr_stride64_b32 v[3:4], v7 offset0:32 offset1:36
	s_waitcnt lgkmcnt(2)
	v_add_f32_e32 v5, v5, v8
	v_add_f32_e32 v8, v6, v5
	ds_load_2addr_stride64_b32 v[5:6], v7 offset0:40 offset1:44
	s_waitcnt lgkmcnt(2)
	v_add_f32_e32 v1, v1, v8
	s_delay_alu instid0(VALU_DEP_1) | instskip(SKIP_1) | instid1(VALU_DEP_1)
	v_add_f32_e32 v1, v2, v1
	s_waitcnt lgkmcnt(1)
	v_add_f32_e32 v3, v3, v1
	ds_load_2addr_stride64_b32 v[1:2], v7 offset0:48 offset1:52
	v_add_f32_e32 v3, v4, v3
	s_waitcnt lgkmcnt(1)
	s_delay_alu instid0(VALU_DEP_1) | instskip(SKIP_3) | instid1(VALU_DEP_1)
	v_add_f32_e32 v5, v5, v3
	ds_load_2addr_stride64_b32 v[3:4], v7 offset0:56 offset1:60
	v_add_f32_e32 v5, v6, v5
	s_waitcnt lgkmcnt(1)
	v_add_f32_e32 v1, v1, v5
	s_delay_alu instid0(VALU_DEP_1) | instskip(SKIP_1) | instid1(VALU_DEP_1)
	v_add_f32_e32 v1, v2, v1
	s_waitcnt lgkmcnt(0)
	v_add_f32_e32 v2, v3, v1
	v_or_b32_e32 v1, s5, v0
                                        ; implicit-def: $vgpr3
	s_delay_alu instid0(VALU_DEP_2)
	v_add_f32_e32 v0, v4, v2
                                        ; implicit-def: $vgpr4_vgpr5
	ds_store_b32 v7, v0
	v_cmpx_gt_i32_e64 s6, v1
	s_cbranch_execz .LBB638_46
; %bb.43:
	v_mul_lo_u32 v4, v1, s17
	v_cmp_eq_f32_e64 s2, s12, 0
	v_mul_f32_e32 v3, s13, v0
	s_delay_alu instid0(VALU_DEP_2) | instskip(NEXT) | instid1(VALU_DEP_3)
	s_and_b32 vcc_lo, exec_lo, s2
	v_ashrrev_i32_e32 v5, 31, v4
	s_cbranch_vccnz .LBB638_45
; %bb.44:
	s_delay_alu instid0(VALU_DEP_1) | instskip(NEXT) | instid1(VALU_DEP_1)
	v_lshlrev_b64 v[0:1], 2, v[4:5]
	v_add_co_u32 v0, vcc_lo, s8, v0
	s_delay_alu instid0(VALU_DEP_2)
	v_add_co_ci_u32_e32 v1, vcc_lo, s9, v1, vcc_lo
	global_load_b32 v0, v[0:1], off
	s_waitcnt vmcnt(0)
	v_fmac_f32_e32 v3, s12, v0
.LBB638_45:
	s_or_b32 s2, s16, exec_lo
.LBB638_46:
	s_or_b32 exec_lo, exec_lo, s1
	s_delay_alu instid0(SALU_CYCLE_1) | instskip(SKIP_1) | instid1(SALU_CYCLE_1)
	s_and_not1_b32 s1, s16, exec_lo
	s_and_b32 s2, s2, exec_lo
	s_or_b32 s16, s1, s2
.LBB638_47:
	s_or_b32 exec_lo, exec_lo, s0
.LBB638_48:
	s_and_saveexec_b32 s0, s16
	s_cbranch_execz .LBB638_50
; %bb.49:
	v_lshlrev_b64 v[0:1], 2, v[4:5]
	s_delay_alu instid0(VALU_DEP_1) | instskip(NEXT) | instid1(VALU_DEP_2)
	v_add_co_u32 v0, vcc_lo, s8, v0
	v_add_co_ci_u32_e32 v1, vcc_lo, s9, v1, vcc_lo
	global_store_b32 v[0:1], v3, off
.LBB638_50:
	s_nop 0
	s_sendmsg sendmsg(MSG_DEALLOC_VGPRS)
	s_endpgm
	.section	.rodata,"a",@progbits
	.p2align	6, 0x0
	.amdhsa_kernel _ZL20rocblas_gemvn_kernelILi64ELi16Ei16rocblas_bfloat16PKffEviiT3_lPKT2_lT1_lS6_lS7_lS3_lPT4_lS7_li
		.amdhsa_group_segment_fixed_size 16384
		.amdhsa_private_segment_fixed_size 0
		.amdhsa_kernarg_size 400
		.amdhsa_user_sgpr_count 14
		.amdhsa_user_sgpr_dispatch_ptr 0
		.amdhsa_user_sgpr_queue_ptr 0
		.amdhsa_user_sgpr_kernarg_segment_ptr 1
		.amdhsa_user_sgpr_dispatch_id 0
		.amdhsa_user_sgpr_private_segment_size 0
		.amdhsa_wavefront_size32 1
		.amdhsa_uses_dynamic_stack 0
		.amdhsa_enable_private_segment 0
		.amdhsa_system_sgpr_workgroup_id_x 1
		.amdhsa_system_sgpr_workgroup_id_y 0
		.amdhsa_system_sgpr_workgroup_id_z 1
		.amdhsa_system_sgpr_workgroup_info 0
		.amdhsa_system_vgpr_workitem_id 1
		.amdhsa_next_free_vgpr 41
		.amdhsa_next_free_sgpr 28
		.amdhsa_reserve_vcc 1
		.amdhsa_float_round_mode_32 0
		.amdhsa_float_round_mode_16_64 0
		.amdhsa_float_denorm_mode_32 3
		.amdhsa_float_denorm_mode_16_64 3
		.amdhsa_dx10_clamp 1
		.amdhsa_ieee_mode 1
		.amdhsa_fp16_overflow 0
		.amdhsa_workgroup_processor_mode 1
		.amdhsa_memory_ordered 1
		.amdhsa_forward_progress 0
		.amdhsa_shared_vgpr_count 0
		.amdhsa_exception_fp_ieee_invalid_op 0
		.amdhsa_exception_fp_denorm_src 0
		.amdhsa_exception_fp_ieee_div_zero 0
		.amdhsa_exception_fp_ieee_overflow 0
		.amdhsa_exception_fp_ieee_underflow 0
		.amdhsa_exception_fp_ieee_inexact 0
		.amdhsa_exception_int_div_zero 0
	.end_amdhsa_kernel
	.section	.text._ZL20rocblas_gemvn_kernelILi64ELi16Ei16rocblas_bfloat16PKffEviiT3_lPKT2_lT1_lS6_lS7_lS3_lPT4_lS7_li,"axG",@progbits,_ZL20rocblas_gemvn_kernelILi64ELi16Ei16rocblas_bfloat16PKffEviiT3_lPKT2_lT1_lS6_lS7_lS3_lPT4_lS7_li,comdat
.Lfunc_end638:
	.size	_ZL20rocblas_gemvn_kernelILi64ELi16Ei16rocblas_bfloat16PKffEviiT3_lPKT2_lT1_lS6_lS7_lS3_lPT4_lS7_li, .Lfunc_end638-_ZL20rocblas_gemvn_kernelILi64ELi16Ei16rocblas_bfloat16PKffEviiT3_lPKT2_lT1_lS6_lS7_lS3_lPT4_lS7_li
                                        ; -- End function
	.section	.AMDGPU.csdata,"",@progbits
; Kernel info:
; codeLenInByte = 3240
; NumSgprs: 30
; NumVgprs: 41
; ScratchSize: 0
; MemoryBound: 0
; FloatMode: 240
; IeeeMode: 1
; LDSByteSize: 16384 bytes/workgroup (compile time only)
; SGPRBlocks: 3
; VGPRBlocks: 5
; NumSGPRsForWavesPerEU: 30
; NumVGPRsForWavesPerEU: 41
; Occupancy: 16
; WaveLimiterHint : 1
; COMPUTE_PGM_RSRC2:SCRATCH_EN: 0
; COMPUTE_PGM_RSRC2:USER_SGPR: 14
; COMPUTE_PGM_RSRC2:TRAP_HANDLER: 0
; COMPUTE_PGM_RSRC2:TGID_X_EN: 1
; COMPUTE_PGM_RSRC2:TGID_Y_EN: 0
; COMPUTE_PGM_RSRC2:TGID_Z_EN: 1
; COMPUTE_PGM_RSRC2:TIDIG_COMP_CNT: 1
	.section	.text._ZL20rocblas_gemvn_kernelILi64ELi16El16rocblas_bfloat16PKffEviiT3_lPKT2_lT1_lS6_lS7_lS3_lPT4_lS7_li,"axG",@progbits,_ZL20rocblas_gemvn_kernelILi64ELi16El16rocblas_bfloat16PKffEviiT3_lPKT2_lT1_lS6_lS7_lS3_lPT4_lS7_li,comdat
	.globl	_ZL20rocblas_gemvn_kernelILi64ELi16El16rocblas_bfloat16PKffEviiT3_lPKT2_lT1_lS6_lS7_lS3_lPT4_lS7_li ; -- Begin function _ZL20rocblas_gemvn_kernelILi64ELi16El16rocblas_bfloat16PKffEviiT3_lPKT2_lT1_lS6_lS7_lS3_lPT4_lS7_li
	.p2align	8
	.type	_ZL20rocblas_gemvn_kernelILi64ELi16El16rocblas_bfloat16PKffEviiT3_lPKT2_lT1_lS6_lS7_lS3_lPT4_lS7_li,@function
_ZL20rocblas_gemvn_kernelILi64ELi16El16rocblas_bfloat16PKffEviiT3_lPKT2_lT1_lS6_lS7_lS3_lPT4_lS7_li: ; @_ZL20rocblas_gemvn_kernelILi64ELi16El16rocblas_bfloat16PKffEviiT3_lPKT2_lT1_lS6_lS7_lS3_lPT4_lS7_li
; %bb.0:
	s_load_b64 s[2:3], s[0:1], 0x9c
	s_waitcnt lgkmcnt(0)
	s_lshr_b32 s4, s2, 16
	s_and_b32 s2, s2, 0xffff
	s_and_b32 s3, s3, 0xffff
	s_mul_i32 s2, s4, s2
	s_delay_alu instid0(SALU_CYCLE_1) | instskip(NEXT) | instid1(SALU_CYCLE_1)
	s_mul_i32 s2, s2, s3
	s_cmpk_lg_i32 s2, 0x400
	s_cbranch_scc1 .LBB639_50
; %bb.1:
	s_clause 0x1
	s_load_b512 s[36:51], s[0:1], 0x8
	s_load_b512 s[16:31], s[0:1], 0x48
	s_waitcnt lgkmcnt(0)
	s_mul_i32 s3, s15, s39
	s_mul_hi_u32 s4, s15, s38
	s_mul_i32 s2, s15, s38
	s_add_i32 s3, s4, s3
	s_mul_i32 s4, s15, s23
	s_lshl_b64 s[2:3], s[2:3], 2
	s_mul_hi_u32 s5, s15, s22
	s_add_u32 s2, s36, s2
	s_addc_u32 s3, s37, s3
	s_add_i32 s5, s5, s4
	s_mul_i32 s4, s15, s22
	s_mov_b32 s23, 0
	s_lshl_b64 s[4:5], s[4:5], 2
	s_delay_alu instid0(SALU_CYCLE_1)
	s_add_u32 s4, s20, s4
	s_addc_u32 s5, s21, s5
	s_load_b32 s22, s[2:3], 0x0
	s_load_b32 s21, s[4:5], 0x0
	s_waitcnt lgkmcnt(0)
	v_cmp_eq_f32_e64 s2, s22, 0
	v_cmp_eq_f32_e64 s3, s21, 1.0
	s_delay_alu instid0(VALU_DEP_1) | instskip(NEXT) | instid1(SALU_CYCLE_1)
	s_and_b32 s2, s2, s3
	s_and_b32 vcc_lo, exec_lo, s2
	s_cbranch_vccnz .LBB639_50
; %bb.2:
	s_load_b64 s[6:7], s[0:1], 0x0
	v_and_b32_e32 v12, 0x3ff, v0
	v_bfe_u32 v13, v0, 10, 10
	s_mul_i32 s2, s15, s31
	s_mul_hi_u32 s3, s15, s30
	s_mul_i32 s0, s15, s30
	s_add_i32 s1, s3, s2
	v_lshl_add_u32 v11, v13, 6, v12
	s_lshl_b64 s[0:1], s[0:1], 2
	v_cmp_neq_f32_e64 s4, s22, 0
	s_add_u32 s2, s24, s0
	s_addc_u32 s3, s25, s1
	s_lshl_b64 s[0:1], s[26:27], 2
	s_delay_alu instid0(SALU_CYCLE_1)
	s_add_u32 s5, s2, s0
	v_cmp_gt_u32_e64 s0, 0x100, v11
	s_addc_u32 s20, s3, s1
	s_and_b32 vcc_lo, exec_lo, s4
	s_cbranch_vccnz .LBB639_9
; %bb.3:
	s_mov_b32 s1, 0
                                        ; implicit-def: $vgpr1
                                        ; implicit-def: $vgpr2_vgpr3
	s_and_saveexec_b32 s2, s0
	s_cbranch_execz .LBB639_10
; %bb.4:
	v_lshl_or_b32 v0, s14, 8, v11
	v_mov_b32_e32 v1, 0
	s_waitcnt lgkmcnt(0)
	s_ashr_i32 s9, s6, 31
	s_mov_b32 s8, s6
	s_mov_b32 s3, 0
	s_mov_b32 s0, exec_lo
                                        ; implicit-def: $vgpr2_vgpr3
	v_cmpx_gt_i64_e64 s[8:9], v[0:1]
	s_cbranch_execz .LBB639_8
; %bb.5:
	v_mad_u64_u32 v[2:3], null, v0, s28, 0
	v_cmp_eq_f32_e64 s3, s21, 0
	s_delay_alu instid0(VALU_DEP_1) | instskip(NEXT) | instid1(VALU_DEP_2)
	s_and_b32 vcc_lo, exec_lo, s3
	v_mad_u64_u32 v[4:5], null, v0, s29, v[3:4]
	s_delay_alu instid0(VALU_DEP_1)
	v_mov_b32_e32 v3, v4
	s_cbranch_vccnz .LBB639_7
; %bb.6:
	s_delay_alu instid0(VALU_DEP_1) | instskip(NEXT) | instid1(VALU_DEP_1)
	v_lshlrev_b64 v[0:1], 2, v[2:3]
	v_add_co_u32 v0, vcc_lo, s5, v0
	s_delay_alu instid0(VALU_DEP_2)
	v_add_co_ci_u32_e32 v1, vcc_lo, s20, v1, vcc_lo
	global_load_b32 v0, v[0:1], off
	s_waitcnt vmcnt(0)
	v_mul_f32_e32 v1, s21, v0
.LBB639_7:
	s_mov_b32 s3, exec_lo
.LBB639_8:
	s_or_b32 exec_lo, exec_lo, s0
	s_delay_alu instid0(SALU_CYCLE_1) | instskip(SKIP_1) | instid1(SALU_CYCLE_1)
	s_and_b32 s23, s3, exec_lo
	s_or_b32 exec_lo, exec_lo, s2
	s_and_b32 vcc_lo, exec_lo, s1
	s_cbranch_vccnz .LBB639_11
	s_branch .LBB639_48
.LBB639_9:
                                        ; implicit-def: $vgpr1
                                        ; implicit-def: $vgpr2_vgpr3
	s_cbranch_execnz .LBB639_11
	s_branch .LBB639_48
.LBB639_10:
	s_or_b32 exec_lo, exec_lo, s2
	s_delay_alu instid0(SALU_CYCLE_1)
	s_and_b32 vcc_lo, exec_lo, s1
	s_cbranch_vccz .LBB639_48
.LBB639_11:
	s_mul_i32 s0, s15, s47
	s_mul_hi_u32 s1, s15, s46
	s_lshl_b32 s24, s14, 8
	s_add_i32 s9, s1, s0
	s_waitcnt lgkmcnt(0)
	s_ashr_i32 s1, s7, 31
	v_dual_mov_b32 v15, 0 :: v_dual_lshlrev_b32 v18, 2, v13
	s_lshr_b32 s1, s1, 26
	v_dual_mov_b32 v17, 0 :: v_dual_add_nc_u32 v0, s24, v12
	v_mov_b32_e32 v14, 0
	v_mov_b32_e32 v16, 0
	s_mul_i32 s0, s15, s19
	s_mul_hi_u32 s2, s15, s18
	s_add_i32 s25, s7, s1
	s_mul_i32 s8, s15, s46
	s_and_not1_b32 s25, s25, 63
	s_add_i32 s11, s2, s0
	s_mul_i32 s10, s15, s18
	s_mov_b32 s26, exec_lo
	v_cmpx_gt_i32_e64 s25, v18
	s_cbranch_execz .LBB639_23
; %bb.12:
	v_lshlrev_b32_e32 v29, 2, v13
	v_mad_u64_u32 v[2:3], null, s16, v13, 0
	v_add_nc_u32_e32 v15, 0x80, v0
	s_lshl_b64 s[0:1], s[10:11], 1
	s_delay_alu instid0(VALU_DEP_3)
	v_or_b32_e32 v16, 3, v29
	s_lshl_b64 s[12:13], s[50:51], 1
	s_add_u32 s4, s48, s0
	s_addc_u32 s27, s49, s1
	v_cmp_gt_i32_e64 s1, s6, v15
	v_mad_u64_u32 v[4:5], null, s44, v16, 0
	s_lshl_b64 s[18:19], s[42:43], 1
	s_lshl_b64 s[14:15], s[16:17], 7
	;; [unrolled: 1-line block ×3, first 2 shown]
	v_ashrrev_i32_e32 v1, 31, v0
	v_cmp_gt_i32_e32 vcc_lo, s6, v0
	s_delay_alu instid0(VALU_DEP_3) | instskip(SKIP_2) | instid1(VALU_DEP_3)
	v_mad_u64_u32 v[6:7], null, s17, v13, v[3:4]
	v_add_nc_u32_e32 v14, 64, v0
	v_mad_u64_u32 v[7:8], null, s16, v16, 0
	v_mov_b32_e32 v3, v6
	v_mad_u64_u32 v[9:10], null, s45, v16, v[5:6]
	s_delay_alu instid0(VALU_DEP_4) | instskip(NEXT) | instid1(VALU_DEP_3)
	v_cmp_gt_i32_e64 s0, s6, v14
	v_lshlrev_b64 v[14:15], 3, v[2:3]
	v_mov_b32_e32 v3, v8
	v_lshlrev_b64 v[1:2], 1, v[0:1]
	v_mov_b32_e32 v5, v9
	v_mad_u64_u32 v[9:10], null, s44, v13, 0
	v_add_co_u32 v19, s3, s4, v14
	s_delay_alu instid0(VALU_DEP_3) | instskip(SKIP_4) | instid1(VALU_DEP_2)
	v_lshlrev_b64 v[4:5], 1, v[4:5]
	v_add_co_ci_u32_e64 v20, s3, s27, v15, s3
	s_add_u32 s3, s40, s18
	s_addc_u32 s18, s41, s19
	s_add_u32 s19, s3, s30
	v_mad_u64_u32 v[14:15], null, s17, v16, v[3:4]
	v_mov_b32_e32 v3, v10
	s_addc_u32 s18, s18, s31
	v_add_co_u32 v21, s3, s19, v4
	s_delay_alu instid0(VALU_DEP_1) | instskip(NEXT) | instid1(VALU_DEP_4)
	v_add_co_ci_u32_e64 v22, s3, s18, v5, s3
	v_mov_b32_e32 v8, v14
	v_or_b32_e32 v23, 2, v29
	v_mad_u64_u32 v[31:32], null, s44, v29, s[44:45]
	s_delay_alu instid0(VALU_DEP_2) | instskip(SKIP_1) | instid1(VALU_DEP_2)
	v_mad_u64_u32 v[27:28], null, s16, v23, 0
	v_mad_u64_u32 v[14:15], null, s44, v23, 0
	v_dual_mov_b32 v6, v28 :: v_dual_add_nc_u32 v17, 0xc0, v0
	s_delay_alu instid0(VALU_DEP_1) | instskip(SKIP_3) | instid1(VALU_DEP_1)
	v_cmp_gt_i32_e64 s2, s6, v17
	v_mad_u64_u32 v[16:17], null, s45, v13, v[3:4]
	v_lshlrev_b64 v[4:5], 1, v[7:8]
	v_mov_b32_e32 v3, v15
	v_mad_u64_u32 v[7:8], null, s45, v23, v[3:4]
	s_delay_alu instid0(VALU_DEP_4) | instskip(SKIP_1) | instid1(VALU_DEP_3)
	v_mov_b32_e32 v10, v16
	v_mad_u64_u32 v[16:17], null, s16, v29, s[16:17]
	v_mad_u64_u32 v[25:26], null, s17, v23, v[6:7]
	v_add_co_u32 v23, s3, s4, v4
	s_delay_alu instid0(VALU_DEP_1) | instskip(SKIP_3) | instid1(VALU_DEP_3)
	v_add_co_ci_u32_e64 v24, s3, s27, v5, s3
	v_lshlrev_b64 v[4:5], 3, v[9:10]
	v_mov_b32_e32 v3, v17
	v_dual_mov_b32 v15, v7 :: v_dual_mov_b32 v28, v25
	v_add_co_u32 v25, s3, s19, v4
	s_delay_alu instid0(VALU_DEP_3) | instskip(SKIP_1) | instid1(VALU_DEP_4)
	v_mad_u64_u32 v[6:7], null, s17, v29, v[3:4]
	v_add_co_ci_u32_e64 v26, s3, s18, v5, s3
	v_lshlrev_b64 v[4:5], 1, v[14:15]
	v_dual_mov_b32 v3, v32 :: v_dual_mov_b32 v14, 0
	v_mov_b32_e32 v15, 0
	v_mov_b32_e32 v17, v6
	s_delay_alu instid0(VALU_DEP_3) | instskip(SKIP_2) | instid1(VALU_DEP_4)
	v_mad_u64_u32 v[7:8], null, s45, v29, v[3:4]
	v_lshlrev_b64 v[8:9], 1, v[27:28]
	v_add_co_u32 v27, s3, s19, v4
	v_lshlrev_b64 v[3:4], 1, v[16:17]
	v_mov_b32_e32 v16, 0
	v_add_co_ci_u32_e64 v28, s3, s18, v5, s3
	v_mov_b32_e32 v32, v7
	v_add_co_u32 v29, s3, s4, v8
	s_delay_alu instid0(VALU_DEP_1) | instskip(NEXT) | instid1(VALU_DEP_3)
	v_add_co_ci_u32_e64 v30, s3, s27, v9, s3
	v_lshlrev_b64 v[5:6], 1, v[31:32]
	v_add_co_u32 v31, s3, s4, v3
	s_delay_alu instid0(VALU_DEP_1) | instskip(SKIP_1) | instid1(VALU_DEP_4)
	v_add_co_ci_u32_e64 v32, s3, s27, v4, s3
	v_mov_b32_e32 v17, 0
	v_add_co_u32 v33, s3, s19, v5
	s_delay_alu instid0(VALU_DEP_1)
	v_add_co_ci_u32_e64 v34, s3, s18, v6, s3
	s_lshl_b64 s[18:19], s[44:45], 7
	s_mov_b32 s27, 0
	s_branch .LBB639_17
.LBB639_13:                             ;   in Loop: Header=BB639_17 Depth=1
	s_or_b32 exec_lo, exec_lo, s31
	s_waitcnt vmcnt(2)
	v_lshlrev_b32_e32 v4, 16, v49
	v_lshlrev_b32_e32 v3, 16, v50
	s_waitcnt vmcnt(1)
	s_delay_alu instid0(VALU_DEP_1) | instskip(NEXT) | instid1(VALU_DEP_1)
	v_dual_fmac_f32 v16, v42, v3 :: v_dual_lshlrev_b32 v3, 16, v48
	v_fmac_f32_e32 v16, v40, v4
	s_delay_alu instid0(VALU_DEP_1) | instskip(SKIP_2) | instid1(VALU_DEP_1)
	v_fmac_f32_e32 v16, v38, v3
	s_waitcnt vmcnt(0)
	v_lshlrev_b32_e32 v3, 16, v47
	v_fmac_f32_e32 v16, v37, v3
.LBB639_14:                             ;   in Loop: Header=BB639_17 Depth=1
	s_or_b32 exec_lo, exec_lo, s30
	s_waitcnt vmcnt(3)
	v_lshlrev_b32_e32 v3, 16, v46
	s_waitcnt vmcnt(2)
	s_delay_alu instid0(VALU_DEP_1) | instskip(SKIP_2) | instid1(VALU_DEP_2)
	v_dual_fmac_f32 v15, v42, v3 :: v_dual_lshlrev_b32 v4, 16, v45
	s_waitcnt vmcnt(1)
	v_lshlrev_b32_e32 v3, 16, v44
	v_fmac_f32_e32 v15, v40, v4
	s_delay_alu instid0(VALU_DEP_1) | instskip(SKIP_2) | instid1(VALU_DEP_1)
	v_fmac_f32_e32 v15, v38, v3
	s_waitcnt vmcnt(0)
	v_lshlrev_b32_e32 v3, 16, v43
	v_fmac_f32_e32 v15, v37, v3
.LBB639_15:                             ;   in Loop: Header=BB639_17 Depth=1
	s_or_b32 exec_lo, exec_lo, s3
	s_waitcnt vmcnt(2)
	v_lshlrev_b32_e32 v4, 16, v39
	v_lshlrev_b32_e32 v3, 16, v41
	s_waitcnt vmcnt(1)
	s_delay_alu instid0(VALU_DEP_1) | instskip(NEXT) | instid1(VALU_DEP_1)
	v_dual_fmac_f32 v14, v42, v3 :: v_dual_lshlrev_b32 v3, 16, v36
	v_fmac_f32_e32 v14, v40, v4
	s_delay_alu instid0(VALU_DEP_1) | instskip(SKIP_2) | instid1(VALU_DEP_1)
	v_fmac_f32_e32 v14, v38, v3
	s_waitcnt vmcnt(0)
	v_lshlrev_b32_e32 v3, 16, v35
	v_fmac_f32_e32 v14, v37, v3
.LBB639_16:                             ;   in Loop: Header=BB639_17 Depth=1
	s_or_b32 exec_lo, exec_lo, s4
	v_add_co_u32 v19, s3, v19, s14
	s_delay_alu instid0(VALU_DEP_1) | instskip(SKIP_1) | instid1(VALU_DEP_1)
	v_add_co_ci_u32_e64 v20, s3, s15, v20, s3
	v_add_co_u32 v21, s3, v21, s18
	v_add_co_ci_u32_e64 v22, s3, s19, v22, s3
	v_add_co_u32 v23, s3, v23, s14
	s_delay_alu instid0(VALU_DEP_1) | instskip(SKIP_1) | instid1(VALU_DEP_1)
	v_add_co_ci_u32_e64 v24, s3, s15, v24, s3
	v_add_co_u32 v25, s3, v25, s18
	v_add_co_ci_u32_e64 v26, s3, s19, v26, s3
	v_add_co_u32 v27, s3, v27, s18
	s_delay_alu instid0(VALU_DEP_1) | instskip(SKIP_4) | instid1(VALU_DEP_1)
	v_add_co_ci_u32_e64 v28, s3, s19, v28, s3
	v_add_co_u32 v29, s3, v29, s14
	v_add_nc_u32_e32 v18, 64, v18
	v_add_co_ci_u32_e64 v30, s3, s15, v30, s3
	v_add_co_u32 v31, s3, v31, s14
	v_add_co_ci_u32_e64 v32, s3, s15, v32, s3
	s_delay_alu instid0(VALU_DEP_4) | instskip(SKIP_1) | instid1(VALU_DEP_1)
	v_cmp_le_i32_e64 s3, s25, v18
	v_add_co_u32 v33, s4, v33, s18
	v_add_co_ci_u32_e64 v34, s4, s19, v34, s4
	s_delay_alu instid0(VALU_DEP_3) | instskip(NEXT) | instid1(SALU_CYCLE_1)
	s_or_b32 s27, s3, s27
	s_and_not1_b32 exec_lo, exec_lo, s27
	s_cbranch_execz .LBB639_22
.LBB639_17:                             ; =>This Inner Loop Header: Depth=1
	s_and_saveexec_b32 s4, vcc_lo
	s_cbranch_execz .LBB639_16
; %bb.18:                               ;   in Loop: Header=BB639_17 Depth=1
	v_add_co_u32 v3, s3, v19, s12
	s_delay_alu instid0(VALU_DEP_1) | instskip(SKIP_1) | instid1(VALU_DEP_1)
	v_add_co_ci_u32_e64 v4, s3, s13, v20, s3
	v_add_co_u32 v5, s3, v31, s12
	v_add_co_ci_u32_e64 v6, s3, s13, v32, s3
	v_add_co_u32 v7, s3, v29, s12
	s_delay_alu instid0(VALU_DEP_1) | instskip(SKIP_1) | instid1(VALU_DEP_1)
	v_add_co_ci_u32_e64 v8, s3, s13, v30, s3
	v_add_co_u32 v9, s3, v23, s12
	v_add_co_ci_u32_e64 v10, s3, s13, v24, s3
	global_load_u16 v37, v[3:4], off
	global_load_u16 v38, v[5:6], off
	;; [unrolled: 1-line block ×4, first 2 shown]
	v_add_co_u32 v3, s3, v25, v1
	s_delay_alu instid0(VALU_DEP_1) | instskip(SKIP_1) | instid1(VALU_DEP_1)
	v_add_co_ci_u32_e64 v4, s3, v26, v2, s3
	v_add_co_u32 v5, s3, v33, v1
	v_add_co_ci_u32_e64 v6, s3, v34, v2, s3
	v_add_co_u32 v7, s3, v27, v1
	s_delay_alu instid0(VALU_DEP_1) | instskip(SKIP_1) | instid1(VALU_DEP_1)
	v_add_co_ci_u32_e64 v8, s3, v28, v2, s3
	v_add_co_u32 v9, s3, v21, v1
	v_add_co_ci_u32_e64 v10, s3, v22, v2, s3
	global_load_u16 v41, v[3:4], off
	global_load_u16 v39, v[5:6], off
	;; [unrolled: 1-line block ×4, first 2 shown]
	s_waitcnt vmcnt(7)
	v_lshlrev_b32_e32 v42, 16, v37
	s_waitcnt vmcnt(6)
	v_lshlrev_b32_e32 v40, 16, v38
	;; [unrolled: 2-line block ×4, first 2 shown]
	s_and_saveexec_b32 s3, s0
	s_cbranch_execz .LBB639_15
; %bb.19:                               ;   in Loop: Header=BB639_17 Depth=1
	global_load_u16 v46, v[3:4], off offset:128
	global_load_u16 v45, v[5:6], off offset:128
	global_load_u16 v44, v[7:8], off offset:128
	global_load_u16 v43, v[9:10], off offset:128
	s_and_saveexec_b32 s30, s1
	s_cbranch_execz .LBB639_14
; %bb.20:                               ;   in Loop: Header=BB639_17 Depth=1
	global_load_u16 v50, v[3:4], off offset:256
	global_load_u16 v49, v[5:6], off offset:256
	global_load_u16 v48, v[7:8], off offset:256
	global_load_u16 v47, v[9:10], off offset:256
	;; [unrolled: 7-line block ×3, first 2 shown]
	s_waitcnt vmcnt(3)
	v_lshlrev_b32_e32 v3, 16, v3
	s_waitcnt vmcnt(2)
	s_delay_alu instid0(VALU_DEP_1) | instskip(SKIP_2) | instid1(VALU_DEP_2)
	v_dual_fmac_f32 v17, v42, v3 :: v_dual_lshlrev_b32 v4, 16, v4
	s_waitcnt vmcnt(1)
	v_lshlrev_b32_e32 v3, 16, v5
	v_fmac_f32_e32 v17, v40, v4
	s_delay_alu instid0(VALU_DEP_1) | instskip(SKIP_2) | instid1(VALU_DEP_1)
	v_fmac_f32_e32 v17, v38, v3
	s_waitcnt vmcnt(0)
	v_lshlrev_b32_e32 v3, 16, v6
	v_fmac_f32_e32 v17, v37, v3
	s_branch .LBB639_13
.LBB639_22:
	s_or_b32 exec_lo, exec_lo, s27
.LBB639_23:
	s_delay_alu instid0(SALU_CYCLE_1) | instskip(SKIP_1) | instid1(SALU_CYCLE_1)
	s_or_b32 exec_lo, exec_lo, s26
	s_sub_i32 s0, s7, s25
	s_cmp_lt_i32 s0, 1
	s_cbranch_scc1 .LBB639_41
; %bb.24:
	v_cmp_gt_i32_e32 vcc_lo, s7, v18
	v_dual_mov_b32 v9, 0 :: v_dual_mov_b32 v10, 0
	v_or_b32_e32 v2, 1, v18
	v_dual_mov_b32 v19, 0 :: v_dual_mov_b32 v20, 0
	s_and_saveexec_b32 s1, vcc_lo
	s_cbranch_execz .LBB639_32
; %bb.25:
	v_mad_u64_u32 v[3:4], null, v18, s16, 0
	s_lshl_b64 s[2:3], s[10:11], 1
	v_mov_b32_e32 v19, 0
	s_add_u32 s0, s48, s2
	s_addc_u32 s2, s49, s3
	s_lshl_b64 s[10:11], s[50:51], 1
	v_mov_b32_e32 v9, 0
	s_delay_alu instid0(VALU_DEP_3) | instskip(SKIP_3) | instid1(VALU_DEP_1)
	v_dual_mov_b32 v1, v4 :: v_dual_mov_b32 v10, 0
	s_add_u32 s3, s0, s10
	s_addc_u32 s4, s2, s11
	s_mov_b32 s2, exec_lo
	v_mad_u64_u32 v[4:5], null, v18, s17, v[1:2]
	s_delay_alu instid0(VALU_DEP_1) | instskip(NEXT) | instid1(VALU_DEP_1)
	v_lshlrev_b64 v[3:4], 1, v[3:4]
	v_add_co_u32 v3, s0, s3, v3
	s_delay_alu instid0(VALU_DEP_1)
	v_add_co_ci_u32_e64 v4, s0, s4, v4, s0
	global_load_u16 v1, v[3:4], off
	v_cmpx_gt_i32_e64 s7, v2
	s_cbranch_execz .LBB639_31
; %bb.26:
	v_mad_u64_u32 v[3:4], null, v2, s16, 0
	v_mov_b32_e32 v10, 0
	s_mov_b32 s10, exec_lo
	v_mov_b32_e32 v9, 0
	s_delay_alu instid0(VALU_DEP_3) | instskip(NEXT) | instid1(VALU_DEP_1)
	v_mad_u64_u32 v[5:6], null, v2, s17, v[4:5]
	v_mov_b32_e32 v4, v5
	s_delay_alu instid0(VALU_DEP_1) | instskip(NEXT) | instid1(VALU_DEP_1)
	v_lshlrev_b64 v[3:4], 1, v[3:4]
	v_add_co_u32 v3, s0, s3, v3
	s_delay_alu instid0(VALU_DEP_1) | instskip(SKIP_2) | instid1(VALU_DEP_1)
	v_add_co_ci_u32_e64 v4, s0, s4, v4, s0
	global_load_u16 v3, v[3:4], off
	v_or_b32_e32 v4, 2, v18
	v_cmpx_gt_i32_e64 s7, v4
	s_cbranch_execz .LBB639_30
; %bb.27:
	v_mad_u64_u32 v[5:6], null, v4, s16, 0
	s_mov_b32 s11, exec_lo
	v_mov_b32_e32 v9, 0
	s_delay_alu instid0(VALU_DEP_2) | instskip(NEXT) | instid1(VALU_DEP_1)
	v_mad_u64_u32 v[7:8], null, v4, s17, v[6:7]
	v_mov_b32_e32 v6, v7
	s_delay_alu instid0(VALU_DEP_1) | instskip(NEXT) | instid1(VALU_DEP_1)
	v_lshlrev_b64 v[4:5], 1, v[5:6]
	v_add_co_u32 v4, s0, s3, v4
	s_delay_alu instid0(VALU_DEP_1) | instskip(SKIP_2) | instid1(VALU_DEP_1)
	v_add_co_ci_u32_e64 v5, s0, s4, v5, s0
	global_load_u16 v4, v[4:5], off
	v_or_b32_e32 v5, 3, v18
	v_cmpx_gt_i32_e64 s7, v5
	s_cbranch_execz .LBB639_29
; %bb.28:
	v_mad_u64_u32 v[6:7], null, v5, s16, 0
	s_delay_alu instid0(VALU_DEP_1) | instskip(NEXT) | instid1(VALU_DEP_1)
	v_mad_u64_u32 v[8:9], null, v5, s17, v[7:8]
	v_mov_b32_e32 v7, v8
	s_delay_alu instid0(VALU_DEP_1) | instskip(NEXT) | instid1(VALU_DEP_1)
	v_lshlrev_b64 v[5:6], 1, v[6:7]
	v_add_co_u32 v5, s0, s3, v5
	s_delay_alu instid0(VALU_DEP_1)
	v_add_co_ci_u32_e64 v6, s0, s4, v6, s0
	global_load_u16 v5, v[5:6], off
	s_waitcnt vmcnt(0)
	v_lshlrev_b32_e32 v9, 16, v5
.LBB639_29:
	s_or_b32 exec_lo, exec_lo, s11
	s_waitcnt vmcnt(0)
	v_lshlrev_b32_e32 v10, 16, v4
.LBB639_30:
	s_or_b32 exec_lo, exec_lo, s10
	s_waitcnt vmcnt(0)
	v_lshlrev_b32_e32 v19, 16, v3
.LBB639_31:
	s_or_b32 exec_lo, exec_lo, s2
	s_waitcnt vmcnt(0)
	v_lshlrev_b32_e32 v20, 16, v1
.LBB639_32:
	s_or_b32 exec_lo, exec_lo, s1
	s_delay_alu instid0(SALU_CYCLE_1)
	s_mov_b32 s1, exec_lo
	v_cmpx_gt_i32_e64 s6, v0
	s_cbranch_execz .LBB639_40
; %bb.33:
	v_mad_u64_u32 v[3:4], null, v18, s44, 0
	v_mad_u64_u32 v[5:6], null, v2, s44, 0
	v_ashrrev_i32_e32 v1, 31, v0
	s_lshl_b64 s[2:3], s[8:9], 1
	v_or_b32_e32 v28, 2, v18
	s_add_u32 s0, s40, s2
	s_delay_alu instid0(VALU_DEP_4)
	v_cndmask_b32_e32 v3, 0, v3, vcc_lo
	v_lshlrev_b64 v[21:22], 1, v[0:1]
	v_mad_u64_u32 v[7:8], null, v18, s45, v[4:5]
	s_addc_u32 s4, s41, s3
	s_lshl_b64 s[2:3], s[42:43], 1
	v_or_b32_e32 v18, 3, v18
	s_add_u32 s2, s0, s2
	v_mov_b32_e32 v1, v6
	v_mad_u64_u32 v[23:24], null, v28, s44, 0
	s_delay_alu instid0(VALU_DEP_4) | instskip(SKIP_1) | instid1(VALU_DEP_4)
	v_cndmask_b32_e32 v4, 0, v7, vcc_lo
	v_cmp_gt_i32_e32 vcc_lo, s7, v2
	v_mad_u64_u32 v[25:26], null, v2, s45, v[1:2]
	s_addc_u32 s3, s4, s3
	v_mad_u64_u32 v[6:7], null, v18, s44, 0
	v_cndmask_b32_e32 v26, 0, v5, vcc_lo
	v_lshlrev_b64 v[3:4], 1, v[3:4]
	s_delay_alu instid0(VALU_DEP_4) | instskip(NEXT) | instid1(VALU_DEP_2)
	v_cndmask_b32_e32 v27, 0, v25, vcc_lo
	v_add_co_u32 v1, s0, s2, v3
	s_delay_alu instid0(VALU_DEP_1) | instskip(NEXT) | instid1(VALU_DEP_3)
	v_add_co_ci_u32_e64 v2, s0, s3, v4, s0
	v_lshlrev_b64 v[3:4], 1, v[26:27]
	s_delay_alu instid0(VALU_DEP_3) | instskip(NEXT) | instid1(VALU_DEP_3)
	v_add_co_u32 v1, vcc_lo, v1, v21
	v_add_co_ci_u32_e32 v2, vcc_lo, v2, v22, vcc_lo
	v_cmp_gt_i32_e32 vcc_lo, s7, v28
	v_mov_b32_e32 v5, v24
	v_add_co_u32 v3, s0, s2, v3
	s_delay_alu instid0(VALU_DEP_1) | instskip(NEXT) | instid1(VALU_DEP_3)
	v_add_co_ci_u32_e64 v4, s0, s3, v4, s0
	v_mad_u64_u32 v[24:25], null, v28, s45, v[5:6]
	s_delay_alu instid0(VALU_DEP_3) | instskip(SKIP_1) | instid1(VALU_DEP_4)
	v_add_co_u32 v3, s0, v3, v21
	v_mov_b32_e32 v5, v7
	v_add_co_ci_u32_e64 v4, s0, v4, v22, s0
	s_delay_alu instid0(VALU_DEP_4) | instskip(NEXT) | instid1(VALU_DEP_3)
	v_dual_cndmask_b32 v7, 0, v23 :: v_dual_cndmask_b32 v8, 0, v24
	v_mad_u64_u32 v[25:26], null, v18, s45, v[5:6]
	v_cmp_gt_i32_e32 vcc_lo, s7, v18
	s_clause 0x1
	global_load_u16 v18, v[1:2], off
	global_load_u16 v23, v[3:4], off
	s_mov_b32 s0, exec_lo
	s_waitcnt vmcnt(1)
	v_lshlrev_b32_e32 v18, 16, v18
	s_waitcnt vmcnt(0)
	s_delay_alu instid0(VALU_DEP_1) | instskip(SKIP_2) | instid1(VALU_DEP_3)
	v_dual_fmac_f32 v14, v20, v18 :: v_dual_lshlrev_b32 v23, 16, v23
	v_dual_cndmask_b32 v5, 0, v6 :: v_dual_cndmask_b32 v6, 0, v25
	v_lshlrev_b64 v[7:8], 1, v[7:8]
	v_dual_fmac_f32 v14, v19, v23 :: v_dual_add_nc_u32 v23, 64, v0
	s_delay_alu instid0(VALU_DEP_3) | instskip(NEXT) | instid1(VALU_DEP_3)
	v_lshlrev_b64 v[5:6], 1, v[5:6]
	v_add_co_u32 v7, vcc_lo, s2, v7
	s_delay_alu instid0(VALU_DEP_4) | instskip(NEXT) | instid1(VALU_DEP_3)
	v_add_co_ci_u32_e32 v8, vcc_lo, s3, v8, vcc_lo
	v_add_co_u32 v5, vcc_lo, s2, v5
	s_delay_alu instid0(VALU_DEP_4) | instskip(NEXT) | instid1(VALU_DEP_4)
	v_add_co_ci_u32_e32 v6, vcc_lo, s3, v6, vcc_lo
	v_add_co_u32 v7, vcc_lo, v7, v21
	s_delay_alu instid0(VALU_DEP_4) | instskip(NEXT) | instid1(VALU_DEP_4)
	v_add_co_ci_u32_e32 v8, vcc_lo, v8, v22, vcc_lo
	v_add_co_u32 v5, vcc_lo, v5, v21
	s_delay_alu instid0(VALU_DEP_4)
	v_add_co_ci_u32_e32 v6, vcc_lo, v6, v22, vcc_lo
	s_clause 0x1
	global_load_u16 v21, v[7:8], off
	global_load_u16 v22, v[5:6], off
	s_waitcnt vmcnt(1)
	v_lshlrev_b32_e32 v21, 16, v21
	s_waitcnt vmcnt(0)
	v_lshlrev_b32_e32 v18, 16, v22
	s_delay_alu instid0(VALU_DEP_2)
	v_fmac_f32_e32 v14, v10, v21
	v_cmpx_gt_i32_e64 s6, v23
	s_cbranch_execz .LBB639_39
; %bb.34:
	s_clause 0x3
	global_load_u16 v21, v[1:2], off offset:128
	global_load_u16 v22, v[3:4], off offset:128
	;; [unrolled: 1-line block ×4, first 2 shown]
	s_mov_b32 s2, exec_lo
	s_waitcnt vmcnt(3)
	v_lshlrev_b32_e32 v21, 16, v21
	s_waitcnt vmcnt(2)
	v_lshlrev_b32_e32 v22, 16, v22
	;; [unrolled: 2-line block ×3, first 2 shown]
	v_fmac_f32_e32 v15, v20, v21
	s_waitcnt vmcnt(0)
	v_lshlrev_b32_e32 v21, 16, v24
	s_delay_alu instid0(VALU_DEP_2) | instskip(NEXT) | instid1(VALU_DEP_1)
	v_dual_fmac_f32 v15, v19, v22 :: v_dual_add_nc_u32 v22, 0x80, v0
	v_fmac_f32_e32 v15, v10, v23
	s_delay_alu instid0(VALU_DEP_2)
	v_cmpx_gt_i32_e64 s6, v22
	s_cbranch_execz .LBB639_38
; %bb.35:
	s_clause 0x3
	global_load_u16 v22, v[1:2], off offset:256
	global_load_u16 v23, v[3:4], off offset:256
	;; [unrolled: 1-line block ×4, first 2 shown]
	s_mov_b32 s3, exec_lo
	s_waitcnt vmcnt(3)
	v_lshlrev_b32_e32 v22, 16, v22
	s_waitcnt vmcnt(2)
	s_delay_alu instid0(VALU_DEP_1) | instskip(SKIP_2) | instid1(VALU_DEP_2)
	v_dual_fmac_f32 v16, v20, v22 :: v_dual_lshlrev_b32 v23, 16, v23
	s_waitcnt vmcnt(1)
	v_lshlrev_b32_e32 v22, 16, v24
	v_dual_fmac_f32 v16, v19, v23 :: v_dual_add_nc_u32 v23, 0xc0, v0
	s_waitcnt vmcnt(0)
	v_lshlrev_b32_e32 v0, 16, v25
	s_delay_alu instid0(VALU_DEP_2) | instskip(NEXT) | instid1(VALU_DEP_3)
	v_fmac_f32_e32 v16, v10, v22
	v_cmpx_gt_i32_e64 s6, v23
	s_cbranch_execz .LBB639_37
; %bb.36:
	s_clause 0x3
	global_load_u16 v1, v[1:2], off offset:384
	global_load_u16 v2, v[3:4], off offset:384
	global_load_u16 v3, v[7:8], off offset:384
	global_load_u16 v4, v[5:6], off offset:384
	s_waitcnt vmcnt(3)
	v_lshlrev_b32_e32 v1, 16, v1
	s_waitcnt vmcnt(2)
	s_delay_alu instid0(VALU_DEP_1) | instskip(SKIP_2) | instid1(VALU_DEP_2)
	v_dual_fmac_f32 v17, v20, v1 :: v_dual_lshlrev_b32 v2, 16, v2
	s_waitcnt vmcnt(1)
	v_lshlrev_b32_e32 v1, 16, v3
	v_fmac_f32_e32 v17, v19, v2
	s_delay_alu instid0(VALU_DEP_1) | instskip(SKIP_2) | instid1(VALU_DEP_1)
	v_fmac_f32_e32 v17, v10, v1
	s_waitcnt vmcnt(0)
	v_lshlrev_b32_e32 v1, 16, v4
	v_fmac_f32_e32 v17, v9, v1
.LBB639_37:
	s_or_b32 exec_lo, exec_lo, s3
	s_delay_alu instid0(VALU_DEP_2)
	v_fmac_f32_e32 v16, v9, v0
.LBB639_38:
	s_or_b32 exec_lo, exec_lo, s2
	s_delay_alu instid0(VALU_DEP_2)
	v_fmac_f32_e32 v15, v9, v21
.LBB639_39:
	s_or_b32 exec_lo, exec_lo, s0
	s_delay_alu instid0(VALU_DEP_2)
	v_fmac_f32_e32 v14, v9, v18
.LBB639_40:
	s_or_b32 exec_lo, exec_lo, s1
.LBB639_41:
	v_lshlrev_b32_e32 v0, 8, v13
	s_mov_b32 s0, exec_lo
                                        ; implicit-def: $vgpr1
                                        ; implicit-def: $vgpr2_vgpr3
	s_delay_alu instid0(VALU_DEP_1)
	v_add_lshl_u32 v0, v0, v12, 2
	ds_store_2addr_stride64_b32 v0, v14, v15 offset1:1
	ds_store_2addr_stride64_b32 v0, v16, v17 offset0:2 offset1:3
	s_waitcnt lgkmcnt(0)
	s_barrier
	buffer_gl0_inv
	v_cmpx_gt_u32_e32 0x100, v11
	s_cbranch_execz .LBB639_47
; %bb.42:
	v_lshlrev_b32_e32 v6, 2, v11
	s_mov_b32 s2, s23
	s_mov_b32 s1, exec_lo
	ds_load_2addr_stride64_b32 v[0:1], v6 offset1:4
	ds_load_2addr_stride64_b32 v[2:3], v6 offset0:8 offset1:12
	ds_load_2addr_stride64_b32 v[4:5], v6 offset0:16 offset1:20
	s_waitcnt lgkmcnt(2)
	v_add_f32_e32 v7, v0, v1
	ds_load_2addr_stride64_b32 v[0:1], v6 offset0:24 offset1:28
	s_waitcnt lgkmcnt(2)
	v_add_f32_e32 v2, v2, v7
	s_delay_alu instid0(VALU_DEP_1) | instskip(SKIP_3) | instid1(VALU_DEP_1)
	v_add_f32_e32 v7, v3, v2
	ds_load_2addr_stride64_b32 v[2:3], v6 offset0:32 offset1:36
	s_waitcnt lgkmcnt(2)
	v_add_f32_e32 v4, v4, v7
	v_add_f32_e32 v7, v5, v4
	ds_load_2addr_stride64_b32 v[4:5], v6 offset0:40 offset1:44
	s_waitcnt lgkmcnt(2)
	v_add_f32_e32 v0, v0, v7
	s_delay_alu instid0(VALU_DEP_1) | instskip(SKIP_1) | instid1(VALU_DEP_1)
	v_add_f32_e32 v0, v1, v0
	s_waitcnt lgkmcnt(1)
	v_add_f32_e32 v2, v2, v0
	ds_load_2addr_stride64_b32 v[0:1], v6 offset0:48 offset1:52
	v_add_f32_e32 v2, v3, v2
	s_waitcnt lgkmcnt(1)
	s_delay_alu instid0(VALU_DEP_1) | instskip(SKIP_3) | instid1(VALU_DEP_1)
	v_add_f32_e32 v4, v4, v2
	ds_load_2addr_stride64_b32 v[2:3], v6 offset0:56 offset1:60
	v_add_f32_e32 v4, v5, v4
	s_waitcnt lgkmcnt(1)
	v_add_f32_e32 v0, v0, v4
	v_or_b32_e32 v4, s24, v11
	s_delay_alu instid0(VALU_DEP_2) | instskip(SKIP_1) | instid1(VALU_DEP_1)
	v_add_f32_e32 v0, v1, v0
                                        ; implicit-def: $vgpr1
	s_waitcnt lgkmcnt(0)
	v_add_f32_e32 v0, v2, v0
	s_delay_alu instid0(VALU_DEP_1)
	v_add_f32_e32 v0, v3, v0
                                        ; implicit-def: $vgpr2_vgpr3
	ds_store_b32 v6, v0
	v_cmpx_gt_i32_e64 s6, v4
	s_cbranch_execz .LBB639_46
; %bb.43:
	v_ashrrev_i32_e32 v1, 31, v4
	v_mul_lo_u32 v5, v4, s29
	v_mad_u64_u32 v[2:3], null, v4, s28, 0
	v_cmp_eq_f32_e64 s2, s21, 0
	s_delay_alu instid0(VALU_DEP_4) | instskip(SKIP_1) | instid1(VALU_DEP_3)
	v_mul_lo_u32 v4, v1, s28
	v_mul_f32_e32 v1, s22, v0
	s_and_b32 vcc_lo, exec_lo, s2
	s_delay_alu instid0(VALU_DEP_2)
	v_add3_u32 v3, v3, v5, v4
	s_cbranch_vccnz .LBB639_45
; %bb.44:
	s_delay_alu instid0(VALU_DEP_1) | instskip(NEXT) | instid1(VALU_DEP_1)
	v_lshlrev_b64 v[4:5], 2, v[2:3]
	v_add_co_u32 v4, vcc_lo, s5, v4
	s_delay_alu instid0(VALU_DEP_2)
	v_add_co_ci_u32_e32 v5, vcc_lo, s20, v5, vcc_lo
	global_load_b32 v0, v[4:5], off
	s_waitcnt vmcnt(0)
	v_fmac_f32_e32 v1, s21, v0
.LBB639_45:
	s_or_b32 s2, s23, exec_lo
.LBB639_46:
	s_or_b32 exec_lo, exec_lo, s1
	s_delay_alu instid0(SALU_CYCLE_1) | instskip(SKIP_1) | instid1(SALU_CYCLE_1)
	s_and_not1_b32 s1, s23, exec_lo
	s_and_b32 s2, s2, exec_lo
	s_or_b32 s23, s1, s2
.LBB639_47:
	s_or_b32 exec_lo, exec_lo, s0
.LBB639_48:
	s_and_saveexec_b32 s0, s23
	s_cbranch_execz .LBB639_50
; %bb.49:
	v_lshlrev_b64 v[2:3], 2, v[2:3]
	s_delay_alu instid0(VALU_DEP_1) | instskip(NEXT) | instid1(VALU_DEP_2)
	v_add_co_u32 v2, vcc_lo, s5, v2
	v_add_co_ci_u32_e32 v3, vcc_lo, s20, v3, vcc_lo
	global_store_b32 v[2:3], v1, off
.LBB639_50:
	s_nop 0
	s_sendmsg sendmsg(MSG_DEALLOC_VGPRS)
	s_endpgm
	.section	.rodata,"a",@progbits
	.p2align	6, 0x0
	.amdhsa_kernel _ZL20rocblas_gemvn_kernelILi64ELi16El16rocblas_bfloat16PKffEviiT3_lPKT2_lT1_lS6_lS7_lS3_lPT4_lS7_li
		.amdhsa_group_segment_fixed_size 16384
		.amdhsa_private_segment_fixed_size 0
		.amdhsa_kernarg_size 400
		.amdhsa_user_sgpr_count 14
		.amdhsa_user_sgpr_dispatch_ptr 0
		.amdhsa_user_sgpr_queue_ptr 0
		.amdhsa_user_sgpr_kernarg_segment_ptr 1
		.amdhsa_user_sgpr_dispatch_id 0
		.amdhsa_user_sgpr_private_segment_size 0
		.amdhsa_wavefront_size32 1
		.amdhsa_uses_dynamic_stack 0
		.amdhsa_enable_private_segment 0
		.amdhsa_system_sgpr_workgroup_id_x 1
		.amdhsa_system_sgpr_workgroup_id_y 0
		.amdhsa_system_sgpr_workgroup_id_z 1
		.amdhsa_system_sgpr_workgroup_info 0
		.amdhsa_system_vgpr_workitem_id 1
		.amdhsa_next_free_vgpr 51
		.amdhsa_next_free_sgpr 52
		.amdhsa_reserve_vcc 1
		.amdhsa_float_round_mode_32 0
		.amdhsa_float_round_mode_16_64 0
		.amdhsa_float_denorm_mode_32 3
		.amdhsa_float_denorm_mode_16_64 3
		.amdhsa_dx10_clamp 1
		.amdhsa_ieee_mode 1
		.amdhsa_fp16_overflow 0
		.amdhsa_workgroup_processor_mode 1
		.amdhsa_memory_ordered 1
		.amdhsa_forward_progress 0
		.amdhsa_shared_vgpr_count 0
		.amdhsa_exception_fp_ieee_invalid_op 0
		.amdhsa_exception_fp_denorm_src 0
		.amdhsa_exception_fp_ieee_div_zero 0
		.amdhsa_exception_fp_ieee_overflow 0
		.amdhsa_exception_fp_ieee_underflow 0
		.amdhsa_exception_fp_ieee_inexact 0
		.amdhsa_exception_int_div_zero 0
	.end_amdhsa_kernel
	.section	.text._ZL20rocblas_gemvn_kernelILi64ELi16El16rocblas_bfloat16PKffEviiT3_lPKT2_lT1_lS6_lS7_lS3_lPT4_lS7_li,"axG",@progbits,_ZL20rocblas_gemvn_kernelILi64ELi16El16rocblas_bfloat16PKffEviiT3_lPKT2_lT1_lS6_lS7_lS3_lPT4_lS7_li,comdat
.Lfunc_end639:
	.size	_ZL20rocblas_gemvn_kernelILi64ELi16El16rocblas_bfloat16PKffEviiT3_lPKT2_lT1_lS6_lS7_lS3_lPT4_lS7_li, .Lfunc_end639-_ZL20rocblas_gemvn_kernelILi64ELi16El16rocblas_bfloat16PKffEviiT3_lPKT2_lT1_lS6_lS7_lS3_lPT4_lS7_li
                                        ; -- End function
	.section	.AMDGPU.csdata,"",@progbits
; Kernel info:
; codeLenInByte = 3716
; NumSgprs: 54
; NumVgprs: 51
; ScratchSize: 0
; MemoryBound: 0
; FloatMode: 240
; IeeeMode: 1
; LDSByteSize: 16384 bytes/workgroup (compile time only)
; SGPRBlocks: 6
; VGPRBlocks: 6
; NumSGPRsForWavesPerEU: 54
; NumVGPRsForWavesPerEU: 51
; Occupancy: 16
; WaveLimiterHint : 0
; COMPUTE_PGM_RSRC2:SCRATCH_EN: 0
; COMPUTE_PGM_RSRC2:USER_SGPR: 14
; COMPUTE_PGM_RSRC2:TRAP_HANDLER: 0
; COMPUTE_PGM_RSRC2:TGID_X_EN: 1
; COMPUTE_PGM_RSRC2:TGID_Y_EN: 0
; COMPUTE_PGM_RSRC2:TGID_Z_EN: 1
; COMPUTE_PGM_RSRC2:TIDIG_COMP_CNT: 1
	.section	.text._ZL20rocblas_gemvn_kernelILi64ELi16Ei16rocblas_bfloat16ffEviiT3_lPKT2_lT1_lS4_lS5_lS1_lPT4_lS5_li,"axG",@progbits,_ZL20rocblas_gemvn_kernelILi64ELi16Ei16rocblas_bfloat16ffEviiT3_lPKT2_lT1_lS4_lS5_lS1_lPT4_lS5_li,comdat
	.globl	_ZL20rocblas_gemvn_kernelILi64ELi16Ei16rocblas_bfloat16ffEviiT3_lPKT2_lT1_lS4_lS5_lS1_lPT4_lS5_li ; -- Begin function _ZL20rocblas_gemvn_kernelILi64ELi16Ei16rocblas_bfloat16ffEviiT3_lPKT2_lT1_lS4_lS5_lS1_lPT4_lS5_li
	.p2align	8
	.type	_ZL20rocblas_gemvn_kernelILi64ELi16Ei16rocblas_bfloat16ffEviiT3_lPKT2_lT1_lS4_lS5_lS1_lPT4_lS5_li,@function
_ZL20rocblas_gemvn_kernelILi64ELi16Ei16rocblas_bfloat16ffEviiT3_lPKT2_lT1_lS4_lS5_lS1_lPT4_lS5_li: ; @_ZL20rocblas_gemvn_kernelILi64ELi16Ei16rocblas_bfloat16ffEviiT3_lPKT2_lT1_lS4_lS5_lS1_lPT4_lS5_li
; %bb.0:
	s_load_b64 s[2:3], s[0:1], 0x9c
	s_waitcnt lgkmcnt(0)
	s_lshr_b32 s4, s2, 16
	s_and_b32 s2, s2, 0xffff
	s_and_b32 s3, s3, 0xffff
	s_mul_i32 s2, s4, s2
	s_delay_alu instid0(SALU_CYCLE_1) | instskip(NEXT) | instid1(SALU_CYCLE_1)
	s_mul_i32 s2, s2, s3
	s_cmpk_lg_i32 s2, 0x400
	s_cbranch_scc1 .LBB640_50
; %bb.1:
	s_clause 0x1
	s_load_b128 s[4:7], s[0:1], 0x0
	s_load_b32 s13, s[0:1], 0x58
	s_mov_b32 s16, 0
	s_waitcnt lgkmcnt(0)
	v_cmp_eq_f32_e64 s2, s6, 0
	v_cmp_eq_f32_e64 s3, s13, 1.0
	s_delay_alu instid0(VALU_DEP_1) | instskip(NEXT) | instid1(SALU_CYCLE_1)
	s_and_b32 s2, s2, s3
	s_and_b32 vcc_lo, exec_lo, s2
	s_cbranch_vccnz .LBB640_50
; %bb.2:
	s_clause 0x2
	s_load_b64 s[2:3], s[0:1], 0x80
	s_load_b128 s[8:11], s[0:1], 0x68
	s_load_b32 s17, s[0:1], 0x78
	v_and_b32_e32 v1, 0x3ff, v0
	v_bfe_u32 v13, v0, 10, 10
	v_cmp_neq_f32_e64 s18, s6, 0
	s_delay_alu instid0(VALU_DEP_2)
	v_lshl_add_u32 v0, v13, 6, v1
	s_waitcnt lgkmcnt(0)
	s_mul_i32 s3, s15, s3
	s_mul_hi_u32 s7, s15, s2
	s_mul_i32 s2, s15, s2
	s_add_i32 s3, s7, s3
	s_delay_alu instid0(SALU_CYCLE_1) | instskip(NEXT) | instid1(SALU_CYCLE_1)
	s_lshl_b64 s[2:3], s[2:3], 2
	s_add_u32 s7, s8, s2
	s_addc_u32 s8, s9, s3
	s_lshl_b64 s[2:3], s[10:11], 2
	s_delay_alu instid0(SALU_CYCLE_1)
	s_add_u32 s7, s7, s2
	v_cmp_gt_u32_e64 s2, 0x100, v0
	s_addc_u32 s12, s8, s3
	s_and_b32 vcc_lo, exec_lo, s18
	s_cbranch_vccnz .LBB640_9
; %bb.3:
	s_mov_b32 s3, 0
                                        ; implicit-def: $vgpr3
                                        ; implicit-def: $vgpr4_vgpr5
	s_and_saveexec_b32 s8, s2
	s_cbranch_execz .LBB640_10
; %bb.4:
	v_lshl_or_b32 v2, s14, 8, v0
	v_mov_b32_e32 v3, 0
	s_ashr_i32 s11, s4, 31
	s_mov_b32 s10, s4
	s_mov_b32 s9, 0
	s_mov_b32 s2, exec_lo
                                        ; implicit-def: $vgpr4_vgpr5
	v_cmpx_gt_i64_e64 s[10:11], v[2:3]
	s_cbranch_execz .LBB640_8
; %bb.5:
	v_mad_u64_u32 v[4:5], null, s17, v2, 0
	s_ashr_i32 s9, s17, 31
	s_delay_alu instid0(VALU_DEP_1) | instid1(SALU_CYCLE_1)
	v_mad_u64_u32 v[6:7], null, s9, v2, v[5:6]
	v_cmp_eq_f32_e64 s9, s13, 0
	s_delay_alu instid0(VALU_DEP_1) | instskip(NEXT) | instid1(VALU_DEP_2)
	s_and_b32 vcc_lo, exec_lo, s9
	v_mov_b32_e32 v5, v6
	s_cbranch_vccnz .LBB640_7
; %bb.6:
	s_delay_alu instid0(VALU_DEP_1) | instskip(NEXT) | instid1(VALU_DEP_1)
	v_lshlrev_b64 v[2:3], 2, v[4:5]
	v_add_co_u32 v2, vcc_lo, s7, v2
	s_delay_alu instid0(VALU_DEP_2)
	v_add_co_ci_u32_e32 v3, vcc_lo, s12, v3, vcc_lo
	global_load_b32 v2, v[2:3], off
	s_waitcnt vmcnt(0)
	v_mul_f32_e32 v3, s13, v2
.LBB640_7:
	s_mov_b32 s9, exec_lo
.LBB640_8:
	s_or_b32 exec_lo, exec_lo, s2
	s_delay_alu instid0(SALU_CYCLE_1) | instskip(SKIP_1) | instid1(SALU_CYCLE_1)
	s_and_b32 s16, s9, exec_lo
	s_or_b32 exec_lo, exec_lo, s8
	s_and_b32 vcc_lo, exec_lo, s3
	s_cbranch_vccnz .LBB640_11
	s_branch .LBB640_48
.LBB640_9:
                                        ; implicit-def: $vgpr3
                                        ; implicit-def: $vgpr4_vgpr5
	s_cbranch_execnz .LBB640_11
	s_branch .LBB640_48
.LBB640_10:
	s_or_b32 exec_lo, exec_lo, s8
	s_delay_alu instid0(SALU_CYCLE_1)
	s_and_b32 vcc_lo, exec_lo, s3
	s_cbranch_vccz .LBB640_48
.LBB640_11:
	s_clause 0x4
	s_load_b128 s[8:11], s[0:1], 0x30
	s_load_b64 s[2:3], s[0:1], 0x50
	s_load_b128 s[20:23], s[0:1], 0x18
	s_load_b32 s18, s[0:1], 0x28
	s_load_b64 s[24:25], s[0:1], 0x40
	v_dual_mov_b32 v14, 0 :: v_dual_lshlrev_b32 v19, 2, v13
	v_dual_mov_b32 v15, 0 :: v_dual_mov_b32 v16, 0
	v_mov_b32_e32 v17, 0
	s_waitcnt lgkmcnt(0)
	s_mul_i32 s9, s15, s9
	s_mul_hi_u32 s19, s15, s8
	s_mul_i32 s8, s15, s8
	s_add_i32 s9, s19, s9
	s_mul_i32 s3, s15, s3
	s_lshl_b64 s[8:9], s[8:9], 1
	s_mul_hi_u32 s26, s15, s2
	s_add_u32 s19, s20, s8
	s_addc_u32 s20, s21, s9
	s_lshl_b64 s[8:9], s[22:23], 1
	s_mul_i32 s2, s15, s2
	s_add_u32 s15, s19, s8
	s_load_b32 s8, s[0:1], 0x48
	s_addc_u32 s19, s20, s9
	s_add_i32 s3, s26, s3
	s_mov_b32 s20, exec_lo
	s_lshl_b64 s[0:1], s[2:3], 1
	s_delay_alu instid0(SALU_CYCLE_1) | instskip(SKIP_2) | instid1(SALU_CYCLE_1)
	s_add_u32 s2, s10, s0
	s_addc_u32 s3, s11, s1
	s_lshl_b64 s[0:1], s[24:25], 1
	s_add_u32 s10, s2, s0
	s_addc_u32 s11, s3, s1
	s_ashr_i32 s0, s5, 31
	s_lshl_b32 s9, s14, 8
	s_lshr_b32 s0, s0, 26
	v_add_nc_u32_e32 v18, s9, v1
	s_add_i32 s0, s5, s0
	s_delay_alu instid0(SALU_CYCLE_1) | instskip(NEXT) | instid1(SALU_CYCLE_1)
	s_and_b32 s14, s0, 0xffffffc0
	v_cmpx_gt_i32_e64 s14, v19
	s_cbranch_execz .LBB640_23
; %bb.12:
	v_mul_lo_u32 v3, s18, v19
	v_dual_mov_b32 v15, 0 :: v_dual_add_nc_u32 v2, 64, v18
	v_add_nc_u32_e32 v6, 2, v19
	v_dual_mov_b32 v14, 0 :: v_dual_add_nc_u32 v5, 0xc0, v18
	s_delay_alu instid0(VALU_DEP_3)
	v_cmp_gt_i32_e64 s0, s4, v2
	v_dual_mov_b32 v17, 0 :: v_dual_add_nc_u32 v4, 0x80, v18
	v_add3_u32 v20, v3, s18, v1
	v_mad_u64_u32 v[2:3], null, s18, v6, v[1:2]
	v_cmp_gt_i32_e64 s2, s4, v5
	v_mul_lo_u32 v5, v13, s18
	v_dual_mov_b32 v16, 0 :: v_dual_add_nc_u32 v7, 3, v19
	s_waitcnt lgkmcnt(0)
	v_mul_lo_u32 v8, v13, s8
	v_cmp_gt_i32_e64 s1, s4, v4
	v_mul_lo_u32 v22, s8, v6
	v_mad_u64_u32 v[3:4], null, s18, v7, v[1:2]
	v_lshl_add_u32 v21, v5, 2, v1
	v_mad_u64_u32 v[4:5], null, s8, v19, s[8:9]
	v_mul_lo_u32 v23, s8, v7
	v_cmp_gt_i32_e32 vcc_lo, s4, v18
	v_lshlrev_b32_e32 v24, 2, v8
	s_lshl_b32 s21, s18, 6
	s_lshl_b32 s23, s8, 6
	s_mov_b32 s22, 0
	s_mov_b32 s24, 0
	s_branch .LBB640_17
.LBB640_13:                             ;   in Loop: Header=BB640_17 Depth=1
	s_or_b32 exec_lo, exec_lo, s27
	s_waitcnt vmcnt(2)
	v_lshlrev_b32_e32 v6, 16, v39
	v_lshlrev_b32_e32 v5, 16, v40
	s_waitcnt vmcnt(1)
	s_delay_alu instid0(VALU_DEP_1) | instskip(NEXT) | instid1(VALU_DEP_1)
	v_dual_fmac_f32 v16, v32, v5 :: v_dual_lshlrev_b32 v5, 16, v38
	v_fmac_f32_e32 v16, v30, v6
	s_delay_alu instid0(VALU_DEP_1) | instskip(SKIP_2) | instid1(VALU_DEP_1)
	v_fmac_f32_e32 v16, v28, v5
	s_waitcnt vmcnt(0)
	v_lshlrev_b32_e32 v5, 16, v37
	v_fmac_f32_e32 v16, v27, v5
.LBB640_14:                             ;   in Loop: Header=BB640_17 Depth=1
	s_or_b32 exec_lo, exec_lo, s26
	s_waitcnt vmcnt(3)
	v_lshlrev_b32_e32 v5, 16, v36
	s_waitcnt vmcnt(2)
	s_delay_alu instid0(VALU_DEP_1) | instskip(SKIP_2) | instid1(VALU_DEP_2)
	v_dual_fmac_f32 v15, v32, v5 :: v_dual_lshlrev_b32 v6, 16, v35
	s_waitcnt vmcnt(1)
	v_lshlrev_b32_e32 v5, 16, v34
	v_fmac_f32_e32 v15, v30, v6
	s_delay_alu instid0(VALU_DEP_1) | instskip(SKIP_2) | instid1(VALU_DEP_1)
	v_fmac_f32_e32 v15, v28, v5
	s_waitcnt vmcnt(0)
	v_lshlrev_b32_e32 v5, 16, v33
	v_fmac_f32_e32 v15, v27, v5
.LBB640_15:                             ;   in Loop: Header=BB640_17 Depth=1
	s_or_b32 exec_lo, exec_lo, s3
	s_waitcnt vmcnt(2)
	v_lshlrev_b32_e32 v6, 16, v29
	v_lshlrev_b32_e32 v5, 16, v31
	s_waitcnt vmcnt(1)
	s_delay_alu instid0(VALU_DEP_1) | instskip(NEXT) | instid1(VALU_DEP_1)
	v_dual_fmac_f32 v14, v32, v5 :: v_dual_lshlrev_b32 v5, 16, v26
	v_fmac_f32_e32 v14, v30, v6
	s_delay_alu instid0(VALU_DEP_1) | instskip(SKIP_2) | instid1(VALU_DEP_1)
	v_fmac_f32_e32 v14, v28, v5
	s_waitcnt vmcnt(0)
	v_lshlrev_b32_e32 v5, 16, v25
	v_fmac_f32_e32 v14, v27, v5
.LBB640_16:                             ;   in Loop: Header=BB640_17 Depth=1
	s_or_b32 exec_lo, exec_lo, s25
	v_add_nc_u32_e32 v19, 64, v19
	v_add_nc_u32_e32 v20, s21, v20
	v_add_nc_u32_e32 v2, s21, v2
	v_add_nc_u32_e32 v3, s21, v3
	v_add_nc_u32_e32 v21, s21, v21
	v_cmp_le_i32_e64 s3, s14, v19
	s_add_i32 s24, s24, s23
	s_delay_alu instid0(VALU_DEP_1) | instskip(NEXT) | instid1(SALU_CYCLE_1)
	s_or_b32 s22, s3, s22
	s_and_not1_b32 exec_lo, exec_lo, s22
	s_cbranch_execz .LBB640_22
.LBB640_17:                             ; =>This Inner Loop Header: Depth=1
	s_and_saveexec_b32 s25, vcc_lo
	s_cbranch_execz .LBB640_16
; %bb.18:                               ;   in Loop: Header=BB640_17 Depth=1
	v_add_nc_u32_e32 v5, s24, v24
	v_add_nc_u32_e32 v7, s24, v4
	;; [unrolled: 1-line block ×5, first 2 shown]
	v_ashrrev_i32_e32 v6, 31, v5
	v_ashrrev_i32_e32 v8, 31, v7
	;; [unrolled: 1-line block ×4, first 2 shown]
	v_add_nc_u32_e32 v27, s9, v20
	v_lshlrev_b64 v[5:6], 1, v[5:6]
	v_lshlrev_b64 v[7:8], 1, v[7:8]
	;; [unrolled: 1-line block ×4, first 2 shown]
	v_ashrrev_i32_e32 v26, 31, v25
	v_ashrrev_i32_e32 v28, 31, v27
	v_add_co_u32 v5, s3, s10, v5
	s_delay_alu instid0(VALU_DEP_1) | instskip(SKIP_1) | instid1(VALU_DEP_1)
	v_add_co_ci_u32_e64 v6, s3, s11, v6, s3
	v_add_co_u32 v7, s3, s10, v7
	v_add_co_ci_u32_e64 v8, s3, s11, v8, s3
	v_add_co_u32 v9, s3, s10, v9
	s_delay_alu instid0(VALU_DEP_1)
	v_add_co_ci_u32_e64 v10, s3, s11, v10, s3
	v_add_co_u32 v11, s3, s10, v11
	v_add_nc_u32_e32 v29, s9, v2
	v_add_co_ci_u32_e64 v12, s3, s11, v12, s3
	v_lshlrev_b64 v[25:26], 1, v[25:26]
	s_clause 0x3
	global_load_u16 v32, v[5:6], off
	global_load_u16 v33, v[7:8], off
	;; [unrolled: 1-line block ×4, first 2 shown]
	v_add_nc_u32_e32 v11, s9, v3
	v_lshlrev_b64 v[5:6], 1, v[27:28]
	v_ashrrev_i32_e32 v30, 31, v29
	v_add_co_u32 v7, s3, s15, v25
	s_delay_alu instid0(VALU_DEP_4) | instskip(SKIP_1) | instid1(VALU_DEP_4)
	v_ashrrev_i32_e32 v12, 31, v11
	v_add_co_ci_u32_e64 v8, s3, s19, v26, s3
	v_lshlrev_b64 v[25:26], 1, v[29:30]
	v_add_co_u32 v9, s3, s15, v5
	s_delay_alu instid0(VALU_DEP_1) | instskip(SKIP_1) | instid1(VALU_DEP_4)
	v_add_co_ci_u32_e64 v10, s3, s19, v6, s3
	v_lshlrev_b64 v[5:6], 1, v[11:12]
	v_add_co_u32 v11, s3, s15, v25
	s_delay_alu instid0(VALU_DEP_1) | instskip(NEXT) | instid1(VALU_DEP_3)
	v_add_co_ci_u32_e64 v12, s3, s19, v26, s3
	v_add_co_u32 v5, s3, s15, v5
	s_delay_alu instid0(VALU_DEP_1)
	v_add_co_ci_u32_e64 v6, s3, s19, v6, s3
	s_clause 0x3
	global_load_u16 v31, v[7:8], off
	global_load_u16 v29, v[9:10], off
	;; [unrolled: 1-line block ×4, first 2 shown]
	s_waitcnt vmcnt(7)
	v_lshlrev_b32_e32 v32, 16, v32
	s_waitcnt vmcnt(6)
	v_lshlrev_b32_e32 v30, 16, v33
	;; [unrolled: 2-line block ×4, first 2 shown]
	s_and_saveexec_b32 s3, s0
	s_cbranch_execz .LBB640_15
; %bb.19:                               ;   in Loop: Header=BB640_17 Depth=1
	s_clause 0x3
	global_load_u16 v36, v[7:8], off offset:128
	global_load_u16 v35, v[9:10], off offset:128
	global_load_u16 v34, v[11:12], off offset:128
	global_load_u16 v33, v[5:6], off offset:128
	s_and_saveexec_b32 s26, s1
	s_cbranch_execz .LBB640_14
; %bb.20:                               ;   in Loop: Header=BB640_17 Depth=1
	s_clause 0x3
	global_load_u16 v40, v[7:8], off offset:256
	global_load_u16 v39, v[9:10], off offset:256
	global_load_u16 v38, v[11:12], off offset:256
	global_load_u16 v37, v[5:6], off offset:256
	;; [unrolled: 8-line block ×3, first 2 shown]
	s_waitcnt vmcnt(0)
	v_lshlrev_b32_e32 v5, 16, v5
	v_lshlrev_b32_e32 v6, 16, v7
	;; [unrolled: 1-line block ×3, first 2 shown]
	s_delay_alu instid0(VALU_DEP_2) | instskip(NEXT) | instid1(VALU_DEP_1)
	v_dual_fmac_f32 v17, v32, v6 :: v_dual_lshlrev_b32 v6, 16, v9
	v_fmac_f32_e32 v17, v30, v7
	s_delay_alu instid0(VALU_DEP_1) | instskip(NEXT) | instid1(VALU_DEP_1)
	v_fmac_f32_e32 v17, v28, v6
	v_fmac_f32_e32 v17, v27, v5
	s_branch .LBB640_13
.LBB640_22:
	s_or_b32 exec_lo, exec_lo, s22
.LBB640_23:
	s_delay_alu instid0(SALU_CYCLE_1) | instskip(SKIP_1) | instid1(SALU_CYCLE_1)
	s_or_b32 exec_lo, exec_lo, s20
	s_sub_i32 s0, s5, s14
	s_cmp_lt_i32 s0, 1
	s_cbranch_scc1 .LBB640_41
; %bb.24:
	v_cmp_gt_i32_e32 vcc_lo, s5, v19
	v_dual_mov_b32 v10, 0 :: v_dual_mov_b32 v11, 0
	v_or_b32_e32 v2, 1, v19
	v_mov_b32_e32 v12, 0
	v_mov_b32_e32 v20, 0
	s_and_saveexec_b32 s1, vcc_lo
	s_cbranch_execz .LBB640_32
; %bb.25:
	s_waitcnt lgkmcnt(0)
	v_mul_lo_u32 v3, v19, s8
	v_dual_mov_b32 v12, 0 :: v_dual_mov_b32 v11, 0
	v_mov_b32_e32 v10, 0
	s_mov_b32 s2, exec_lo
	s_delay_alu instid0(VALU_DEP_3) | instskip(NEXT) | instid1(VALU_DEP_1)
	v_ashrrev_i32_e32 v4, 31, v3
	v_lshlrev_b64 v[3:4], 1, v[3:4]
	s_delay_alu instid0(VALU_DEP_1) | instskip(NEXT) | instid1(VALU_DEP_1)
	v_add_co_u32 v3, s0, s10, v3
	v_add_co_ci_u32_e64 v4, s0, s11, v4, s0
	global_load_u16 v3, v[3:4], off
	v_cmpx_gt_i32_e64 s5, v2
	s_cbranch_execz .LBB640_31
; %bb.26:
	v_mul_lo_u32 v4, v2, s8
	v_dual_mov_b32 v11, 0 :: v_dual_mov_b32 v10, 0
	s_mov_b32 s3, exec_lo
	s_delay_alu instid0(VALU_DEP_2) | instskip(NEXT) | instid1(VALU_DEP_1)
	v_ashrrev_i32_e32 v5, 31, v4
	v_lshlrev_b64 v[4:5], 1, v[4:5]
	s_delay_alu instid0(VALU_DEP_1) | instskip(NEXT) | instid1(VALU_DEP_1)
	v_add_co_u32 v4, s0, s10, v4
	v_add_co_ci_u32_e64 v5, s0, s11, v5, s0
	global_load_u16 v4, v[4:5], off
	v_or_b32_e32 v5, 2, v19
	s_delay_alu instid0(VALU_DEP_1)
	v_cmpx_gt_i32_e64 s5, v5
	s_cbranch_execz .LBB640_30
; %bb.27:
	v_mul_lo_u32 v5, v5, s8
	v_mov_b32_e32 v10, 0
	s_mov_b32 s14, exec_lo
	s_delay_alu instid0(VALU_DEP_2) | instskip(NEXT) | instid1(VALU_DEP_1)
	v_ashrrev_i32_e32 v6, 31, v5
	v_lshlrev_b64 v[5:6], 1, v[5:6]
	s_delay_alu instid0(VALU_DEP_1) | instskip(NEXT) | instid1(VALU_DEP_1)
	v_add_co_u32 v5, s0, s10, v5
	v_add_co_ci_u32_e64 v6, s0, s11, v6, s0
	global_load_u16 v5, v[5:6], off
	v_or_b32_e32 v6, 3, v19
	s_delay_alu instid0(VALU_DEP_1)
	v_cmpx_gt_i32_e64 s5, v6
	s_cbranch_execz .LBB640_29
; %bb.28:
	v_mul_lo_u32 v6, v6, s8
	s_delay_alu instid0(VALU_DEP_1) | instskip(NEXT) | instid1(VALU_DEP_1)
	v_ashrrev_i32_e32 v7, 31, v6
	v_lshlrev_b64 v[6:7], 1, v[6:7]
	s_delay_alu instid0(VALU_DEP_1) | instskip(NEXT) | instid1(VALU_DEP_1)
	v_add_co_u32 v6, s0, s10, v6
	v_add_co_ci_u32_e64 v7, s0, s11, v7, s0
	global_load_u16 v6, v[6:7], off
	s_waitcnt vmcnt(0)
	v_lshlrev_b32_e32 v10, 16, v6
.LBB640_29:
	s_or_b32 exec_lo, exec_lo, s14
	s_waitcnt vmcnt(0)
	v_lshlrev_b32_e32 v11, 16, v5
.LBB640_30:
	s_or_b32 exec_lo, exec_lo, s3
	s_waitcnt vmcnt(0)
	v_lshlrev_b32_e32 v12, 16, v4
.LBB640_31:
	s_or_b32 exec_lo, exec_lo, s2
	s_waitcnt vmcnt(0)
	v_lshlrev_b32_e32 v20, 16, v3
.LBB640_32:
	s_or_b32 exec_lo, exec_lo, s1
	s_delay_alu instid0(SALU_CYCLE_1)
	s_mov_b32 s1, exec_lo
	v_cmpx_gt_i32_e64 s4, v18
	s_cbranch_execz .LBB640_40
; %bb.33:
	v_mul_lo_u32 v3, v19, s18
	v_mul_lo_u32 v4, v2, s18
	v_or_b32_e32 v5, 2, v19
	v_or_b32_e32 v6, 3, v19
	s_mov_b32 s0, exec_lo
	s_delay_alu instid0(VALU_DEP_2)
	v_mul_lo_u32 v7, v5, s18
	v_cndmask_b32_e32 v3, 0, v3, vcc_lo
	v_cmp_gt_i32_e32 vcc_lo, s5, v2
	v_mul_lo_u32 v8, v6, s18
	v_cndmask_b32_e32 v4, 0, v4, vcc_lo
	v_cmp_gt_i32_e32 vcc_lo, s5, v5
	v_add_nc_u32_e32 v2, v3, v18
	s_delay_alu instid0(VALU_DEP_3) | instskip(NEXT) | instid1(VALU_DEP_2)
	v_dual_cndmask_b32 v7, 0, v7 :: v_dual_add_nc_u32 v4, v4, v18
	v_ashrrev_i32_e32 v3, 31, v2
	v_cmp_gt_i32_e32 vcc_lo, s5, v6
	s_delay_alu instid0(VALU_DEP_3) | instskip(NEXT) | instid1(VALU_DEP_4)
	v_ashrrev_i32_e32 v5, 31, v4
	v_add_nc_u32_e32 v6, v7, v18
	s_delay_alu instid0(VALU_DEP_4) | instskip(SKIP_1) | instid1(VALU_DEP_4)
	v_lshlrev_b64 v[2:3], 1, v[2:3]
	v_cndmask_b32_e32 v8, 0, v8, vcc_lo
	v_lshlrev_b64 v[21:22], 1, v[4:5]
	s_delay_alu instid0(VALU_DEP_4) | instskip(NEXT) | instid1(VALU_DEP_4)
	v_ashrrev_i32_e32 v7, 31, v6
	v_add_co_u32 v4, vcc_lo, s15, v2
	v_add_co_ci_u32_e32 v5, vcc_lo, s19, v3, vcc_lo
	s_delay_alu instid0(VALU_DEP_4)
	v_add_co_u32 v2, vcc_lo, s15, v21
	v_add_co_ci_u32_e32 v3, vcc_lo, s19, v22, vcc_lo
	s_clause 0x1
	global_load_u16 v19, v[4:5], off
	global_load_u16 v23, v[2:3], off
	v_lshlrev_b64 v[6:7], 1, v[6:7]
	s_waitcnt vmcnt(1)
	v_lshlrev_b32_e32 v19, 16, v19
	v_add_nc_u32_e32 v8, v8, v18
	s_delay_alu instid0(VALU_DEP_1) | instskip(NEXT) | instid1(VALU_DEP_1)
	v_ashrrev_i32_e32 v9, 31, v8
	v_lshlrev_b64 v[21:22], 1, v[8:9]
	v_add_co_u32 v8, vcc_lo, s15, v6
	v_add_co_ci_u32_e32 v9, vcc_lo, s19, v7, vcc_lo
	s_delay_alu instid0(VALU_DEP_3) | instskip(NEXT) | instid1(VALU_DEP_4)
	v_add_co_u32 v6, vcc_lo, s15, v21
	v_add_co_ci_u32_e32 v7, vcc_lo, s19, v22, vcc_lo
	s_clause 0x1
	global_load_u16 v21, v[8:9], off
	global_load_u16 v22, v[6:7], off
	s_waitcnt vmcnt(1)
	v_dual_fmac_f32 v14, v20, v19 :: v_dual_lshlrev_b32 v21, 16, v21
	v_lshlrev_b32_e32 v23, 16, v23
	s_waitcnt vmcnt(0)
	s_delay_alu instid0(VALU_DEP_1) | instskip(NEXT) | instid1(VALU_DEP_1)
	v_dual_fmac_f32 v14, v12, v23 :: v_dual_lshlrev_b32 v19, 16, v22
	v_dual_fmac_f32 v14, v11, v21 :: v_dual_add_nc_u32 v23, 64, v18
	s_delay_alu instid0(VALU_DEP_1)
	v_cmpx_gt_i32_e64 s4, v23
	s_cbranch_execz .LBB640_39
; %bb.34:
	s_clause 0x3
	global_load_u16 v21, v[4:5], off offset:128
	global_load_u16 v22, v[2:3], off offset:128
	;; [unrolled: 1-line block ×4, first 2 shown]
	s_mov_b32 s2, exec_lo
	s_waitcnt vmcnt(3)
	v_lshlrev_b32_e32 v21, 16, v21
	s_waitcnt vmcnt(2)
	v_lshlrev_b32_e32 v22, 16, v22
	;; [unrolled: 2-line block ×3, first 2 shown]
	v_fmac_f32_e32 v15, v20, v21
	s_waitcnt vmcnt(0)
	v_lshlrev_b32_e32 v21, 16, v24
	s_delay_alu instid0(VALU_DEP_2) | instskip(NEXT) | instid1(VALU_DEP_1)
	v_fmac_f32_e32 v15, v12, v22
	v_dual_fmac_f32 v15, v11, v23 :: v_dual_add_nc_u32 v22, 0x80, v18
	s_delay_alu instid0(VALU_DEP_1)
	v_cmpx_gt_i32_e64 s4, v22
	s_cbranch_execz .LBB640_38
; %bb.35:
	s_clause 0x3
	global_load_u16 v22, v[4:5], off offset:256
	global_load_u16 v23, v[2:3], off offset:256
	;; [unrolled: 1-line block ×4, first 2 shown]
	s_mov_b32 s3, exec_lo
	s_waitcnt vmcnt(3)
	v_lshlrev_b32_e32 v22, 16, v22
	s_waitcnt vmcnt(2)
	s_delay_alu instid0(VALU_DEP_1) | instskip(SKIP_2) | instid1(VALU_DEP_2)
	v_dual_fmac_f32 v16, v20, v22 :: v_dual_lshlrev_b32 v23, 16, v23
	s_waitcnt vmcnt(1)
	v_lshlrev_b32_e32 v22, 16, v24
	v_dual_fmac_f32 v16, v12, v23 :: v_dual_add_nc_u32 v23, 0xc0, v18
	s_waitcnt vmcnt(0)
	v_lshlrev_b32_e32 v18, 16, v25
	s_delay_alu instid0(VALU_DEP_2) | instskip(NEXT) | instid1(VALU_DEP_3)
	v_fmac_f32_e32 v16, v11, v22
	v_cmpx_gt_i32_e64 s4, v23
	s_cbranch_execz .LBB640_37
; %bb.36:
	s_clause 0x3
	global_load_u16 v4, v[4:5], off offset:384
	global_load_u16 v2, v[2:3], off offset:384
	;; [unrolled: 1-line block ×4, first 2 shown]
	s_waitcnt vmcnt(2)
	v_lshlrev_b32_e32 v2, 16, v2
	v_lshlrev_b32_e32 v4, 16, v4
	s_waitcnt vmcnt(1)
	v_lshlrev_b32_e32 v3, 16, v3
	s_delay_alu instid0(VALU_DEP_2) | instskip(SKIP_1) | instid1(VALU_DEP_1)
	v_fmac_f32_e32 v17, v20, v4
	s_waitcnt vmcnt(0)
	v_dual_fmac_f32 v17, v12, v2 :: v_dual_lshlrev_b32 v2, 16, v5
	s_delay_alu instid0(VALU_DEP_1) | instskip(NEXT) | instid1(VALU_DEP_1)
	v_fmac_f32_e32 v17, v11, v3
	v_fmac_f32_e32 v17, v10, v2
.LBB640_37:
	s_or_b32 exec_lo, exec_lo, s3
	s_delay_alu instid0(VALU_DEP_2)
	v_fmac_f32_e32 v16, v10, v18
.LBB640_38:
	s_or_b32 exec_lo, exec_lo, s2
	s_delay_alu instid0(VALU_DEP_2)
	v_fmac_f32_e32 v15, v10, v21
.LBB640_39:
	s_or_b32 exec_lo, exec_lo, s0
	s_delay_alu instid0(VALU_DEP_2)
	v_fmac_f32_e32 v14, v10, v19
.LBB640_40:
	s_or_b32 exec_lo, exec_lo, s1
.LBB640_41:
	v_lshlrev_b32_e32 v2, 8, v13
	s_mov_b32 s0, exec_lo
                                        ; implicit-def: $vgpr3
                                        ; implicit-def: $vgpr4_vgpr5
	s_delay_alu instid0(VALU_DEP_1)
	v_add_lshl_u32 v1, v2, v1, 2
	ds_store_2addr_stride64_b32 v1, v14, v15 offset1:1
	ds_store_2addr_stride64_b32 v1, v16, v17 offset0:2 offset1:3
	s_waitcnt lgkmcnt(0)
	s_barrier
	buffer_gl0_inv
	v_cmpx_gt_u32_e32 0x100, v0
	s_cbranch_execz .LBB640_47
; %bb.42:
	v_lshlrev_b32_e32 v7, 2, v0
	s_mov_b32 s2, s16
	s_mov_b32 s1, exec_lo
	ds_load_2addr_stride64_b32 v[1:2], v7 offset1:4
	ds_load_2addr_stride64_b32 v[3:4], v7 offset0:8 offset1:12
	ds_load_2addr_stride64_b32 v[5:6], v7 offset0:16 offset1:20
	s_waitcnt lgkmcnt(2)
	v_add_f32_e32 v8, v1, v2
	ds_load_2addr_stride64_b32 v[1:2], v7 offset0:24 offset1:28
	s_waitcnt lgkmcnt(2)
	v_add_f32_e32 v3, v3, v8
	s_delay_alu instid0(VALU_DEP_1) | instskip(SKIP_3) | instid1(VALU_DEP_1)
	v_add_f32_e32 v8, v4, v3
	ds_load_2addr_stride64_b32 v[3:4], v7 offset0:32 offset1:36
	s_waitcnt lgkmcnt(2)
	v_add_f32_e32 v5, v5, v8
	v_add_f32_e32 v8, v6, v5
	ds_load_2addr_stride64_b32 v[5:6], v7 offset0:40 offset1:44
	s_waitcnt lgkmcnt(2)
	v_add_f32_e32 v1, v1, v8
	s_delay_alu instid0(VALU_DEP_1) | instskip(SKIP_1) | instid1(VALU_DEP_1)
	v_add_f32_e32 v1, v2, v1
	s_waitcnt lgkmcnt(1)
	v_add_f32_e32 v3, v3, v1
	ds_load_2addr_stride64_b32 v[1:2], v7 offset0:48 offset1:52
	v_add_f32_e32 v3, v4, v3
	s_waitcnt lgkmcnt(1)
	s_delay_alu instid0(VALU_DEP_1) | instskip(SKIP_3) | instid1(VALU_DEP_1)
	v_add_f32_e32 v5, v5, v3
	ds_load_2addr_stride64_b32 v[3:4], v7 offset0:56 offset1:60
	v_add_f32_e32 v5, v6, v5
	s_waitcnt lgkmcnt(1)
	v_add_f32_e32 v1, v1, v5
	s_delay_alu instid0(VALU_DEP_1) | instskip(SKIP_1) | instid1(VALU_DEP_1)
	v_add_f32_e32 v1, v2, v1
	s_waitcnt lgkmcnt(0)
	v_add_f32_e32 v2, v3, v1
	v_or_b32_e32 v1, s9, v0
                                        ; implicit-def: $vgpr3
	s_delay_alu instid0(VALU_DEP_2)
	v_add_f32_e32 v0, v4, v2
                                        ; implicit-def: $vgpr4_vgpr5
	ds_store_b32 v7, v0
	v_cmpx_gt_i32_e64 s4, v1
	s_cbranch_execz .LBB640_46
; %bb.43:
	v_mul_lo_u32 v4, v1, s17
	v_cmp_eq_f32_e64 s2, s13, 0
	v_mul_f32_e32 v3, s6, v0
	s_delay_alu instid0(VALU_DEP_2) | instskip(NEXT) | instid1(VALU_DEP_3)
	s_and_b32 vcc_lo, exec_lo, s2
	v_ashrrev_i32_e32 v5, 31, v4
	s_cbranch_vccnz .LBB640_45
; %bb.44:
	s_delay_alu instid0(VALU_DEP_1) | instskip(NEXT) | instid1(VALU_DEP_1)
	v_lshlrev_b64 v[0:1], 2, v[4:5]
	v_add_co_u32 v0, vcc_lo, s7, v0
	s_delay_alu instid0(VALU_DEP_2)
	v_add_co_ci_u32_e32 v1, vcc_lo, s12, v1, vcc_lo
	global_load_b32 v0, v[0:1], off
	s_waitcnt vmcnt(0)
	v_fmac_f32_e32 v3, s13, v0
.LBB640_45:
	s_or_b32 s2, s16, exec_lo
.LBB640_46:
	s_or_b32 exec_lo, exec_lo, s1
	s_delay_alu instid0(SALU_CYCLE_1) | instskip(SKIP_1) | instid1(SALU_CYCLE_1)
	s_and_not1_b32 s1, s16, exec_lo
	s_and_b32 s2, s2, exec_lo
	s_or_b32 s16, s1, s2
.LBB640_47:
	s_or_b32 exec_lo, exec_lo, s0
.LBB640_48:
	s_and_saveexec_b32 s0, s16
	s_cbranch_execz .LBB640_50
; %bb.49:
	v_lshlrev_b64 v[0:1], 2, v[4:5]
	s_delay_alu instid0(VALU_DEP_1) | instskip(NEXT) | instid1(VALU_DEP_2)
	v_add_co_u32 v0, vcc_lo, s7, v0
	v_add_co_ci_u32_e32 v1, vcc_lo, s12, v1, vcc_lo
	global_store_b32 v[0:1], v3, off
.LBB640_50:
	s_nop 0
	s_sendmsg sendmsg(MSG_DEALLOC_VGPRS)
	s_endpgm
	.section	.rodata,"a",@progbits
	.p2align	6, 0x0
	.amdhsa_kernel _ZL20rocblas_gemvn_kernelILi64ELi16Ei16rocblas_bfloat16ffEviiT3_lPKT2_lT1_lS4_lS5_lS1_lPT4_lS5_li
		.amdhsa_group_segment_fixed_size 16384
		.amdhsa_private_segment_fixed_size 0
		.amdhsa_kernarg_size 400
		.amdhsa_user_sgpr_count 14
		.amdhsa_user_sgpr_dispatch_ptr 0
		.amdhsa_user_sgpr_queue_ptr 0
		.amdhsa_user_sgpr_kernarg_segment_ptr 1
		.amdhsa_user_sgpr_dispatch_id 0
		.amdhsa_user_sgpr_private_segment_size 0
		.amdhsa_wavefront_size32 1
		.amdhsa_uses_dynamic_stack 0
		.amdhsa_enable_private_segment 0
		.amdhsa_system_sgpr_workgroup_id_x 1
		.amdhsa_system_sgpr_workgroup_id_y 0
		.amdhsa_system_sgpr_workgroup_id_z 1
		.amdhsa_system_sgpr_workgroup_info 0
		.amdhsa_system_vgpr_workitem_id 1
		.amdhsa_next_free_vgpr 41
		.amdhsa_next_free_sgpr 28
		.amdhsa_reserve_vcc 1
		.amdhsa_float_round_mode_32 0
		.amdhsa_float_round_mode_16_64 0
		.amdhsa_float_denorm_mode_32 3
		.amdhsa_float_denorm_mode_16_64 3
		.amdhsa_dx10_clamp 1
		.amdhsa_ieee_mode 1
		.amdhsa_fp16_overflow 0
		.amdhsa_workgroup_processor_mode 1
		.amdhsa_memory_ordered 1
		.amdhsa_forward_progress 0
		.amdhsa_shared_vgpr_count 0
		.amdhsa_exception_fp_ieee_invalid_op 0
		.amdhsa_exception_fp_denorm_src 0
		.amdhsa_exception_fp_ieee_div_zero 0
		.amdhsa_exception_fp_ieee_overflow 0
		.amdhsa_exception_fp_ieee_underflow 0
		.amdhsa_exception_fp_ieee_inexact 0
		.amdhsa_exception_int_div_zero 0
	.end_amdhsa_kernel
	.section	.text._ZL20rocblas_gemvn_kernelILi64ELi16Ei16rocblas_bfloat16ffEviiT3_lPKT2_lT1_lS4_lS5_lS1_lPT4_lS5_li,"axG",@progbits,_ZL20rocblas_gemvn_kernelILi64ELi16Ei16rocblas_bfloat16ffEviiT3_lPKT2_lT1_lS4_lS5_lS1_lPT4_lS5_li,comdat
.Lfunc_end640:
	.size	_ZL20rocblas_gemvn_kernelILi64ELi16Ei16rocblas_bfloat16ffEviiT3_lPKT2_lT1_lS4_lS5_lS1_lPT4_lS5_li, .Lfunc_end640-_ZL20rocblas_gemvn_kernelILi64ELi16Ei16rocblas_bfloat16ffEviiT3_lPKT2_lT1_lS4_lS5_lS1_lPT4_lS5_li
                                        ; -- End function
	.section	.AMDGPU.csdata,"",@progbits
; Kernel info:
; codeLenInByte = 3168
; NumSgprs: 30
; NumVgprs: 41
; ScratchSize: 0
; MemoryBound: 0
; FloatMode: 240
; IeeeMode: 1
; LDSByteSize: 16384 bytes/workgroup (compile time only)
; SGPRBlocks: 3
; VGPRBlocks: 5
; NumSGPRsForWavesPerEU: 30
; NumVGPRsForWavesPerEU: 41
; Occupancy: 16
; WaveLimiterHint : 1
; COMPUTE_PGM_RSRC2:SCRATCH_EN: 0
; COMPUTE_PGM_RSRC2:USER_SGPR: 14
; COMPUTE_PGM_RSRC2:TRAP_HANDLER: 0
; COMPUTE_PGM_RSRC2:TGID_X_EN: 1
; COMPUTE_PGM_RSRC2:TGID_Y_EN: 0
; COMPUTE_PGM_RSRC2:TGID_Z_EN: 1
; COMPUTE_PGM_RSRC2:TIDIG_COMP_CNT: 1
	.section	.text._ZL20rocblas_gemvn_kernelILi64ELi16El16rocblas_bfloat16ffEviiT3_lPKT2_lT1_lS4_lS5_lS1_lPT4_lS5_li,"axG",@progbits,_ZL20rocblas_gemvn_kernelILi64ELi16El16rocblas_bfloat16ffEviiT3_lPKT2_lT1_lS4_lS5_lS1_lPT4_lS5_li,comdat
	.globl	_ZL20rocblas_gemvn_kernelILi64ELi16El16rocblas_bfloat16ffEviiT3_lPKT2_lT1_lS4_lS5_lS1_lPT4_lS5_li ; -- Begin function _ZL20rocblas_gemvn_kernelILi64ELi16El16rocblas_bfloat16ffEviiT3_lPKT2_lT1_lS4_lS5_lS1_lPT4_lS5_li
	.p2align	8
	.type	_ZL20rocblas_gemvn_kernelILi64ELi16El16rocblas_bfloat16ffEviiT3_lPKT2_lT1_lS4_lS5_lS1_lPT4_lS5_li,@function
_ZL20rocblas_gemvn_kernelILi64ELi16El16rocblas_bfloat16ffEviiT3_lPKT2_lT1_lS4_lS5_lS1_lPT4_lS5_li: ; @_ZL20rocblas_gemvn_kernelILi64ELi16El16rocblas_bfloat16ffEviiT3_lPKT2_lT1_lS4_lS5_lS1_lPT4_lS5_li
; %bb.0:
	s_load_b64 s[2:3], s[0:1], 0x9c
	s_waitcnt lgkmcnt(0)
	s_lshr_b32 s4, s2, 16
	s_and_b32 s2, s2, 0xffff
	s_and_b32 s3, s3, 0xffff
	s_mul_i32 s2, s4, s2
	s_delay_alu instid0(SALU_CYCLE_1) | instskip(NEXT) | instid1(SALU_CYCLE_1)
	s_mul_i32 s2, s2, s3
	s_cmpk_lg_i32 s2, 0x400
	s_cbranch_scc1 .LBB641_50
; %bb.1:
	s_clause 0x1
	s_load_b128 s[36:39], s[0:1], 0x0
	s_load_b32 s34, s[0:1], 0x58
	s_mov_b32 s35, 0
	s_waitcnt lgkmcnt(0)
	v_cmp_eq_f32_e64 s2, s38, 0
	v_cmp_eq_f32_e64 s3, s34, 1.0
	s_delay_alu instid0(VALU_DEP_1) | instskip(NEXT) | instid1(SALU_CYCLE_1)
	s_and_b32 s2, s2, s3
	s_and_b32 vcc_lo, exec_lo, s2
	s_cbranch_vccnz .LBB641_50
; %bb.2:
	s_load_b256 s[4:11], s[0:1], 0x68
	v_and_b32_e32 v12, 0x3ff, v0
	v_bfe_u32 v13, v0, 10, 10
	s_delay_alu instid0(VALU_DEP_1)
	v_lshl_add_u32 v11, v13, 6, v12
	s_waitcnt lgkmcnt(0)
	s_mul_i32 s3, s15, s11
	s_mul_hi_u32 s11, s15, s10
	s_mul_i32 s2, s15, s10
	s_add_i32 s3, s11, s3
	v_cmp_neq_f32_e64 s10, s38, 0
	s_lshl_b64 s[2:3], s[2:3], 2
	s_delay_alu instid0(SALU_CYCLE_1) | instskip(SKIP_2) | instid1(SALU_CYCLE_1)
	s_add_u32 s4, s4, s2
	s_addc_u32 s11, s5, s3
	s_lshl_b64 s[2:3], s[6:7], 2
	s_add_u32 s5, s4, s2
	v_cmp_gt_u32_e64 s2, 0x100, v11
	s_addc_u32 s33, s11, s3
	s_and_b32 vcc_lo, exec_lo, s10
	s_cbranch_vccnz .LBB641_9
; %bb.3:
	s_mov_b32 s3, 0
                                        ; implicit-def: $vgpr1
                                        ; implicit-def: $vgpr2_vgpr3
	s_and_saveexec_b32 s4, s2
	s_cbranch_execz .LBB641_10
; %bb.4:
	v_lshl_or_b32 v0, s14, 8, v11
	v_mov_b32_e32 v1, 0
	s_ashr_i32 s7, s36, 31
	s_mov_b32 s6, s36
                                        ; implicit-def: $vgpr2_vgpr3
	s_delay_alu instid0(VALU_DEP_1) | instid1(SALU_CYCLE_1)
	v_cmp_gt_i64_e32 vcc_lo, s[6:7], v[0:1]
	s_mov_b32 s6, 0
	s_and_saveexec_b32 s2, vcc_lo
	s_cbranch_execz .LBB641_8
; %bb.5:
	v_mad_u64_u32 v[2:3], null, v0, s8, 0
	v_cmp_eq_f32_e64 s6, s34, 0
	s_delay_alu instid0(VALU_DEP_1) | instskip(NEXT) | instid1(VALU_DEP_2)
	s_and_b32 vcc_lo, exec_lo, s6
	v_mad_u64_u32 v[4:5], null, v0, s9, v[3:4]
	s_delay_alu instid0(VALU_DEP_1)
	v_mov_b32_e32 v3, v4
	s_cbranch_vccnz .LBB641_7
; %bb.6:
	s_delay_alu instid0(VALU_DEP_1) | instskip(NEXT) | instid1(VALU_DEP_1)
	v_lshlrev_b64 v[0:1], 2, v[2:3]
	v_add_co_u32 v0, vcc_lo, s5, v0
	s_delay_alu instid0(VALU_DEP_2)
	v_add_co_ci_u32_e32 v1, vcc_lo, s33, v1, vcc_lo
	global_load_b32 v0, v[0:1], off
	s_waitcnt vmcnt(0)
	v_mul_f32_e32 v1, s34, v0
.LBB641_7:
	s_mov_b32 s6, exec_lo
.LBB641_8:
	s_or_b32 exec_lo, exec_lo, s2
	s_delay_alu instid0(SALU_CYCLE_1) | instskip(SKIP_1) | instid1(SALU_CYCLE_1)
	s_and_b32 s35, s6, exec_lo
	s_or_b32 exec_lo, exec_lo, s4
	s_and_b32 vcc_lo, exec_lo, s3
	s_cbranch_vccnz .LBB641_11
	s_branch .LBB641_48
.LBB641_9:
                                        ; implicit-def: $vgpr1
                                        ; implicit-def: $vgpr2_vgpr3
	s_cbranch_execnz .LBB641_11
	s_branch .LBB641_48
.LBB641_10:
	s_or_b32 exec_lo, exec_lo, s4
	s_delay_alu instid0(SALU_CYCLE_1)
	s_and_b32 vcc_lo, exec_lo, s3
	s_cbranch_vccz .LBB641_48
.LBB641_11:
	s_load_b512 s[16:31], s[0:1], 0x18
	s_ashr_i32 s0, s37, 31
	s_lshl_b32 s39, s14, 8
	s_lshr_b32 s0, s0, 26
	v_dual_mov_b32 v15, 0 :: v_dual_lshlrev_b32 v18, 2, v13
	v_dual_mov_b32 v14, 0 :: v_dual_mov_b32 v17, 0
	v_mov_b32_e32 v16, 0
	v_add_nc_u32_e32 v0, s39, v12
	s_add_i32 s40, s37, s0
	s_delay_alu instid0(SALU_CYCLE_1)
	s_and_not1_b32 s40, s40, 63
	s_waitcnt lgkmcnt(0)
	s_mul_i32 s0, s15, s23
	s_mul_hi_u32 s1, s15, s22
	s_mul_i32 s2, s15, s31
	s_mul_hi_u32 s3, s15, s30
	s_mul_i32 s6, s15, s22
	s_add_i32 s7, s1, s0
	s_add_i32 s11, s3, s2
	s_mul_i32 s10, s15, s30
	s_mov_b32 s30, exec_lo
	v_cmpx_gt_i32_e64 s40, v18
	s_cbranch_execz .LBB641_23
; %bb.12:
	v_lshlrev_b32_e32 v29, 2, v13
	v_mad_u64_u32 v[2:3], null, s28, v13, 0
	v_add_nc_u32_e32 v15, 0x80, v0
	s_lshl_b64 s[0:1], s[10:11], 1
	s_delay_alu instid0(VALU_DEP_3)
	v_or_b32_e32 v16, 3, v29
	s_lshl_b64 s[12:13], s[26:27], 1
	s_add_u32 s4, s24, s0
	s_addc_u32 s31, s25, s1
	v_cmp_gt_i32_e64 s1, s36, v15
	v_mad_u64_u32 v[4:5], null, s20, v16, 0
	s_lshl_b64 s[22:23], s[18:19], 1
	s_lshl_b64 s[14:15], s[28:29], 7
	;; [unrolled: 1-line block ×3, first 2 shown]
	v_ashrrev_i32_e32 v1, 31, v0
	v_cmp_gt_i32_e32 vcc_lo, s36, v0
	s_delay_alu instid0(VALU_DEP_3) | instskip(SKIP_2) | instid1(VALU_DEP_3)
	v_mad_u64_u32 v[6:7], null, s29, v13, v[3:4]
	v_add_nc_u32_e32 v14, 64, v0
	v_mad_u64_u32 v[7:8], null, s28, v16, 0
	v_mov_b32_e32 v3, v6
	v_mad_u64_u32 v[9:10], null, s21, v16, v[5:6]
	s_delay_alu instid0(VALU_DEP_4) | instskip(NEXT) | instid1(VALU_DEP_3)
	v_cmp_gt_i32_e64 s0, s36, v14
	v_lshlrev_b64 v[14:15], 3, v[2:3]
	v_mov_b32_e32 v3, v8
	v_lshlrev_b64 v[1:2], 1, v[0:1]
	v_mov_b32_e32 v5, v9
	v_mad_u64_u32 v[9:10], null, s20, v13, 0
	v_add_co_u32 v19, s3, s4, v14
	s_delay_alu instid0(VALU_DEP_3) | instskip(SKIP_4) | instid1(VALU_DEP_2)
	v_lshlrev_b64 v[4:5], 1, v[4:5]
	v_add_co_ci_u32_e64 v20, s3, s31, v15, s3
	s_add_u32 s3, s16, s22
	s_addc_u32 s22, s17, s23
	s_add_u32 s23, s3, s42
	v_mad_u64_u32 v[14:15], null, s29, v16, v[3:4]
	v_mov_b32_e32 v3, v10
	s_addc_u32 s22, s22, s43
	v_add_co_u32 v21, s3, s23, v4
	s_delay_alu instid0(VALU_DEP_1) | instskip(NEXT) | instid1(VALU_DEP_4)
	v_add_co_ci_u32_e64 v22, s3, s22, v5, s3
	v_mov_b32_e32 v8, v14
	v_or_b32_e32 v23, 2, v29
	v_mad_u64_u32 v[31:32], null, s20, v29, s[20:21]
	s_delay_alu instid0(VALU_DEP_2) | instskip(SKIP_1) | instid1(VALU_DEP_2)
	v_mad_u64_u32 v[27:28], null, s28, v23, 0
	v_mad_u64_u32 v[14:15], null, s20, v23, 0
	v_dual_mov_b32 v6, v28 :: v_dual_add_nc_u32 v17, 0xc0, v0
	s_delay_alu instid0(VALU_DEP_1) | instskip(SKIP_3) | instid1(VALU_DEP_1)
	v_cmp_gt_i32_e64 s2, s36, v17
	v_mad_u64_u32 v[16:17], null, s21, v13, v[3:4]
	v_lshlrev_b64 v[4:5], 1, v[7:8]
	v_mov_b32_e32 v3, v15
	v_mad_u64_u32 v[7:8], null, s21, v23, v[3:4]
	s_delay_alu instid0(VALU_DEP_4) | instskip(SKIP_1) | instid1(VALU_DEP_3)
	v_mov_b32_e32 v10, v16
	v_mad_u64_u32 v[16:17], null, s28, v29, s[28:29]
	v_mad_u64_u32 v[25:26], null, s29, v23, v[6:7]
	v_add_co_u32 v23, s3, s4, v4
	s_delay_alu instid0(VALU_DEP_1) | instskip(SKIP_3) | instid1(VALU_DEP_3)
	v_add_co_ci_u32_e64 v24, s3, s31, v5, s3
	v_lshlrev_b64 v[4:5], 3, v[9:10]
	v_mov_b32_e32 v3, v17
	v_dual_mov_b32 v15, v7 :: v_dual_mov_b32 v28, v25
	v_add_co_u32 v25, s3, s23, v4
	s_delay_alu instid0(VALU_DEP_3) | instskip(SKIP_1) | instid1(VALU_DEP_4)
	v_mad_u64_u32 v[6:7], null, s29, v29, v[3:4]
	v_add_co_ci_u32_e64 v26, s3, s22, v5, s3
	v_lshlrev_b64 v[4:5], 1, v[14:15]
	v_dual_mov_b32 v3, v32 :: v_dual_mov_b32 v14, 0
	v_mov_b32_e32 v15, 0
	v_mov_b32_e32 v17, v6
	s_delay_alu instid0(VALU_DEP_3) | instskip(SKIP_2) | instid1(VALU_DEP_4)
	v_mad_u64_u32 v[7:8], null, s21, v29, v[3:4]
	v_lshlrev_b64 v[8:9], 1, v[27:28]
	v_add_co_u32 v27, s3, s23, v4
	v_lshlrev_b64 v[3:4], 1, v[16:17]
	v_mov_b32_e32 v16, 0
	v_add_co_ci_u32_e64 v28, s3, s22, v5, s3
	v_mov_b32_e32 v32, v7
	v_add_co_u32 v29, s3, s4, v8
	s_delay_alu instid0(VALU_DEP_1) | instskip(NEXT) | instid1(VALU_DEP_3)
	v_add_co_ci_u32_e64 v30, s3, s31, v9, s3
	v_lshlrev_b64 v[5:6], 1, v[31:32]
	v_add_co_u32 v31, s3, s4, v3
	s_delay_alu instid0(VALU_DEP_1) | instskip(SKIP_1) | instid1(VALU_DEP_4)
	v_add_co_ci_u32_e64 v32, s3, s31, v4, s3
	v_mov_b32_e32 v17, 0
	v_add_co_u32 v33, s3, s23, v5
	s_delay_alu instid0(VALU_DEP_1)
	v_add_co_ci_u32_e64 v34, s3, s22, v6, s3
	s_lshl_b64 s[22:23], s[20:21], 7
	s_mov_b32 s31, 0
	s_branch .LBB641_17
.LBB641_13:                             ;   in Loop: Header=BB641_17 Depth=1
	s_or_b32 exec_lo, exec_lo, s42
	s_waitcnt vmcnt(2)
	v_lshlrev_b32_e32 v4, 16, v49
	v_lshlrev_b32_e32 v3, 16, v50
	s_waitcnt vmcnt(1)
	s_delay_alu instid0(VALU_DEP_1) | instskip(NEXT) | instid1(VALU_DEP_1)
	v_dual_fmac_f32 v16, v42, v3 :: v_dual_lshlrev_b32 v3, 16, v48
	v_fmac_f32_e32 v16, v40, v4
	s_delay_alu instid0(VALU_DEP_1) | instskip(SKIP_2) | instid1(VALU_DEP_1)
	v_fmac_f32_e32 v16, v38, v3
	s_waitcnt vmcnt(0)
	v_lshlrev_b32_e32 v3, 16, v47
	v_fmac_f32_e32 v16, v37, v3
.LBB641_14:                             ;   in Loop: Header=BB641_17 Depth=1
	s_or_b32 exec_lo, exec_lo, s41
	s_waitcnt vmcnt(3)
	v_lshlrev_b32_e32 v3, 16, v46
	s_waitcnt vmcnt(2)
	s_delay_alu instid0(VALU_DEP_1) | instskip(SKIP_2) | instid1(VALU_DEP_2)
	v_dual_fmac_f32 v15, v42, v3 :: v_dual_lshlrev_b32 v4, 16, v45
	s_waitcnt vmcnt(1)
	v_lshlrev_b32_e32 v3, 16, v44
	v_fmac_f32_e32 v15, v40, v4
	s_delay_alu instid0(VALU_DEP_1) | instskip(SKIP_2) | instid1(VALU_DEP_1)
	v_fmac_f32_e32 v15, v38, v3
	s_waitcnt vmcnt(0)
	v_lshlrev_b32_e32 v3, 16, v43
	v_fmac_f32_e32 v15, v37, v3
.LBB641_15:                             ;   in Loop: Header=BB641_17 Depth=1
	s_or_b32 exec_lo, exec_lo, s3
	s_waitcnt vmcnt(2)
	v_lshlrev_b32_e32 v4, 16, v39
	v_lshlrev_b32_e32 v3, 16, v41
	s_waitcnt vmcnt(1)
	s_delay_alu instid0(VALU_DEP_1) | instskip(NEXT) | instid1(VALU_DEP_1)
	v_dual_fmac_f32 v14, v42, v3 :: v_dual_lshlrev_b32 v3, 16, v36
	v_fmac_f32_e32 v14, v40, v4
	s_delay_alu instid0(VALU_DEP_1) | instskip(SKIP_2) | instid1(VALU_DEP_1)
	v_fmac_f32_e32 v14, v38, v3
	s_waitcnt vmcnt(0)
	v_lshlrev_b32_e32 v3, 16, v35
	v_fmac_f32_e32 v14, v37, v3
.LBB641_16:                             ;   in Loop: Header=BB641_17 Depth=1
	s_or_b32 exec_lo, exec_lo, s4
	v_add_co_u32 v19, s3, v19, s14
	s_delay_alu instid0(VALU_DEP_1) | instskip(SKIP_1) | instid1(VALU_DEP_1)
	v_add_co_ci_u32_e64 v20, s3, s15, v20, s3
	v_add_co_u32 v21, s3, v21, s22
	v_add_co_ci_u32_e64 v22, s3, s23, v22, s3
	v_add_co_u32 v23, s3, v23, s14
	s_delay_alu instid0(VALU_DEP_1) | instskip(SKIP_1) | instid1(VALU_DEP_1)
	v_add_co_ci_u32_e64 v24, s3, s15, v24, s3
	v_add_co_u32 v25, s3, v25, s22
	v_add_co_ci_u32_e64 v26, s3, s23, v26, s3
	v_add_co_u32 v27, s3, v27, s22
	s_delay_alu instid0(VALU_DEP_1) | instskip(SKIP_4) | instid1(VALU_DEP_1)
	v_add_co_ci_u32_e64 v28, s3, s23, v28, s3
	v_add_co_u32 v29, s3, v29, s14
	v_add_nc_u32_e32 v18, 64, v18
	v_add_co_ci_u32_e64 v30, s3, s15, v30, s3
	v_add_co_u32 v31, s3, v31, s14
	v_add_co_ci_u32_e64 v32, s3, s15, v32, s3
	s_delay_alu instid0(VALU_DEP_4) | instskip(SKIP_1) | instid1(VALU_DEP_1)
	v_cmp_le_i32_e64 s3, s40, v18
	v_add_co_u32 v33, s4, v33, s22
	v_add_co_ci_u32_e64 v34, s4, s23, v34, s4
	s_delay_alu instid0(VALU_DEP_3) | instskip(NEXT) | instid1(SALU_CYCLE_1)
	s_or_b32 s31, s3, s31
	s_and_not1_b32 exec_lo, exec_lo, s31
	s_cbranch_execz .LBB641_22
.LBB641_17:                             ; =>This Inner Loop Header: Depth=1
	s_and_saveexec_b32 s4, vcc_lo
	s_cbranch_execz .LBB641_16
; %bb.18:                               ;   in Loop: Header=BB641_17 Depth=1
	v_add_co_u32 v3, s3, v19, s12
	s_delay_alu instid0(VALU_DEP_1) | instskip(SKIP_1) | instid1(VALU_DEP_1)
	v_add_co_ci_u32_e64 v4, s3, s13, v20, s3
	v_add_co_u32 v5, s3, v31, s12
	v_add_co_ci_u32_e64 v6, s3, s13, v32, s3
	v_add_co_u32 v7, s3, v29, s12
	s_delay_alu instid0(VALU_DEP_1) | instskip(SKIP_1) | instid1(VALU_DEP_1)
	v_add_co_ci_u32_e64 v8, s3, s13, v30, s3
	v_add_co_u32 v9, s3, v23, s12
	v_add_co_ci_u32_e64 v10, s3, s13, v24, s3
	global_load_u16 v37, v[3:4], off
	global_load_u16 v38, v[5:6], off
	;; [unrolled: 1-line block ×4, first 2 shown]
	v_add_co_u32 v3, s3, v25, v1
	s_delay_alu instid0(VALU_DEP_1) | instskip(SKIP_1) | instid1(VALU_DEP_1)
	v_add_co_ci_u32_e64 v4, s3, v26, v2, s3
	v_add_co_u32 v5, s3, v33, v1
	v_add_co_ci_u32_e64 v6, s3, v34, v2, s3
	v_add_co_u32 v7, s3, v27, v1
	s_delay_alu instid0(VALU_DEP_1) | instskip(SKIP_1) | instid1(VALU_DEP_1)
	v_add_co_ci_u32_e64 v8, s3, v28, v2, s3
	v_add_co_u32 v9, s3, v21, v1
	v_add_co_ci_u32_e64 v10, s3, v22, v2, s3
	global_load_u16 v41, v[3:4], off
	global_load_u16 v39, v[5:6], off
	;; [unrolled: 1-line block ×4, first 2 shown]
	s_waitcnt vmcnt(7)
	v_lshlrev_b32_e32 v42, 16, v37
	s_waitcnt vmcnt(6)
	v_lshlrev_b32_e32 v40, 16, v38
	;; [unrolled: 2-line block ×4, first 2 shown]
	s_and_saveexec_b32 s3, s0
	s_cbranch_execz .LBB641_15
; %bb.19:                               ;   in Loop: Header=BB641_17 Depth=1
	global_load_u16 v46, v[3:4], off offset:128
	global_load_u16 v45, v[5:6], off offset:128
	global_load_u16 v44, v[7:8], off offset:128
	global_load_u16 v43, v[9:10], off offset:128
	s_and_saveexec_b32 s41, s1
	s_cbranch_execz .LBB641_14
; %bb.20:                               ;   in Loop: Header=BB641_17 Depth=1
	global_load_u16 v50, v[3:4], off offset:256
	global_load_u16 v49, v[5:6], off offset:256
	global_load_u16 v48, v[7:8], off offset:256
	global_load_u16 v47, v[9:10], off offset:256
	;; [unrolled: 7-line block ×3, first 2 shown]
	s_waitcnt vmcnt(3)
	v_lshlrev_b32_e32 v3, 16, v3
	s_waitcnt vmcnt(2)
	s_delay_alu instid0(VALU_DEP_1) | instskip(SKIP_2) | instid1(VALU_DEP_2)
	v_dual_fmac_f32 v17, v42, v3 :: v_dual_lshlrev_b32 v4, 16, v4
	s_waitcnt vmcnt(1)
	v_lshlrev_b32_e32 v3, 16, v5
	v_fmac_f32_e32 v17, v40, v4
	s_delay_alu instid0(VALU_DEP_1) | instskip(SKIP_2) | instid1(VALU_DEP_1)
	v_fmac_f32_e32 v17, v38, v3
	s_waitcnt vmcnt(0)
	v_lshlrev_b32_e32 v3, 16, v6
	v_fmac_f32_e32 v17, v37, v3
	s_branch .LBB641_13
.LBB641_22:
	s_or_b32 exec_lo, exec_lo, s31
.LBB641_23:
	s_delay_alu instid0(SALU_CYCLE_1) | instskip(SKIP_1) | instid1(SALU_CYCLE_1)
	s_or_b32 exec_lo, exec_lo, s30
	s_sub_i32 s0, s37, s40
	s_cmp_lt_i32 s0, 1
	s_cbranch_scc1 .LBB641_41
; %bb.24:
	v_cmp_gt_i32_e32 vcc_lo, s37, v18
	v_dual_mov_b32 v9, 0 :: v_dual_mov_b32 v10, 0
	v_or_b32_e32 v2, 1, v18
	v_dual_mov_b32 v19, 0 :: v_dual_mov_b32 v20, 0
	s_and_saveexec_b32 s1, vcc_lo
	s_cbranch_execz .LBB641_32
; %bb.25:
	v_mad_u64_u32 v[3:4], null, v18, s28, 0
	s_lshl_b64 s[2:3], s[10:11], 1
	v_mov_b32_e32 v19, 0
	s_add_u32 s0, s24, s2
	s_addc_u32 s2, s25, s3
	s_lshl_b64 s[10:11], s[26:27], 1
	v_mov_b32_e32 v9, 0
	s_delay_alu instid0(VALU_DEP_3) | instskip(SKIP_3) | instid1(VALU_DEP_1)
	v_dual_mov_b32 v1, v4 :: v_dual_mov_b32 v10, 0
	s_add_u32 s3, s0, s10
	s_addc_u32 s4, s2, s11
	s_mov_b32 s2, exec_lo
	v_mad_u64_u32 v[4:5], null, v18, s29, v[1:2]
	s_delay_alu instid0(VALU_DEP_1) | instskip(NEXT) | instid1(VALU_DEP_1)
	v_lshlrev_b64 v[3:4], 1, v[3:4]
	v_add_co_u32 v3, s0, s3, v3
	s_delay_alu instid0(VALU_DEP_1)
	v_add_co_ci_u32_e64 v4, s0, s4, v4, s0
	global_load_u16 v1, v[3:4], off
	v_cmpx_gt_i32_e64 s37, v2
	s_cbranch_execz .LBB641_31
; %bb.26:
	v_mad_u64_u32 v[3:4], null, v2, s28, 0
	v_mov_b32_e32 v10, 0
	s_mov_b32 s10, exec_lo
	v_mov_b32_e32 v9, 0
	s_delay_alu instid0(VALU_DEP_3) | instskip(NEXT) | instid1(VALU_DEP_1)
	v_mad_u64_u32 v[5:6], null, v2, s29, v[4:5]
	v_mov_b32_e32 v4, v5
	s_delay_alu instid0(VALU_DEP_1) | instskip(NEXT) | instid1(VALU_DEP_1)
	v_lshlrev_b64 v[3:4], 1, v[3:4]
	v_add_co_u32 v3, s0, s3, v3
	s_delay_alu instid0(VALU_DEP_1) | instskip(SKIP_2) | instid1(VALU_DEP_1)
	v_add_co_ci_u32_e64 v4, s0, s4, v4, s0
	global_load_u16 v3, v[3:4], off
	v_or_b32_e32 v4, 2, v18
	v_cmpx_gt_i32_e64 s37, v4
	s_cbranch_execz .LBB641_30
; %bb.27:
	v_mad_u64_u32 v[5:6], null, v4, s28, 0
	s_mov_b32 s11, exec_lo
	v_mov_b32_e32 v9, 0
	s_delay_alu instid0(VALU_DEP_2) | instskip(NEXT) | instid1(VALU_DEP_1)
	v_mad_u64_u32 v[7:8], null, v4, s29, v[6:7]
	v_mov_b32_e32 v6, v7
	s_delay_alu instid0(VALU_DEP_1) | instskip(NEXT) | instid1(VALU_DEP_1)
	v_lshlrev_b64 v[4:5], 1, v[5:6]
	v_add_co_u32 v4, s0, s3, v4
	s_delay_alu instid0(VALU_DEP_1) | instskip(SKIP_2) | instid1(VALU_DEP_1)
	v_add_co_ci_u32_e64 v5, s0, s4, v5, s0
	global_load_u16 v4, v[4:5], off
	v_or_b32_e32 v5, 3, v18
	v_cmpx_gt_i32_e64 s37, v5
	s_cbranch_execz .LBB641_29
; %bb.28:
	v_mad_u64_u32 v[6:7], null, v5, s28, 0
	s_delay_alu instid0(VALU_DEP_1) | instskip(NEXT) | instid1(VALU_DEP_1)
	v_mad_u64_u32 v[8:9], null, v5, s29, v[7:8]
	v_mov_b32_e32 v7, v8
	s_delay_alu instid0(VALU_DEP_1) | instskip(NEXT) | instid1(VALU_DEP_1)
	v_lshlrev_b64 v[5:6], 1, v[6:7]
	v_add_co_u32 v5, s0, s3, v5
	s_delay_alu instid0(VALU_DEP_1)
	v_add_co_ci_u32_e64 v6, s0, s4, v6, s0
	global_load_u16 v5, v[5:6], off
	s_waitcnt vmcnt(0)
	v_lshlrev_b32_e32 v9, 16, v5
.LBB641_29:
	s_or_b32 exec_lo, exec_lo, s11
	s_waitcnt vmcnt(0)
	v_lshlrev_b32_e32 v10, 16, v4
.LBB641_30:
	s_or_b32 exec_lo, exec_lo, s10
	s_waitcnt vmcnt(0)
	v_lshlrev_b32_e32 v19, 16, v3
.LBB641_31:
	s_or_b32 exec_lo, exec_lo, s2
	s_waitcnt vmcnt(0)
	v_lshlrev_b32_e32 v20, 16, v1
.LBB641_32:
	s_or_b32 exec_lo, exec_lo, s1
	s_delay_alu instid0(SALU_CYCLE_1)
	s_mov_b32 s1, exec_lo
	v_cmpx_gt_i32_e64 s36, v0
	s_cbranch_execz .LBB641_40
; %bb.33:
	v_mad_u64_u32 v[3:4], null, v18, s20, 0
	v_mad_u64_u32 v[5:6], null, v2, s20, 0
	v_ashrrev_i32_e32 v1, 31, v0
	s_lshl_b64 s[2:3], s[6:7], 1
	v_or_b32_e32 v28, 2, v18
	s_add_u32 s0, s16, s2
	s_delay_alu instid0(VALU_DEP_4)
	v_cndmask_b32_e32 v3, 0, v3, vcc_lo
	v_lshlrev_b64 v[21:22], 1, v[0:1]
	v_mad_u64_u32 v[7:8], null, v18, s21, v[4:5]
	s_addc_u32 s4, s17, s3
	s_lshl_b64 s[2:3], s[18:19], 1
	v_or_b32_e32 v18, 3, v18
	s_add_u32 s2, s0, s2
	v_mov_b32_e32 v1, v6
	v_mad_u64_u32 v[23:24], null, v28, s20, 0
	s_delay_alu instid0(VALU_DEP_4) | instskip(SKIP_1) | instid1(VALU_DEP_4)
	v_cndmask_b32_e32 v4, 0, v7, vcc_lo
	v_cmp_gt_i32_e32 vcc_lo, s37, v2
	v_mad_u64_u32 v[25:26], null, v2, s21, v[1:2]
	s_addc_u32 s3, s4, s3
	v_mad_u64_u32 v[6:7], null, v18, s20, 0
	v_cndmask_b32_e32 v26, 0, v5, vcc_lo
	v_lshlrev_b64 v[3:4], 1, v[3:4]
	s_delay_alu instid0(VALU_DEP_4) | instskip(NEXT) | instid1(VALU_DEP_2)
	v_cndmask_b32_e32 v27, 0, v25, vcc_lo
	v_add_co_u32 v1, s0, s2, v3
	s_delay_alu instid0(VALU_DEP_1) | instskip(NEXT) | instid1(VALU_DEP_3)
	v_add_co_ci_u32_e64 v2, s0, s3, v4, s0
	v_lshlrev_b64 v[3:4], 1, v[26:27]
	s_delay_alu instid0(VALU_DEP_3) | instskip(NEXT) | instid1(VALU_DEP_3)
	v_add_co_u32 v1, vcc_lo, v1, v21
	v_add_co_ci_u32_e32 v2, vcc_lo, v2, v22, vcc_lo
	v_cmp_gt_i32_e32 vcc_lo, s37, v28
	v_mov_b32_e32 v5, v24
	v_add_co_u32 v3, s0, s2, v3
	s_delay_alu instid0(VALU_DEP_1) | instskip(NEXT) | instid1(VALU_DEP_3)
	v_add_co_ci_u32_e64 v4, s0, s3, v4, s0
	v_mad_u64_u32 v[24:25], null, v28, s21, v[5:6]
	s_delay_alu instid0(VALU_DEP_3) | instskip(SKIP_1) | instid1(VALU_DEP_4)
	v_add_co_u32 v3, s0, v3, v21
	v_mov_b32_e32 v5, v7
	v_add_co_ci_u32_e64 v4, s0, v4, v22, s0
	s_delay_alu instid0(VALU_DEP_4) | instskip(NEXT) | instid1(VALU_DEP_3)
	v_dual_cndmask_b32 v7, 0, v23 :: v_dual_cndmask_b32 v8, 0, v24
	v_mad_u64_u32 v[25:26], null, v18, s21, v[5:6]
	v_cmp_gt_i32_e32 vcc_lo, s37, v18
	s_clause 0x1
	global_load_u16 v18, v[1:2], off
	global_load_u16 v23, v[3:4], off
	s_mov_b32 s0, exec_lo
	s_waitcnt vmcnt(1)
	v_lshlrev_b32_e32 v18, 16, v18
	s_waitcnt vmcnt(0)
	s_delay_alu instid0(VALU_DEP_1) | instskip(SKIP_2) | instid1(VALU_DEP_3)
	v_dual_fmac_f32 v14, v20, v18 :: v_dual_lshlrev_b32 v23, 16, v23
	v_dual_cndmask_b32 v5, 0, v6 :: v_dual_cndmask_b32 v6, 0, v25
	v_lshlrev_b64 v[7:8], 1, v[7:8]
	v_dual_fmac_f32 v14, v19, v23 :: v_dual_add_nc_u32 v23, 64, v0
	s_delay_alu instid0(VALU_DEP_3) | instskip(NEXT) | instid1(VALU_DEP_3)
	v_lshlrev_b64 v[5:6], 1, v[5:6]
	v_add_co_u32 v7, vcc_lo, s2, v7
	s_delay_alu instid0(VALU_DEP_4) | instskip(NEXT) | instid1(VALU_DEP_3)
	v_add_co_ci_u32_e32 v8, vcc_lo, s3, v8, vcc_lo
	v_add_co_u32 v5, vcc_lo, s2, v5
	s_delay_alu instid0(VALU_DEP_4) | instskip(NEXT) | instid1(VALU_DEP_4)
	v_add_co_ci_u32_e32 v6, vcc_lo, s3, v6, vcc_lo
	v_add_co_u32 v7, vcc_lo, v7, v21
	s_delay_alu instid0(VALU_DEP_4) | instskip(NEXT) | instid1(VALU_DEP_4)
	v_add_co_ci_u32_e32 v8, vcc_lo, v8, v22, vcc_lo
	v_add_co_u32 v5, vcc_lo, v5, v21
	s_delay_alu instid0(VALU_DEP_4)
	v_add_co_ci_u32_e32 v6, vcc_lo, v6, v22, vcc_lo
	s_clause 0x1
	global_load_u16 v21, v[7:8], off
	global_load_u16 v22, v[5:6], off
	s_waitcnt vmcnt(1)
	v_lshlrev_b32_e32 v21, 16, v21
	s_waitcnt vmcnt(0)
	v_lshlrev_b32_e32 v18, 16, v22
	s_delay_alu instid0(VALU_DEP_2)
	v_fmac_f32_e32 v14, v10, v21
	v_cmpx_gt_i32_e64 s36, v23
	s_cbranch_execz .LBB641_39
; %bb.34:
	s_clause 0x3
	global_load_u16 v21, v[1:2], off offset:128
	global_load_u16 v22, v[3:4], off offset:128
	;; [unrolled: 1-line block ×4, first 2 shown]
	s_mov_b32 s2, exec_lo
	s_waitcnt vmcnt(3)
	v_lshlrev_b32_e32 v21, 16, v21
	s_waitcnt vmcnt(2)
	v_lshlrev_b32_e32 v22, 16, v22
	s_waitcnt vmcnt(1)
	v_lshlrev_b32_e32 v23, 16, v23
	v_fmac_f32_e32 v15, v20, v21
	s_waitcnt vmcnt(0)
	v_lshlrev_b32_e32 v21, 16, v24
	s_delay_alu instid0(VALU_DEP_2) | instskip(NEXT) | instid1(VALU_DEP_1)
	v_dual_fmac_f32 v15, v19, v22 :: v_dual_add_nc_u32 v22, 0x80, v0
	v_fmac_f32_e32 v15, v10, v23
	s_delay_alu instid0(VALU_DEP_2)
	v_cmpx_gt_i32_e64 s36, v22
	s_cbranch_execz .LBB641_38
; %bb.35:
	s_clause 0x3
	global_load_u16 v22, v[1:2], off offset:256
	global_load_u16 v23, v[3:4], off offset:256
	;; [unrolled: 1-line block ×4, first 2 shown]
	s_mov_b32 s3, exec_lo
	s_waitcnt vmcnt(3)
	v_lshlrev_b32_e32 v22, 16, v22
	s_waitcnt vmcnt(2)
	s_delay_alu instid0(VALU_DEP_1) | instskip(SKIP_2) | instid1(VALU_DEP_2)
	v_dual_fmac_f32 v16, v20, v22 :: v_dual_lshlrev_b32 v23, 16, v23
	s_waitcnt vmcnt(1)
	v_lshlrev_b32_e32 v22, 16, v24
	v_dual_fmac_f32 v16, v19, v23 :: v_dual_add_nc_u32 v23, 0xc0, v0
	s_waitcnt vmcnt(0)
	v_lshlrev_b32_e32 v0, 16, v25
	s_delay_alu instid0(VALU_DEP_2) | instskip(NEXT) | instid1(VALU_DEP_3)
	v_fmac_f32_e32 v16, v10, v22
	v_cmpx_gt_i32_e64 s36, v23
	s_cbranch_execz .LBB641_37
; %bb.36:
	s_clause 0x3
	global_load_u16 v1, v[1:2], off offset:384
	global_load_u16 v2, v[3:4], off offset:384
	;; [unrolled: 1-line block ×4, first 2 shown]
	s_waitcnt vmcnt(3)
	v_lshlrev_b32_e32 v1, 16, v1
	s_waitcnt vmcnt(2)
	s_delay_alu instid0(VALU_DEP_1) | instskip(SKIP_2) | instid1(VALU_DEP_2)
	v_dual_fmac_f32 v17, v20, v1 :: v_dual_lshlrev_b32 v2, 16, v2
	s_waitcnt vmcnt(1)
	v_lshlrev_b32_e32 v1, 16, v3
	v_fmac_f32_e32 v17, v19, v2
	s_delay_alu instid0(VALU_DEP_1) | instskip(SKIP_2) | instid1(VALU_DEP_1)
	v_fmac_f32_e32 v17, v10, v1
	s_waitcnt vmcnt(0)
	v_lshlrev_b32_e32 v1, 16, v4
	v_fmac_f32_e32 v17, v9, v1
.LBB641_37:
	s_or_b32 exec_lo, exec_lo, s3
	s_delay_alu instid0(VALU_DEP_2)
	v_fmac_f32_e32 v16, v9, v0
.LBB641_38:
	s_or_b32 exec_lo, exec_lo, s2
	s_delay_alu instid0(VALU_DEP_2)
	v_fmac_f32_e32 v15, v9, v21
.LBB641_39:
	s_or_b32 exec_lo, exec_lo, s0
	s_delay_alu instid0(VALU_DEP_2)
	v_fmac_f32_e32 v14, v9, v18
.LBB641_40:
	s_or_b32 exec_lo, exec_lo, s1
.LBB641_41:
	v_lshlrev_b32_e32 v0, 8, v13
	s_mov_b32 s0, exec_lo
                                        ; implicit-def: $vgpr1
                                        ; implicit-def: $vgpr2_vgpr3
	s_delay_alu instid0(VALU_DEP_1)
	v_add_lshl_u32 v0, v0, v12, 2
	ds_store_2addr_stride64_b32 v0, v14, v15 offset1:1
	ds_store_2addr_stride64_b32 v0, v16, v17 offset0:2 offset1:3
	s_waitcnt lgkmcnt(0)
	s_barrier
	buffer_gl0_inv
	v_cmpx_gt_u32_e32 0x100, v11
	s_cbranch_execz .LBB641_47
; %bb.42:
	v_lshlrev_b32_e32 v6, 2, v11
	s_mov_b32 s2, s35
	s_mov_b32 s1, exec_lo
	ds_load_2addr_stride64_b32 v[0:1], v6 offset1:4
	ds_load_2addr_stride64_b32 v[2:3], v6 offset0:8 offset1:12
	ds_load_2addr_stride64_b32 v[4:5], v6 offset0:16 offset1:20
	s_waitcnt lgkmcnt(2)
	v_add_f32_e32 v7, v0, v1
	ds_load_2addr_stride64_b32 v[0:1], v6 offset0:24 offset1:28
	s_waitcnt lgkmcnt(2)
	v_add_f32_e32 v2, v2, v7
	s_delay_alu instid0(VALU_DEP_1) | instskip(SKIP_3) | instid1(VALU_DEP_1)
	v_add_f32_e32 v7, v3, v2
	ds_load_2addr_stride64_b32 v[2:3], v6 offset0:32 offset1:36
	s_waitcnt lgkmcnt(2)
	v_add_f32_e32 v4, v4, v7
	v_add_f32_e32 v7, v5, v4
	ds_load_2addr_stride64_b32 v[4:5], v6 offset0:40 offset1:44
	s_waitcnt lgkmcnt(2)
	v_add_f32_e32 v0, v0, v7
	s_delay_alu instid0(VALU_DEP_1) | instskip(SKIP_1) | instid1(VALU_DEP_1)
	v_add_f32_e32 v0, v1, v0
	s_waitcnt lgkmcnt(1)
	v_add_f32_e32 v2, v2, v0
	ds_load_2addr_stride64_b32 v[0:1], v6 offset0:48 offset1:52
	v_add_f32_e32 v2, v3, v2
	s_waitcnt lgkmcnt(1)
	s_delay_alu instid0(VALU_DEP_1) | instskip(SKIP_3) | instid1(VALU_DEP_1)
	v_add_f32_e32 v4, v4, v2
	ds_load_2addr_stride64_b32 v[2:3], v6 offset0:56 offset1:60
	v_add_f32_e32 v4, v5, v4
	s_waitcnt lgkmcnt(1)
	v_add_f32_e32 v0, v0, v4
	v_or_b32_e32 v4, s39, v11
	s_delay_alu instid0(VALU_DEP_2) | instskip(SKIP_1) | instid1(VALU_DEP_1)
	v_add_f32_e32 v0, v1, v0
                                        ; implicit-def: $vgpr1
	s_waitcnt lgkmcnt(0)
	v_add_f32_e32 v0, v2, v0
	s_delay_alu instid0(VALU_DEP_1)
	v_add_f32_e32 v0, v3, v0
                                        ; implicit-def: $vgpr2_vgpr3
	ds_store_b32 v6, v0
	v_cmpx_gt_i32_e64 s36, v4
	s_cbranch_execz .LBB641_46
; %bb.43:
	v_ashrrev_i32_e32 v1, 31, v4
	v_mul_lo_u32 v5, v4, s9
	v_mad_u64_u32 v[2:3], null, v4, s8, 0
	v_cmp_eq_f32_e64 s2, s34, 0
	s_delay_alu instid0(VALU_DEP_4) | instskip(SKIP_1) | instid1(VALU_DEP_3)
	v_mul_lo_u32 v4, v1, s8
	v_mul_f32_e32 v1, s38, v0
	s_and_b32 vcc_lo, exec_lo, s2
	s_delay_alu instid0(VALU_DEP_2)
	v_add3_u32 v3, v3, v5, v4
	s_cbranch_vccnz .LBB641_45
; %bb.44:
	s_delay_alu instid0(VALU_DEP_1) | instskip(NEXT) | instid1(VALU_DEP_1)
	v_lshlrev_b64 v[4:5], 2, v[2:3]
	v_add_co_u32 v4, vcc_lo, s5, v4
	s_delay_alu instid0(VALU_DEP_2)
	v_add_co_ci_u32_e32 v5, vcc_lo, s33, v5, vcc_lo
	global_load_b32 v0, v[4:5], off
	s_waitcnt vmcnt(0)
	v_fmac_f32_e32 v1, s34, v0
.LBB641_45:
	s_or_b32 s2, s35, exec_lo
.LBB641_46:
	s_or_b32 exec_lo, exec_lo, s1
	s_delay_alu instid0(SALU_CYCLE_1) | instskip(SKIP_1) | instid1(SALU_CYCLE_1)
	s_and_not1_b32 s1, s35, exec_lo
	s_and_b32 s2, s2, exec_lo
	s_or_b32 s35, s1, s2
.LBB641_47:
	s_or_b32 exec_lo, exec_lo, s0
.LBB641_48:
	s_and_saveexec_b32 s0, s35
	s_cbranch_execz .LBB641_50
; %bb.49:
	v_lshlrev_b64 v[2:3], 2, v[2:3]
	s_delay_alu instid0(VALU_DEP_1) | instskip(NEXT) | instid1(VALU_DEP_2)
	v_add_co_u32 v2, vcc_lo, s5, v2
	v_add_co_ci_u32_e32 v3, vcc_lo, s33, v3, vcc_lo
	global_store_b32 v[2:3], v1, off
.LBB641_50:
	s_nop 0
	s_sendmsg sendmsg(MSG_DEALLOC_VGPRS)
	s_endpgm
	.section	.rodata,"a",@progbits
	.p2align	6, 0x0
	.amdhsa_kernel _ZL20rocblas_gemvn_kernelILi64ELi16El16rocblas_bfloat16ffEviiT3_lPKT2_lT1_lS4_lS5_lS1_lPT4_lS5_li
		.amdhsa_group_segment_fixed_size 16384
		.amdhsa_private_segment_fixed_size 0
		.amdhsa_kernarg_size 400
		.amdhsa_user_sgpr_count 14
		.amdhsa_user_sgpr_dispatch_ptr 0
		.amdhsa_user_sgpr_queue_ptr 0
		.amdhsa_user_sgpr_kernarg_segment_ptr 1
		.amdhsa_user_sgpr_dispatch_id 0
		.amdhsa_user_sgpr_private_segment_size 0
		.amdhsa_wavefront_size32 1
		.amdhsa_uses_dynamic_stack 0
		.amdhsa_enable_private_segment 0
		.amdhsa_system_sgpr_workgroup_id_x 1
		.amdhsa_system_sgpr_workgroup_id_y 0
		.amdhsa_system_sgpr_workgroup_id_z 1
		.amdhsa_system_sgpr_workgroup_info 0
		.amdhsa_system_vgpr_workitem_id 1
		.amdhsa_next_free_vgpr 51
		.amdhsa_next_free_sgpr 44
		.amdhsa_reserve_vcc 1
		.amdhsa_float_round_mode_32 0
		.amdhsa_float_round_mode_16_64 0
		.amdhsa_float_denorm_mode_32 3
		.amdhsa_float_denorm_mode_16_64 3
		.amdhsa_dx10_clamp 1
		.amdhsa_ieee_mode 1
		.amdhsa_fp16_overflow 0
		.amdhsa_workgroup_processor_mode 1
		.amdhsa_memory_ordered 1
		.amdhsa_forward_progress 0
		.amdhsa_shared_vgpr_count 0
		.amdhsa_exception_fp_ieee_invalid_op 0
		.amdhsa_exception_fp_denorm_src 0
		.amdhsa_exception_fp_ieee_div_zero 0
		.amdhsa_exception_fp_ieee_overflow 0
		.amdhsa_exception_fp_ieee_underflow 0
		.amdhsa_exception_fp_ieee_inexact 0
		.amdhsa_exception_int_div_zero 0
	.end_amdhsa_kernel
	.section	.text._ZL20rocblas_gemvn_kernelILi64ELi16El16rocblas_bfloat16ffEviiT3_lPKT2_lT1_lS4_lS5_lS1_lPT4_lS5_li,"axG",@progbits,_ZL20rocblas_gemvn_kernelILi64ELi16El16rocblas_bfloat16ffEviiT3_lPKT2_lT1_lS4_lS5_lS1_lPT4_lS5_li,comdat
.Lfunc_end641:
	.size	_ZL20rocblas_gemvn_kernelILi64ELi16El16rocblas_bfloat16ffEviiT3_lPKT2_lT1_lS4_lS5_lS1_lPT4_lS5_li, .Lfunc_end641-_ZL20rocblas_gemvn_kernelILi64ELi16El16rocblas_bfloat16ffEviiT3_lPKT2_lT1_lS4_lS5_lS1_lPT4_lS5_li
                                        ; -- End function
	.section	.AMDGPU.csdata,"",@progbits
; Kernel info:
; codeLenInByte = 3652
; NumSgprs: 46
; NumVgprs: 51
; ScratchSize: 0
; MemoryBound: 0
; FloatMode: 240
; IeeeMode: 1
; LDSByteSize: 16384 bytes/workgroup (compile time only)
; SGPRBlocks: 5
; VGPRBlocks: 6
; NumSGPRsForWavesPerEU: 46
; NumVGPRsForWavesPerEU: 51
; Occupancy: 16
; WaveLimiterHint : 1
; COMPUTE_PGM_RSRC2:SCRATCH_EN: 0
; COMPUTE_PGM_RSRC2:USER_SGPR: 14
; COMPUTE_PGM_RSRC2:TRAP_HANDLER: 0
; COMPUTE_PGM_RSRC2:TGID_X_EN: 1
; COMPUTE_PGM_RSRC2:TGID_Y_EN: 0
; COMPUTE_PGM_RSRC2:TGID_Z_EN: 1
; COMPUTE_PGM_RSRC2:TIDIG_COMP_CNT: 1
	.section	.text._ZL22rocblas_gemvtsm_kernelILb0ELi256E16rocblas_bfloat16PKffEviiT2_lPKT1_lilS6_lilS3_lPT3_lil,"axG",@progbits,_ZL22rocblas_gemvtsm_kernelILb0ELi256E16rocblas_bfloat16PKffEviiT2_lPKT1_lilS6_lilS3_lPT3_lil,comdat
	.globl	_ZL22rocblas_gemvtsm_kernelILb0ELi256E16rocblas_bfloat16PKffEviiT2_lPKT1_lilS6_lilS3_lPT3_lil ; -- Begin function _ZL22rocblas_gemvtsm_kernelILb0ELi256E16rocblas_bfloat16PKffEviiT2_lPKT1_lilS6_lilS3_lPT3_lil
	.p2align	8
	.type	_ZL22rocblas_gemvtsm_kernelILb0ELi256E16rocblas_bfloat16PKffEviiT2_lPKT1_lilS6_lilS3_lPT3_lil,@function
_ZL22rocblas_gemvtsm_kernelILb0ELi256E16rocblas_bfloat16PKffEviiT2_lPKT1_lilS6_lilS3_lPT3_lil: ; @_ZL22rocblas_gemvtsm_kernelILb0ELi256E16rocblas_bfloat16PKffEviiT2_lPKT1_lilS6_lilS3_lPT3_lil
; %bb.0:
	s_clause 0x1
	s_load_b256 s[4:11], s[0:1], 0x8
	s_load_b256 s[16:23], s[0:1], 0x50
	s_waitcnt lgkmcnt(0)
	s_mul_i32 s3, s15, s7
	s_mul_hi_u32 s7, s15, s6
	s_mul_i32 s2, s15, s6
	s_add_i32 s3, s7, s3
	s_mul_i32 s6, s15, s21
	s_lshl_b64 s[2:3], s[2:3], 2
	s_mul_hi_u32 s7, s15, s20
	s_add_u32 s2, s4, s2
	s_addc_u32 s3, s5, s3
	s_add_i32 s5, s7, s6
	s_mul_i32 s4, s15, s20
	s_delay_alu instid0(SALU_CYCLE_1) | instskip(NEXT) | instid1(SALU_CYCLE_1)
	s_lshl_b64 s[4:5], s[4:5], 2
	s_add_u32 s4, s18, s4
	s_addc_u32 s5, s19, s5
	s_load_b32 s26, s[2:3], 0x0
	s_load_b32 s14, s[4:5], 0x0
	s_waitcnt lgkmcnt(0)
	v_cmp_eq_f32_e64 s2, s26, 0
	v_cmp_eq_f32_e64 s3, s14, 1.0
	s_delay_alu instid0(VALU_DEP_1) | instskip(NEXT) | instid1(SALU_CYCLE_1)
	s_and_b32 s2, s2, s3
	s_and_b32 vcc_lo, exec_lo, s2
	s_cbranch_vccnz .LBB642_58
; %bb.1:
	s_clause 0x3
	s_load_b64 s[2:3], s[0:1], 0x80
	s_load_b32 s12, s[0:1], 0x78
	s_load_b64 s[20:21], s[0:1], 0x70
	s_load_b64 s[18:19], s[0:1], 0x0
	v_cmp_neq_f32_e64 s4, s26, 0
	s_delay_alu instid0(VALU_DEP_1)
	s_and_b32 vcc_lo, exec_lo, s4
	s_waitcnt lgkmcnt(0)
	s_mul_i32 s3, s15, s3
	s_mul_hi_u32 s4, s15, s2
	s_mul_i32 s24, s15, s2
	s_add_i32 s25, s4, s3
	s_cbranch_vccnz .LBB642_9
; %bb.2:
	s_cmp_gt_i32 s19, 0
	v_cmp_neq_f32_e64 s2, s14, 0
	s_cselect_b32 s4, -1, 0
	s_delay_alu instid0(SALU_CYCLE_1) | instskip(NEXT) | instid1(VALU_DEP_2)
	v_cndmask_b32_e64 v1, 0, 1, s4
	s_and_b32 vcc_lo, exec_lo, s2
	s_delay_alu instid0(VALU_DEP_1)
	v_cmp_ne_u32_e64 s2, 1, v1
	s_cbranch_vccnz .LBB642_10
; %bb.3:
	s_delay_alu instid0(VALU_DEP_1)
	s_and_b32 vcc_lo, exec_lo, s2
	s_cbranch_vccnz .LBB642_8
; %bb.4:
	v_mad_i64_i32 v[1:2], null, s12, v0, 0
	s_lshl_b64 s[6:7], s[20:21], 2
	s_ashr_i32 s13, s12, 31
	s_lshl_b64 s[2:3], s[24:25], 2
	s_add_u32 s5, s22, s6
	s_addc_u32 s6, s23, s7
	s_add_u32 s2, s5, s2
	s_delay_alu instid0(VALU_DEP_1) | instskip(SKIP_3) | instid1(VALU_DEP_2)
	v_lshlrev_b64 v[1:2], 2, v[1:2]
	s_addc_u32 s3, s6, s3
	v_mov_b32_e32 v3, 0
	s_mov_b32 s5, 0
	v_add_co_u32 v1, vcc_lo, s2, v1
	s_delay_alu instid0(VALU_DEP_3)
	v_add_co_ci_u32_e32 v2, vcc_lo, s3, v2, vcc_lo
	s_lshl_b64 s[2:3], s[12:13], 10
	s_branch .LBB642_6
.LBB642_5:                              ;   in Loop: Header=BB642_6 Depth=1
	s_or_b32 exec_lo, exec_lo, s6
	v_add_co_u32 v1, vcc_lo, v1, s2
	v_add_co_ci_u32_e32 v2, vcc_lo, s3, v2, vcc_lo
	s_addk_i32 s5, 0x100
	s_delay_alu instid0(SALU_CYCLE_1)
	s_cmp_ge_i32 s5, s19
	s_cbranch_scc1 .LBB642_8
.LBB642_6:                              ; =>This Inner Loop Header: Depth=1
	v_add_nc_u32_e32 v4, s5, v0
	s_mov_b32 s6, exec_lo
	s_delay_alu instid0(VALU_DEP_1)
	v_cmpx_gt_i32_e64 s19, v4
	s_cbranch_execz .LBB642_5
; %bb.7:                                ;   in Loop: Header=BB642_6 Depth=1
	global_store_b32 v[1:2], v3, off
	s_branch .LBB642_5
.LBB642_8:
	s_cbranch_execz .LBB642_11
	s_branch .LBB642_16
.LBB642_9:
	s_branch .LBB642_17
.LBB642_10:
.LBB642_11:
	s_and_not1_b32 vcc_lo, exec_lo, s4
	s_cbranch_vccnz .LBB642_16
; %bb.12:
	v_mad_i64_i32 v[1:2], null, s12, v0, 0
	s_lshl_b64 s[4:5], s[20:21], 2
	s_ashr_i32 s13, s12, 31
	s_lshl_b64 s[2:3], s[24:25], 2
	s_add_u32 s4, s22, s4
	s_addc_u32 s5, s23, s5
	s_add_u32 s2, s4, s2
	s_delay_alu instid0(VALU_DEP_1) | instskip(SKIP_2) | instid1(VALU_DEP_1)
	v_lshlrev_b64 v[1:2], 2, v[1:2]
	s_addc_u32 s3, s5, s3
	s_mov_b32 s4, 0
	v_add_co_u32 v1, vcc_lo, s2, v1
	s_delay_alu instid0(VALU_DEP_2)
	v_add_co_ci_u32_e32 v2, vcc_lo, s3, v2, vcc_lo
	s_lshl_b64 s[2:3], s[12:13], 10
	s_branch .LBB642_14
	.p2align	6
.LBB642_13:                             ;   in Loop: Header=BB642_14 Depth=1
	s_or_b32 exec_lo, exec_lo, s5
	v_add_co_u32 v1, vcc_lo, v1, s2
	v_add_co_ci_u32_e32 v2, vcc_lo, s3, v2, vcc_lo
	s_addk_i32 s4, 0x100
	s_delay_alu instid0(SALU_CYCLE_1)
	s_cmp_ge_i32 s4, s19
	s_cbranch_scc1 .LBB642_16
.LBB642_14:                             ; =>This Inner Loop Header: Depth=1
	v_add_nc_u32_e32 v3, s4, v0
	s_mov_b32 s5, exec_lo
	s_delay_alu instid0(VALU_DEP_1)
	v_cmpx_gt_i32_e64 s19, v3
	s_cbranch_execz .LBB642_13
; %bb.15:                               ;   in Loop: Header=BB642_14 Depth=1
	global_load_b32 v3, v[1:2], off
	s_waitcnt vmcnt(0)
	v_mul_f32_e32 v3, s14, v3
	global_store_b32 v[1:2], v3, off
	s_branch .LBB642_13
.LBB642_16:
	s_cbranch_execnz .LBB642_58
.LBB642_17:
	s_clause 0x1
	s_load_b128 s[4:7], s[0:1], 0x30
	s_load_b64 s[2:3], s[0:1], 0x40
	s_mov_b32 s13, exec_lo
	v_cmpx_gt_i32_e64 s18, v0
	s_cbranch_execz .LBB642_23
; %bb.18:
	s_load_b32 s27, s[0:1], 0x48
	s_mul_i32 s17, s15, s17
	s_mul_hi_u32 s28, s15, s16
	s_mul_i32 s16, s15, s16
	s_add_i32 s17, s28, s17
	s_delay_alu instid0(SALU_CYCLE_1) | instskip(SKIP_4) | instid1(SALU_CYCLE_1)
	s_lshl_b64 s[16:17], s[16:17], 1
	s_waitcnt lgkmcnt(0)
	s_add_u32 s6, s6, s16
	s_addc_u32 s7, s7, s17
	s_lshl_b64 s[2:3], s[2:3], 1
	s_add_u32 s2, s6, s2
	s_addc_u32 s3, s7, s3
	v_mad_i64_i32 v[1:2], null, s27, v0, 0
	s_delay_alu instid0(VALU_DEP_1) | instskip(NEXT) | instid1(VALU_DEP_1)
	v_lshlrev_b64 v[1:2], 1, v[1:2]
	v_add_co_u32 v1, vcc_lo, s2, v1
	s_delay_alu instid0(VALU_DEP_2) | instskip(SKIP_3) | instid1(VALU_DEP_1)
	v_add_co_ci_u32_e32 v2, vcc_lo, s3, v2, vcc_lo
	global_load_u16 v1, v[1:2], off
	s_waitcnt vmcnt(0)
	v_lshlrev_b32_e32 v1, 16, v1
	v_mul_f32_e32 v1, s26, v1
	s_delay_alu instid0(VALU_DEP_1) | instskip(NEXT) | instid1(VALU_DEP_1)
	v_and_b32_e32 v2, 0x7f800000, v1
	v_cmp_ne_u32_e32 vcc_lo, 0x7f800000, v2
                                        ; implicit-def: $vgpr2
	s_and_saveexec_b32 s2, vcc_lo
	s_delay_alu instid0(SALU_CYCLE_1)
	s_xor_b32 s2, exec_lo, s2
; %bb.19:
	v_bfe_u32 v2, v1, 16, 1
	s_delay_alu instid0(VALU_DEP_1)
	v_add3_u32 v2, v1, v2, 0x7fff
                                        ; implicit-def: $vgpr1
; %bb.20:
	s_and_not1_saveexec_b32 s2, s2
; %bb.21:
	v_and_b32_e32 v2, 0xffff, v1
	v_or_b32_e32 v3, 0x10000, v1
	s_delay_alu instid0(VALU_DEP_2) | instskip(NEXT) | instid1(VALU_DEP_2)
	v_cmp_eq_u32_e32 vcc_lo, 0, v2
	v_cndmask_b32_e32 v2, v3, v1, vcc_lo
; %bb.22:
	s_or_b32 exec_lo, exec_lo, s2
	s_delay_alu instid0(VALU_DEP_1)
	v_and_b32_e32 v1, 0xffff0000, v2
	v_lshlrev_b32_e32 v2, 2, v0
	ds_store_b32 v2, v1
.LBB642_23:
	s_or_b32 exec_lo, exec_lo, s13
	s_cmp_lt_i32 s19, 1
	s_waitcnt lgkmcnt(0)
	s_waitcnt_vscnt null, 0x0
	s_barrier
	buffer_gl0_inv
	s_cbranch_scc1 .LBB642_58
; %bb.24:
	s_load_b32 s0, s[0:1], 0x28
	s_lshl_b64 s[2:3], s[24:25], 2
	s_mul_i32 s17, s5, s15
	s_add_u32 s1, s22, s2
	s_mul_hi_u32 s25, s4, s15
	s_mul_i32 s24, s4, s15
	s_addc_u32 s6, s23, s3
	s_lshl_b64 s[4:5], s[20:21], 2
	v_cmp_neq_f32_e64 s2, s14, 0
	s_add_u32 s3, s1, s4
	s_addc_u32 s4, s6, s5
	s_ashr_i32 s5, s12, 31
	s_waitcnt lgkmcnt(0)
	s_ashr_i32 s1, s0, 31
	s_cmp_gt_i32 s18, 0
	v_mad_i64_i32 v[1:2], null, s0, v0, 0
	s_cselect_b32 s6, -1, 0
	s_and_b32 s7, s18, 3
	s_cmp_gt_u32 s18, 3
	s_cselect_b32 s13, -1, 0
	s_and_b32 s15, s18, 0x7ffffffc
	s_cmp_lg_u32 s7, 0
	s_delay_alu instid0(VALU_DEP_1)
	v_lshlrev_b64 v[1:2], 1, v[1:2]
	s_cselect_b32 s16, -1, 0
	s_add_i32 s25, s25, s17
	s_lshl_b64 s[10:11], s[10:11], 1
	s_lshl_b64 s[20:21], s[24:25], 1
	s_add_u32 s8, s8, s10
	s_addc_u32 s9, s9, s11
	s_add_u32 s8, s8, s20
	s_addc_u32 s9, s9, s21
	v_add_co_u32 v7, vcc_lo, s8, v1
	v_add_co_ci_u32_e32 v8, vcc_lo, s9, v2, vcc_lo
	s_mov_b32 s8, 0
	s_delay_alu instid0(VALU_DEP_2) | instskip(NEXT) | instid1(VALU_DEP_2)
	v_add_co_u32 v1, vcc_lo, v7, 4
	v_add_co_ci_u32_e32 v2, vcc_lo, 0, v8, vcc_lo
	s_lshl_b64 s[0:1], s[0:1], 9
	s_branch .LBB642_27
.LBB642_25:                             ;   in Loop: Header=BB642_27 Depth=1
	s_set_inst_prefetch_distance 0x2
	v_add_co_u32 v3, vcc_lo, s3, v3
	v_add_co_ci_u32_e32 v4, vcc_lo, s4, v4, vcc_lo
	global_store_b32 v[3:4], v9, off
.LBB642_26:                             ;   in Loop: Header=BB642_27 Depth=1
	s_or_b32 exec_lo, exec_lo, s9
	v_add_co_u32 v1, vcc_lo, v1, s0
	v_add_co_ci_u32_e32 v2, vcc_lo, s1, v2, vcc_lo
	v_add_co_u32 v7, vcc_lo, v7, s0
	v_add_co_ci_u32_e32 v8, vcc_lo, s1, v8, vcc_lo
	s_addk_i32 s8, 0x100
	s_delay_alu instid0(SALU_CYCLE_1)
	s_cmp_ge_i32 s8, s19
	s_cbranch_scc1 .LBB642_58
.LBB642_27:                             ; =>This Loop Header: Depth=1
                                        ;     Child Loop BB642_34 Depth 2
                                        ;     Child Loop BB642_54 Depth 2
	v_add_nc_u32_e32 v3, s8, v0
	s_mov_b32 s9, exec_lo
	s_delay_alu instid0(VALU_DEP_1)
	v_cmpx_gt_i32_e64 s19, v3
	s_cbranch_execz .LBB642_26
; %bb.28:                               ;   in Loop: Header=BB642_27 Depth=1
	v_mad_u64_u32 v[4:5], null, v3, s12, 0
	s_and_not1_b32 vcc_lo, exec_lo, s2
	s_delay_alu instid0(VALU_DEP_1) | instskip(NEXT) | instid1(VALU_DEP_1)
	v_mad_u64_u32 v[9:10], null, v3, s5, v[5:6]
	v_mov_b32_e32 v5, v9
	s_delay_alu instid0(VALU_DEP_1)
	v_lshlrev_b64 v[3:4], 2, v[4:5]
	s_cbranch_vccnz .LBB642_30
; %bb.29:                               ;   in Loop: Header=BB642_27 Depth=1
	s_delay_alu instid0(VALU_DEP_1) | instskip(NEXT) | instid1(VALU_DEP_2)
	v_add_co_u32 v5, vcc_lo, s3, v3
	v_add_co_ci_u32_e32 v6, vcc_lo, s4, v4, vcc_lo
	global_load_b32 v5, v[5:6], off
	s_waitcnt vmcnt(0)
	v_mul_f32_e32 v9, s14, v5
	s_and_not1_b32 vcc_lo, exec_lo, s6
	s_cbranch_vccz .LBB642_31
	s_branch .LBB642_25
.LBB642_30:                             ;   in Loop: Header=BB642_27 Depth=1
	v_mov_b32_e32 v9, 0
	s_and_not1_b32 vcc_lo, exec_lo, s6
	s_cbranch_vccnz .LBB642_25
.LBB642_31:                             ;   in Loop: Header=BB642_27 Depth=1
	s_and_not1_b32 vcc_lo, exec_lo, s13
	s_cbranch_vccnz .LBB642_50
; %bb.32:                               ;   in Loop: Header=BB642_27 Depth=1
	v_dual_mov_b32 v6, v2 :: v_dual_mov_b32 v5, v1
	s_mov_b32 s10, 0
	s_mov_b32 s11, 0
	s_branch .LBB642_34
.LBB642_33:                             ;   in Loop: Header=BB642_34 Depth=2
	s_or_b32 exec_lo, exec_lo, s17
	v_and_b32_e32 v11, 0xffff0000, v11
	v_and_b32_e32 v10, 0xffff0000, v10
	v_add_co_u32 v5, vcc_lo, v5, 8
	v_add_co_ci_u32_e32 v6, vcc_lo, 0, v6, vcc_lo
	s_delay_alu instid0(VALU_DEP_3) | instskip(SKIP_3) | instid1(VALU_DEP_1)
	v_dual_add_f32 v9, v9, v10 :: v_dual_and_b32 v10, 0xffff0000, v12
	s_add_i32 s11, s11, 4
	s_add_i32 s10, s10, 16
	s_cmp_eq_u32 s15, s11
	v_add_f32_e32 v9, v9, v11
	v_and_b32_e32 v11, 0xffff0000, v13
	s_delay_alu instid0(VALU_DEP_2) | instskip(NEXT) | instid1(VALU_DEP_1)
	v_add_f32_e32 v9, v9, v10
	v_add_f32_e32 v9, v9, v11
	s_cbranch_scc1 .LBB642_51
.LBB642_34:                             ;   Parent Loop BB642_27 Depth=1
                                        ; =>  This Inner Loop Header: Depth=2
	global_load_u16 v10, v[5:6], off offset:-4
	s_waitcnt vmcnt(0)
	v_dual_mov_b32 v11, s10 :: v_dual_lshlrev_b32 v10, 16, v10
	ds_load_b32 v11, v11
	s_waitcnt lgkmcnt(0)
	v_mul_f32_e32 v11, v11, v10
	s_delay_alu instid0(VALU_DEP_1) | instskip(NEXT) | instid1(VALU_DEP_1)
	v_and_b32_e32 v10, 0x7f800000, v11
	v_cmp_ne_u32_e32 vcc_lo, 0x7f800000, v10
                                        ; implicit-def: $vgpr10
	s_and_saveexec_b32 s17, vcc_lo
	s_delay_alu instid0(SALU_CYCLE_1)
	s_xor_b32 s17, exec_lo, s17
; %bb.35:                               ;   in Loop: Header=BB642_34 Depth=2
	v_bfe_u32 v10, v11, 16, 1
	s_delay_alu instid0(VALU_DEP_1)
	v_add3_u32 v10, v11, v10, 0x7fff
                                        ; implicit-def: $vgpr11
; %bb.36:                               ;   in Loop: Header=BB642_34 Depth=2
	s_and_not1_saveexec_b32 s17, s17
; %bb.37:                               ;   in Loop: Header=BB642_34 Depth=2
	v_and_b32_e32 v10, 0xffff, v11
	v_or_b32_e32 v12, 0x10000, v11
	s_delay_alu instid0(VALU_DEP_2) | instskip(NEXT) | instid1(VALU_DEP_2)
	v_cmp_eq_u32_e32 vcc_lo, 0, v10
	v_cndmask_b32_e32 v10, v12, v11, vcc_lo
; %bb.38:                               ;   in Loop: Header=BB642_34 Depth=2
	s_or_b32 exec_lo, exec_lo, s17
	global_load_u16 v11, v[5:6], off offset:-2
	s_waitcnt vmcnt(0)
	v_dual_mov_b32 v12, s10 :: v_dual_lshlrev_b32 v11, 16, v11
	ds_load_b32 v12, v12 offset:4
	s_waitcnt lgkmcnt(0)
	v_mul_f32_e32 v12, v12, v11
	s_delay_alu instid0(VALU_DEP_1) | instskip(NEXT) | instid1(VALU_DEP_1)
	v_and_b32_e32 v11, 0x7f800000, v12
	v_cmp_ne_u32_e32 vcc_lo, 0x7f800000, v11
                                        ; implicit-def: $vgpr11
	s_and_saveexec_b32 s17, vcc_lo
	s_delay_alu instid0(SALU_CYCLE_1)
	s_xor_b32 s17, exec_lo, s17
; %bb.39:                               ;   in Loop: Header=BB642_34 Depth=2
	v_bfe_u32 v11, v12, 16, 1
	s_delay_alu instid0(VALU_DEP_1)
	v_add3_u32 v11, v12, v11, 0x7fff
                                        ; implicit-def: $vgpr12
; %bb.40:                               ;   in Loop: Header=BB642_34 Depth=2
	s_and_not1_saveexec_b32 s17, s17
; %bb.41:                               ;   in Loop: Header=BB642_34 Depth=2
	v_and_b32_e32 v11, 0xffff, v12
	v_or_b32_e32 v13, 0x10000, v12
	s_delay_alu instid0(VALU_DEP_2) | instskip(NEXT) | instid1(VALU_DEP_2)
	v_cmp_eq_u32_e32 vcc_lo, 0, v11
	v_cndmask_b32_e32 v11, v13, v12, vcc_lo
; %bb.42:                               ;   in Loop: Header=BB642_34 Depth=2
	s_or_b32 exec_lo, exec_lo, s17
	global_load_u16 v12, v[5:6], off
	s_waitcnt vmcnt(0)
	v_dual_mov_b32 v13, s10 :: v_dual_lshlrev_b32 v12, 16, v12
	ds_load_b32 v13, v13 offset:8
	s_waitcnt lgkmcnt(0)
	v_mul_f32_e32 v13, v13, v12
	s_delay_alu instid0(VALU_DEP_1) | instskip(NEXT) | instid1(VALU_DEP_1)
	v_and_b32_e32 v12, 0x7f800000, v13
	v_cmp_ne_u32_e32 vcc_lo, 0x7f800000, v12
                                        ; implicit-def: $vgpr12
	s_and_saveexec_b32 s17, vcc_lo
	s_delay_alu instid0(SALU_CYCLE_1)
	s_xor_b32 s17, exec_lo, s17
; %bb.43:                               ;   in Loop: Header=BB642_34 Depth=2
	v_bfe_u32 v12, v13, 16, 1
	s_delay_alu instid0(VALU_DEP_1)
	v_add3_u32 v12, v13, v12, 0x7fff
                                        ; implicit-def: $vgpr13
; %bb.44:                               ;   in Loop: Header=BB642_34 Depth=2
	s_and_not1_saveexec_b32 s17, s17
; %bb.45:                               ;   in Loop: Header=BB642_34 Depth=2
	v_and_b32_e32 v12, 0xffff, v13
	v_or_b32_e32 v14, 0x10000, v13
	s_delay_alu instid0(VALU_DEP_2) | instskip(NEXT) | instid1(VALU_DEP_2)
	v_cmp_eq_u32_e32 vcc_lo, 0, v12
	v_cndmask_b32_e32 v12, v14, v13, vcc_lo
; %bb.46:                               ;   in Loop: Header=BB642_34 Depth=2
	s_or_b32 exec_lo, exec_lo, s17
	global_load_u16 v13, v[5:6], off offset:2
	s_waitcnt vmcnt(0)
	v_dual_mov_b32 v14, s10 :: v_dual_lshlrev_b32 v13, 16, v13
	ds_load_b32 v14, v14 offset:12
	s_waitcnt lgkmcnt(0)
	v_mul_f32_e32 v14, v14, v13
	s_delay_alu instid0(VALU_DEP_1) | instskip(NEXT) | instid1(VALU_DEP_1)
	v_and_b32_e32 v13, 0x7f800000, v14
	v_cmp_ne_u32_e32 vcc_lo, 0x7f800000, v13
                                        ; implicit-def: $vgpr13
	s_and_saveexec_b32 s17, vcc_lo
	s_delay_alu instid0(SALU_CYCLE_1)
	s_xor_b32 s17, exec_lo, s17
; %bb.47:                               ;   in Loop: Header=BB642_34 Depth=2
	v_bfe_u32 v13, v14, 16, 1
	s_delay_alu instid0(VALU_DEP_1)
	v_add3_u32 v13, v14, v13, 0x7fff
                                        ; implicit-def: $vgpr14
; %bb.48:                               ;   in Loop: Header=BB642_34 Depth=2
	s_and_not1_saveexec_b32 s17, s17
	s_cbranch_execz .LBB642_33
; %bb.49:                               ;   in Loop: Header=BB642_34 Depth=2
	v_and_b32_e32 v13, 0xffff, v14
	v_or_b32_e32 v15, 0x10000, v14
	s_delay_alu instid0(VALU_DEP_2) | instskip(NEXT) | instid1(VALU_DEP_2)
	v_cmp_eq_u32_e32 vcc_lo, 0, v13
	v_cndmask_b32_e32 v13, v15, v14, vcc_lo
	s_branch .LBB642_33
.LBB642_50:                             ;   in Loop: Header=BB642_27 Depth=1
	s_mov_b32 s10, 0
	s_and_not1_b32 vcc_lo, exec_lo, s16
	s_cbranch_vccz .LBB642_52
	s_branch .LBB642_25
.LBB642_51:                             ;   in Loop: Header=BB642_27 Depth=1
	s_mov_b32 s10, s15
	s_and_not1_b32 vcc_lo, exec_lo, s16
	s_cbranch_vccnz .LBB642_25
.LBB642_52:                             ;   in Loop: Header=BB642_27 Depth=1
	s_lshl_b32 s11, s10, 1
	s_lshl_b32 s10, s10, 2
	v_add_co_u32 v5, vcc_lo, v7, s11
	v_add_co_ci_u32_e32 v6, vcc_lo, 0, v8, vcc_lo
	s_mov_b32 s11, s7
	s_set_inst_prefetch_distance 0x1
	s_branch .LBB642_54
	.p2align	6
.LBB642_53:                             ;   in Loop: Header=BB642_54 Depth=2
	s_or_b32 exec_lo, exec_lo, s17
	s_delay_alu instid0(VALU_DEP_1) | instskip(SKIP_2) | instid1(VALU_DEP_3)
	v_and_b32_e32 v10, 0xffff0000, v11
	v_add_co_u32 v5, vcc_lo, v5, 2
	v_add_co_ci_u32_e32 v6, vcc_lo, 0, v6, vcc_lo
	v_add_f32_e32 v9, v9, v10
	s_add_i32 s11, s11, -1
	s_add_i32 s10, s10, 4
	s_cmp_lg_u32 s11, 0
	s_cbranch_scc0 .LBB642_25
.LBB642_54:                             ;   Parent Loop BB642_27 Depth=1
                                        ; =>  This Inner Loop Header: Depth=2
	global_load_u16 v10, v[5:6], off
	s_waitcnt vmcnt(0)
	v_dual_mov_b32 v11, s10 :: v_dual_lshlrev_b32 v10, 16, v10
	ds_load_b32 v11, v11
	s_waitcnt lgkmcnt(0)
	v_mul_f32_e32 v10, v11, v10
	s_delay_alu instid0(VALU_DEP_1) | instskip(NEXT) | instid1(VALU_DEP_1)
	v_and_b32_e32 v11, 0x7f800000, v10
	v_cmp_ne_u32_e32 vcc_lo, 0x7f800000, v11
                                        ; implicit-def: $vgpr11
	s_and_saveexec_b32 s17, vcc_lo
	s_delay_alu instid0(SALU_CYCLE_1)
	s_xor_b32 s17, exec_lo, s17
; %bb.55:                               ;   in Loop: Header=BB642_54 Depth=2
	v_bfe_u32 v11, v10, 16, 1
	s_delay_alu instid0(VALU_DEP_1)
	v_add3_u32 v11, v10, v11, 0x7fff
                                        ; implicit-def: $vgpr10
; %bb.56:                               ;   in Loop: Header=BB642_54 Depth=2
	s_and_not1_saveexec_b32 s17, s17
	s_cbranch_execz .LBB642_53
; %bb.57:                               ;   in Loop: Header=BB642_54 Depth=2
	v_and_b32_e32 v11, 0xffff, v10
	v_or_b32_e32 v12, 0x10000, v10
	s_delay_alu instid0(VALU_DEP_2) | instskip(NEXT) | instid1(VALU_DEP_2)
	v_cmp_eq_u32_e32 vcc_lo, 0, v11
	v_cndmask_b32_e32 v11, v12, v10, vcc_lo
	s_branch .LBB642_53
.LBB642_58:
	s_nop 0
	s_sendmsg sendmsg(MSG_DEALLOC_VGPRS)
	s_endpgm
	.section	.rodata,"a",@progbits
	.p2align	6, 0x0
	.amdhsa_kernel _ZL22rocblas_gemvtsm_kernelILb0ELi256E16rocblas_bfloat16PKffEviiT2_lPKT1_lilS6_lilS3_lPT3_lil
		.amdhsa_group_segment_fixed_size 256
		.amdhsa_private_segment_fixed_size 0
		.amdhsa_kernarg_size 136
		.amdhsa_user_sgpr_count 15
		.amdhsa_user_sgpr_dispatch_ptr 0
		.amdhsa_user_sgpr_queue_ptr 0
		.amdhsa_user_sgpr_kernarg_segment_ptr 1
		.amdhsa_user_sgpr_dispatch_id 0
		.amdhsa_user_sgpr_private_segment_size 0
		.amdhsa_wavefront_size32 1
		.amdhsa_uses_dynamic_stack 0
		.amdhsa_enable_private_segment 0
		.amdhsa_system_sgpr_workgroup_id_x 1
		.amdhsa_system_sgpr_workgroup_id_y 0
		.amdhsa_system_sgpr_workgroup_id_z 0
		.amdhsa_system_sgpr_workgroup_info 0
		.amdhsa_system_vgpr_workitem_id 0
		.amdhsa_next_free_vgpr 16
		.amdhsa_next_free_sgpr 29
		.amdhsa_reserve_vcc 1
		.amdhsa_float_round_mode_32 0
		.amdhsa_float_round_mode_16_64 0
		.amdhsa_float_denorm_mode_32 3
		.amdhsa_float_denorm_mode_16_64 3
		.amdhsa_dx10_clamp 1
		.amdhsa_ieee_mode 1
		.amdhsa_fp16_overflow 0
		.amdhsa_workgroup_processor_mode 1
		.amdhsa_memory_ordered 1
		.amdhsa_forward_progress 0
		.amdhsa_shared_vgpr_count 0
		.amdhsa_exception_fp_ieee_invalid_op 0
		.amdhsa_exception_fp_denorm_src 0
		.amdhsa_exception_fp_ieee_div_zero 0
		.amdhsa_exception_fp_ieee_overflow 0
		.amdhsa_exception_fp_ieee_underflow 0
		.amdhsa_exception_fp_ieee_inexact 0
		.amdhsa_exception_int_div_zero 0
	.end_amdhsa_kernel
	.section	.text._ZL22rocblas_gemvtsm_kernelILb0ELi256E16rocblas_bfloat16PKffEviiT2_lPKT1_lilS6_lilS3_lPT3_lil,"axG",@progbits,_ZL22rocblas_gemvtsm_kernelILb0ELi256E16rocblas_bfloat16PKffEviiT2_lPKT1_lilS6_lilS3_lPT3_lil,comdat
.Lfunc_end642:
	.size	_ZL22rocblas_gemvtsm_kernelILb0ELi256E16rocblas_bfloat16PKffEviiT2_lPKT1_lilS6_lilS3_lPT3_lil, .Lfunc_end642-_ZL22rocblas_gemvtsm_kernelILb0ELi256E16rocblas_bfloat16PKffEviiT2_lPKT1_lilS6_lilS3_lPT3_lil
                                        ; -- End function
	.section	.AMDGPU.csdata,"",@progbits
; Kernel info:
; codeLenInByte = 2164
; NumSgprs: 31
; NumVgprs: 16
; ScratchSize: 0
; MemoryBound: 0
; FloatMode: 240
; IeeeMode: 1
; LDSByteSize: 256 bytes/workgroup (compile time only)
; SGPRBlocks: 3
; VGPRBlocks: 1
; NumSGPRsForWavesPerEU: 31
; NumVGPRsForWavesPerEU: 16
; Occupancy: 16
; WaveLimiterHint : 1
; COMPUTE_PGM_RSRC2:SCRATCH_EN: 0
; COMPUTE_PGM_RSRC2:USER_SGPR: 15
; COMPUTE_PGM_RSRC2:TRAP_HANDLER: 0
; COMPUTE_PGM_RSRC2:TGID_X_EN: 1
; COMPUTE_PGM_RSRC2:TGID_Y_EN: 0
; COMPUTE_PGM_RSRC2:TGID_Z_EN: 0
; COMPUTE_PGM_RSRC2:TIDIG_COMP_CNT: 0
	.section	.text._ZL22rocblas_gemvtsm_kernelILb0ELi256E16rocblas_bfloat16ffEviiT2_lPKT1_lilS4_lilS1_lPT3_lil,"axG",@progbits,_ZL22rocblas_gemvtsm_kernelILb0ELi256E16rocblas_bfloat16ffEviiT2_lPKT1_lilS4_lilS1_lPT3_lil,comdat
	.globl	_ZL22rocblas_gemvtsm_kernelILb0ELi256E16rocblas_bfloat16ffEviiT2_lPKT1_lilS4_lilS1_lPT3_lil ; -- Begin function _ZL22rocblas_gemvtsm_kernelILb0ELi256E16rocblas_bfloat16ffEviiT2_lPKT1_lilS4_lilS1_lPT3_lil
	.p2align	8
	.type	_ZL22rocblas_gemvtsm_kernelILb0ELi256E16rocblas_bfloat16ffEviiT2_lPKT1_lilS4_lilS1_lPT3_lil,@function
_ZL22rocblas_gemvtsm_kernelILb0ELi256E16rocblas_bfloat16ffEviiT2_lPKT1_lilS4_lilS1_lPT3_lil: ; @_ZL22rocblas_gemvtsm_kernelILb0ELi256E16rocblas_bfloat16ffEviiT2_lPKT1_lilS4_lilS1_lPT3_lil
; %bb.0:
	s_load_b128 s[4:7], s[0:1], 0x0
	s_waitcnt lgkmcnt(0)
	s_load_b32 s7, s[0:1], 0x58
	v_cmp_eq_f32_e64 s2, s6, 0
	s_waitcnt lgkmcnt(0)
	v_cmp_eq_f32_e64 s3, s7, 1.0
	s_delay_alu instid0(VALU_DEP_1) | instskip(NEXT) | instid1(SALU_CYCLE_1)
	s_and_b32 s2, s2, s3
	s_and_b32 vcc_lo, exec_lo, s2
	s_cbranch_vccnz .LBB643_58
; %bb.1:
	s_clause 0x2
	s_load_b64 s[2:3], s[0:1], 0x80
	s_load_b128 s[8:11], s[0:1], 0x68
	s_load_b32 s12, s[0:1], 0x78
	v_cmp_neq_f32_e64 s13, s6, 0
	s_delay_alu instid0(VALU_DEP_1)
	s_and_b32 vcc_lo, exec_lo, s13
	s_waitcnt lgkmcnt(0)
	s_mul_i32 s3, s15, s3
	s_mul_hi_u32 s13, s15, s2
	s_mul_i32 s20, s15, s2
	s_add_i32 s21, s13, s3
	s_cbranch_vccnz .LBB643_9
; %bb.2:
	s_cmp_gt_i32 s5, 0
	v_cmp_neq_f32_e64 s2, s7, 0
	s_cselect_b32 s14, -1, 0
	s_delay_alu instid0(SALU_CYCLE_1) | instskip(NEXT) | instid1(VALU_DEP_2)
	v_cndmask_b32_e64 v1, 0, 1, s14
	s_and_b32 vcc_lo, exec_lo, s2
	s_delay_alu instid0(VALU_DEP_1)
	v_cmp_ne_u32_e64 s2, 1, v1
	s_cbranch_vccnz .LBB643_10
; %bb.3:
	s_delay_alu instid0(VALU_DEP_1)
	s_and_b32 vcc_lo, exec_lo, s2
	s_cbranch_vccnz .LBB643_8
; %bb.4:
	v_mad_i64_i32 v[1:2], null, s12, v0, 0
	s_lshl_b64 s[16:17], s[10:11], 2
	s_ashr_i32 s13, s12, 31
	s_lshl_b64 s[2:3], s[20:21], 2
	s_add_u32 s16, s8, s16
	s_addc_u32 s17, s9, s17
	s_add_u32 s2, s16, s2
	s_delay_alu instid0(VALU_DEP_1) | instskip(SKIP_2) | instid1(VALU_DEP_2)
	v_lshlrev_b64 v[1:2], 2, v[1:2]
	s_addc_u32 s3, s17, s3
	v_mov_b32_e32 v3, 0
	v_add_co_u32 v1, vcc_lo, s2, v1
	s_delay_alu instid0(VALU_DEP_3)
	v_add_co_ci_u32_e32 v2, vcc_lo, s3, v2, vcc_lo
	s_lshl_b64 s[2:3], s[12:13], 10
	s_mov_b32 s13, 0
	s_branch .LBB643_6
.LBB643_5:                              ;   in Loop: Header=BB643_6 Depth=1
	s_or_b32 exec_lo, exec_lo, s16
	v_add_co_u32 v1, vcc_lo, v1, s2
	v_add_co_ci_u32_e32 v2, vcc_lo, s3, v2, vcc_lo
	s_addk_i32 s13, 0x100
	s_delay_alu instid0(SALU_CYCLE_1)
	s_cmp_ge_i32 s13, s5
	s_cbranch_scc1 .LBB643_8
.LBB643_6:                              ; =>This Inner Loop Header: Depth=1
	v_add_nc_u32_e32 v4, s13, v0
	s_mov_b32 s16, exec_lo
	s_delay_alu instid0(VALU_DEP_1)
	v_cmpx_gt_i32_e64 s5, v4
	s_cbranch_execz .LBB643_5
; %bb.7:                                ;   in Loop: Header=BB643_6 Depth=1
	global_store_b32 v[1:2], v3, off
	s_branch .LBB643_5
.LBB643_8:
	s_cbranch_execz .LBB643_11
	s_branch .LBB643_16
.LBB643_9:
	s_branch .LBB643_17
.LBB643_10:
.LBB643_11:
	s_and_not1_b32 vcc_lo, exec_lo, s14
	s_cbranch_vccnz .LBB643_16
; %bb.12:
	v_mad_i64_i32 v[1:2], null, s12, v0, 0
	s_lshl_b64 s[16:17], s[10:11], 2
	s_ashr_i32 s13, s12, 31
	s_lshl_b64 s[2:3], s[20:21], 2
	s_add_u32 s14, s8, s16
	s_addc_u32 s16, s9, s17
	s_add_u32 s2, s14, s2
	s_delay_alu instid0(VALU_DEP_1) | instskip(SKIP_1) | instid1(VALU_DEP_1)
	v_lshlrev_b64 v[1:2], 2, v[1:2]
	s_addc_u32 s3, s16, s3
	v_add_co_u32 v1, vcc_lo, s2, v1
	s_delay_alu instid0(VALU_DEP_2)
	v_add_co_ci_u32_e32 v2, vcc_lo, s3, v2, vcc_lo
	s_lshl_b64 s[2:3], s[12:13], 10
	s_mov_b32 s13, 0
	s_branch .LBB643_14
	.p2align	6
.LBB643_13:                             ;   in Loop: Header=BB643_14 Depth=1
	s_or_b32 exec_lo, exec_lo, s14
	v_add_co_u32 v1, vcc_lo, v1, s2
	v_add_co_ci_u32_e32 v2, vcc_lo, s3, v2, vcc_lo
	s_addk_i32 s13, 0x100
	s_delay_alu instid0(SALU_CYCLE_1)
	s_cmp_ge_i32 s13, s5
	s_cbranch_scc1 .LBB643_16
.LBB643_14:                             ; =>This Inner Loop Header: Depth=1
	v_add_nc_u32_e32 v3, s13, v0
	s_mov_b32 s14, exec_lo
	s_delay_alu instid0(VALU_DEP_1)
	v_cmpx_gt_i32_e64 s5, v3
	s_cbranch_execz .LBB643_13
; %bb.15:                               ;   in Loop: Header=BB643_14 Depth=1
	global_load_b32 v3, v[1:2], off
	s_waitcnt vmcnt(0)
	v_mul_f32_e32 v3, s7, v3
	global_store_b32 v[1:2], v3, off
	s_branch .LBB643_13
.LBB643_16:
	s_cbranch_execnz .LBB643_58
.LBB643_17:
	s_clause 0x1
	s_load_b128 s[16:19], s[0:1], 0x30
	s_load_b64 s[2:3], s[0:1], 0x40
	s_mov_b32 s13, exec_lo
	v_cmpx_gt_i32_e64 s4, v0
	s_cbranch_execz .LBB643_23
; %bb.18:
	s_clause 0x1
	s_load_b64 s[22:23], s[0:1], 0x50
	s_load_b32 s14, s[0:1], 0x48
	s_waitcnt lgkmcnt(0)
	s_mul_i32 s23, s15, s23
	v_mad_i64_i32 v[1:2], null, s14, v0, 0
	s_mul_hi_u32 s24, s15, s22
	s_mul_i32 s22, s15, s22
	s_add_i32 s23, s24, s23
	s_delay_alu instid0(SALU_CYCLE_1) | instskip(NEXT) | instid1(SALU_CYCLE_1)
	s_lshl_b64 s[22:23], s[22:23], 1
	s_add_u32 s14, s18, s22
	s_delay_alu instid0(VALU_DEP_1) | instskip(SKIP_2) | instid1(SALU_CYCLE_1)
	v_lshlrev_b64 v[1:2], 1, v[1:2]
	s_addc_u32 s18, s19, s23
	s_lshl_b64 s[2:3], s[2:3], 1
	s_add_u32 s2, s14, s2
	s_addc_u32 s3, s18, s3
	s_delay_alu instid0(VALU_DEP_1) | instskip(SKIP_4) | instid1(VALU_DEP_1)
	v_add_co_u32 v1, vcc_lo, s2, v1
	v_add_co_ci_u32_e32 v2, vcc_lo, s3, v2, vcc_lo
	global_load_u16 v1, v[1:2], off
	s_waitcnt vmcnt(0)
	v_lshlrev_b32_e32 v1, 16, v1
	v_mul_f32_e32 v1, s6, v1
	s_delay_alu instid0(VALU_DEP_1) | instskip(NEXT) | instid1(VALU_DEP_1)
	v_and_b32_e32 v2, 0x7f800000, v1
	v_cmp_ne_u32_e32 vcc_lo, 0x7f800000, v2
                                        ; implicit-def: $vgpr2
	s_and_saveexec_b32 s2, vcc_lo
	s_delay_alu instid0(SALU_CYCLE_1)
	s_xor_b32 s2, exec_lo, s2
; %bb.19:
	v_bfe_u32 v2, v1, 16, 1
	s_delay_alu instid0(VALU_DEP_1)
	v_add3_u32 v2, v1, v2, 0x7fff
                                        ; implicit-def: $vgpr1
; %bb.20:
	s_and_not1_saveexec_b32 s2, s2
; %bb.21:
	v_and_b32_e32 v2, 0xffff, v1
	v_or_b32_e32 v3, 0x10000, v1
	s_delay_alu instid0(VALU_DEP_2) | instskip(NEXT) | instid1(VALU_DEP_2)
	v_cmp_eq_u32_e32 vcc_lo, 0, v2
	v_cndmask_b32_e32 v2, v3, v1, vcc_lo
; %bb.22:
	s_or_b32 exec_lo, exec_lo, s2
	s_delay_alu instid0(VALU_DEP_1)
	v_and_b32_e32 v1, 0xffff0000, v2
	v_lshlrev_b32_e32 v2, 2, v0
	ds_store_b32 v2, v1
.LBB643_23:
	s_or_b32 exec_lo, exec_lo, s13
	s_cmp_lt_i32 s5, 1
	s_waitcnt lgkmcnt(0)
	s_waitcnt_vscnt null, 0x0
	s_barrier
	buffer_gl0_inv
	s_cbranch_scc1 .LBB643_58
; %bb.24:
	s_clause 0x1
	s_load_b32 s18, s[0:1], 0x28
	s_load_b128 s[0:3], s[0:1], 0x18
	s_lshl_b64 s[20:21], s[20:21], 2
	s_mul_i32 s17, s17, s15
	s_add_u32 s13, s8, s20
	s_addc_u32 s14, s9, s21
	s_lshl_b64 s[8:9], s[10:11], 2
	s_mul_hi_u32 s22, s16, s15
	s_add_u32 s8, s13, s8
	s_addc_u32 s9, s14, s9
	s_ashr_i32 s10, s12, 31
	s_mul_i32 s16, s16, s15
	v_cmp_neq_f32_e64 s6, s7, 0
	s_waitcnt lgkmcnt(0)
	s_ashr_i32 s19, s18, 31
	s_cmp_gt_i32 s4, 0
	v_mad_i64_i32 v[1:2], null, s18, v0, 0
	s_cselect_b32 s11, -1, 0
	s_and_b32 s13, s4, 3
	s_cmp_gt_u32 s4, 3
	s_cselect_b32 s14, -1, 0
	s_and_b32 s4, s4, 0x7ffffffc
	s_cmp_lg_u32 s13, 0
	s_delay_alu instid0(VALU_DEP_1)
	v_lshlrev_b64 v[1:2], 1, v[1:2]
	s_cselect_b32 s15, -1, 0
	s_add_i32 s17, s22, s17
	s_lshl_b64 s[2:3], s[2:3], 1
	s_lshl_b64 s[16:17], s[16:17], 1
	s_add_u32 s0, s0, s2
	s_addc_u32 s1, s1, s3
	s_add_u32 s0, s0, s16
	s_addc_u32 s1, s1, s17
	v_add_co_u32 v7, vcc_lo, s0, v1
	v_add_co_ci_u32_e32 v8, vcc_lo, s1, v2, vcc_lo
	s_mov_b32 s2, 0
	s_delay_alu instid0(VALU_DEP_2) | instskip(NEXT) | instid1(VALU_DEP_2)
	v_add_co_u32 v1, vcc_lo, v7, 4
	v_add_co_ci_u32_e32 v2, vcc_lo, 0, v8, vcc_lo
	s_lshl_b64 s[0:1], s[18:19], 9
	s_branch .LBB643_27
.LBB643_25:                             ;   in Loop: Header=BB643_27 Depth=1
	s_set_inst_prefetch_distance 0x2
	v_add_co_u32 v3, vcc_lo, s8, v3
	v_add_co_ci_u32_e32 v4, vcc_lo, s9, v4, vcc_lo
	global_store_b32 v[3:4], v9, off
.LBB643_26:                             ;   in Loop: Header=BB643_27 Depth=1
	s_or_b32 exec_lo, exec_lo, s3
	v_add_co_u32 v1, vcc_lo, v1, s0
	v_add_co_ci_u32_e32 v2, vcc_lo, s1, v2, vcc_lo
	v_add_co_u32 v7, vcc_lo, v7, s0
	v_add_co_ci_u32_e32 v8, vcc_lo, s1, v8, vcc_lo
	s_addk_i32 s2, 0x100
	s_delay_alu instid0(SALU_CYCLE_1)
	s_cmp_ge_i32 s2, s5
	s_cbranch_scc1 .LBB643_58
.LBB643_27:                             ; =>This Loop Header: Depth=1
                                        ;     Child Loop BB643_34 Depth 2
                                        ;     Child Loop BB643_54 Depth 2
	v_add_nc_u32_e32 v3, s2, v0
	s_mov_b32 s3, exec_lo
	s_delay_alu instid0(VALU_DEP_1)
	v_cmpx_gt_i32_e64 s5, v3
	s_cbranch_execz .LBB643_26
; %bb.28:                               ;   in Loop: Header=BB643_27 Depth=1
	v_mad_u64_u32 v[4:5], null, v3, s12, 0
	s_and_not1_b32 vcc_lo, exec_lo, s6
	s_delay_alu instid0(VALU_DEP_1) | instskip(NEXT) | instid1(VALU_DEP_1)
	v_mad_u64_u32 v[9:10], null, v3, s10, v[5:6]
	v_mov_b32_e32 v5, v9
	s_delay_alu instid0(VALU_DEP_1)
	v_lshlrev_b64 v[3:4], 2, v[4:5]
	s_cbranch_vccnz .LBB643_30
; %bb.29:                               ;   in Loop: Header=BB643_27 Depth=1
	s_delay_alu instid0(VALU_DEP_1) | instskip(NEXT) | instid1(VALU_DEP_2)
	v_add_co_u32 v5, vcc_lo, s8, v3
	v_add_co_ci_u32_e32 v6, vcc_lo, s9, v4, vcc_lo
	global_load_b32 v5, v[5:6], off
	s_waitcnt vmcnt(0)
	v_mul_f32_e32 v9, s7, v5
	s_and_not1_b32 vcc_lo, exec_lo, s11
	s_cbranch_vccz .LBB643_31
	s_branch .LBB643_25
.LBB643_30:                             ;   in Loop: Header=BB643_27 Depth=1
	v_mov_b32_e32 v9, 0
	s_and_not1_b32 vcc_lo, exec_lo, s11
	s_cbranch_vccnz .LBB643_25
.LBB643_31:                             ;   in Loop: Header=BB643_27 Depth=1
	s_and_not1_b32 vcc_lo, exec_lo, s14
	s_cbranch_vccnz .LBB643_50
; %bb.32:                               ;   in Loop: Header=BB643_27 Depth=1
	v_dual_mov_b32 v6, v2 :: v_dual_mov_b32 v5, v1
	s_mov_b32 s16, 0
	s_mov_b32 s17, 0
	s_branch .LBB643_34
.LBB643_33:                             ;   in Loop: Header=BB643_34 Depth=2
	s_or_b32 exec_lo, exec_lo, s18
	v_and_b32_e32 v11, 0xffff0000, v11
	v_and_b32_e32 v10, 0xffff0000, v10
	v_add_co_u32 v5, vcc_lo, v5, 8
	v_add_co_ci_u32_e32 v6, vcc_lo, 0, v6, vcc_lo
	s_delay_alu instid0(VALU_DEP_3) | instskip(SKIP_3) | instid1(VALU_DEP_1)
	v_dual_add_f32 v9, v9, v10 :: v_dual_and_b32 v10, 0xffff0000, v12
	s_add_i32 s17, s17, 4
	s_add_i32 s16, s16, 16
	s_cmp_eq_u32 s4, s17
	v_add_f32_e32 v9, v9, v11
	v_and_b32_e32 v11, 0xffff0000, v13
	s_delay_alu instid0(VALU_DEP_2) | instskip(NEXT) | instid1(VALU_DEP_1)
	v_add_f32_e32 v9, v9, v10
	v_add_f32_e32 v9, v9, v11
	s_cbranch_scc1 .LBB643_51
.LBB643_34:                             ;   Parent Loop BB643_27 Depth=1
                                        ; =>  This Inner Loop Header: Depth=2
	global_load_u16 v10, v[5:6], off offset:-4
	s_waitcnt vmcnt(0)
	v_dual_mov_b32 v11, s16 :: v_dual_lshlrev_b32 v10, 16, v10
	ds_load_b32 v11, v11
	s_waitcnt lgkmcnt(0)
	v_mul_f32_e32 v11, v11, v10
	s_delay_alu instid0(VALU_DEP_1) | instskip(NEXT) | instid1(VALU_DEP_1)
	v_and_b32_e32 v10, 0x7f800000, v11
	v_cmp_ne_u32_e32 vcc_lo, 0x7f800000, v10
                                        ; implicit-def: $vgpr10
	s_and_saveexec_b32 s18, vcc_lo
	s_delay_alu instid0(SALU_CYCLE_1)
	s_xor_b32 s18, exec_lo, s18
; %bb.35:                               ;   in Loop: Header=BB643_34 Depth=2
	v_bfe_u32 v10, v11, 16, 1
	s_delay_alu instid0(VALU_DEP_1)
	v_add3_u32 v10, v11, v10, 0x7fff
                                        ; implicit-def: $vgpr11
; %bb.36:                               ;   in Loop: Header=BB643_34 Depth=2
	s_and_not1_saveexec_b32 s18, s18
; %bb.37:                               ;   in Loop: Header=BB643_34 Depth=2
	v_and_b32_e32 v10, 0xffff, v11
	v_or_b32_e32 v12, 0x10000, v11
	s_delay_alu instid0(VALU_DEP_2) | instskip(NEXT) | instid1(VALU_DEP_2)
	v_cmp_eq_u32_e32 vcc_lo, 0, v10
	v_cndmask_b32_e32 v10, v12, v11, vcc_lo
; %bb.38:                               ;   in Loop: Header=BB643_34 Depth=2
	s_or_b32 exec_lo, exec_lo, s18
	global_load_u16 v11, v[5:6], off offset:-2
	s_waitcnt vmcnt(0)
	v_dual_mov_b32 v12, s16 :: v_dual_lshlrev_b32 v11, 16, v11
	ds_load_b32 v12, v12 offset:4
	s_waitcnt lgkmcnt(0)
	v_mul_f32_e32 v12, v12, v11
	s_delay_alu instid0(VALU_DEP_1) | instskip(NEXT) | instid1(VALU_DEP_1)
	v_and_b32_e32 v11, 0x7f800000, v12
	v_cmp_ne_u32_e32 vcc_lo, 0x7f800000, v11
                                        ; implicit-def: $vgpr11
	s_and_saveexec_b32 s18, vcc_lo
	s_delay_alu instid0(SALU_CYCLE_1)
	s_xor_b32 s18, exec_lo, s18
; %bb.39:                               ;   in Loop: Header=BB643_34 Depth=2
	v_bfe_u32 v11, v12, 16, 1
	s_delay_alu instid0(VALU_DEP_1)
	v_add3_u32 v11, v12, v11, 0x7fff
                                        ; implicit-def: $vgpr12
; %bb.40:                               ;   in Loop: Header=BB643_34 Depth=2
	s_and_not1_saveexec_b32 s18, s18
; %bb.41:                               ;   in Loop: Header=BB643_34 Depth=2
	v_and_b32_e32 v11, 0xffff, v12
	v_or_b32_e32 v13, 0x10000, v12
	s_delay_alu instid0(VALU_DEP_2) | instskip(NEXT) | instid1(VALU_DEP_2)
	v_cmp_eq_u32_e32 vcc_lo, 0, v11
	v_cndmask_b32_e32 v11, v13, v12, vcc_lo
; %bb.42:                               ;   in Loop: Header=BB643_34 Depth=2
	s_or_b32 exec_lo, exec_lo, s18
	global_load_u16 v12, v[5:6], off
	s_waitcnt vmcnt(0)
	v_dual_mov_b32 v13, s16 :: v_dual_lshlrev_b32 v12, 16, v12
	ds_load_b32 v13, v13 offset:8
	s_waitcnt lgkmcnt(0)
	v_mul_f32_e32 v13, v13, v12
	s_delay_alu instid0(VALU_DEP_1) | instskip(NEXT) | instid1(VALU_DEP_1)
	v_and_b32_e32 v12, 0x7f800000, v13
	v_cmp_ne_u32_e32 vcc_lo, 0x7f800000, v12
                                        ; implicit-def: $vgpr12
	s_and_saveexec_b32 s18, vcc_lo
	s_delay_alu instid0(SALU_CYCLE_1)
	s_xor_b32 s18, exec_lo, s18
; %bb.43:                               ;   in Loop: Header=BB643_34 Depth=2
	v_bfe_u32 v12, v13, 16, 1
	s_delay_alu instid0(VALU_DEP_1)
	v_add3_u32 v12, v13, v12, 0x7fff
                                        ; implicit-def: $vgpr13
; %bb.44:                               ;   in Loop: Header=BB643_34 Depth=2
	s_and_not1_saveexec_b32 s18, s18
; %bb.45:                               ;   in Loop: Header=BB643_34 Depth=2
	v_and_b32_e32 v12, 0xffff, v13
	v_or_b32_e32 v14, 0x10000, v13
	s_delay_alu instid0(VALU_DEP_2) | instskip(NEXT) | instid1(VALU_DEP_2)
	v_cmp_eq_u32_e32 vcc_lo, 0, v12
	v_cndmask_b32_e32 v12, v14, v13, vcc_lo
; %bb.46:                               ;   in Loop: Header=BB643_34 Depth=2
	s_or_b32 exec_lo, exec_lo, s18
	global_load_u16 v13, v[5:6], off offset:2
	s_waitcnt vmcnt(0)
	v_dual_mov_b32 v14, s16 :: v_dual_lshlrev_b32 v13, 16, v13
	ds_load_b32 v14, v14 offset:12
	s_waitcnt lgkmcnt(0)
	v_mul_f32_e32 v14, v14, v13
	s_delay_alu instid0(VALU_DEP_1) | instskip(NEXT) | instid1(VALU_DEP_1)
	v_and_b32_e32 v13, 0x7f800000, v14
	v_cmp_ne_u32_e32 vcc_lo, 0x7f800000, v13
                                        ; implicit-def: $vgpr13
	s_and_saveexec_b32 s18, vcc_lo
	s_delay_alu instid0(SALU_CYCLE_1)
	s_xor_b32 s18, exec_lo, s18
; %bb.47:                               ;   in Loop: Header=BB643_34 Depth=2
	v_bfe_u32 v13, v14, 16, 1
	s_delay_alu instid0(VALU_DEP_1)
	v_add3_u32 v13, v14, v13, 0x7fff
                                        ; implicit-def: $vgpr14
; %bb.48:                               ;   in Loop: Header=BB643_34 Depth=2
	s_and_not1_saveexec_b32 s18, s18
	s_cbranch_execz .LBB643_33
; %bb.49:                               ;   in Loop: Header=BB643_34 Depth=2
	v_and_b32_e32 v13, 0xffff, v14
	v_or_b32_e32 v15, 0x10000, v14
	s_delay_alu instid0(VALU_DEP_2) | instskip(NEXT) | instid1(VALU_DEP_2)
	v_cmp_eq_u32_e32 vcc_lo, 0, v13
	v_cndmask_b32_e32 v13, v15, v14, vcc_lo
	s_branch .LBB643_33
.LBB643_50:                             ;   in Loop: Header=BB643_27 Depth=1
	s_mov_b32 s16, 0
	s_and_not1_b32 vcc_lo, exec_lo, s15
	s_cbranch_vccz .LBB643_52
	s_branch .LBB643_25
.LBB643_51:                             ;   in Loop: Header=BB643_27 Depth=1
	s_mov_b32 s16, s4
	s_and_not1_b32 vcc_lo, exec_lo, s15
	s_cbranch_vccnz .LBB643_25
.LBB643_52:                             ;   in Loop: Header=BB643_27 Depth=1
	s_lshl_b32 s17, s16, 1
	s_lshl_b32 s16, s16, 2
	v_add_co_u32 v5, vcc_lo, v7, s17
	v_add_co_ci_u32_e32 v6, vcc_lo, 0, v8, vcc_lo
	s_mov_b32 s17, s13
	s_set_inst_prefetch_distance 0x1
	s_branch .LBB643_54
	.p2align	6
.LBB643_53:                             ;   in Loop: Header=BB643_54 Depth=2
	s_or_b32 exec_lo, exec_lo, s18
	s_delay_alu instid0(VALU_DEP_1) | instskip(SKIP_2) | instid1(VALU_DEP_3)
	v_and_b32_e32 v10, 0xffff0000, v11
	v_add_co_u32 v5, vcc_lo, v5, 2
	v_add_co_ci_u32_e32 v6, vcc_lo, 0, v6, vcc_lo
	v_add_f32_e32 v9, v9, v10
	s_add_i32 s17, s17, -1
	s_add_i32 s16, s16, 4
	s_cmp_lg_u32 s17, 0
	s_cbranch_scc0 .LBB643_25
.LBB643_54:                             ;   Parent Loop BB643_27 Depth=1
                                        ; =>  This Inner Loop Header: Depth=2
	global_load_u16 v10, v[5:6], off
	s_waitcnt vmcnt(0)
	v_dual_mov_b32 v11, s16 :: v_dual_lshlrev_b32 v10, 16, v10
	ds_load_b32 v11, v11
	s_waitcnt lgkmcnt(0)
	v_mul_f32_e32 v10, v11, v10
	s_delay_alu instid0(VALU_DEP_1) | instskip(NEXT) | instid1(VALU_DEP_1)
	v_and_b32_e32 v11, 0x7f800000, v10
	v_cmp_ne_u32_e32 vcc_lo, 0x7f800000, v11
                                        ; implicit-def: $vgpr11
	s_and_saveexec_b32 s18, vcc_lo
	s_delay_alu instid0(SALU_CYCLE_1)
	s_xor_b32 s18, exec_lo, s18
; %bb.55:                               ;   in Loop: Header=BB643_54 Depth=2
	v_bfe_u32 v11, v10, 16, 1
	s_delay_alu instid0(VALU_DEP_1)
	v_add3_u32 v11, v10, v11, 0x7fff
                                        ; implicit-def: $vgpr10
; %bb.56:                               ;   in Loop: Header=BB643_54 Depth=2
	s_and_not1_saveexec_b32 s18, s18
	s_cbranch_execz .LBB643_53
; %bb.57:                               ;   in Loop: Header=BB643_54 Depth=2
	v_and_b32_e32 v11, 0xffff, v10
	v_or_b32_e32 v12, 0x10000, v10
	s_delay_alu instid0(VALU_DEP_2) | instskip(NEXT) | instid1(VALU_DEP_2)
	v_cmp_eq_u32_e32 vcc_lo, 0, v11
	v_cndmask_b32_e32 v11, v12, v10, vcc_lo
	s_branch .LBB643_53
.LBB643_58:
	s_nop 0
	s_sendmsg sendmsg(MSG_DEALLOC_VGPRS)
	s_endpgm
	.section	.rodata,"a",@progbits
	.p2align	6, 0x0
	.amdhsa_kernel _ZL22rocblas_gemvtsm_kernelILb0ELi256E16rocblas_bfloat16ffEviiT2_lPKT1_lilS4_lilS1_lPT3_lil
		.amdhsa_group_segment_fixed_size 256
		.amdhsa_private_segment_fixed_size 0
		.amdhsa_kernarg_size 136
		.amdhsa_user_sgpr_count 15
		.amdhsa_user_sgpr_dispatch_ptr 0
		.amdhsa_user_sgpr_queue_ptr 0
		.amdhsa_user_sgpr_kernarg_segment_ptr 1
		.amdhsa_user_sgpr_dispatch_id 0
		.amdhsa_user_sgpr_private_segment_size 0
		.amdhsa_wavefront_size32 1
		.amdhsa_uses_dynamic_stack 0
		.amdhsa_enable_private_segment 0
		.amdhsa_system_sgpr_workgroup_id_x 1
		.amdhsa_system_sgpr_workgroup_id_y 0
		.amdhsa_system_sgpr_workgroup_id_z 0
		.amdhsa_system_sgpr_workgroup_info 0
		.amdhsa_system_vgpr_workitem_id 0
		.amdhsa_next_free_vgpr 16
		.amdhsa_next_free_sgpr 25
		.amdhsa_reserve_vcc 1
		.amdhsa_float_round_mode_32 0
		.amdhsa_float_round_mode_16_64 0
		.amdhsa_float_denorm_mode_32 3
		.amdhsa_float_denorm_mode_16_64 3
		.amdhsa_dx10_clamp 1
		.amdhsa_ieee_mode 1
		.amdhsa_fp16_overflow 0
		.amdhsa_workgroup_processor_mode 1
		.amdhsa_memory_ordered 1
		.amdhsa_forward_progress 0
		.amdhsa_shared_vgpr_count 0
		.amdhsa_exception_fp_ieee_invalid_op 0
		.amdhsa_exception_fp_denorm_src 0
		.amdhsa_exception_fp_ieee_div_zero 0
		.amdhsa_exception_fp_ieee_overflow 0
		.amdhsa_exception_fp_ieee_underflow 0
		.amdhsa_exception_fp_ieee_inexact 0
		.amdhsa_exception_int_div_zero 0
	.end_amdhsa_kernel
	.section	.text._ZL22rocblas_gemvtsm_kernelILb0ELi256E16rocblas_bfloat16ffEviiT2_lPKT1_lilS4_lilS1_lPT3_lil,"axG",@progbits,_ZL22rocblas_gemvtsm_kernelILb0ELi256E16rocblas_bfloat16ffEviiT2_lPKT1_lilS4_lilS1_lPT3_lil,comdat
.Lfunc_end643:
	.size	_ZL22rocblas_gemvtsm_kernelILb0ELi256E16rocblas_bfloat16ffEviiT2_lPKT1_lilS4_lilS1_lPT3_lil, .Lfunc_end643-_ZL22rocblas_gemvtsm_kernelILb0ELi256E16rocblas_bfloat16ffEviiT2_lPKT1_lilS4_lilS1_lPT3_lil
                                        ; -- End function
	.section	.AMDGPU.csdata,"",@progbits
; Kernel info:
; codeLenInByte = 2100
; NumSgprs: 27
; NumVgprs: 16
; ScratchSize: 0
; MemoryBound: 0
; FloatMode: 240
; IeeeMode: 1
; LDSByteSize: 256 bytes/workgroup (compile time only)
; SGPRBlocks: 3
; VGPRBlocks: 1
; NumSGPRsForWavesPerEU: 27
; NumVGPRsForWavesPerEU: 16
; Occupancy: 16
; WaveLimiterHint : 1
; COMPUTE_PGM_RSRC2:SCRATCH_EN: 0
; COMPUTE_PGM_RSRC2:USER_SGPR: 15
; COMPUTE_PGM_RSRC2:TRAP_HANDLER: 0
; COMPUTE_PGM_RSRC2:TGID_X_EN: 1
; COMPUTE_PGM_RSRC2:TGID_Y_EN: 0
; COMPUTE_PGM_RSRC2:TGID_Z_EN: 0
; COMPUTE_PGM_RSRC2:TIDIG_COMP_CNT: 0
	.section	.text._ZL32rocblas_gemvt_warp_reduce_kernelILb0ELi256Ei16rocblas_bfloat16PKffEviiT3_lPKT2_lT1_lS6_lS7_lS3_lPT4_lS7_li,"axG",@progbits,_ZL32rocblas_gemvt_warp_reduce_kernelILb0ELi256Ei16rocblas_bfloat16PKffEviiT3_lPKT2_lT1_lS6_lS7_lS3_lPT4_lS7_li,comdat
	.globl	_ZL32rocblas_gemvt_warp_reduce_kernelILb0ELi256Ei16rocblas_bfloat16PKffEviiT3_lPKT2_lT1_lS6_lS7_lS3_lPT4_lS7_li ; -- Begin function _ZL32rocblas_gemvt_warp_reduce_kernelILb0ELi256Ei16rocblas_bfloat16PKffEviiT3_lPKT2_lT1_lS6_lS7_lS3_lPT4_lS7_li
	.p2align	8
	.type	_ZL32rocblas_gemvt_warp_reduce_kernelILb0ELi256Ei16rocblas_bfloat16PKffEviiT3_lPKT2_lT1_lS6_lS7_lS3_lPT4_lS7_li,@function
_ZL32rocblas_gemvt_warp_reduce_kernelILb0ELi256Ei16rocblas_bfloat16PKffEviiT3_lPKT2_lT1_lS6_lS7_lS3_lPT4_lS7_li: ; @_ZL32rocblas_gemvt_warp_reduce_kernelILb0ELi256Ei16rocblas_bfloat16PKffEviiT3_lPKT2_lT1_lS6_lS7_lS3_lPT4_lS7_li
; %bb.0:
	s_clause 0x1
	s_load_b256 s[4:11], s[0:1], 0x8
	s_load_b256 s[16:23], s[0:1], 0x50
	s_mov_b32 s13, 0
	s_waitcnt lgkmcnt(0)
	s_mul_i32 s3, s15, s7
	s_mul_hi_u32 s7, s15, s6
	s_mul_i32 s2, s15, s6
	s_add_i32 s3, s7, s3
	s_mul_i32 s6, s15, s21
	s_lshl_b64 s[2:3], s[2:3], 2
	s_mul_hi_u32 s7, s15, s20
	s_add_u32 s2, s4, s2
	s_addc_u32 s3, s5, s3
	s_add_i32 s5, s7, s6
	s_mul_i32 s4, s15, s20
	s_delay_alu instid0(SALU_CYCLE_1) | instskip(NEXT) | instid1(SALU_CYCLE_1)
	s_lshl_b64 s[4:5], s[4:5], 2
	s_add_u32 s4, s18, s4
	s_addc_u32 s5, s19, s5
	s_load_b32 s18, s[2:3], 0x0
	s_load_b32 s12, s[4:5], 0x0
	s_waitcnt lgkmcnt(0)
	v_cmp_eq_f32_e64 s2, s18, 0
	v_cmp_eq_f32_e64 s3, s12, 1.0
	s_delay_alu instid0(VALU_DEP_1) | instskip(NEXT) | instid1(SALU_CYCLE_1)
	s_and_b32 s2, s2, s3
	s_and_b32 vcc_lo, exec_lo, s2
	s_cbranch_vccnz .LBB644_37
; %bb.1:
	s_clause 0x2
	s_load_b64 s[2:3], s[0:1], 0x80
	s_load_b64 s[4:5], s[0:1], 0x70
	s_load_b32 s19, s[0:1], 0x78
	v_cmp_neq_f32_e64 s20, s18, 0
	s_waitcnt lgkmcnt(0)
	s_mul_i32 s3, s15, s3
	s_mul_hi_u32 s6, s15, s2
	s_mul_i32 s2, s15, s2
	s_add_i32 s3, s6, s3
	s_delay_alu instid0(SALU_CYCLE_1) | instskip(NEXT) | instid1(SALU_CYCLE_1)
	s_lshl_b64 s[2:3], s[2:3], 2
	s_add_u32 s6, s22, s2
	s_addc_u32 s7, s23, s3
	s_lshl_b64 s[2:3], s[4:5], 2
	s_delay_alu instid0(SALU_CYCLE_1)
	s_add_u32 s6, s6, s2
	v_cmp_eq_u32_e64 s2, 0, v0
	s_addc_u32 s7, s7, s3
	s_and_b32 vcc_lo, exec_lo, s20
	s_cbranch_vccnz .LBB644_6
; %bb.2:
	s_mov_b32 s3, 0
                                        ; implicit-def: $vgpr1
                                        ; implicit-def: $sgpr4_sgpr5
	s_and_saveexec_b32 s20, s2
	s_cbranch_execz .LBB644_7
; %bb.3:
	v_cmp_eq_f32_e64 s2, s12, 0
	v_mov_b32_e32 v1, 0
	s_mul_i32 s4, s14, s19
	s_delay_alu instid0(SALU_CYCLE_1) | instskip(NEXT) | instid1(VALU_DEP_2)
	s_ashr_i32 s5, s4, 31
	s_and_b32 vcc_lo, exec_lo, s2
	s_cbranch_vccnz .LBB644_5
; %bb.4:
	s_lshl_b64 s[22:23], s[4:5], 2
	s_delay_alu instid0(SALU_CYCLE_1)
	s_add_u32 s22, s6, s22
	s_addc_u32 s23, s7, s23
	s_load_b32 s2, s[22:23], 0x0
	s_waitcnt lgkmcnt(0)
	v_mul_f32_e64 v1, s12, s2
.LBB644_5:
	s_mov_b32 s13, exec_lo
	s_or_b32 exec_lo, exec_lo, s20
	s_delay_alu instid0(SALU_CYCLE_1)
	s_and_b32 vcc_lo, exec_lo, s3
	s_cbranch_vccnz .LBB644_8
	s_branch .LBB644_35
.LBB644_6:
                                        ; implicit-def: $vgpr1
                                        ; implicit-def: $sgpr4_sgpr5
	s_cbranch_execnz .LBB644_8
	s_branch .LBB644_35
.LBB644_7:
	s_or_b32 exec_lo, exec_lo, s20
	s_delay_alu instid0(SALU_CYCLE_1)
	s_and_b32 vcc_lo, exec_lo, s3
	s_cbranch_vccz .LBB644_35
.LBB644_8:
	s_mul_i32 s3, s15, s17
	s_mul_hi_u32 s17, s15, s16
	s_mul_i32 s2, s15, s16
	s_add_i32 s3, s17, s3
	s_clause 0x2
	s_load_b128 s[20:23], s[0:1], 0x30
	s_load_b64 s[4:5], s[0:1], 0x40
	s_load_b32 s24, s[0:1], 0x28
	s_lshl_b64 s[16:17], s[2:3], 1
	s_clause 0x1
	s_load_b32 s3, s[0:1], 0x0
	s_load_b32 s1, s[0:1], 0x48
	v_mov_b32_e32 v7, 0
	s_waitcnt lgkmcnt(0)
	s_add_u32 s2, s22, s16
	s_addc_u32 s17, s23, s17
	s_lshl_b64 s[4:5], s[4:5], 1
	s_mul_i32 s21, s15, s21
	s_mul_hi_u32 s22, s15, s20
	s_add_u32 s4, s2, s4
	v_cmp_gt_i32_e32 vcc_lo, s3, v0
	s_mul_i32 s16, s15, s20
	s_addc_u32 s5, s17, s5
	s_add_i32 s17, s22, s21
	s_delay_alu instid0(SALU_CYCLE_1)
	s_lshl_b64 s[16:17], s[16:17], 1
	v_cndmask_b32_e32 v1, 0, v0, vcc_lo
	s_add_u32 s2, s8, s16
	s_addc_u32 s15, s9, s17
	s_lshl_b64 s[8:9], s[10:11], 1
	s_mul_i32 s10, s14, s24
	s_add_u32 s2, s2, s8
	s_addc_u32 s15, s15, s9
	s_ashr_i32 s11, s10, 31
	v_lshlrev_b32_e32 v1, 1, v1
	s_lshl_b64 s[8:9], s[10:11], 1
	s_delay_alu instid0(SALU_CYCLE_1)
	s_add_u32 s0, s8, s2
	s_addc_u32 s8, s9, s15
	s_ashr_i32 s2, s3, 31
	v_add_co_u32 v1, s0, s0, v1
	s_lshr_b32 s2, s2, 24
	v_add_co_ci_u32_e64 v2, null, s8, 0, s0
	s_add_i32 s2, s3, s2
	s_mov_b32 s9, 0
	s_and_b32 s2, s2, 0xffffff00
	s_mov_b32 s8, exec_lo
	v_cmpx_gt_i32_e64 s2, v0
	s_cbranch_execz .LBB644_16
; %bb.9:
	v_mul_lo_u32 v3, v0, s1
	v_dual_mov_b32 v7, 0 :: v_dual_mov_b32 v6, v2
	v_dual_mov_b32 v5, v1 :: v_dual_mov_b32 v8, v0
	s_lshl_b32 s10, s1, 8
	s_branch .LBB644_11
.LBB644_10:                             ;   in Loop: Header=BB644_11 Depth=1
	s_or_b32 exec_lo, exec_lo, s0
	v_add_nc_u32_e32 v8, 0x100, v8
	s_delay_alu instid0(VALU_DEP_2) | instskip(SKIP_1) | instid1(VALU_DEP_1)
	v_and_b32_e32 v4, 0xffff0000, v9
	v_add_co_u32 v5, s0, 0x200, v5
	v_add_co_ci_u32_e64 v6, s0, 0, v6, s0
	s_delay_alu instid0(VALU_DEP_4) | instskip(NEXT) | instid1(VALU_DEP_4)
	v_cmp_le_i32_e32 vcc_lo, s2, v8
	v_add_f32_e32 v7, v7, v4
	v_add_nc_u32_e32 v3, s10, v3
	s_or_b32 s9, vcc_lo, s9
	s_delay_alu instid0(SALU_CYCLE_1)
	s_and_not1_b32 exec_lo, exec_lo, s9
	s_cbranch_execz .LBB644_15
.LBB644_11:                             ; =>This Inner Loop Header: Depth=1
	s_delay_alu instid0(VALU_DEP_1) | instskip(NEXT) | instid1(VALU_DEP_1)
	v_ashrrev_i32_e32 v4, 31, v3
	v_lshlrev_b64 v[9:10], 1, v[3:4]
	s_delay_alu instid0(VALU_DEP_1) | instskip(NEXT) | instid1(VALU_DEP_2)
	v_add_co_u32 v9, vcc_lo, s4, v9
	v_add_co_ci_u32_e32 v10, vcc_lo, s5, v10, vcc_lo
	global_load_u16 v4, v[5:6], off
	global_load_u16 v9, v[9:10], off
	s_waitcnt vmcnt(1)
	v_lshlrev_b32_e32 v4, 16, v4
	s_waitcnt vmcnt(0)
	v_lshlrev_b32_e32 v9, 16, v9
	s_delay_alu instid0(VALU_DEP_1) | instskip(NEXT) | instid1(VALU_DEP_1)
	v_mul_f32_e32 v4, v4, v9
	v_and_b32_e32 v9, 0x7f800000, v4
	s_delay_alu instid0(VALU_DEP_1) | instskip(SKIP_1) | instid1(SALU_CYCLE_1)
	v_cmp_ne_u32_e32 vcc_lo, 0x7f800000, v9
                                        ; implicit-def: $vgpr9
	s_and_saveexec_b32 s0, vcc_lo
	s_xor_b32 s0, exec_lo, s0
; %bb.12:                               ;   in Loop: Header=BB644_11 Depth=1
	v_bfe_u32 v9, v4, 16, 1
	s_delay_alu instid0(VALU_DEP_1)
	v_add3_u32 v9, v4, v9, 0x7fff
                                        ; implicit-def: $vgpr4
; %bb.13:                               ;   in Loop: Header=BB644_11 Depth=1
	s_and_not1_saveexec_b32 s0, s0
	s_cbranch_execz .LBB644_10
; %bb.14:                               ;   in Loop: Header=BB644_11 Depth=1
	v_and_b32_e32 v9, 0xffff, v4
	v_or_b32_e32 v10, 0x10000, v4
	s_delay_alu instid0(VALU_DEP_2) | instskip(NEXT) | instid1(VALU_DEP_2)
	v_cmp_eq_u32_e32 vcc_lo, 0, v9
	v_cndmask_b32_e32 v9, v10, v4, vcc_lo
	s_branch .LBB644_10
.LBB644_15:
	s_or_b32 exec_lo, exec_lo, s9
.LBB644_16:
	s_delay_alu instid0(SALU_CYCLE_1) | instskip(SKIP_2) | instid1(VALU_DEP_1)
	s_or_b32 exec_lo, exec_lo, s8
	v_add_nc_u32_e32 v3, s2, v0
	s_mov_b32 s0, exec_lo
	v_cmpx_gt_i32_e64 s3, v3
	s_cbranch_execz .LBB644_22
; %bb.17:
	v_mul_lo_u32 v3, v3, s1
	s_ashr_i32 s3, s2, 31
	s_delay_alu instid0(SALU_CYCLE_1) | instskip(NEXT) | instid1(VALU_DEP_1)
	s_lshl_b64 s[2:3], s[2:3], 1
	v_ashrrev_i32_e32 v4, 31, v3
	s_delay_alu instid0(VALU_DEP_1) | instskip(NEXT) | instid1(VALU_DEP_1)
	v_lshlrev_b64 v[3:4], 1, v[3:4]
	v_add_co_u32 v3, vcc_lo, s4, v3
	s_delay_alu instid0(VALU_DEP_2)
	v_add_co_ci_u32_e32 v4, vcc_lo, s5, v4, vcc_lo
	v_add_co_u32 v1, vcc_lo, v1, s2
	v_add_co_ci_u32_e32 v2, vcc_lo, s3, v2, vcc_lo
	global_load_u16 v3, v[3:4], off
	global_load_u16 v1, v[1:2], off
	s_waitcnt vmcnt(1)
	v_lshlrev_b32_e32 v2, 16, v3
	s_waitcnt vmcnt(0)
	v_lshlrev_b32_e32 v1, 16, v1
	s_delay_alu instid0(VALU_DEP_1) | instskip(NEXT) | instid1(VALU_DEP_1)
	v_mul_f32_e32 v1, v1, v2
	v_and_b32_e32 v2, 0x7f800000, v1
	s_delay_alu instid0(VALU_DEP_1) | instskip(SKIP_1) | instid1(SALU_CYCLE_1)
	v_cmp_ne_u32_e32 vcc_lo, 0x7f800000, v2
                                        ; implicit-def: $vgpr2
	s_and_saveexec_b32 s1, vcc_lo
	s_xor_b32 s1, exec_lo, s1
; %bb.18:
	v_bfe_u32 v2, v1, 16, 1
	s_delay_alu instid0(VALU_DEP_1)
	v_add3_u32 v2, v1, v2, 0x7fff
                                        ; implicit-def: $vgpr1
; %bb.19:
	s_and_not1_saveexec_b32 s1, s1
; %bb.20:
	v_and_b32_e32 v2, 0xffff, v1
	v_or_b32_e32 v3, 0x10000, v1
	s_delay_alu instid0(VALU_DEP_2) | instskip(NEXT) | instid1(VALU_DEP_2)
	v_cmp_eq_u32_e32 vcc_lo, 0, v2
	v_cndmask_b32_e32 v2, v3, v1, vcc_lo
; %bb.21:
	s_or_b32 exec_lo, exec_lo, s1
	s_delay_alu instid0(VALU_DEP_1) | instskip(NEXT) | instid1(VALU_DEP_1)
	v_and_b32_e32 v1, 0xffff0000, v2
	v_add_f32_e32 v7, v7, v1
.LBB644_22:
	s_or_b32 exec_lo, exec_lo, s0
	v_and_b32_e32 v4, 31, v0
	v_cmp_gt_u32_e32 vcc_lo, 32, v0
	s_delay_alu instid0(VALU_DEP_2)
	v_lshlrev_b32_e32 v1, 2, v4
	s_and_saveexec_b32 s0, vcc_lo
	s_cbranch_execz .LBB644_24
; %bb.23:
	v_mov_b32_e32 v2, 0
	ds_store_b32 v1, v2
.LBB644_24:
	s_or_b32 exec_lo, exec_lo, s0
	v_mbcnt_lo_u32_b32 v5, -1, 0
	s_mov_b32 s1, exec_lo
	s_waitcnt lgkmcnt(0)
	s_barrier
	buffer_gl0_inv
	v_cmp_gt_u32_e64 s0, 16, v5
	s_delay_alu instid0(VALU_DEP_1) | instskip(SKIP_1) | instid1(VALU_DEP_2)
	v_cndmask_b32_e64 v2, 0, 1, s0
	v_cmp_gt_u32_e64 s0, 24, v5
	v_lshlrev_b32_e32 v2, 4, v2
	s_delay_alu instid0(VALU_DEP_2) | instskip(SKIP_1) | instid1(VALU_DEP_3)
	v_cndmask_b32_e64 v3, 0, 1, s0
	v_cmp_gt_u32_e64 s0, 28, v5
	v_add_lshl_u32 v2, v2, v5, 2
	ds_bpermute_b32 v2, v2, v7
	s_waitcnt lgkmcnt(0)
	v_dual_add_f32 v6, v7, v2 :: v_dual_lshlrev_b32 v3, 3, v3
	s_delay_alu instid0(VALU_DEP_1) | instskip(SKIP_4) | instid1(VALU_DEP_1)
	v_add_lshl_u32 v3, v3, v5, 2
	v_cndmask_b32_e64 v2, 0, 1, s0
	v_cmp_gt_u32_e64 s0, 30, v5
	ds_bpermute_b32 v3, v3, v6
	v_lshlrev_b32_e32 v2, 2, v2
	v_add_lshl_u32 v2, v2, v5, 2
	s_waitcnt lgkmcnt(0)
	v_add_f32_e32 v6, v6, v3
	v_cndmask_b32_e64 v3, 0, 1, s0
	v_cmp_ne_u32_e64 s0, 31, v5
	s_delay_alu instid0(VALU_DEP_2) | instskip(NEXT) | instid1(VALU_DEP_1)
	v_lshlrev_b32_e32 v3, 1, v3
	v_add_lshl_u32 v3, v3, v5, 2
	s_delay_alu instid0(VALU_DEP_3) | instskip(NEXT) | instid1(VALU_DEP_1)
	v_add_co_ci_u32_e64 v5, s0, 0, v5, s0
	v_lshlrev_b32_e32 v5, 2, v5
	ds_bpermute_b32 v7, v2, v6
	s_waitcnt lgkmcnt(0)
	v_add_f32_e32 v6, v6, v7
	ds_bpermute_b32 v7, v3, v6
	s_waitcnt lgkmcnt(0)
	v_add_f32_e32 v6, v6, v7
	ds_bpermute_b32 v7, v5, v6
	v_cmpx_eq_u32_e32 0, v4
	s_cbranch_execz .LBB644_26
; %bb.25:
	v_lshrrev_b32_e32 v4, 3, v0
	s_waitcnt lgkmcnt(0)
	v_add_f32_e32 v6, v6, v7
	s_delay_alu instid0(VALU_DEP_2)
	v_and_b32_e32 v4, 28, v4
	ds_store_b32 v4, v6
.LBB644_26:
	s_or_b32 exec_lo, exec_lo, s1
	v_mov_b32_e32 v4, 0
	s_mov_b32 s1, exec_lo
	s_waitcnt lgkmcnt(0)
	s_barrier
	buffer_gl0_inv
	v_cmpx_gt_u32_e32 8, v0
	s_cbranch_execz .LBB644_28
; %bb.27:
	ds_load_b32 v4, v1
.LBB644_28:
	s_or_b32 exec_lo, exec_lo, s1
	s_and_saveexec_b32 s0, vcc_lo
	s_cbranch_execz .LBB644_30
; %bb.29:
	s_waitcnt lgkmcnt(0)
	ds_bpermute_b32 v1, v2, v4
	s_waitcnt lgkmcnt(0)
	v_add_f32_e32 v1, v4, v1
	ds_bpermute_b32 v2, v3, v1
	s_waitcnt lgkmcnt(0)
	v_add_f32_e32 v1, v1, v2
	;; [unrolled: 3-line block ×3, first 2 shown]
.LBB644_30:
	s_or_b32 exec_lo, exec_lo, s0
	s_delay_alu instid0(SALU_CYCLE_1)
	s_mov_b32 s0, exec_lo
                                        ; implicit-def: $vgpr1
                                        ; implicit-def: $sgpr4_sgpr5
	v_cmpx_eq_u32_e32 0, v0
	s_cbranch_execz .LBB644_34
; %bb.31:
	v_cmp_eq_f32_e64 s1, s12, 0
	s_waitcnt lgkmcnt(0)
	v_mul_f32_e32 v1, s18, v4
	s_mul_i32 s4, s14, s19
	s_delay_alu instid0(SALU_CYCLE_1)
	s_ashr_i32 s5, s4, 31
	s_and_b32 vcc_lo, exec_lo, s1
	s_cbranch_vccnz .LBB644_33
; %bb.32:
	s_lshl_b64 s[2:3], s[4:5], 2
	s_delay_alu instid0(SALU_CYCLE_1)
	s_add_u32 s2, s6, s2
	s_addc_u32 s3, s7, s3
	s_load_b32 s1, s[2:3], 0x0
	s_waitcnt lgkmcnt(0)
	v_fmac_f32_e64 v1, s12, s1
.LBB644_33:
	s_or_b32 s13, s13, exec_lo
.LBB644_34:
	s_or_b32 exec_lo, exec_lo, s0
.LBB644_35:
	s_and_saveexec_b32 s0, s13
	s_cbranch_execz .LBB644_37
; %bb.36:
	s_lshl_b64 s[0:1], s[4:5], 2
	v_mov_b32_e32 v0, 0
	s_add_u32 s0, s6, s0
	s_addc_u32 s1, s7, s1
	global_store_b32 v0, v1, s[0:1]
.LBB644_37:
	s_nop 0
	s_sendmsg sendmsg(MSG_DEALLOC_VGPRS)
	s_endpgm
	.section	.rodata,"a",@progbits
	.p2align	6, 0x0
	.amdhsa_kernel _ZL32rocblas_gemvt_warp_reduce_kernelILb0ELi256Ei16rocblas_bfloat16PKffEviiT3_lPKT2_lT1_lS6_lS7_lS3_lPT4_lS7_li
		.amdhsa_group_segment_fixed_size 128
		.amdhsa_private_segment_fixed_size 0
		.amdhsa_kernarg_size 140
		.amdhsa_user_sgpr_count 14
		.amdhsa_user_sgpr_dispatch_ptr 0
		.amdhsa_user_sgpr_queue_ptr 0
		.amdhsa_user_sgpr_kernarg_segment_ptr 1
		.amdhsa_user_sgpr_dispatch_id 0
		.amdhsa_user_sgpr_private_segment_size 0
		.amdhsa_wavefront_size32 1
		.amdhsa_uses_dynamic_stack 0
		.amdhsa_enable_private_segment 0
		.amdhsa_system_sgpr_workgroup_id_x 1
		.amdhsa_system_sgpr_workgroup_id_y 0
		.amdhsa_system_sgpr_workgroup_id_z 1
		.amdhsa_system_sgpr_workgroup_info 0
		.amdhsa_system_vgpr_workitem_id 0
		.amdhsa_next_free_vgpr 11
		.amdhsa_next_free_sgpr 25
		.amdhsa_reserve_vcc 1
		.amdhsa_float_round_mode_32 0
		.amdhsa_float_round_mode_16_64 0
		.amdhsa_float_denorm_mode_32 3
		.amdhsa_float_denorm_mode_16_64 3
		.amdhsa_dx10_clamp 1
		.amdhsa_ieee_mode 1
		.amdhsa_fp16_overflow 0
		.amdhsa_workgroup_processor_mode 1
		.amdhsa_memory_ordered 1
		.amdhsa_forward_progress 0
		.amdhsa_shared_vgpr_count 0
		.amdhsa_exception_fp_ieee_invalid_op 0
		.amdhsa_exception_fp_denorm_src 0
		.amdhsa_exception_fp_ieee_div_zero 0
		.amdhsa_exception_fp_ieee_overflow 0
		.amdhsa_exception_fp_ieee_underflow 0
		.amdhsa_exception_fp_ieee_inexact 0
		.amdhsa_exception_int_div_zero 0
	.end_amdhsa_kernel
	.section	.text._ZL32rocblas_gemvt_warp_reduce_kernelILb0ELi256Ei16rocblas_bfloat16PKffEviiT3_lPKT2_lT1_lS6_lS7_lS3_lPT4_lS7_li,"axG",@progbits,_ZL32rocblas_gemvt_warp_reduce_kernelILb0ELi256Ei16rocblas_bfloat16PKffEviiT3_lPKT2_lT1_lS6_lS7_lS3_lPT4_lS7_li,comdat
.Lfunc_end644:
	.size	_ZL32rocblas_gemvt_warp_reduce_kernelILb0ELi256Ei16rocblas_bfloat16PKffEviiT3_lPKT2_lT1_lS6_lS7_lS3_lPT4_lS7_li, .Lfunc_end644-_ZL32rocblas_gemvt_warp_reduce_kernelILb0ELi256Ei16rocblas_bfloat16PKffEviiT3_lPKT2_lT1_lS6_lS7_lS3_lPT4_lS7_li
                                        ; -- End function
	.section	.AMDGPU.csdata,"",@progbits
; Kernel info:
; codeLenInByte = 1700
; NumSgprs: 27
; NumVgprs: 11
; ScratchSize: 0
; MemoryBound: 0
; FloatMode: 240
; IeeeMode: 1
; LDSByteSize: 128 bytes/workgroup (compile time only)
; SGPRBlocks: 3
; VGPRBlocks: 1
; NumSGPRsForWavesPerEU: 27
; NumVGPRsForWavesPerEU: 11
; Occupancy: 16
; WaveLimiterHint : 1
; COMPUTE_PGM_RSRC2:SCRATCH_EN: 0
; COMPUTE_PGM_RSRC2:USER_SGPR: 14
; COMPUTE_PGM_RSRC2:TRAP_HANDLER: 0
; COMPUTE_PGM_RSRC2:TGID_X_EN: 1
; COMPUTE_PGM_RSRC2:TGID_Y_EN: 0
; COMPUTE_PGM_RSRC2:TGID_Z_EN: 1
; COMPUTE_PGM_RSRC2:TIDIG_COMP_CNT: 0
	.section	.text._ZL32rocblas_gemvt_warp_reduce_kernelILb0ELi256El16rocblas_bfloat16PKffEviiT3_lPKT2_lT1_lS6_lS7_lS3_lPT4_lS7_li,"axG",@progbits,_ZL32rocblas_gemvt_warp_reduce_kernelILb0ELi256El16rocblas_bfloat16PKffEviiT3_lPKT2_lT1_lS6_lS7_lS3_lPT4_lS7_li,comdat
	.globl	_ZL32rocblas_gemvt_warp_reduce_kernelILb0ELi256El16rocblas_bfloat16PKffEviiT3_lPKT2_lT1_lS6_lS7_lS3_lPT4_lS7_li ; -- Begin function _ZL32rocblas_gemvt_warp_reduce_kernelILb0ELi256El16rocblas_bfloat16PKffEviiT3_lPKT2_lT1_lS6_lS7_lS3_lPT4_lS7_li
	.p2align	8
	.type	_ZL32rocblas_gemvt_warp_reduce_kernelILb0ELi256El16rocblas_bfloat16PKffEviiT3_lPKT2_lT1_lS6_lS7_lS3_lPT4_lS7_li,@function
_ZL32rocblas_gemvt_warp_reduce_kernelILb0ELi256El16rocblas_bfloat16PKffEviiT3_lPKT2_lT1_lS6_lS7_lS3_lPT4_lS7_li: ; @_ZL32rocblas_gemvt_warp_reduce_kernelILb0ELi256El16rocblas_bfloat16PKffEviiT3_lPKT2_lT1_lS6_lS7_lS3_lPT4_lS7_li
; %bb.0:
	s_clause 0x1
	s_load_b512 s[36:51], s[0:1], 0x8
	s_load_b512 s[16:31], s[0:1], 0x48
	s_mov_b32 s11, 0
	s_waitcnt lgkmcnt(0)
	s_mul_i32 s3, s15, s39
	s_mul_hi_u32 s4, s15, s38
	s_mul_i32 s2, s15, s38
	s_add_i32 s3, s4, s3
	s_mul_i32 s4, s15, s23
	s_lshl_b64 s[2:3], s[2:3], 2
	s_mul_hi_u32 s5, s15, s22
	s_add_u32 s2, s36, s2
	s_addc_u32 s3, s37, s3
	s_add_i32 s5, s5, s4
	s_mul_i32 s4, s15, s22
	s_delay_alu instid0(SALU_CYCLE_1) | instskip(NEXT) | instid1(SALU_CYCLE_1)
	s_lshl_b64 s[4:5], s[4:5], 2
	s_add_u32 s4, s20, s4
	s_addc_u32 s5, s21, s5
	s_load_b32 s12, s[2:3], 0x0
	s_load_b32 s10, s[4:5], 0x0
	s_waitcnt lgkmcnt(0)
	v_cmp_eq_f32_e64 s2, s12, 0
	v_cmp_eq_f32_e64 s3, s10, 1.0
	s_delay_alu instid0(VALU_DEP_1) | instskip(NEXT) | instid1(SALU_CYCLE_1)
	s_and_b32 s2, s2, s3
	s_and_b32 vcc_lo, exec_lo, s2
	s_cbranch_vccnz .LBB645_37
; %bb.1:
	s_mul_i32 s3, s15, s31
	s_mul_hi_u32 s4, s15, s30
	s_mul_i32 s2, s15, s30
	s_add_i32 s3, s4, s3
	v_cmp_neq_f32_e64 s4, s12, 0
	s_lshl_b64 s[2:3], s[2:3], 2
	s_delay_alu instid0(SALU_CYCLE_1) | instskip(SKIP_2) | instid1(SALU_CYCLE_1)
	s_add_u32 s5, s24, s2
	s_addc_u32 s6, s25, s3
	s_lshl_b64 s[2:3], s[26:27], 2
	s_add_u32 s8, s5, s2
	v_cmp_eq_u32_e64 s2, 0, v0
	s_addc_u32 s9, s6, s3
	s_and_b32 vcc_lo, exec_lo, s4
	s_cbranch_vccnz .LBB645_6
; %bb.2:
	s_mov_b32 s3, 0
                                        ; implicit-def: $vgpr1
                                        ; implicit-def: $sgpr4_sgpr5
	s_and_saveexec_b32 s6, s2
	s_cbranch_execz .LBB645_7
; %bb.3:
	v_cmp_eq_f32_e64 s2, s10, 0
	s_mul_i32 s4, s14, s29
	s_mul_hi_u32 s5, s14, s28
	s_ashr_i32 s7, s14, 31
	v_mov_b32_e32 v1, 0
	s_add_i32 s4, s5, s4
	s_mul_i32 s7, s7, s28
	s_and_b32 vcc_lo, exec_lo, s2
	s_add_i32 s5, s4, s7
	s_mul_i32 s4, s14, s28
	s_cbranch_vccnz .LBB645_5
; %bb.4:
	s_lshl_b64 s[20:21], s[4:5], 2
	s_delay_alu instid0(SALU_CYCLE_1)
	s_add_u32 s20, s8, s20
	s_addc_u32 s21, s9, s21
	s_load_b32 s2, s[20:21], 0x0
	s_waitcnt lgkmcnt(0)
	v_mul_f32_e64 v1, s10, s2
.LBB645_5:
	s_mov_b32 s11, exec_lo
	s_or_b32 exec_lo, exec_lo, s6
	s_delay_alu instid0(SALU_CYCLE_1)
	s_and_b32 vcc_lo, exec_lo, s3
	s_cbranch_vccnz .LBB645_8
	s_branch .LBB645_35
.LBB645_6:
                                        ; implicit-def: $vgpr1
                                        ; implicit-def: $sgpr4_sgpr5
	s_cbranch_execnz .LBB645_8
	s_branch .LBB645_35
.LBB645_7:
	s_or_b32 exec_lo, exec_lo, s6
	s_delay_alu instid0(SALU_CYCLE_1)
	s_and_b32 vcc_lo, exec_lo, s3
	s_cbranch_vccz .LBB645_35
.LBB645_8:
	s_load_b32 s5, s[0:1], 0x0
	s_mul_i32 s3, s15, s47
	s_mul_hi_u32 s4, s15, s46
	s_mul_i32 s0, s15, s46
	s_add_i32 s1, s4, s3
	s_mul_i32 s2, s15, s19
	s_mul_hi_u32 s3, s15, s18
	s_lshl_b64 s[0:1], s[0:1], 1
	s_add_i32 s3, s3, s2
	s_add_u32 s2, s40, s0
	s_addc_u32 s4, s41, s1
	s_lshl_b64 s[0:1], s[42:43], 1
	s_mul_hi_u32 s6, s14, s44
	s_add_u32 s0, s2, s0
	s_addc_u32 s2, s4, s1
	s_mul_i32 s4, s14, s45
	s_ashr_i32 s1, s14, 31
	s_add_i32 s4, s6, s4
	s_mul_i32 s6, s1, s44
	v_mov_b32_e32 v7, 0
	s_waitcnt lgkmcnt(0)
	v_cmp_gt_i32_e32 vcc_lo, s5, v0
	s_add_i32 s7, s4, s6
	s_mul_i32 s6, s14, s44
	s_mov_b32 s13, exec_lo
	s_lshl_b64 s[6:7], s[6:7], 1
	v_cndmask_b32_e32 v1, 0, v0, vcc_lo
	s_add_u32 s0, s6, s0
	s_addc_u32 s2, s7, s2
	s_ashr_i32 s4, s5, 31
	s_delay_alu instid0(SALU_CYCLE_1) | instskip(SKIP_2) | instid1(SALU_CYCLE_1)
	s_lshr_b32 s4, s4, 24
	v_lshlrev_b32_e32 v1, 1, v1
	s_add_i32 s4, s5, s4
	s_and_b32 s4, s4, 0xffffff00
	s_delay_alu instid0(VALU_DEP_1) | instskip(NEXT) | instid1(VALU_DEP_1)
	v_add_co_u32 v1, s0, s0, v1
	v_add_co_ci_u32_e64 v2, null, s2, 0, s0
	s_mul_i32 s2, s15, s18
	s_mov_b32 s15, 0
	v_cmpx_gt_i32_e64 s4, v0
	s_cbranch_execz .LBB645_16
; %bb.9:
	v_mad_u64_u32 v[5:6], null, s16, v0, 0
	s_lshl_b64 s[18:19], s[50:51], 1
	s_lshl_b64 s[6:7], s[2:3], 1
	s_add_u32 s0, s48, s18
	s_addc_u32 s18, s49, s19
	s_add_u32 s0, s0, s6
	s_addc_u32 s6, s18, s7
	s_delay_alu instid0(VALU_DEP_1) | instskip(NEXT) | instid1(VALU_DEP_1)
	v_dual_mov_b32 v3, v6 :: v_dual_mov_b32 v8, v0
	v_mad_u64_u32 v[6:7], null, s17, v0, v[3:4]
	v_dual_mov_b32 v7, 0 :: v_dual_mov_b32 v4, v2
	v_mov_b32_e32 v3, v1
	s_delay_alu instid0(VALU_DEP_3) | instskip(NEXT) | instid1(VALU_DEP_1)
	v_lshlrev_b64 v[5:6], 1, v[5:6]
	v_add_co_u32 v5, vcc_lo, s0, v5
	s_delay_alu instid0(VALU_DEP_2)
	v_add_co_ci_u32_e32 v6, vcc_lo, s6, v6, vcc_lo
	s_lshl_b64 s[6:7], s[16:17], 9
	s_set_inst_prefetch_distance 0x1
	s_branch .LBB645_11
	.p2align	6
.LBB645_10:                             ;   in Loop: Header=BB645_11 Depth=1
	s_or_b32 exec_lo, exec_lo, s0
	s_delay_alu instid0(VALU_DEP_1) | instskip(SKIP_3) | instid1(VALU_DEP_4)
	v_and_b32_e32 v9, 0xffff0000, v10
	v_add_nc_u32_e32 v8, 0x100, v8
	v_add_co_u32 v3, vcc_lo, 0x200, v3
	v_add_co_ci_u32_e32 v4, vcc_lo, 0, v4, vcc_lo
	v_add_f32_e32 v7, v7, v9
	s_delay_alu instid0(VALU_DEP_4) | instskip(SKIP_1) | instid1(VALU_DEP_1)
	v_cmp_le_i32_e32 vcc_lo, s4, v8
	v_add_co_u32 v5, s0, v5, s6
	v_add_co_ci_u32_e64 v6, s0, s7, v6, s0
	s_or_b32 s15, vcc_lo, s15
	s_delay_alu instid0(SALU_CYCLE_1)
	s_and_not1_b32 exec_lo, exec_lo, s15
	s_cbranch_execz .LBB645_15
.LBB645_11:                             ; =>This Inner Loop Header: Depth=1
	global_load_u16 v9, v[5:6], off
	global_load_u16 v10, v[3:4], off
	s_waitcnt vmcnt(1)
	v_lshlrev_b32_e32 v9, 16, v9
	s_waitcnt vmcnt(0)
	v_lshlrev_b32_e32 v10, 16, v10
	s_delay_alu instid0(VALU_DEP_1) | instskip(NEXT) | instid1(VALU_DEP_1)
	v_mul_f32_e32 v9, v10, v9
	v_and_b32_e32 v10, 0x7f800000, v9
	s_delay_alu instid0(VALU_DEP_1) | instskip(SKIP_1) | instid1(SALU_CYCLE_1)
	v_cmp_ne_u32_e32 vcc_lo, 0x7f800000, v10
                                        ; implicit-def: $vgpr10
	s_and_saveexec_b32 s0, vcc_lo
	s_xor_b32 s0, exec_lo, s0
; %bb.12:                               ;   in Loop: Header=BB645_11 Depth=1
	v_bfe_u32 v10, v9, 16, 1
	s_delay_alu instid0(VALU_DEP_1)
	v_add3_u32 v10, v9, v10, 0x7fff
                                        ; implicit-def: $vgpr9
; %bb.13:                               ;   in Loop: Header=BB645_11 Depth=1
	s_and_not1_saveexec_b32 s0, s0
	s_cbranch_execz .LBB645_10
; %bb.14:                               ;   in Loop: Header=BB645_11 Depth=1
	v_and_b32_e32 v10, 0xffff, v9
	v_or_b32_e32 v11, 0x10000, v9
	s_delay_alu instid0(VALU_DEP_2) | instskip(NEXT) | instid1(VALU_DEP_2)
	v_cmp_eq_u32_e32 vcc_lo, 0, v10
	v_cndmask_b32_e32 v10, v11, v9, vcc_lo
	s_branch .LBB645_10
.LBB645_15:
	s_set_inst_prefetch_distance 0x2
	s_or_b32 exec_lo, exec_lo, s15
.LBB645_16:
	s_delay_alu instid0(SALU_CYCLE_1) | instskip(SKIP_2) | instid1(VALU_DEP_1)
	s_or_b32 exec_lo, exec_lo, s13
	v_add_nc_u32_e32 v3, s4, v0
	s_mov_b32 s0, exec_lo
	v_cmpx_gt_i32_e64 s5, v3
	s_cbranch_execz .LBB645_22
; %bb.17:
	v_ashrrev_i32_e32 v6, 31, v3
	v_mul_lo_u32 v8, v3, s17
	v_mad_u64_u32 v[4:5], null, v3, s16, 0
	s_lshl_b64 s[2:3], s[2:3], 1
	s_delay_alu instid0(VALU_DEP_3) | instskip(SKIP_3) | instid1(SALU_CYCLE_1)
	v_mul_lo_u32 v3, v6, s16
	s_add_u32 s5, s48, s2
	s_addc_u32 s6, s49, s3
	s_lshl_b64 s[2:3], s[50:51], 1
	s_add_u32 s7, s5, s2
	s_addc_u32 s6, s6, s3
	s_ashr_i32 s5, s4, 31
	s_delay_alu instid0(VALU_DEP_1) | instskip(SKIP_1) | instid1(VALU_DEP_1)
	v_add3_u32 v5, v5, v8, v3
	s_lshl_b64 s[2:3], s[4:5], 1
	v_lshlrev_b64 v[3:4], 1, v[4:5]
	s_delay_alu instid0(VALU_DEP_1) | instskip(NEXT) | instid1(VALU_DEP_2)
	v_add_co_u32 v3, vcc_lo, s7, v3
	v_add_co_ci_u32_e32 v4, vcc_lo, s6, v4, vcc_lo
	v_add_co_u32 v1, vcc_lo, v1, s2
	v_add_co_ci_u32_e32 v2, vcc_lo, s3, v2, vcc_lo
	global_load_u16 v3, v[3:4], off
	global_load_u16 v1, v[1:2], off
	s_waitcnt vmcnt(1)
	v_lshlrev_b32_e32 v2, 16, v3
	s_waitcnt vmcnt(0)
	v_lshlrev_b32_e32 v1, 16, v1
	s_delay_alu instid0(VALU_DEP_1) | instskip(NEXT) | instid1(VALU_DEP_1)
	v_mul_f32_e32 v1, v1, v2
	v_and_b32_e32 v2, 0x7f800000, v1
	s_delay_alu instid0(VALU_DEP_1) | instskip(SKIP_1) | instid1(SALU_CYCLE_1)
	v_cmp_ne_u32_e32 vcc_lo, 0x7f800000, v2
                                        ; implicit-def: $vgpr2
	s_and_saveexec_b32 s2, vcc_lo
	s_xor_b32 s2, exec_lo, s2
; %bb.18:
	v_bfe_u32 v2, v1, 16, 1
	s_delay_alu instid0(VALU_DEP_1)
	v_add3_u32 v2, v1, v2, 0x7fff
                                        ; implicit-def: $vgpr1
; %bb.19:
	s_and_not1_saveexec_b32 s2, s2
; %bb.20:
	v_and_b32_e32 v2, 0xffff, v1
	v_or_b32_e32 v3, 0x10000, v1
	s_delay_alu instid0(VALU_DEP_2) | instskip(NEXT) | instid1(VALU_DEP_2)
	v_cmp_eq_u32_e32 vcc_lo, 0, v2
	v_cndmask_b32_e32 v2, v3, v1, vcc_lo
; %bb.21:
	s_or_b32 exec_lo, exec_lo, s2
	s_delay_alu instid0(VALU_DEP_1) | instskip(NEXT) | instid1(VALU_DEP_1)
	v_and_b32_e32 v1, 0xffff0000, v2
	v_add_f32_e32 v7, v7, v1
.LBB645_22:
	s_or_b32 exec_lo, exec_lo, s0
	v_and_b32_e32 v4, 31, v0
	v_cmp_gt_u32_e32 vcc_lo, 32, v0
	s_delay_alu instid0(VALU_DEP_2)
	v_lshlrev_b32_e32 v1, 2, v4
	s_and_saveexec_b32 s0, vcc_lo
	s_cbranch_execz .LBB645_24
; %bb.23:
	v_mov_b32_e32 v2, 0
	ds_store_b32 v1, v2
.LBB645_24:
	s_or_b32 exec_lo, exec_lo, s0
	v_mbcnt_lo_u32_b32 v5, -1, 0
	s_mov_b32 s2, exec_lo
	s_waitcnt lgkmcnt(0)
	s_barrier
	buffer_gl0_inv
	v_cmp_gt_u32_e64 s0, 16, v5
	s_delay_alu instid0(VALU_DEP_1) | instskip(SKIP_1) | instid1(VALU_DEP_2)
	v_cndmask_b32_e64 v2, 0, 1, s0
	v_cmp_gt_u32_e64 s0, 24, v5
	v_lshlrev_b32_e32 v2, 4, v2
	s_delay_alu instid0(VALU_DEP_2) | instskip(SKIP_1) | instid1(VALU_DEP_3)
	v_cndmask_b32_e64 v3, 0, 1, s0
	v_cmp_gt_u32_e64 s0, 28, v5
	v_add_lshl_u32 v2, v2, v5, 2
	ds_bpermute_b32 v2, v2, v7
	s_waitcnt lgkmcnt(0)
	v_dual_add_f32 v6, v7, v2 :: v_dual_lshlrev_b32 v3, 3, v3
	s_delay_alu instid0(VALU_DEP_1) | instskip(SKIP_4) | instid1(VALU_DEP_1)
	v_add_lshl_u32 v3, v3, v5, 2
	v_cndmask_b32_e64 v2, 0, 1, s0
	v_cmp_gt_u32_e64 s0, 30, v5
	ds_bpermute_b32 v3, v3, v6
	v_lshlrev_b32_e32 v2, 2, v2
	v_add_lshl_u32 v2, v2, v5, 2
	s_waitcnt lgkmcnt(0)
	v_add_f32_e32 v6, v6, v3
	v_cndmask_b32_e64 v3, 0, 1, s0
	v_cmp_ne_u32_e64 s0, 31, v5
	s_delay_alu instid0(VALU_DEP_2) | instskip(NEXT) | instid1(VALU_DEP_1)
	v_lshlrev_b32_e32 v3, 1, v3
	v_add_lshl_u32 v3, v3, v5, 2
	s_delay_alu instid0(VALU_DEP_3) | instskip(NEXT) | instid1(VALU_DEP_1)
	v_add_co_ci_u32_e64 v5, s0, 0, v5, s0
	v_lshlrev_b32_e32 v5, 2, v5
	ds_bpermute_b32 v7, v2, v6
	s_waitcnt lgkmcnt(0)
	v_add_f32_e32 v6, v6, v7
	ds_bpermute_b32 v7, v3, v6
	s_waitcnt lgkmcnt(0)
	v_add_f32_e32 v6, v6, v7
	ds_bpermute_b32 v7, v5, v6
	v_cmpx_eq_u32_e32 0, v4
	s_cbranch_execz .LBB645_26
; %bb.25:
	v_lshrrev_b32_e32 v4, 3, v0
	s_waitcnt lgkmcnt(0)
	v_add_f32_e32 v6, v6, v7
	s_delay_alu instid0(VALU_DEP_2)
	v_and_b32_e32 v4, 28, v4
	ds_store_b32 v4, v6
.LBB645_26:
	s_or_b32 exec_lo, exec_lo, s2
	v_mov_b32_e32 v4, 0
	s_mov_b32 s2, exec_lo
	s_waitcnt lgkmcnt(0)
	s_barrier
	buffer_gl0_inv
	v_cmpx_gt_u32_e32 8, v0
	s_cbranch_execz .LBB645_28
; %bb.27:
	ds_load_b32 v4, v1
.LBB645_28:
	s_or_b32 exec_lo, exec_lo, s2
	s_and_saveexec_b32 s0, vcc_lo
	s_cbranch_execz .LBB645_30
; %bb.29:
	s_waitcnt lgkmcnt(0)
	ds_bpermute_b32 v1, v2, v4
	s_waitcnt lgkmcnt(0)
	v_add_f32_e32 v1, v4, v1
	ds_bpermute_b32 v2, v3, v1
	s_waitcnt lgkmcnt(0)
	v_add_f32_e32 v1, v1, v2
	;; [unrolled: 3-line block ×3, first 2 shown]
.LBB645_30:
	s_or_b32 exec_lo, exec_lo, s0
	s_delay_alu instid0(SALU_CYCLE_1)
	s_mov_b32 s0, exec_lo
                                        ; implicit-def: $vgpr1
                                        ; implicit-def: $sgpr4_sgpr5
	v_cmpx_eq_u32_e32 0, v0
	s_cbranch_execz .LBB645_34
; %bb.31:
	v_cmp_eq_f32_e64 s4, s10, 0
	s_mul_i32 s2, s14, s29
	s_mul_hi_u32 s3, s14, s28
	s_waitcnt lgkmcnt(0)
	v_mul_f32_e32 v1, s12, v4
	s_add_i32 s2, s3, s2
	s_mul_i32 s1, s1, s28
	s_and_b32 vcc_lo, exec_lo, s4
	s_add_i32 s5, s2, s1
	s_mul_i32 s4, s14, s28
	s_cbranch_vccnz .LBB645_33
; %bb.32:
	s_lshl_b64 s[2:3], s[4:5], 2
	s_delay_alu instid0(SALU_CYCLE_1)
	s_add_u32 s2, s8, s2
	s_addc_u32 s3, s9, s3
	s_load_b32 s1, s[2:3], 0x0
	s_waitcnt lgkmcnt(0)
	v_fmac_f32_e64 v1, s10, s1
.LBB645_33:
	s_or_b32 s11, s11, exec_lo
.LBB645_34:
	s_or_b32 exec_lo, exec_lo, s0
.LBB645_35:
	s_and_saveexec_b32 s0, s11
	s_cbranch_execz .LBB645_37
; %bb.36:
	s_lshl_b64 s[0:1], s[4:5], 2
	v_mov_b32_e32 v0, 0
	s_add_u32 s0, s8, s0
	s_addc_u32 s1, s9, s1
	global_store_b32 v0, v1, s[0:1]
.LBB645_37:
	s_nop 0
	s_sendmsg sendmsg(MSG_DEALLOC_VGPRS)
	s_endpgm
	.section	.rodata,"a",@progbits
	.p2align	6, 0x0
	.amdhsa_kernel _ZL32rocblas_gemvt_warp_reduce_kernelILb0ELi256El16rocblas_bfloat16PKffEviiT3_lPKT2_lT1_lS6_lS7_lS3_lPT4_lS7_li
		.amdhsa_group_segment_fixed_size 128
		.amdhsa_private_segment_fixed_size 0
		.amdhsa_kernarg_size 140
		.amdhsa_user_sgpr_count 14
		.amdhsa_user_sgpr_dispatch_ptr 0
		.amdhsa_user_sgpr_queue_ptr 0
		.amdhsa_user_sgpr_kernarg_segment_ptr 1
		.amdhsa_user_sgpr_dispatch_id 0
		.amdhsa_user_sgpr_private_segment_size 0
		.amdhsa_wavefront_size32 1
		.amdhsa_uses_dynamic_stack 0
		.amdhsa_enable_private_segment 0
		.amdhsa_system_sgpr_workgroup_id_x 1
		.amdhsa_system_sgpr_workgroup_id_y 0
		.amdhsa_system_sgpr_workgroup_id_z 1
		.amdhsa_system_sgpr_workgroup_info 0
		.amdhsa_system_vgpr_workitem_id 0
		.amdhsa_next_free_vgpr 12
		.amdhsa_next_free_sgpr 52
		.amdhsa_reserve_vcc 1
		.amdhsa_float_round_mode_32 0
		.amdhsa_float_round_mode_16_64 0
		.amdhsa_float_denorm_mode_32 3
		.amdhsa_float_denorm_mode_16_64 3
		.amdhsa_dx10_clamp 1
		.amdhsa_ieee_mode 1
		.amdhsa_fp16_overflow 0
		.amdhsa_workgroup_processor_mode 1
		.amdhsa_memory_ordered 1
		.amdhsa_forward_progress 0
		.amdhsa_shared_vgpr_count 0
		.amdhsa_exception_fp_ieee_invalid_op 0
		.amdhsa_exception_fp_denorm_src 0
		.amdhsa_exception_fp_ieee_div_zero 0
		.amdhsa_exception_fp_ieee_overflow 0
		.amdhsa_exception_fp_ieee_underflow 0
		.amdhsa_exception_fp_ieee_inexact 0
		.amdhsa_exception_int_div_zero 0
	.end_amdhsa_kernel
	.section	.text._ZL32rocblas_gemvt_warp_reduce_kernelILb0ELi256El16rocblas_bfloat16PKffEviiT3_lPKT2_lT1_lS6_lS7_lS3_lPT4_lS7_li,"axG",@progbits,_ZL32rocblas_gemvt_warp_reduce_kernelILb0ELi256El16rocblas_bfloat16PKffEviiT3_lPKT2_lT1_lS6_lS7_lS3_lPT4_lS7_li,comdat
.Lfunc_end645:
	.size	_ZL32rocblas_gemvt_warp_reduce_kernelILb0ELi256El16rocblas_bfloat16PKffEviiT3_lPKT2_lT1_lS6_lS7_lS3_lPT4_lS7_li, .Lfunc_end645-_ZL32rocblas_gemvt_warp_reduce_kernelILb0ELi256El16rocblas_bfloat16PKffEviiT3_lPKT2_lT1_lS6_lS7_lS3_lPT4_lS7_li
                                        ; -- End function
	.section	.AMDGPU.csdata,"",@progbits
; Kernel info:
; codeLenInByte = 1748
; NumSgprs: 54
; NumVgprs: 12
; ScratchSize: 0
; MemoryBound: 0
; FloatMode: 240
; IeeeMode: 1
; LDSByteSize: 128 bytes/workgroup (compile time only)
; SGPRBlocks: 6
; VGPRBlocks: 1
; NumSGPRsForWavesPerEU: 54
; NumVGPRsForWavesPerEU: 12
; Occupancy: 16
; WaveLimiterHint : 0
; COMPUTE_PGM_RSRC2:SCRATCH_EN: 0
; COMPUTE_PGM_RSRC2:USER_SGPR: 14
; COMPUTE_PGM_RSRC2:TRAP_HANDLER: 0
; COMPUTE_PGM_RSRC2:TGID_X_EN: 1
; COMPUTE_PGM_RSRC2:TGID_Y_EN: 0
; COMPUTE_PGM_RSRC2:TGID_Z_EN: 1
; COMPUTE_PGM_RSRC2:TIDIG_COMP_CNT: 0
	.section	.text._ZL32rocblas_gemvt_warp_reduce_kernelILb0ELi256Ei16rocblas_bfloat16ffEviiT3_lPKT2_lT1_lS4_lS5_lS1_lPT4_lS5_li,"axG",@progbits,_ZL32rocblas_gemvt_warp_reduce_kernelILb0ELi256Ei16rocblas_bfloat16ffEviiT3_lPKT2_lT1_lS4_lS5_lS1_lPT4_lS5_li,comdat
	.globl	_ZL32rocblas_gemvt_warp_reduce_kernelILb0ELi256Ei16rocblas_bfloat16ffEviiT3_lPKT2_lT1_lS4_lS5_lS1_lPT4_lS5_li ; -- Begin function _ZL32rocblas_gemvt_warp_reduce_kernelILb0ELi256Ei16rocblas_bfloat16ffEviiT3_lPKT2_lT1_lS4_lS5_lS1_lPT4_lS5_li
	.p2align	8
	.type	_ZL32rocblas_gemvt_warp_reduce_kernelILb0ELi256Ei16rocblas_bfloat16ffEviiT3_lPKT2_lT1_lS4_lS5_lS1_lPT4_lS5_li,@function
_ZL32rocblas_gemvt_warp_reduce_kernelILb0ELi256Ei16rocblas_bfloat16ffEviiT3_lPKT2_lT1_lS4_lS5_lS1_lPT4_lS5_li: ; @_ZL32rocblas_gemvt_warp_reduce_kernelILb0ELi256Ei16rocblas_bfloat16ffEviiT3_lPKT2_lT1_lS4_lS5_lS1_lPT4_lS5_li
; %bb.0:
	s_clause 0x1
	s_load_b32 s10, s[0:1], 0x8
	s_load_b32 s8, s[0:1], 0x58
	s_mov_b32 s9, 0
	s_waitcnt lgkmcnt(0)
	v_cmp_eq_f32_e64 s2, s10, 0
	v_cmp_eq_f32_e64 s3, s8, 1.0
	s_delay_alu instid0(VALU_DEP_1) | instskip(NEXT) | instid1(SALU_CYCLE_1)
	s_and_b32 s2, s2, s3
	s_and_b32 vcc_lo, exec_lo, s2
	s_cbranch_vccnz .LBB646_37
; %bb.1:
	s_clause 0x2
	s_load_b64 s[2:3], s[0:1], 0x80
	s_load_b128 s[4:7], s[0:1], 0x68
	s_load_b32 s11, s[0:1], 0x78
	s_waitcnt lgkmcnt(0)
	s_mul_i32 s3, s15, s3
	s_mul_hi_u32 s12, s15, s2
	s_mul_i32 s2, s15, s2
	s_add_i32 s3, s12, s3
	v_cmp_neq_f32_e64 s12, s10, 0
	s_lshl_b64 s[2:3], s[2:3], 2
	s_delay_alu instid0(SALU_CYCLE_1) | instskip(SKIP_2) | instid1(SALU_CYCLE_1)
	s_add_u32 s4, s4, s2
	s_addc_u32 s5, s5, s3
	s_lshl_b64 s[2:3], s[6:7], 2
	s_add_u32 s6, s4, s2
	v_cmp_eq_u32_e64 s2, 0, v0
	s_addc_u32 s7, s5, s3
	s_and_b32 vcc_lo, exec_lo, s12
	s_cbranch_vccnz .LBB646_6
; %bb.2:
	s_mov_b32 s3, 0
                                        ; implicit-def: $vgpr1
                                        ; implicit-def: $sgpr4_sgpr5
	s_and_saveexec_b32 s12, s2
	s_cbranch_execz .LBB646_7
; %bb.3:
	v_cmp_eq_f32_e64 s2, s8, 0
	v_mov_b32_e32 v1, 0
	s_mul_i32 s4, s14, s11
	s_delay_alu instid0(SALU_CYCLE_1) | instskip(NEXT) | instid1(VALU_DEP_2)
	s_ashr_i32 s5, s4, 31
	s_and_b32 vcc_lo, exec_lo, s2
	s_cbranch_vccnz .LBB646_5
; %bb.4:
	s_lshl_b64 s[16:17], s[4:5], 2
	s_delay_alu instid0(SALU_CYCLE_1)
	s_add_u32 s16, s6, s16
	s_addc_u32 s17, s7, s17
	s_load_b32 s2, s[16:17], 0x0
	s_waitcnt lgkmcnt(0)
	v_mul_f32_e64 v1, s2, s8
.LBB646_5:
	s_mov_b32 s9, exec_lo
	s_or_b32 exec_lo, exec_lo, s12
	s_delay_alu instid0(SALU_CYCLE_1)
	s_and_b32 vcc_lo, exec_lo, s3
	s_cbranch_vccnz .LBB646_8
	s_branch .LBB646_35
.LBB646_6:
                                        ; implicit-def: $vgpr1
                                        ; implicit-def: $sgpr4_sgpr5
	s_cbranch_execnz .LBB646_8
	s_branch .LBB646_35
.LBB646_7:
	s_or_b32 exec_lo, exec_lo, s12
	s_delay_alu instid0(SALU_CYCLE_1)
	s_and_b32 vcc_lo, exec_lo, s3
	s_cbranch_vccz .LBB646_35
.LBB646_8:
	s_clause 0x6
	s_load_b64 s[4:5], s[0:1], 0x50
	s_load_b128 s[16:19], s[0:1], 0x30
	s_load_b64 s[12:13], s[0:1], 0x40
	s_load_b32 s3, s[0:1], 0x0
	s_load_b128 s[20:23], s[0:1], 0x18
	s_load_b32 s2, s[0:1], 0x28
	s_load_b32 s1, s[0:1], 0x48
	v_mov_b32_e32 v7, 0
	s_waitcnt lgkmcnt(0)
	s_mul_i32 s0, s15, s5
	s_mul_hi_u32 s5, s15, s4
	s_mul_i32 s4, s15, s4
	s_add_i32 s5, s5, s0
	s_mul_i32 s0, s15, s17
	s_lshl_b64 s[4:5], s[4:5], 1
	s_mul_hi_u32 s17, s15, s16
	s_add_u32 s18, s18, s4
	s_addc_u32 s19, s19, s5
	s_lshl_b64 s[4:5], s[12:13], 1
	v_cmp_gt_i32_e32 vcc_lo, s3, v0
	s_add_u32 s4, s18, s4
	s_mul_i32 s12, s15, s16
	s_addc_u32 s5, s19, s5
	s_add_i32 s13, s17, s0
	v_cndmask_b32_e32 v1, 0, v0, vcc_lo
	s_lshl_b64 s[12:13], s[12:13], 1
	s_mul_i32 s16, s14, s2
	s_add_u32 s0, s20, s12
	s_addc_u32 s15, s21, s13
	s_lshl_b64 s[12:13], s[22:23], 1
	v_lshlrev_b32_e32 v1, 1, v1
	s_add_u32 s0, s0, s12
	s_addc_u32 s2, s15, s13
	s_ashr_i32 s17, s16, 31
	s_delay_alu instid0(SALU_CYCLE_1) | instskip(NEXT) | instid1(SALU_CYCLE_1)
	s_lshl_b64 s[12:13], s[16:17], 1
	s_add_u32 s0, s12, s0
	s_addc_u32 s12, s13, s2
	s_ashr_i32 s2, s3, 31
	v_add_co_u32 v1, s0, s0, v1
	s_lshr_b32 s2, s2, 24
	v_add_co_ci_u32_e64 v2, null, s12, 0, s0
	s_add_i32 s2, s3, s2
	s_mov_b32 s13, 0
	s_and_b32 s2, s2, 0xffffff00
	s_mov_b32 s12, exec_lo
	v_cmpx_gt_i32_e64 s2, v0
	s_cbranch_execz .LBB646_16
; %bb.9:
	v_mul_lo_u32 v3, v0, s1
	v_dual_mov_b32 v7, 0 :: v_dual_mov_b32 v6, v2
	v_dual_mov_b32 v5, v1 :: v_dual_mov_b32 v8, v0
	s_lshl_b32 s15, s1, 8
	s_branch .LBB646_11
.LBB646_10:                             ;   in Loop: Header=BB646_11 Depth=1
	s_or_b32 exec_lo, exec_lo, s0
	v_add_nc_u32_e32 v8, 0x100, v8
	s_delay_alu instid0(VALU_DEP_2) | instskip(SKIP_1) | instid1(VALU_DEP_1)
	v_and_b32_e32 v4, 0xffff0000, v9
	v_add_co_u32 v5, s0, 0x200, v5
	v_add_co_ci_u32_e64 v6, s0, 0, v6, s0
	s_delay_alu instid0(VALU_DEP_4) | instskip(NEXT) | instid1(VALU_DEP_4)
	v_cmp_le_i32_e32 vcc_lo, s2, v8
	v_add_f32_e32 v7, v7, v4
	v_add_nc_u32_e32 v3, s15, v3
	s_or_b32 s13, vcc_lo, s13
	s_delay_alu instid0(SALU_CYCLE_1)
	s_and_not1_b32 exec_lo, exec_lo, s13
	s_cbranch_execz .LBB646_15
.LBB646_11:                             ; =>This Inner Loop Header: Depth=1
	s_delay_alu instid0(VALU_DEP_1) | instskip(NEXT) | instid1(VALU_DEP_1)
	v_ashrrev_i32_e32 v4, 31, v3
	v_lshlrev_b64 v[9:10], 1, v[3:4]
	s_delay_alu instid0(VALU_DEP_1) | instskip(NEXT) | instid1(VALU_DEP_2)
	v_add_co_u32 v9, vcc_lo, s4, v9
	v_add_co_ci_u32_e32 v10, vcc_lo, s5, v10, vcc_lo
	global_load_u16 v4, v[5:6], off
	global_load_u16 v9, v[9:10], off
	s_waitcnt vmcnt(1)
	v_lshlrev_b32_e32 v4, 16, v4
	s_waitcnt vmcnt(0)
	v_lshlrev_b32_e32 v9, 16, v9
	s_delay_alu instid0(VALU_DEP_1) | instskip(NEXT) | instid1(VALU_DEP_1)
	v_mul_f32_e32 v4, v4, v9
	v_and_b32_e32 v9, 0x7f800000, v4
	s_delay_alu instid0(VALU_DEP_1) | instskip(SKIP_1) | instid1(SALU_CYCLE_1)
	v_cmp_ne_u32_e32 vcc_lo, 0x7f800000, v9
                                        ; implicit-def: $vgpr9
	s_and_saveexec_b32 s0, vcc_lo
	s_xor_b32 s0, exec_lo, s0
; %bb.12:                               ;   in Loop: Header=BB646_11 Depth=1
	v_bfe_u32 v9, v4, 16, 1
	s_delay_alu instid0(VALU_DEP_1)
	v_add3_u32 v9, v4, v9, 0x7fff
                                        ; implicit-def: $vgpr4
; %bb.13:                               ;   in Loop: Header=BB646_11 Depth=1
	s_and_not1_saveexec_b32 s0, s0
	s_cbranch_execz .LBB646_10
; %bb.14:                               ;   in Loop: Header=BB646_11 Depth=1
	v_and_b32_e32 v9, 0xffff, v4
	v_or_b32_e32 v10, 0x10000, v4
	s_delay_alu instid0(VALU_DEP_2) | instskip(NEXT) | instid1(VALU_DEP_2)
	v_cmp_eq_u32_e32 vcc_lo, 0, v9
	v_cndmask_b32_e32 v9, v10, v4, vcc_lo
	s_branch .LBB646_10
.LBB646_15:
	s_or_b32 exec_lo, exec_lo, s13
.LBB646_16:
	s_delay_alu instid0(SALU_CYCLE_1) | instskip(SKIP_2) | instid1(VALU_DEP_1)
	s_or_b32 exec_lo, exec_lo, s12
	v_add_nc_u32_e32 v3, s2, v0
	s_mov_b32 s0, exec_lo
	v_cmpx_gt_i32_e64 s3, v3
	s_cbranch_execz .LBB646_22
; %bb.17:
	v_mul_lo_u32 v3, v3, s1
	s_ashr_i32 s3, s2, 31
	s_delay_alu instid0(SALU_CYCLE_1) | instskip(NEXT) | instid1(VALU_DEP_1)
	s_lshl_b64 s[2:3], s[2:3], 1
	v_ashrrev_i32_e32 v4, 31, v3
	s_delay_alu instid0(VALU_DEP_1) | instskip(NEXT) | instid1(VALU_DEP_1)
	v_lshlrev_b64 v[3:4], 1, v[3:4]
	v_add_co_u32 v3, vcc_lo, s4, v3
	s_delay_alu instid0(VALU_DEP_2)
	v_add_co_ci_u32_e32 v4, vcc_lo, s5, v4, vcc_lo
	v_add_co_u32 v1, vcc_lo, v1, s2
	v_add_co_ci_u32_e32 v2, vcc_lo, s3, v2, vcc_lo
	global_load_u16 v3, v[3:4], off
	global_load_u16 v1, v[1:2], off
	s_waitcnt vmcnt(1)
	v_lshlrev_b32_e32 v2, 16, v3
	s_waitcnt vmcnt(0)
	v_lshlrev_b32_e32 v1, 16, v1
	s_delay_alu instid0(VALU_DEP_1) | instskip(NEXT) | instid1(VALU_DEP_1)
	v_mul_f32_e32 v1, v1, v2
	v_and_b32_e32 v2, 0x7f800000, v1
	s_delay_alu instid0(VALU_DEP_1) | instskip(SKIP_1) | instid1(SALU_CYCLE_1)
	v_cmp_ne_u32_e32 vcc_lo, 0x7f800000, v2
                                        ; implicit-def: $vgpr2
	s_and_saveexec_b32 s1, vcc_lo
	s_xor_b32 s1, exec_lo, s1
; %bb.18:
	v_bfe_u32 v2, v1, 16, 1
	s_delay_alu instid0(VALU_DEP_1)
	v_add3_u32 v2, v1, v2, 0x7fff
                                        ; implicit-def: $vgpr1
; %bb.19:
	s_and_not1_saveexec_b32 s1, s1
; %bb.20:
	v_and_b32_e32 v2, 0xffff, v1
	v_or_b32_e32 v3, 0x10000, v1
	s_delay_alu instid0(VALU_DEP_2) | instskip(NEXT) | instid1(VALU_DEP_2)
	v_cmp_eq_u32_e32 vcc_lo, 0, v2
	v_cndmask_b32_e32 v2, v3, v1, vcc_lo
; %bb.21:
	s_or_b32 exec_lo, exec_lo, s1
	s_delay_alu instid0(VALU_DEP_1) | instskip(NEXT) | instid1(VALU_DEP_1)
	v_and_b32_e32 v1, 0xffff0000, v2
	v_add_f32_e32 v7, v7, v1
.LBB646_22:
	s_or_b32 exec_lo, exec_lo, s0
	v_and_b32_e32 v4, 31, v0
	v_cmp_gt_u32_e32 vcc_lo, 32, v0
	s_delay_alu instid0(VALU_DEP_2)
	v_lshlrev_b32_e32 v1, 2, v4
	s_and_saveexec_b32 s0, vcc_lo
	s_cbranch_execz .LBB646_24
; %bb.23:
	v_mov_b32_e32 v2, 0
	ds_store_b32 v1, v2
.LBB646_24:
	s_or_b32 exec_lo, exec_lo, s0
	v_mbcnt_lo_u32_b32 v5, -1, 0
	s_mov_b32 s1, exec_lo
	s_waitcnt lgkmcnt(0)
	s_barrier
	buffer_gl0_inv
	v_cmp_gt_u32_e64 s0, 16, v5
	s_delay_alu instid0(VALU_DEP_1) | instskip(SKIP_1) | instid1(VALU_DEP_2)
	v_cndmask_b32_e64 v2, 0, 1, s0
	v_cmp_gt_u32_e64 s0, 24, v5
	v_lshlrev_b32_e32 v2, 4, v2
	s_delay_alu instid0(VALU_DEP_2) | instskip(SKIP_1) | instid1(VALU_DEP_3)
	v_cndmask_b32_e64 v3, 0, 1, s0
	v_cmp_gt_u32_e64 s0, 28, v5
	v_add_lshl_u32 v2, v2, v5, 2
	ds_bpermute_b32 v2, v2, v7
	s_waitcnt lgkmcnt(0)
	v_dual_add_f32 v6, v7, v2 :: v_dual_lshlrev_b32 v3, 3, v3
	s_delay_alu instid0(VALU_DEP_1) | instskip(SKIP_4) | instid1(VALU_DEP_1)
	v_add_lshl_u32 v3, v3, v5, 2
	v_cndmask_b32_e64 v2, 0, 1, s0
	v_cmp_gt_u32_e64 s0, 30, v5
	ds_bpermute_b32 v3, v3, v6
	v_lshlrev_b32_e32 v2, 2, v2
	v_add_lshl_u32 v2, v2, v5, 2
	s_waitcnt lgkmcnt(0)
	v_add_f32_e32 v6, v6, v3
	v_cndmask_b32_e64 v3, 0, 1, s0
	v_cmp_ne_u32_e64 s0, 31, v5
	s_delay_alu instid0(VALU_DEP_2) | instskip(NEXT) | instid1(VALU_DEP_1)
	v_lshlrev_b32_e32 v3, 1, v3
	v_add_lshl_u32 v3, v3, v5, 2
	s_delay_alu instid0(VALU_DEP_3) | instskip(NEXT) | instid1(VALU_DEP_1)
	v_add_co_ci_u32_e64 v5, s0, 0, v5, s0
	v_lshlrev_b32_e32 v5, 2, v5
	ds_bpermute_b32 v7, v2, v6
	s_waitcnt lgkmcnt(0)
	v_add_f32_e32 v6, v6, v7
	ds_bpermute_b32 v7, v3, v6
	s_waitcnt lgkmcnt(0)
	v_add_f32_e32 v6, v6, v7
	ds_bpermute_b32 v7, v5, v6
	v_cmpx_eq_u32_e32 0, v4
	s_cbranch_execz .LBB646_26
; %bb.25:
	v_lshrrev_b32_e32 v4, 3, v0
	s_waitcnt lgkmcnt(0)
	v_add_f32_e32 v6, v6, v7
	s_delay_alu instid0(VALU_DEP_2)
	v_and_b32_e32 v4, 28, v4
	ds_store_b32 v4, v6
.LBB646_26:
	s_or_b32 exec_lo, exec_lo, s1
	v_mov_b32_e32 v4, 0
	s_mov_b32 s1, exec_lo
	s_waitcnt lgkmcnt(0)
	s_barrier
	buffer_gl0_inv
	v_cmpx_gt_u32_e32 8, v0
	s_cbranch_execz .LBB646_28
; %bb.27:
	ds_load_b32 v4, v1
.LBB646_28:
	s_or_b32 exec_lo, exec_lo, s1
	s_and_saveexec_b32 s0, vcc_lo
	s_cbranch_execz .LBB646_30
; %bb.29:
	s_waitcnt lgkmcnt(0)
	ds_bpermute_b32 v1, v2, v4
	s_waitcnt lgkmcnt(0)
	v_add_f32_e32 v1, v4, v1
	ds_bpermute_b32 v2, v3, v1
	s_waitcnt lgkmcnt(0)
	v_add_f32_e32 v1, v1, v2
	;; [unrolled: 3-line block ×3, first 2 shown]
.LBB646_30:
	s_or_b32 exec_lo, exec_lo, s0
	s_delay_alu instid0(SALU_CYCLE_1)
	s_mov_b32 s0, exec_lo
                                        ; implicit-def: $vgpr1
                                        ; implicit-def: $sgpr4_sgpr5
	v_cmpx_eq_u32_e32 0, v0
	s_cbranch_execz .LBB646_34
; %bb.31:
	v_cmp_eq_f32_e64 s1, s8, 0
	s_waitcnt lgkmcnt(0)
	v_mul_f32_e32 v1, s10, v4
	s_mul_i32 s4, s14, s11
	s_delay_alu instid0(SALU_CYCLE_1)
	s_ashr_i32 s5, s4, 31
	s_and_b32 vcc_lo, exec_lo, s1
	s_cbranch_vccnz .LBB646_33
; %bb.32:
	s_lshl_b64 s[2:3], s[4:5], 2
	s_delay_alu instid0(SALU_CYCLE_1)
	s_add_u32 s2, s6, s2
	s_addc_u32 s3, s7, s3
	s_load_b32 s1, s[2:3], 0x0
	s_waitcnt lgkmcnt(0)
	v_fmac_f32_e64 v1, s1, s8
.LBB646_33:
	s_or_b32 s9, s9, exec_lo
.LBB646_34:
	s_or_b32 exec_lo, exec_lo, s0
.LBB646_35:
	s_and_saveexec_b32 s0, s9
	s_cbranch_execz .LBB646_37
; %bb.36:
	s_lshl_b64 s[0:1], s[4:5], 2
	v_mov_b32_e32 v0, 0
	s_add_u32 s0, s6, s0
	s_addc_u32 s1, s7, s1
	global_store_b32 v0, v1, s[0:1]
.LBB646_37:
	s_nop 0
	s_sendmsg sendmsg(MSG_DEALLOC_VGPRS)
	s_endpgm
	.section	.rodata,"a",@progbits
	.p2align	6, 0x0
	.amdhsa_kernel _ZL32rocblas_gemvt_warp_reduce_kernelILb0ELi256Ei16rocblas_bfloat16ffEviiT3_lPKT2_lT1_lS4_lS5_lS1_lPT4_lS5_li
		.amdhsa_group_segment_fixed_size 128
		.amdhsa_private_segment_fixed_size 0
		.amdhsa_kernarg_size 140
		.amdhsa_user_sgpr_count 14
		.amdhsa_user_sgpr_dispatch_ptr 0
		.amdhsa_user_sgpr_queue_ptr 0
		.amdhsa_user_sgpr_kernarg_segment_ptr 1
		.amdhsa_user_sgpr_dispatch_id 0
		.amdhsa_user_sgpr_private_segment_size 0
		.amdhsa_wavefront_size32 1
		.amdhsa_uses_dynamic_stack 0
		.amdhsa_enable_private_segment 0
		.amdhsa_system_sgpr_workgroup_id_x 1
		.amdhsa_system_sgpr_workgroup_id_y 0
		.amdhsa_system_sgpr_workgroup_id_z 1
		.amdhsa_system_sgpr_workgroup_info 0
		.amdhsa_system_vgpr_workitem_id 0
		.amdhsa_next_free_vgpr 11
		.amdhsa_next_free_sgpr 24
		.amdhsa_reserve_vcc 1
		.amdhsa_float_round_mode_32 0
		.amdhsa_float_round_mode_16_64 0
		.amdhsa_float_denorm_mode_32 3
		.amdhsa_float_denorm_mode_16_64 3
		.amdhsa_dx10_clamp 1
		.amdhsa_ieee_mode 1
		.amdhsa_fp16_overflow 0
		.amdhsa_workgroup_processor_mode 1
		.amdhsa_memory_ordered 1
		.amdhsa_forward_progress 0
		.amdhsa_shared_vgpr_count 0
		.amdhsa_exception_fp_ieee_invalid_op 0
		.amdhsa_exception_fp_denorm_src 0
		.amdhsa_exception_fp_ieee_div_zero 0
		.amdhsa_exception_fp_ieee_overflow 0
		.amdhsa_exception_fp_ieee_underflow 0
		.amdhsa_exception_fp_ieee_inexact 0
		.amdhsa_exception_int_div_zero 0
	.end_amdhsa_kernel
	.section	.text._ZL32rocblas_gemvt_warp_reduce_kernelILb0ELi256Ei16rocblas_bfloat16ffEviiT3_lPKT2_lT1_lS4_lS5_lS1_lPT4_lS5_li,"axG",@progbits,_ZL32rocblas_gemvt_warp_reduce_kernelILb0ELi256Ei16rocblas_bfloat16ffEviiT3_lPKT2_lT1_lS4_lS5_lS1_lPT4_lS5_li,comdat
.Lfunc_end646:
	.size	_ZL32rocblas_gemvt_warp_reduce_kernelILb0ELi256Ei16rocblas_bfloat16ffEviiT3_lPKT2_lT1_lS4_lS5_lS1_lPT4_lS5_li, .Lfunc_end646-_ZL32rocblas_gemvt_warp_reduce_kernelILb0ELi256Ei16rocblas_bfloat16ffEviiT3_lPKT2_lT1_lS4_lS5_lS1_lPT4_lS5_li
                                        ; -- End function
	.section	.AMDGPU.csdata,"",@progbits
; Kernel info:
; codeLenInByte = 1624
; NumSgprs: 26
; NumVgprs: 11
; ScratchSize: 0
; MemoryBound: 0
; FloatMode: 240
; IeeeMode: 1
; LDSByteSize: 128 bytes/workgroup (compile time only)
; SGPRBlocks: 3
; VGPRBlocks: 1
; NumSGPRsForWavesPerEU: 26
; NumVGPRsForWavesPerEU: 11
; Occupancy: 16
; WaveLimiterHint : 1
; COMPUTE_PGM_RSRC2:SCRATCH_EN: 0
; COMPUTE_PGM_RSRC2:USER_SGPR: 14
; COMPUTE_PGM_RSRC2:TRAP_HANDLER: 0
; COMPUTE_PGM_RSRC2:TGID_X_EN: 1
; COMPUTE_PGM_RSRC2:TGID_Y_EN: 0
; COMPUTE_PGM_RSRC2:TGID_Z_EN: 1
; COMPUTE_PGM_RSRC2:TIDIG_COMP_CNT: 0
	.section	.text._ZL32rocblas_gemvt_warp_reduce_kernelILb0ELi256El16rocblas_bfloat16ffEviiT3_lPKT2_lT1_lS4_lS5_lS1_lPT4_lS5_li,"axG",@progbits,_ZL32rocblas_gemvt_warp_reduce_kernelILb0ELi256El16rocblas_bfloat16ffEviiT3_lPKT2_lT1_lS4_lS5_lS1_lPT4_lS5_li,comdat
	.globl	_ZL32rocblas_gemvt_warp_reduce_kernelILb0ELi256El16rocblas_bfloat16ffEviiT3_lPKT2_lT1_lS4_lS5_lS1_lPT4_lS5_li ; -- Begin function _ZL32rocblas_gemvt_warp_reduce_kernelILb0ELi256El16rocblas_bfloat16ffEviiT3_lPKT2_lT1_lS4_lS5_lS1_lPT4_lS5_li
	.p2align	8
	.type	_ZL32rocblas_gemvt_warp_reduce_kernelILb0ELi256El16rocblas_bfloat16ffEviiT3_lPKT2_lT1_lS4_lS5_lS1_lPT4_lS5_li,@function
_ZL32rocblas_gemvt_warp_reduce_kernelILb0ELi256El16rocblas_bfloat16ffEviiT3_lPKT2_lT1_lS4_lS5_lS1_lPT4_lS5_li: ; @_ZL32rocblas_gemvt_warp_reduce_kernelILb0ELi256El16rocblas_bfloat16ffEviiT3_lPKT2_lT1_lS4_lS5_lS1_lPT4_lS5_li
; %bb.0:
	s_clause 0x1
	s_load_b32 s33, s[0:1], 0x8
	s_load_b32 s12, s[0:1], 0x58
	s_mov_b32 s13, 0
	s_waitcnt lgkmcnt(0)
	v_cmp_eq_f32_e64 s2, s33, 0
	v_cmp_eq_f32_e64 s3, s12, 1.0
	s_delay_alu instid0(VALU_DEP_1) | instskip(NEXT) | instid1(SALU_CYCLE_1)
	s_and_b32 s2, s2, s3
	s_and_b32 vcc_lo, exec_lo, s2
	s_cbranch_vccnz .LBB647_37
; %bb.1:
	s_load_b256 s[4:11], s[0:1], 0x68
	v_cmp_neq_f32_e64 s16, s33, 0
	s_waitcnt lgkmcnt(0)
	s_mul_i32 s3, s15, s11
	s_mul_hi_u32 s11, s15, s10
	s_mul_i32 s2, s15, s10
	s_add_i32 s3, s11, s3
	s_delay_alu instid0(SALU_CYCLE_1) | instskip(NEXT) | instid1(SALU_CYCLE_1)
	s_lshl_b64 s[2:3], s[2:3], 2
	s_add_u32 s4, s4, s2
	s_addc_u32 s5, s5, s3
	s_lshl_b64 s[2:3], s[6:7], 2
	s_delay_alu instid0(SALU_CYCLE_1)
	s_add_u32 s10, s4, s2
	v_cmp_eq_u32_e64 s2, 0, v0
	s_addc_u32 s11, s5, s3
	s_and_b32 vcc_lo, exec_lo, s16
	s_cbranch_vccnz .LBB647_6
; %bb.2:
	s_mov_b32 s3, 0
                                        ; implicit-def: $vgpr1
                                        ; implicit-def: $sgpr4_sgpr5
	s_and_saveexec_b32 s6, s2
	s_cbranch_execz .LBB647_7
; %bb.3:
	v_cmp_eq_f32_e64 s2, s12, 0
	s_mul_i32 s4, s14, s9
	s_mul_hi_u32 s5, s14, s8
	s_ashr_i32 s7, s14, 31
	v_mov_b32_e32 v1, 0
	s_add_i32 s4, s5, s4
	s_mul_i32 s7, s7, s8
	s_and_b32 vcc_lo, exec_lo, s2
	s_add_i32 s5, s4, s7
	s_mul_i32 s4, s14, s8
	s_cbranch_vccnz .LBB647_5
; %bb.4:
	s_lshl_b64 s[16:17], s[4:5], 2
	s_delay_alu instid0(SALU_CYCLE_1)
	s_add_u32 s16, s10, s16
	s_addc_u32 s17, s11, s17
	s_load_b32 s2, s[16:17], 0x0
	s_waitcnt lgkmcnt(0)
	v_mul_f32_e64 v1, s2, s12
.LBB647_5:
	s_mov_b32 s13, exec_lo
	s_or_b32 exec_lo, exec_lo, s6
	s_delay_alu instid0(SALU_CYCLE_1)
	s_and_b32 vcc_lo, exec_lo, s3
	s_cbranch_vccnz .LBB647_8
	s_branch .LBB647_35
.LBB647_6:
                                        ; implicit-def: $vgpr1
                                        ; implicit-def: $sgpr4_sgpr5
	s_cbranch_execnz .LBB647_8
	s_branch .LBB647_35
.LBB647_7:
	s_or_b32 exec_lo, exec_lo, s6
	s_delay_alu instid0(SALU_CYCLE_1)
	s_and_b32 vcc_lo, exec_lo, s3
	s_cbranch_vccz .LBB647_35
.LBB647_8:
	s_clause 0x1
	s_load_b512 s[16:31], s[0:1], 0x18
	s_load_b32 s5, s[0:1], 0x0
	v_mov_b32_e32 v7, 0
	s_waitcnt lgkmcnt(0)
	s_mul_i32 s1, s15, s23
	s_mul_hi_u32 s4, s15, s22
	s_mul_i32 s0, s15, s22
	s_add_i32 s1, s4, s1
	s_mul_i32 s2, s15, s31
	s_mul_hi_u32 s3, s15, s30
	s_lshl_b64 s[0:1], s[0:1], 1
	s_add_i32 s3, s3, s2
	v_cmp_gt_i32_e32 vcc_lo, s5, v0
	s_add_u32 s2, s16, s0
	s_addc_u32 s6, s17, s1
	s_lshl_b64 s[0:1], s[18:19], 1
	s_mul_i32 s4, s14, s21
	s_add_u32 s0, s2, s0
	s_mul_hi_u32 s7, s14, s20
	s_addc_u32 s2, s6, s1
	s_ashr_i32 s1, s14, 31
	v_cndmask_b32_e32 v1, 0, v0, vcc_lo
	s_add_i32 s4, s7, s4
	s_mul_i32 s7, s1, s20
	s_mul_i32 s6, s14, s20
	s_add_i32 s7, s4, s7
	v_lshlrev_b32_e32 v1, 1, v1
	s_lshl_b64 s[6:7], s[6:7], 1
	s_mov_b32 s16, 0
	s_add_u32 s0, s6, s0
	s_addc_u32 s2, s7, s2
	s_ashr_i32 s4, s5, 31
	v_add_co_u32 v1, s0, s0, v1
	s_lshr_b32 s4, s4, 24
	v_add_co_ci_u32_e64 v2, null, s2, 0, s0
	s_add_i32 s4, s5, s4
	s_mul_i32 s2, s15, s30
	s_and_b32 s4, s4, 0xffffff00
	s_mov_b32 s15, exec_lo
	v_cmpx_gt_i32_e64 s4, v0
	s_cbranch_execz .LBB647_16
; %bb.9:
	v_mad_u64_u32 v[5:6], null, s28, v0, 0
	s_lshl_b64 s[18:19], s[26:27], 1
	s_lshl_b64 s[6:7], s[2:3], 1
	s_add_u32 s0, s24, s18
	s_addc_u32 s17, s25, s19
	s_add_u32 s0, s0, s6
	s_addc_u32 s6, s17, s7
	s_delay_alu instid0(VALU_DEP_1) | instskip(NEXT) | instid1(VALU_DEP_1)
	v_dual_mov_b32 v3, v6 :: v_dual_mov_b32 v8, v0
	v_mad_u64_u32 v[6:7], null, s29, v0, v[3:4]
	v_dual_mov_b32 v7, 0 :: v_dual_mov_b32 v4, v2
	v_mov_b32_e32 v3, v1
	s_delay_alu instid0(VALU_DEP_3) | instskip(NEXT) | instid1(VALU_DEP_1)
	v_lshlrev_b64 v[5:6], 1, v[5:6]
	v_add_co_u32 v5, vcc_lo, s0, v5
	s_delay_alu instid0(VALU_DEP_2)
	v_add_co_ci_u32_e32 v6, vcc_lo, s6, v6, vcc_lo
	s_lshl_b64 s[6:7], s[28:29], 9
	s_set_inst_prefetch_distance 0x1
	s_branch .LBB647_11
	.p2align	6
.LBB647_10:                             ;   in Loop: Header=BB647_11 Depth=1
	s_or_b32 exec_lo, exec_lo, s0
	s_delay_alu instid0(VALU_DEP_1) | instskip(SKIP_3) | instid1(VALU_DEP_4)
	v_and_b32_e32 v9, 0xffff0000, v10
	v_add_nc_u32_e32 v8, 0x100, v8
	v_add_co_u32 v3, vcc_lo, 0x200, v3
	v_add_co_ci_u32_e32 v4, vcc_lo, 0, v4, vcc_lo
	v_add_f32_e32 v7, v7, v9
	s_delay_alu instid0(VALU_DEP_4) | instskip(SKIP_1) | instid1(VALU_DEP_1)
	v_cmp_le_i32_e32 vcc_lo, s4, v8
	v_add_co_u32 v5, s0, v5, s6
	v_add_co_ci_u32_e64 v6, s0, s7, v6, s0
	s_or_b32 s16, vcc_lo, s16
	s_delay_alu instid0(SALU_CYCLE_1)
	s_and_not1_b32 exec_lo, exec_lo, s16
	s_cbranch_execz .LBB647_15
.LBB647_11:                             ; =>This Inner Loop Header: Depth=1
	global_load_u16 v9, v[5:6], off
	global_load_u16 v10, v[3:4], off
	s_waitcnt vmcnt(1)
	v_lshlrev_b32_e32 v9, 16, v9
	s_waitcnt vmcnt(0)
	v_lshlrev_b32_e32 v10, 16, v10
	s_delay_alu instid0(VALU_DEP_1) | instskip(NEXT) | instid1(VALU_DEP_1)
	v_mul_f32_e32 v9, v10, v9
	v_and_b32_e32 v10, 0x7f800000, v9
	s_delay_alu instid0(VALU_DEP_1) | instskip(SKIP_1) | instid1(SALU_CYCLE_1)
	v_cmp_ne_u32_e32 vcc_lo, 0x7f800000, v10
                                        ; implicit-def: $vgpr10
	s_and_saveexec_b32 s0, vcc_lo
	s_xor_b32 s0, exec_lo, s0
; %bb.12:                               ;   in Loop: Header=BB647_11 Depth=1
	v_bfe_u32 v10, v9, 16, 1
	s_delay_alu instid0(VALU_DEP_1)
	v_add3_u32 v10, v9, v10, 0x7fff
                                        ; implicit-def: $vgpr9
; %bb.13:                               ;   in Loop: Header=BB647_11 Depth=1
	s_and_not1_saveexec_b32 s0, s0
	s_cbranch_execz .LBB647_10
; %bb.14:                               ;   in Loop: Header=BB647_11 Depth=1
	v_and_b32_e32 v10, 0xffff, v9
	v_or_b32_e32 v11, 0x10000, v9
	s_delay_alu instid0(VALU_DEP_2) | instskip(NEXT) | instid1(VALU_DEP_2)
	v_cmp_eq_u32_e32 vcc_lo, 0, v10
	v_cndmask_b32_e32 v10, v11, v9, vcc_lo
	s_branch .LBB647_10
.LBB647_15:
	s_set_inst_prefetch_distance 0x2
	s_or_b32 exec_lo, exec_lo, s16
.LBB647_16:
	s_delay_alu instid0(SALU_CYCLE_1) | instskip(SKIP_2) | instid1(VALU_DEP_1)
	s_or_b32 exec_lo, exec_lo, s15
	v_add_nc_u32_e32 v3, s4, v0
	s_mov_b32 s0, exec_lo
	v_cmpx_gt_i32_e64 s5, v3
	s_cbranch_execz .LBB647_22
; %bb.17:
	v_ashrrev_i32_e32 v6, 31, v3
	v_mul_lo_u32 v8, v3, s29
	v_mad_u64_u32 v[4:5], null, v3, s28, 0
	s_lshl_b64 s[2:3], s[2:3], 1
	s_delay_alu instid0(VALU_DEP_3) | instskip(SKIP_3) | instid1(SALU_CYCLE_1)
	v_mul_lo_u32 v3, v6, s28
	s_add_u32 s5, s24, s2
	s_addc_u32 s6, s25, s3
	s_lshl_b64 s[2:3], s[26:27], 1
	s_add_u32 s7, s5, s2
	s_addc_u32 s6, s6, s3
	s_ashr_i32 s5, s4, 31
	s_delay_alu instid0(VALU_DEP_1) | instskip(SKIP_1) | instid1(VALU_DEP_1)
	v_add3_u32 v5, v5, v8, v3
	s_lshl_b64 s[2:3], s[4:5], 1
	v_lshlrev_b64 v[3:4], 1, v[4:5]
	s_delay_alu instid0(VALU_DEP_1) | instskip(NEXT) | instid1(VALU_DEP_2)
	v_add_co_u32 v3, vcc_lo, s7, v3
	v_add_co_ci_u32_e32 v4, vcc_lo, s6, v4, vcc_lo
	v_add_co_u32 v1, vcc_lo, v1, s2
	v_add_co_ci_u32_e32 v2, vcc_lo, s3, v2, vcc_lo
	global_load_u16 v3, v[3:4], off
	global_load_u16 v1, v[1:2], off
	s_waitcnt vmcnt(1)
	v_lshlrev_b32_e32 v2, 16, v3
	s_waitcnt vmcnt(0)
	v_lshlrev_b32_e32 v1, 16, v1
	s_delay_alu instid0(VALU_DEP_1) | instskip(NEXT) | instid1(VALU_DEP_1)
	v_mul_f32_e32 v1, v1, v2
	v_and_b32_e32 v2, 0x7f800000, v1
	s_delay_alu instid0(VALU_DEP_1) | instskip(SKIP_1) | instid1(SALU_CYCLE_1)
	v_cmp_ne_u32_e32 vcc_lo, 0x7f800000, v2
                                        ; implicit-def: $vgpr2
	s_and_saveexec_b32 s2, vcc_lo
	s_xor_b32 s2, exec_lo, s2
; %bb.18:
	v_bfe_u32 v2, v1, 16, 1
	s_delay_alu instid0(VALU_DEP_1)
	v_add3_u32 v2, v1, v2, 0x7fff
                                        ; implicit-def: $vgpr1
; %bb.19:
	s_and_not1_saveexec_b32 s2, s2
; %bb.20:
	v_and_b32_e32 v2, 0xffff, v1
	v_or_b32_e32 v3, 0x10000, v1
	s_delay_alu instid0(VALU_DEP_2) | instskip(NEXT) | instid1(VALU_DEP_2)
	v_cmp_eq_u32_e32 vcc_lo, 0, v2
	v_cndmask_b32_e32 v2, v3, v1, vcc_lo
; %bb.21:
	s_or_b32 exec_lo, exec_lo, s2
	s_delay_alu instid0(VALU_DEP_1) | instskip(NEXT) | instid1(VALU_DEP_1)
	v_and_b32_e32 v1, 0xffff0000, v2
	v_add_f32_e32 v7, v7, v1
.LBB647_22:
	s_or_b32 exec_lo, exec_lo, s0
	v_and_b32_e32 v4, 31, v0
	v_cmp_gt_u32_e32 vcc_lo, 32, v0
	s_delay_alu instid0(VALU_DEP_2)
	v_lshlrev_b32_e32 v1, 2, v4
	s_and_saveexec_b32 s0, vcc_lo
	s_cbranch_execz .LBB647_24
; %bb.23:
	v_mov_b32_e32 v2, 0
	ds_store_b32 v1, v2
.LBB647_24:
	s_or_b32 exec_lo, exec_lo, s0
	v_mbcnt_lo_u32_b32 v5, -1, 0
	s_mov_b32 s2, exec_lo
	s_waitcnt lgkmcnt(0)
	s_barrier
	buffer_gl0_inv
	v_cmp_gt_u32_e64 s0, 16, v5
	s_delay_alu instid0(VALU_DEP_1) | instskip(SKIP_1) | instid1(VALU_DEP_2)
	v_cndmask_b32_e64 v2, 0, 1, s0
	v_cmp_gt_u32_e64 s0, 24, v5
	v_lshlrev_b32_e32 v2, 4, v2
	s_delay_alu instid0(VALU_DEP_2) | instskip(SKIP_1) | instid1(VALU_DEP_3)
	v_cndmask_b32_e64 v3, 0, 1, s0
	v_cmp_gt_u32_e64 s0, 28, v5
	v_add_lshl_u32 v2, v2, v5, 2
	ds_bpermute_b32 v2, v2, v7
	s_waitcnt lgkmcnt(0)
	v_dual_add_f32 v6, v7, v2 :: v_dual_lshlrev_b32 v3, 3, v3
	s_delay_alu instid0(VALU_DEP_1) | instskip(SKIP_4) | instid1(VALU_DEP_1)
	v_add_lshl_u32 v3, v3, v5, 2
	v_cndmask_b32_e64 v2, 0, 1, s0
	v_cmp_gt_u32_e64 s0, 30, v5
	ds_bpermute_b32 v3, v3, v6
	v_lshlrev_b32_e32 v2, 2, v2
	v_add_lshl_u32 v2, v2, v5, 2
	s_waitcnt lgkmcnt(0)
	v_add_f32_e32 v6, v6, v3
	v_cndmask_b32_e64 v3, 0, 1, s0
	v_cmp_ne_u32_e64 s0, 31, v5
	s_delay_alu instid0(VALU_DEP_2) | instskip(NEXT) | instid1(VALU_DEP_1)
	v_lshlrev_b32_e32 v3, 1, v3
	v_add_lshl_u32 v3, v3, v5, 2
	s_delay_alu instid0(VALU_DEP_3) | instskip(NEXT) | instid1(VALU_DEP_1)
	v_add_co_ci_u32_e64 v5, s0, 0, v5, s0
	v_lshlrev_b32_e32 v5, 2, v5
	ds_bpermute_b32 v7, v2, v6
	s_waitcnt lgkmcnt(0)
	v_add_f32_e32 v6, v6, v7
	ds_bpermute_b32 v7, v3, v6
	s_waitcnt lgkmcnt(0)
	v_add_f32_e32 v6, v6, v7
	ds_bpermute_b32 v7, v5, v6
	v_cmpx_eq_u32_e32 0, v4
	s_cbranch_execz .LBB647_26
; %bb.25:
	v_lshrrev_b32_e32 v4, 3, v0
	s_waitcnt lgkmcnt(0)
	v_add_f32_e32 v6, v6, v7
	s_delay_alu instid0(VALU_DEP_2)
	v_and_b32_e32 v4, 28, v4
	ds_store_b32 v4, v6
.LBB647_26:
	s_or_b32 exec_lo, exec_lo, s2
	v_mov_b32_e32 v4, 0
	s_mov_b32 s2, exec_lo
	s_waitcnt lgkmcnt(0)
	s_barrier
	buffer_gl0_inv
	v_cmpx_gt_u32_e32 8, v0
	s_cbranch_execz .LBB647_28
; %bb.27:
	ds_load_b32 v4, v1
.LBB647_28:
	s_or_b32 exec_lo, exec_lo, s2
	s_and_saveexec_b32 s0, vcc_lo
	s_cbranch_execz .LBB647_30
; %bb.29:
	s_waitcnt lgkmcnt(0)
	ds_bpermute_b32 v1, v2, v4
	s_waitcnt lgkmcnt(0)
	v_add_f32_e32 v1, v4, v1
	ds_bpermute_b32 v2, v3, v1
	s_waitcnt lgkmcnt(0)
	v_add_f32_e32 v1, v1, v2
	;; [unrolled: 3-line block ×3, first 2 shown]
.LBB647_30:
	s_or_b32 exec_lo, exec_lo, s0
	s_delay_alu instid0(SALU_CYCLE_1)
	s_mov_b32 s0, exec_lo
                                        ; implicit-def: $vgpr1
                                        ; implicit-def: $sgpr4_sgpr5
	v_cmpx_eq_u32_e32 0, v0
	s_cbranch_execz .LBB647_34
; %bb.31:
	v_cmp_eq_f32_e64 s4, s12, 0
	s_mul_i32 s2, s14, s9
	s_mul_hi_u32 s3, s14, s8
	s_waitcnt lgkmcnt(0)
	v_mul_f32_e32 v1, s33, v4
	s_add_i32 s2, s3, s2
	s_mul_i32 s1, s1, s8
	s_and_b32 vcc_lo, exec_lo, s4
	s_add_i32 s5, s2, s1
	s_mul_i32 s4, s14, s8
	s_cbranch_vccnz .LBB647_33
; %bb.32:
	s_lshl_b64 s[2:3], s[4:5], 2
	s_delay_alu instid0(SALU_CYCLE_1)
	s_add_u32 s2, s10, s2
	s_addc_u32 s3, s11, s3
	s_load_b32 s1, s[2:3], 0x0
	s_waitcnt lgkmcnt(0)
	v_fmac_f32_e64 v1, s1, s12
.LBB647_33:
	s_or_b32 s13, s13, exec_lo
.LBB647_34:
	s_or_b32 exec_lo, exec_lo, s0
.LBB647_35:
	s_and_saveexec_b32 s0, s13
	s_cbranch_execz .LBB647_37
; %bb.36:
	s_lshl_b64 s[0:1], s[4:5], 2
	v_mov_b32_e32 v0, 0
	s_add_u32 s0, s10, s0
	s_addc_u32 s1, s11, s1
	global_store_b32 v0, v1, s[0:1]
.LBB647_37:
	s_nop 0
	s_sendmsg sendmsg(MSG_DEALLOC_VGPRS)
	s_endpgm
	.section	.rodata,"a",@progbits
	.p2align	6, 0x0
	.amdhsa_kernel _ZL32rocblas_gemvt_warp_reduce_kernelILb0ELi256El16rocblas_bfloat16ffEviiT3_lPKT2_lT1_lS4_lS5_lS1_lPT4_lS5_li
		.amdhsa_group_segment_fixed_size 128
		.amdhsa_private_segment_fixed_size 0
		.amdhsa_kernarg_size 140
		.amdhsa_user_sgpr_count 14
		.amdhsa_user_sgpr_dispatch_ptr 0
		.amdhsa_user_sgpr_queue_ptr 0
		.amdhsa_user_sgpr_kernarg_segment_ptr 1
		.amdhsa_user_sgpr_dispatch_id 0
		.amdhsa_user_sgpr_private_segment_size 0
		.amdhsa_wavefront_size32 1
		.amdhsa_uses_dynamic_stack 0
		.amdhsa_enable_private_segment 0
		.amdhsa_system_sgpr_workgroup_id_x 1
		.amdhsa_system_sgpr_workgroup_id_y 0
		.amdhsa_system_sgpr_workgroup_id_z 1
		.amdhsa_system_sgpr_workgroup_info 0
		.amdhsa_system_vgpr_workitem_id 0
		.amdhsa_next_free_vgpr 12
		.amdhsa_next_free_sgpr 34
		.amdhsa_reserve_vcc 1
		.amdhsa_float_round_mode_32 0
		.amdhsa_float_round_mode_16_64 0
		.amdhsa_float_denorm_mode_32 3
		.amdhsa_float_denorm_mode_16_64 3
		.amdhsa_dx10_clamp 1
		.amdhsa_ieee_mode 1
		.amdhsa_fp16_overflow 0
		.amdhsa_workgroup_processor_mode 1
		.amdhsa_memory_ordered 1
		.amdhsa_forward_progress 0
		.amdhsa_shared_vgpr_count 0
		.amdhsa_exception_fp_ieee_invalid_op 0
		.amdhsa_exception_fp_denorm_src 0
		.amdhsa_exception_fp_ieee_div_zero 0
		.amdhsa_exception_fp_ieee_overflow 0
		.amdhsa_exception_fp_ieee_underflow 0
		.amdhsa_exception_fp_ieee_inexact 0
		.amdhsa_exception_int_div_zero 0
	.end_amdhsa_kernel
	.section	.text._ZL32rocblas_gemvt_warp_reduce_kernelILb0ELi256El16rocblas_bfloat16ffEviiT3_lPKT2_lT1_lS4_lS5_lS1_lPT4_lS5_li,"axG",@progbits,_ZL32rocblas_gemvt_warp_reduce_kernelILb0ELi256El16rocblas_bfloat16ffEviiT3_lPKT2_lT1_lS4_lS5_lS1_lPT4_lS5_li,comdat
.Lfunc_end647:
	.size	_ZL32rocblas_gemvt_warp_reduce_kernelILb0ELi256El16rocblas_bfloat16ffEviiT3_lPKT2_lT1_lS4_lS5_lS1_lPT4_lS5_li, .Lfunc_end647-_ZL32rocblas_gemvt_warp_reduce_kernelILb0ELi256El16rocblas_bfloat16ffEviiT3_lPKT2_lT1_lS4_lS5_lS1_lPT4_lS5_li
                                        ; -- End function
	.section	.AMDGPU.csdata,"",@progbits
; Kernel info:
; codeLenInByte = 1688
; NumSgprs: 36
; NumVgprs: 12
; ScratchSize: 0
; MemoryBound: 0
; FloatMode: 240
; IeeeMode: 1
; LDSByteSize: 128 bytes/workgroup (compile time only)
; SGPRBlocks: 4
; VGPRBlocks: 1
; NumSGPRsForWavesPerEU: 36
; NumVGPRsForWavesPerEU: 12
; Occupancy: 16
; WaveLimiterHint : 1
; COMPUTE_PGM_RSRC2:SCRATCH_EN: 0
; COMPUTE_PGM_RSRC2:USER_SGPR: 14
; COMPUTE_PGM_RSRC2:TRAP_HANDLER: 0
; COMPUTE_PGM_RSRC2:TGID_X_EN: 1
; COMPUTE_PGM_RSRC2:TGID_Y_EN: 0
; COMPUTE_PGM_RSRC2:TGID_Z_EN: 1
; COMPUTE_PGM_RSRC2:TIDIG_COMP_CNT: 0
	.section	.text._ZL20rocblas_gemvt_kernelILb0ELi256E16rocblas_bfloat16PKffEviiT2_lPKT1_lilS6_lilS3_lPT3_lili,"axG",@progbits,_ZL20rocblas_gemvt_kernelILb0ELi256E16rocblas_bfloat16PKffEviiT2_lPKT1_lilS6_lilS3_lPT3_lili,comdat
	.globl	_ZL20rocblas_gemvt_kernelILb0ELi256E16rocblas_bfloat16PKffEviiT2_lPKT1_lilS6_lilS3_lPT3_lili ; -- Begin function _ZL20rocblas_gemvt_kernelILb0ELi256E16rocblas_bfloat16PKffEviiT2_lPKT1_lilS6_lilS3_lPT3_lili
	.p2align	8
	.type	_ZL20rocblas_gemvt_kernelILb0ELi256E16rocblas_bfloat16PKffEviiT2_lPKT1_lilS6_lilS3_lPT3_lili,@function
_ZL20rocblas_gemvt_kernelILb0ELi256E16rocblas_bfloat16PKffEviiT2_lPKT1_lilS6_lilS3_lPT3_lili: ; @_ZL20rocblas_gemvt_kernelILb0ELi256E16rocblas_bfloat16PKffEviiT2_lPKT1_lilS6_lilS3_lPT3_lili
; %bb.0:
	s_clause 0x1
	s_load_b256 s[16:23], s[0:1], 0x8
	s_load_b256 s[4:11], s[0:1], 0x50
	s_waitcnt lgkmcnt(0)
	s_mul_i32 s3, s15, s19
	s_mul_hi_u32 s12, s15, s18
	s_mul_i32 s2, s15, s18
	s_add_i32 s3, s12, s3
	s_mul_i32 s9, s15, s9
	s_lshl_b64 s[2:3], s[2:3], 2
	s_mul_hi_u32 s12, s15, s8
	s_add_u32 s2, s16, s2
	s_addc_u32 s3, s17, s3
	s_add_i32 s9, s12, s9
	s_mul_i32 s8, s15, s8
	s_mov_b32 s17, 0
	s_lshl_b64 s[8:9], s[8:9], 2
	s_delay_alu instid0(SALU_CYCLE_1)
	s_add_u32 s6, s6, s8
	s_addc_u32 s7, s7, s9
	s_load_b32 s18, s[2:3], 0x0
	s_load_b32 s16, s[6:7], 0x0
	s_waitcnt lgkmcnt(0)
	v_cmp_eq_f32_e64 s2, s18, 0
	v_cmp_eq_f32_e64 s3, s16, 1.0
	s_delay_alu instid0(VALU_DEP_1) | instskip(NEXT) | instid1(SALU_CYCLE_1)
	s_and_b32 s2, s2, s3
	s_and_b32 vcc_lo, exec_lo, s2
	s_cbranch_vccnz .LBB648_44
; %bb.1:
	s_clause 0x2
	s_load_b64 s[2:3], s[0:1], 0x80
	s_load_b64 s[6:7], s[0:1], 0x70
	s_load_b32 s19, s[0:1], 0x78
	s_waitcnt lgkmcnt(0)
	s_mul_i32 s3, s15, s3
	s_mul_hi_u32 s8, s15, s2
	s_mul_i32 s2, s15, s2
	s_add_i32 s3, s8, s3
	v_cmp_neq_f32_e64 s8, s18, 0
	s_lshl_b64 s[2:3], s[2:3], 2
	s_delay_alu instid0(SALU_CYCLE_1) | instskip(SKIP_2) | instid1(SALU_CYCLE_1)
	s_add_u32 s9, s10, s2
	s_addc_u32 s10, s11, s3
	s_lshl_b64 s[2:3], s[6:7], 2
	s_add_u32 s12, s9, s2
	v_cmp_eq_u32_e64 s2, 0, v0
	s_addc_u32 s13, s10, s3
	s_and_b32 vcc_lo, exec_lo, s8
	s_cbranch_vccnz .LBB648_6
; %bb.2:
	s_mov_b32 s3, 0
                                        ; implicit-def: $vgpr1
                                        ; implicit-def: $sgpr6_sgpr7
	s_and_saveexec_b32 s8, s2
	s_cbranch_execz .LBB648_7
; %bb.3:
	v_cmp_eq_f32_e64 s2, s16, 0
	v_mov_b32_e32 v1, 0
	s_mul_hi_i32 s7, s19, s14
	s_mul_i32 s6, s19, s14
	s_delay_alu instid0(VALU_DEP_2)
	s_and_b32 vcc_lo, exec_lo, s2
	s_cbranch_vccnz .LBB648_5
; %bb.4:
	s_lshl_b64 s[10:11], s[6:7], 2
	s_delay_alu instid0(SALU_CYCLE_1)
	s_add_u32 s10, s12, s10
	s_addc_u32 s11, s13, s11
	s_load_b32 s2, s[10:11], 0x0
	s_waitcnt lgkmcnt(0)
	v_mul_f32_e64 v1, s16, s2
.LBB648_5:
	s_mov_b32 s17, exec_lo
	s_or_b32 exec_lo, exec_lo, s8
	s_delay_alu instid0(SALU_CYCLE_1)
	s_and_b32 vcc_lo, exec_lo, s3
	s_cbranch_vccnz .LBB648_8
	s_branch .LBB648_42
.LBB648_6:
                                        ; implicit-def: $vgpr1
                                        ; implicit-def: $sgpr6_sgpr7
	s_cbranch_execnz .LBB648_8
	s_branch .LBB648_42
.LBB648_7:
	s_or_b32 exec_lo, exec_lo, s8
	s_delay_alu instid0(SALU_CYCLE_1)
	s_and_b32 vcc_lo, exec_lo, s3
	s_cbranch_vccz .LBB648_42
.LBB648_8:
	s_clause 0x3
	s_load_b128 s[8:11], s[0:1], 0x30
	s_load_b32 s24, s[0:1], 0x0
	s_load_b32 s7, s[0:1], 0x28
	s_load_b64 s[2:3], s[0:1], 0x40
	s_mul_i32 s5, s15, s5
	s_mul_hi_u32 s25, s15, s4
	s_load_b32 s6, s[0:1], 0x48
	s_add_i32 s1, s25, s5
	v_mov_b32_e32 v7, 0
	s_waitcnt lgkmcnt(0)
	s_mul_i32 s0, s15, s9
	s_mul_hi_u32 s5, s15, s8
	v_cmp_gt_i32_e32 vcc_lo, s24, v0
	s_mul_i32 s8, s15, s8
	s_add_i32 s9, s5, s0
	s_mul_hi_i32 s27, s7, s14
	s_lshl_b64 s[8:9], s[8:9], 1
	v_cndmask_b32_e32 v1, 0, v0, vcc_lo
	s_add_u32 s0, s20, s8
	s_addc_u32 s5, s21, s9
	s_lshl_b64 s[8:9], s[22:23], 1
	s_mul_i32 s26, s7, s14
	s_add_u32 s7, s0, s8
	s_addc_u32 s5, s5, s9
	s_lshl_b64 s[8:9], s[26:27], 1
	v_lshlrev_b32_e32 v1, 1, v1
	s_mul_i32 s0, s15, s4
	s_add_u32 s4, s8, s7
	s_addc_u32 s5, s9, s5
	s_ashr_i32 s7, s24, 31
	v_add_co_u32 v1, s4, s4, v1
	s_lshr_b32 s7, s7, 24
	v_add_co_ci_u32_e64 v2, null, s5, 0, s4
	s_add_i32 s7, s24, s7
	s_mov_b32 s5, 0
	s_and_b32 s4, s7, 0xffffff00
	s_cmpk_lt_i32 s24, 0x100
	s_cbranch_scc1 .LBB648_15
; %bb.9:
	v_mad_i64_i32 v[3:4], null, s6, v0, 0
	s_lshl_b64 s[20:21], s[2:3], 1
	s_ashr_i32 s7, s6, 31
	s_lshl_b64 s[8:9], s[0:1], 1
	s_add_u32 s15, s10, s20
	s_addc_u32 s20, s11, s21
	s_add_u32 s8, s15, s8
	s_delay_alu instid0(VALU_DEP_1) | instskip(SKIP_3) | instid1(VALU_DEP_3)
	v_lshlrev_b64 v[3:4], 1, v[3:4]
	s_addc_u32 s9, s20, s9
	v_dual_mov_b32 v7, 0 :: v_dual_mov_b32 v6, v2
	v_mov_b32_e32 v5, v1
	v_add_co_u32 v3, vcc_lo, s8, v3
	s_delay_alu instid0(VALU_DEP_4)
	v_add_co_ci_u32_e32 v4, vcc_lo, s9, v4, vcc_lo
	s_lshl_b64 s[8:9], s[6:7], 9
	s_set_inst_prefetch_distance 0x1
	s_branch .LBB648_11
	.p2align	6
.LBB648_10:                             ;   in Loop: Header=BB648_11 Depth=1
	s_or_b32 exec_lo, exec_lo, s7
	s_delay_alu instid0(VALU_DEP_1) | instskip(SKIP_3) | instid1(VALU_DEP_4)
	v_and_b32_e32 v8, 0xffff0000, v9
	v_add_co_u32 v3, vcc_lo, v3, s8
	v_add_co_ci_u32_e32 v4, vcc_lo, s9, v4, vcc_lo
	v_add_co_u32 v5, vcc_lo, 0x200, v5
	v_add_f32_e32 v7, v7, v8
	v_add_co_ci_u32_e32 v6, vcc_lo, 0, v6, vcc_lo
	s_addk_i32 s5, 0x100
	s_delay_alu instid0(SALU_CYCLE_1)
	s_cmp_ge_i32 s5, s4
	s_cbranch_scc1 .LBB648_15
.LBB648_11:                             ; =>This Inner Loop Header: Depth=1
	global_load_u16 v8, v[3:4], off
	global_load_u16 v9, v[5:6], off
	s_waitcnt vmcnt(1)
	v_lshlrev_b32_e32 v8, 16, v8
	s_waitcnt vmcnt(0)
	v_lshlrev_b32_e32 v9, 16, v9
	s_delay_alu instid0(VALU_DEP_1) | instskip(NEXT) | instid1(VALU_DEP_1)
	v_mul_f32_e32 v8, v9, v8
	v_and_b32_e32 v9, 0x7f800000, v8
	s_delay_alu instid0(VALU_DEP_1) | instskip(SKIP_1) | instid1(SALU_CYCLE_1)
	v_cmp_ne_u32_e32 vcc_lo, 0x7f800000, v9
                                        ; implicit-def: $vgpr9
	s_and_saveexec_b32 s7, vcc_lo
	s_xor_b32 s7, exec_lo, s7
; %bb.12:                               ;   in Loop: Header=BB648_11 Depth=1
	v_bfe_u32 v9, v8, 16, 1
	s_delay_alu instid0(VALU_DEP_1)
	v_add3_u32 v9, v8, v9, 0x7fff
                                        ; implicit-def: $vgpr8
; %bb.13:                               ;   in Loop: Header=BB648_11 Depth=1
	s_and_not1_saveexec_b32 s7, s7
	s_cbranch_execz .LBB648_10
; %bb.14:                               ;   in Loop: Header=BB648_11 Depth=1
	v_and_b32_e32 v9, 0xffff, v8
	v_or_b32_e32 v10, 0x10000, v8
	s_delay_alu instid0(VALU_DEP_2) | instskip(NEXT) | instid1(VALU_DEP_2)
	v_cmp_eq_u32_e32 vcc_lo, 0, v9
	v_cndmask_b32_e32 v9, v10, v8, vcc_lo
	s_branch .LBB648_10
.LBB648_15:
	s_set_inst_prefetch_distance 0x2
	v_add_nc_u32_e32 v3, s4, v0
	s_mov_b32 s7, exec_lo
	s_delay_alu instid0(VALU_DEP_1)
	v_cmpx_gt_i32_e64 s24, v3
	s_cbranch_execz .LBB648_21
; %bb.16:
	v_mad_i64_i32 v[4:5], null, s6, v3, 0
	s_lshl_b64 s[0:1], s[0:1], 1
	s_delay_alu instid0(SALU_CYCLE_1) | instskip(SKIP_2) | instid1(SALU_CYCLE_1)
	s_add_u32 s5, s10, s0
	s_addc_u32 s6, s11, s1
	s_lshl_b64 s[0:1], s[2:3], 1
	s_add_u32 s2, s5, s0
	s_delay_alu instid0(VALU_DEP_1) | instskip(SKIP_2) | instid1(SALU_CYCLE_1)
	v_lshlrev_b64 v[3:4], 1, v[4:5]
	s_addc_u32 s3, s6, s1
	s_ashr_i32 s5, s4, 31
	s_lshl_b64 s[0:1], s[4:5], 1
	s_delay_alu instid0(VALU_DEP_1) | instskip(NEXT) | instid1(VALU_DEP_2)
	v_add_co_u32 v3, vcc_lo, s2, v3
	v_add_co_ci_u32_e32 v4, vcc_lo, s3, v4, vcc_lo
	v_add_co_u32 v1, vcc_lo, v1, s0
	v_add_co_ci_u32_e32 v2, vcc_lo, s1, v2, vcc_lo
	global_load_u16 v3, v[3:4], off
	global_load_u16 v1, v[1:2], off
	s_waitcnt vmcnt(1)
	v_lshlrev_b32_e32 v2, 16, v3
	s_waitcnt vmcnt(0)
	v_lshlrev_b32_e32 v1, 16, v1
	s_delay_alu instid0(VALU_DEP_1) | instskip(NEXT) | instid1(VALU_DEP_1)
	v_mul_f32_e32 v1, v1, v2
	v_and_b32_e32 v2, 0x7f800000, v1
	s_delay_alu instid0(VALU_DEP_1) | instskip(SKIP_1) | instid1(SALU_CYCLE_1)
	v_cmp_ne_u32_e32 vcc_lo, 0x7f800000, v2
                                        ; implicit-def: $vgpr2
	s_and_saveexec_b32 s0, vcc_lo
	s_xor_b32 s0, exec_lo, s0
; %bb.17:
	v_bfe_u32 v2, v1, 16, 1
	s_delay_alu instid0(VALU_DEP_1)
	v_add3_u32 v2, v1, v2, 0x7fff
                                        ; implicit-def: $vgpr1
; %bb.18:
	s_and_not1_saveexec_b32 s0, s0
; %bb.19:
	v_and_b32_e32 v2, 0xffff, v1
	v_or_b32_e32 v3, 0x10000, v1
	s_delay_alu instid0(VALU_DEP_2) | instskip(NEXT) | instid1(VALU_DEP_2)
	v_cmp_eq_u32_e32 vcc_lo, 0, v2
	v_cndmask_b32_e32 v2, v3, v1, vcc_lo
; %bb.20:
	s_or_b32 exec_lo, exec_lo, s0
	s_delay_alu instid0(VALU_DEP_1) | instskip(NEXT) | instid1(VALU_DEP_1)
	v_and_b32_e32 v1, 0xffff0000, v2
	v_add_f32_e32 v7, v7, v1
.LBB648_21:
	s_or_b32 exec_lo, exec_lo, s7
	v_lshlrev_b32_e32 v1, 2, v0
	s_mov_b32 s0, exec_lo
	ds_store_b32 v1, v7
	s_waitcnt lgkmcnt(0)
	s_barrier
	buffer_gl0_inv
	v_cmpx_gt_u32_e32 0x80, v0
	s_cbranch_execz .LBB648_23
; %bb.22:
	ds_load_2addr_stride64_b32 v[2:3], v1 offset1:2
	s_waitcnt lgkmcnt(0)
	v_add_f32_e32 v2, v3, v2
	ds_store_b32 v1, v2
.LBB648_23:
	s_or_b32 exec_lo, exec_lo, s0
	s_delay_alu instid0(SALU_CYCLE_1)
	s_mov_b32 s0, exec_lo
	s_waitcnt lgkmcnt(0)
	s_barrier
	buffer_gl0_inv
	v_cmpx_gt_u32_e32 64, v0
	s_cbranch_execz .LBB648_25
; %bb.24:
	ds_load_2addr_stride64_b32 v[2:3], v1 offset1:1
	s_waitcnt lgkmcnt(0)
	v_add_f32_e32 v2, v3, v2
	ds_store_b32 v1, v2
.LBB648_25:
	s_or_b32 exec_lo, exec_lo, s0
	s_delay_alu instid0(SALU_CYCLE_1)
	s_mov_b32 s0, exec_lo
	s_waitcnt lgkmcnt(0)
	s_barrier
	buffer_gl0_inv
	v_cmpx_gt_u32_e32 32, v0
	s_cbranch_execz .LBB648_27
; %bb.26:
	ds_load_2addr_b32 v[2:3], v1 offset1:32
	s_waitcnt lgkmcnt(0)
	v_add_f32_e32 v2, v3, v2
	ds_store_b32 v1, v2
.LBB648_27:
	s_or_b32 exec_lo, exec_lo, s0
	s_delay_alu instid0(SALU_CYCLE_1)
	s_mov_b32 s0, exec_lo
	s_waitcnt lgkmcnt(0)
	s_barrier
	buffer_gl0_inv
	v_cmpx_gt_u32_e32 16, v0
	s_cbranch_execz .LBB648_29
; %bb.28:
	ds_load_2addr_b32 v[2:3], v1 offset1:16
	s_waitcnt lgkmcnt(0)
	v_add_f32_e32 v2, v3, v2
	ds_store_b32 v1, v2
.LBB648_29:
	;; [unrolled: 14-line block ×5, first 2 shown]
	s_or_b32 exec_lo, exec_lo, s0
	v_cmp_eq_u32_e32 vcc_lo, 0, v0
	s_waitcnt lgkmcnt(0)
	s_barrier
	buffer_gl0_inv
	s_and_saveexec_b32 s0, vcc_lo
	s_cbranch_execz .LBB648_37
; %bb.36:
	v_mov_b32_e32 v2, 0
	ds_load_b64 v[0:1], v2
	s_waitcnt lgkmcnt(0)
	v_add_f32_e32 v0, v1, v0
	ds_store_b32 v2, v0
.LBB648_37:
	s_or_b32 exec_lo, exec_lo, s0
	s_waitcnt lgkmcnt(0)
	s_barrier
	buffer_gl0_inv
                                        ; implicit-def: $vgpr1
                                        ; implicit-def: $sgpr6_sgpr7
	s_and_saveexec_b32 s0, vcc_lo
	s_cbranch_execz .LBB648_41
; %bb.38:
	v_mov_b32_e32 v0, 0
	v_cmp_eq_f32_e64 s1, s16, 0
	s_mul_hi_i32 s7, s19, s14
	s_mul_i32 s6, s19, s14
	ds_load_b32 v0, v0
	s_and_b32 vcc_lo, exec_lo, s1
	s_waitcnt lgkmcnt(0)
	v_mul_f32_e32 v1, s18, v0
	s_cbranch_vccnz .LBB648_40
; %bb.39:
	s_lshl_b64 s[2:3], s[6:7], 2
	s_delay_alu instid0(SALU_CYCLE_1)
	s_add_u32 s2, s12, s2
	s_addc_u32 s3, s13, s3
	s_load_b32 s1, s[2:3], 0x0
	s_waitcnt lgkmcnt(0)
	v_fmac_f32_e64 v1, s16, s1
.LBB648_40:
	s_or_b32 s17, s17, exec_lo
.LBB648_41:
	s_or_b32 exec_lo, exec_lo, s0
.LBB648_42:
	s_and_saveexec_b32 s0, s17
	s_cbranch_execz .LBB648_44
; %bb.43:
	s_lshl_b64 s[0:1], s[6:7], 2
	v_mov_b32_e32 v0, 0
	s_add_u32 s0, s12, s0
	s_addc_u32 s1, s13, s1
	global_store_b32 v0, v1, s[0:1]
.LBB648_44:
	s_nop 0
	s_sendmsg sendmsg(MSG_DEALLOC_VGPRS)
	s_endpgm
	.section	.rodata,"a",@progbits
	.p2align	6, 0x0
	.amdhsa_kernel _ZL20rocblas_gemvt_kernelILb0ELi256E16rocblas_bfloat16PKffEviiT2_lPKT1_lilS6_lilS3_lPT3_lili
		.amdhsa_group_segment_fixed_size 1024
		.amdhsa_private_segment_fixed_size 0
		.amdhsa_kernarg_size 140
		.amdhsa_user_sgpr_count 14
		.amdhsa_user_sgpr_dispatch_ptr 0
		.amdhsa_user_sgpr_queue_ptr 0
		.amdhsa_user_sgpr_kernarg_segment_ptr 1
		.amdhsa_user_sgpr_dispatch_id 0
		.amdhsa_user_sgpr_private_segment_size 0
		.amdhsa_wavefront_size32 1
		.amdhsa_uses_dynamic_stack 0
		.amdhsa_enable_private_segment 0
		.amdhsa_system_sgpr_workgroup_id_x 1
		.amdhsa_system_sgpr_workgroup_id_y 0
		.amdhsa_system_sgpr_workgroup_id_z 1
		.amdhsa_system_sgpr_workgroup_info 0
		.amdhsa_system_vgpr_workitem_id 0
		.amdhsa_next_free_vgpr 11
		.amdhsa_next_free_sgpr 28
		.amdhsa_reserve_vcc 1
		.amdhsa_float_round_mode_32 0
		.amdhsa_float_round_mode_16_64 0
		.amdhsa_float_denorm_mode_32 3
		.amdhsa_float_denorm_mode_16_64 3
		.amdhsa_dx10_clamp 1
		.amdhsa_ieee_mode 1
		.amdhsa_fp16_overflow 0
		.amdhsa_workgroup_processor_mode 1
		.amdhsa_memory_ordered 1
		.amdhsa_forward_progress 0
		.amdhsa_shared_vgpr_count 0
		.amdhsa_exception_fp_ieee_invalid_op 0
		.amdhsa_exception_fp_denorm_src 0
		.amdhsa_exception_fp_ieee_div_zero 0
		.amdhsa_exception_fp_ieee_overflow 0
		.amdhsa_exception_fp_ieee_underflow 0
		.amdhsa_exception_fp_ieee_inexact 0
		.amdhsa_exception_int_div_zero 0
	.end_amdhsa_kernel
	.section	.text._ZL20rocblas_gemvt_kernelILb0ELi256E16rocblas_bfloat16PKffEviiT2_lPKT1_lilS6_lilS3_lPT3_lili,"axG",@progbits,_ZL20rocblas_gemvt_kernelILb0ELi256E16rocblas_bfloat16PKffEviiT2_lPKT1_lilS6_lilS3_lPT3_lili,comdat
.Lfunc_end648:
	.size	_ZL20rocblas_gemvt_kernelILb0ELi256E16rocblas_bfloat16PKffEviiT2_lPKT1_lilS6_lilS3_lPT3_lili, .Lfunc_end648-_ZL20rocblas_gemvt_kernelILb0ELi256E16rocblas_bfloat16PKffEviiT2_lPKT1_lilS6_lilS3_lPT3_lili
                                        ; -- End function
	.section	.AMDGPU.csdata,"",@progbits
; Kernel info:
; codeLenInByte = 1748
; NumSgprs: 30
; NumVgprs: 11
; ScratchSize: 0
; MemoryBound: 0
; FloatMode: 240
; IeeeMode: 1
; LDSByteSize: 1024 bytes/workgroup (compile time only)
; SGPRBlocks: 3
; VGPRBlocks: 1
; NumSGPRsForWavesPerEU: 30
; NumVGPRsForWavesPerEU: 11
; Occupancy: 16
; WaveLimiterHint : 1
; COMPUTE_PGM_RSRC2:SCRATCH_EN: 0
; COMPUTE_PGM_RSRC2:USER_SGPR: 14
; COMPUTE_PGM_RSRC2:TRAP_HANDLER: 0
; COMPUTE_PGM_RSRC2:TGID_X_EN: 1
; COMPUTE_PGM_RSRC2:TGID_Y_EN: 0
; COMPUTE_PGM_RSRC2:TGID_Z_EN: 1
; COMPUTE_PGM_RSRC2:TIDIG_COMP_CNT: 0
	.section	.text._ZL20rocblas_gemvt_kernelILb0ELi256E16rocblas_bfloat16ffEviiT2_lPKT1_lilS4_lilS1_lPT3_lili,"axG",@progbits,_ZL20rocblas_gemvt_kernelILb0ELi256E16rocblas_bfloat16ffEviiT2_lPKT1_lilS4_lilS1_lPT3_lili,comdat
	.globl	_ZL20rocblas_gemvt_kernelILb0ELi256E16rocblas_bfloat16ffEviiT2_lPKT1_lilS4_lilS1_lPT3_lili ; -- Begin function _ZL20rocblas_gemvt_kernelILb0ELi256E16rocblas_bfloat16ffEviiT2_lPKT1_lilS4_lilS1_lPT3_lili
	.p2align	8
	.type	_ZL20rocblas_gemvt_kernelILb0ELi256E16rocblas_bfloat16ffEviiT2_lPKT1_lilS4_lilS1_lPT3_lili,@function
_ZL20rocblas_gemvt_kernelILb0ELi256E16rocblas_bfloat16ffEviiT2_lPKT1_lilS4_lilS1_lPT3_lili: ; @_ZL20rocblas_gemvt_kernelILb0ELi256E16rocblas_bfloat16ffEviiT2_lPKT1_lilS4_lilS1_lPT3_lili
; %bb.0:
	s_clause 0x1
	s_load_b32 s18, s[0:1], 0x8
	s_load_b32 s16, s[0:1], 0x58
	s_mov_b32 s17, 0
	s_waitcnt lgkmcnt(0)
	v_cmp_eq_f32_e64 s2, s18, 0
	v_cmp_eq_f32_e64 s3, s16, 1.0
	s_delay_alu instid0(VALU_DEP_1) | instskip(NEXT) | instid1(SALU_CYCLE_1)
	s_and_b32 s2, s2, s3
	s_and_b32 vcc_lo, exec_lo, s2
	s_cbranch_vccnz .LBB649_44
; %bb.1:
	s_clause 0x2
	s_load_b64 s[2:3], s[0:1], 0x80
	s_load_b128 s[4:7], s[0:1], 0x68
	s_load_b32 s19, s[0:1], 0x78
	s_waitcnt lgkmcnt(0)
	s_mul_i32 s3, s15, s3
	s_mul_hi_u32 s8, s15, s2
	s_mul_i32 s2, s15, s2
	s_add_i32 s3, s8, s3
	v_cmp_neq_f32_e64 s8, s18, 0
	s_lshl_b64 s[2:3], s[2:3], 2
	s_delay_alu instid0(SALU_CYCLE_1) | instskip(SKIP_2) | instid1(SALU_CYCLE_1)
	s_add_u32 s4, s4, s2
	s_addc_u32 s5, s5, s3
	s_lshl_b64 s[2:3], s[6:7], 2
	s_add_u32 s12, s4, s2
	v_cmp_eq_u32_e64 s2, 0, v0
	s_addc_u32 s13, s5, s3
	s_and_b32 vcc_lo, exec_lo, s8
	s_cbranch_vccnz .LBB649_6
; %bb.2:
	s_mov_b32 s3, 0
                                        ; implicit-def: $vgpr1
                                        ; implicit-def: $sgpr4_sgpr5
	s_and_saveexec_b32 s6, s2
	s_cbranch_execz .LBB649_7
; %bb.3:
	v_cmp_eq_f32_e64 s2, s16, 0
	v_mov_b32_e32 v1, 0
	s_mul_hi_i32 s5, s19, s14
	s_mul_i32 s4, s19, s14
	s_delay_alu instid0(VALU_DEP_2)
	s_and_b32 vcc_lo, exec_lo, s2
	s_cbranch_vccnz .LBB649_5
; %bb.4:
	s_lshl_b64 s[8:9], s[4:5], 2
	s_delay_alu instid0(SALU_CYCLE_1)
	s_add_u32 s8, s12, s8
	s_addc_u32 s9, s13, s9
	s_load_b32 s2, s[8:9], 0x0
	s_waitcnt lgkmcnt(0)
	v_mul_f32_e64 v1, s2, s16
.LBB649_5:
	s_mov_b32 s17, exec_lo
	s_or_b32 exec_lo, exec_lo, s6
	s_delay_alu instid0(SALU_CYCLE_1)
	s_and_b32 vcc_lo, exec_lo, s3
	s_cbranch_vccnz .LBB649_8
	s_branch .LBB649_42
.LBB649_6:
                                        ; implicit-def: $vgpr1
                                        ; implicit-def: $sgpr4_sgpr5
	s_cbranch_execnz .LBB649_8
	s_branch .LBB649_42
.LBB649_7:
	s_or_b32 exec_lo, exec_lo, s6
	s_delay_alu instid0(SALU_CYCLE_1)
	s_and_b32 vcc_lo, exec_lo, s3
	s_cbranch_vccz .LBB649_42
.LBB649_8:
	s_clause 0x6
	s_load_b64 s[10:11], s[0:1], 0x50
	s_load_b128 s[4:7], s[0:1], 0x30
	s_load_b32 s9, s[0:1], 0x0
	s_load_b32 s8, s[0:1], 0x28
	s_load_b128 s[20:23], s[0:1], 0x18
	s_load_b64 s[2:3], s[0:1], 0x40
	s_load_b32 s0, s[0:1], 0x48
	v_mov_b32_e32 v7, 0
	s_waitcnt lgkmcnt(0)
	s_mul_i32 s1, s15, s11
	s_mul_i32 s5, s15, s5
	s_mul_hi_u32 s24, s15, s4
	v_cmp_gt_i32_e32 vcc_lo, s9, v0
	s_mul_i32 s4, s15, s4
	s_add_i32 s5, s24, s5
	s_mul_hi_u32 s11, s15, s10
	s_lshl_b64 s[26:27], s[4:5], 1
	v_cndmask_b32_e32 v1, 0, v0, vcc_lo
	s_add_i32 s5, s11, s1
	s_add_u32 s1, s20, s26
	s_addc_u32 s4, s21, s27
	s_lshl_b64 s[20:21], s[22:23], 1
	s_mul_hi_i32 s25, s8, s14
	s_mul_i32 s24, s8, s14
	s_add_u32 s1, s1, s20
	s_addc_u32 s4, s4, s21
	s_lshl_b64 s[20:21], s[24:25], 1
	v_lshlrev_b32_e32 v1, 1, v1
	s_add_u32 s1, s20, s1
	s_addc_u32 s8, s21, s4
	s_ashr_i32 s4, s9, 31
	s_delay_alu instid0(SALU_CYCLE_1)
	s_lshr_b32 s11, s4, 24
	v_add_co_u32 v1, s1, s1, v1
	s_mul_i32 s4, s15, s10
	s_add_i32 s10, s9, s11
	v_add_co_ci_u32_e64 v2, null, s8, 0, s1
	s_and_b32 s8, s10, 0xffffff00
	s_cmpk_lt_i32 s9, 0x100
	s_mov_b32 s15, 0
	s_cbranch_scc1 .LBB649_15
; %bb.9:
	v_mad_i64_i32 v[3:4], null, s0, v0, 0
	s_lshl_b64 s[20:21], s[2:3], 1
	s_ashr_i32 s1, s0, 31
	s_lshl_b64 s[10:11], s[4:5], 1
	s_add_u32 s20, s6, s20
	s_addc_u32 s21, s7, s21
	s_add_u32 s10, s20, s10
	s_delay_alu instid0(VALU_DEP_1) | instskip(SKIP_3) | instid1(VALU_DEP_3)
	v_lshlrev_b64 v[3:4], 1, v[3:4]
	s_addc_u32 s11, s21, s11
	v_dual_mov_b32 v7, 0 :: v_dual_mov_b32 v6, v2
	v_mov_b32_e32 v5, v1
	v_add_co_u32 v3, vcc_lo, s10, v3
	s_delay_alu instid0(VALU_DEP_4)
	v_add_co_ci_u32_e32 v4, vcc_lo, s11, v4, vcc_lo
	s_lshl_b64 s[10:11], s[0:1], 9
	s_set_inst_prefetch_distance 0x1
	s_branch .LBB649_11
	.p2align	6
.LBB649_10:                             ;   in Loop: Header=BB649_11 Depth=1
	s_or_b32 exec_lo, exec_lo, s1
	s_delay_alu instid0(VALU_DEP_1) | instskip(SKIP_3) | instid1(VALU_DEP_4)
	v_and_b32_e32 v8, 0xffff0000, v9
	v_add_co_u32 v3, vcc_lo, v3, s10
	v_add_co_ci_u32_e32 v4, vcc_lo, s11, v4, vcc_lo
	v_add_co_u32 v5, vcc_lo, 0x200, v5
	v_add_f32_e32 v7, v7, v8
	v_add_co_ci_u32_e32 v6, vcc_lo, 0, v6, vcc_lo
	s_addk_i32 s15, 0x100
	s_delay_alu instid0(SALU_CYCLE_1)
	s_cmp_ge_i32 s15, s8
	s_cbranch_scc1 .LBB649_15
.LBB649_11:                             ; =>This Inner Loop Header: Depth=1
	global_load_u16 v8, v[3:4], off
	global_load_u16 v9, v[5:6], off
	s_waitcnt vmcnt(1)
	v_lshlrev_b32_e32 v8, 16, v8
	s_waitcnt vmcnt(0)
	v_lshlrev_b32_e32 v9, 16, v9
	s_delay_alu instid0(VALU_DEP_1) | instskip(NEXT) | instid1(VALU_DEP_1)
	v_mul_f32_e32 v8, v9, v8
	v_and_b32_e32 v9, 0x7f800000, v8
	s_delay_alu instid0(VALU_DEP_1) | instskip(SKIP_1) | instid1(SALU_CYCLE_1)
	v_cmp_ne_u32_e32 vcc_lo, 0x7f800000, v9
                                        ; implicit-def: $vgpr9
	s_and_saveexec_b32 s1, vcc_lo
	s_xor_b32 s1, exec_lo, s1
; %bb.12:                               ;   in Loop: Header=BB649_11 Depth=1
	v_bfe_u32 v9, v8, 16, 1
	s_delay_alu instid0(VALU_DEP_1)
	v_add3_u32 v9, v8, v9, 0x7fff
                                        ; implicit-def: $vgpr8
; %bb.13:                               ;   in Loop: Header=BB649_11 Depth=1
	s_and_not1_saveexec_b32 s1, s1
	s_cbranch_execz .LBB649_10
; %bb.14:                               ;   in Loop: Header=BB649_11 Depth=1
	v_and_b32_e32 v9, 0xffff, v8
	v_or_b32_e32 v10, 0x10000, v8
	s_delay_alu instid0(VALU_DEP_2) | instskip(NEXT) | instid1(VALU_DEP_2)
	v_cmp_eq_u32_e32 vcc_lo, 0, v9
	v_cndmask_b32_e32 v9, v10, v8, vcc_lo
	s_branch .LBB649_10
.LBB649_15:
	s_set_inst_prefetch_distance 0x2
	v_add_nc_u32_e32 v3, s8, v0
	s_mov_b32 s1, exec_lo
	s_delay_alu instid0(VALU_DEP_1)
	v_cmpx_gt_i32_e64 s9, v3
	s_cbranch_execz .LBB649_21
; %bb.16:
	v_mad_i64_i32 v[4:5], null, s0, v3, 0
	s_lshl_b64 s[4:5], s[4:5], 1
	s_delay_alu instid0(SALU_CYCLE_1) | instskip(SKIP_2) | instid1(SALU_CYCLE_1)
	s_add_u32 s0, s6, s4
	s_addc_u32 s4, s7, s5
	s_lshl_b64 s[2:3], s[2:3], 1
	s_add_u32 s0, s0, s2
	s_delay_alu instid0(VALU_DEP_1) | instskip(SKIP_2) | instid1(SALU_CYCLE_1)
	v_lshlrev_b64 v[3:4], 1, v[4:5]
	s_addc_u32 s4, s4, s3
	s_ashr_i32 s9, s8, 31
	s_lshl_b64 s[2:3], s[8:9], 1
	s_delay_alu instid0(VALU_DEP_1) | instskip(NEXT) | instid1(VALU_DEP_2)
	v_add_co_u32 v3, vcc_lo, s0, v3
	v_add_co_ci_u32_e32 v4, vcc_lo, s4, v4, vcc_lo
	v_add_co_u32 v1, vcc_lo, v1, s2
	v_add_co_ci_u32_e32 v2, vcc_lo, s3, v2, vcc_lo
	global_load_u16 v3, v[3:4], off
	global_load_u16 v1, v[1:2], off
	s_waitcnt vmcnt(1)
	v_lshlrev_b32_e32 v2, 16, v3
	s_waitcnt vmcnt(0)
	v_lshlrev_b32_e32 v1, 16, v1
	s_delay_alu instid0(VALU_DEP_1) | instskip(NEXT) | instid1(VALU_DEP_1)
	v_mul_f32_e32 v1, v1, v2
	v_and_b32_e32 v2, 0x7f800000, v1
	s_delay_alu instid0(VALU_DEP_1) | instskip(SKIP_1) | instid1(SALU_CYCLE_1)
	v_cmp_ne_u32_e32 vcc_lo, 0x7f800000, v2
                                        ; implicit-def: $vgpr2
	s_and_saveexec_b32 s0, vcc_lo
	s_xor_b32 s0, exec_lo, s0
; %bb.17:
	v_bfe_u32 v2, v1, 16, 1
	s_delay_alu instid0(VALU_DEP_1)
	v_add3_u32 v2, v1, v2, 0x7fff
                                        ; implicit-def: $vgpr1
; %bb.18:
	s_and_not1_saveexec_b32 s0, s0
; %bb.19:
	v_and_b32_e32 v2, 0xffff, v1
	v_or_b32_e32 v3, 0x10000, v1
	s_delay_alu instid0(VALU_DEP_2) | instskip(NEXT) | instid1(VALU_DEP_2)
	v_cmp_eq_u32_e32 vcc_lo, 0, v2
	v_cndmask_b32_e32 v2, v3, v1, vcc_lo
; %bb.20:
	s_or_b32 exec_lo, exec_lo, s0
	s_delay_alu instid0(VALU_DEP_1) | instskip(NEXT) | instid1(VALU_DEP_1)
	v_and_b32_e32 v1, 0xffff0000, v2
	v_add_f32_e32 v7, v7, v1
.LBB649_21:
	s_or_b32 exec_lo, exec_lo, s1
	v_lshlrev_b32_e32 v1, 2, v0
	s_mov_b32 s0, exec_lo
	ds_store_b32 v1, v7
	s_waitcnt lgkmcnt(0)
	s_barrier
	buffer_gl0_inv
	v_cmpx_gt_u32_e32 0x80, v0
	s_cbranch_execz .LBB649_23
; %bb.22:
	ds_load_2addr_stride64_b32 v[2:3], v1 offset1:2
	s_waitcnt lgkmcnt(0)
	v_add_f32_e32 v2, v3, v2
	ds_store_b32 v1, v2
.LBB649_23:
	s_or_b32 exec_lo, exec_lo, s0
	s_delay_alu instid0(SALU_CYCLE_1)
	s_mov_b32 s0, exec_lo
	s_waitcnt lgkmcnt(0)
	s_barrier
	buffer_gl0_inv
	v_cmpx_gt_u32_e32 64, v0
	s_cbranch_execz .LBB649_25
; %bb.24:
	ds_load_2addr_stride64_b32 v[2:3], v1 offset1:1
	s_waitcnt lgkmcnt(0)
	v_add_f32_e32 v2, v3, v2
	ds_store_b32 v1, v2
.LBB649_25:
	s_or_b32 exec_lo, exec_lo, s0
	s_delay_alu instid0(SALU_CYCLE_1)
	s_mov_b32 s0, exec_lo
	s_waitcnt lgkmcnt(0)
	s_barrier
	buffer_gl0_inv
	v_cmpx_gt_u32_e32 32, v0
	s_cbranch_execz .LBB649_27
; %bb.26:
	ds_load_2addr_b32 v[2:3], v1 offset1:32
	s_waitcnt lgkmcnt(0)
	v_add_f32_e32 v2, v3, v2
	ds_store_b32 v1, v2
.LBB649_27:
	s_or_b32 exec_lo, exec_lo, s0
	s_delay_alu instid0(SALU_CYCLE_1)
	s_mov_b32 s0, exec_lo
	s_waitcnt lgkmcnt(0)
	s_barrier
	buffer_gl0_inv
	v_cmpx_gt_u32_e32 16, v0
	s_cbranch_execz .LBB649_29
; %bb.28:
	ds_load_2addr_b32 v[2:3], v1 offset1:16
	s_waitcnt lgkmcnt(0)
	v_add_f32_e32 v2, v3, v2
	ds_store_b32 v1, v2
.LBB649_29:
	;; [unrolled: 14-line block ×5, first 2 shown]
	s_or_b32 exec_lo, exec_lo, s0
	v_cmp_eq_u32_e32 vcc_lo, 0, v0
	s_waitcnt lgkmcnt(0)
	s_barrier
	buffer_gl0_inv
	s_and_saveexec_b32 s0, vcc_lo
	s_cbranch_execz .LBB649_37
; %bb.36:
	v_mov_b32_e32 v2, 0
	ds_load_b64 v[0:1], v2
	s_waitcnt lgkmcnt(0)
	v_add_f32_e32 v0, v1, v0
	ds_store_b32 v2, v0
.LBB649_37:
	s_or_b32 exec_lo, exec_lo, s0
	s_waitcnt lgkmcnt(0)
	s_barrier
	buffer_gl0_inv
                                        ; implicit-def: $vgpr1
                                        ; implicit-def: $sgpr4_sgpr5
	s_and_saveexec_b32 s0, vcc_lo
	s_cbranch_execz .LBB649_41
; %bb.38:
	v_mov_b32_e32 v0, 0
	v_cmp_eq_f32_e64 s1, s16, 0
	s_mul_hi_i32 s5, s19, s14
	s_mul_i32 s4, s19, s14
	ds_load_b32 v0, v0
	s_and_b32 vcc_lo, exec_lo, s1
	s_waitcnt lgkmcnt(0)
	v_mul_f32_e32 v1, s18, v0
	s_cbranch_vccnz .LBB649_40
; %bb.39:
	s_lshl_b64 s[2:3], s[4:5], 2
	s_delay_alu instid0(SALU_CYCLE_1)
	s_add_u32 s2, s12, s2
	s_addc_u32 s3, s13, s3
	s_load_b32 s1, s[2:3], 0x0
	s_waitcnt lgkmcnt(0)
	v_fmac_f32_e64 v1, s1, s16
.LBB649_40:
	s_or_b32 s17, s17, exec_lo
.LBB649_41:
	s_or_b32 exec_lo, exec_lo, s0
.LBB649_42:
	s_and_saveexec_b32 s0, s17
	s_cbranch_execz .LBB649_44
; %bb.43:
	s_lshl_b64 s[0:1], s[4:5], 2
	v_mov_b32_e32 v0, 0
	s_add_u32 s0, s12, s0
	s_addc_u32 s1, s13, s1
	global_store_b32 v0, v1, s[0:1]
.LBB649_44:
	s_nop 0
	s_sendmsg sendmsg(MSG_DEALLOC_VGPRS)
	s_endpgm
	.section	.rodata,"a",@progbits
	.p2align	6, 0x0
	.amdhsa_kernel _ZL20rocblas_gemvt_kernelILb0ELi256E16rocblas_bfloat16ffEviiT2_lPKT1_lilS4_lilS1_lPT3_lili
		.amdhsa_group_segment_fixed_size 1024
		.amdhsa_private_segment_fixed_size 0
		.amdhsa_kernarg_size 140
		.amdhsa_user_sgpr_count 14
		.amdhsa_user_sgpr_dispatch_ptr 0
		.amdhsa_user_sgpr_queue_ptr 0
		.amdhsa_user_sgpr_kernarg_segment_ptr 1
		.amdhsa_user_sgpr_dispatch_id 0
		.amdhsa_user_sgpr_private_segment_size 0
		.amdhsa_wavefront_size32 1
		.amdhsa_uses_dynamic_stack 0
		.amdhsa_enable_private_segment 0
		.amdhsa_system_sgpr_workgroup_id_x 1
		.amdhsa_system_sgpr_workgroup_id_y 0
		.amdhsa_system_sgpr_workgroup_id_z 1
		.amdhsa_system_sgpr_workgroup_info 0
		.amdhsa_system_vgpr_workitem_id 0
		.amdhsa_next_free_vgpr 11
		.amdhsa_next_free_sgpr 28
		.amdhsa_reserve_vcc 1
		.amdhsa_float_round_mode_32 0
		.amdhsa_float_round_mode_16_64 0
		.amdhsa_float_denorm_mode_32 3
		.amdhsa_float_denorm_mode_16_64 3
		.amdhsa_dx10_clamp 1
		.amdhsa_ieee_mode 1
		.amdhsa_fp16_overflow 0
		.amdhsa_workgroup_processor_mode 1
		.amdhsa_memory_ordered 1
		.amdhsa_forward_progress 0
		.amdhsa_shared_vgpr_count 0
		.amdhsa_exception_fp_ieee_invalid_op 0
		.amdhsa_exception_fp_denorm_src 0
		.amdhsa_exception_fp_ieee_div_zero 0
		.amdhsa_exception_fp_ieee_overflow 0
		.amdhsa_exception_fp_ieee_underflow 0
		.amdhsa_exception_fp_ieee_inexact 0
		.amdhsa_exception_int_div_zero 0
	.end_amdhsa_kernel
	.section	.text._ZL20rocblas_gemvt_kernelILb0ELi256E16rocblas_bfloat16ffEviiT2_lPKT1_lilS4_lilS1_lPT3_lili,"axG",@progbits,_ZL20rocblas_gemvt_kernelILb0ELi256E16rocblas_bfloat16ffEviiT2_lPKT1_lilS4_lilS1_lPT3_lili,comdat
.Lfunc_end649:
	.size	_ZL20rocblas_gemvt_kernelILb0ELi256E16rocblas_bfloat16ffEviiT2_lPKT1_lilS4_lilS1_lPT3_lili, .Lfunc_end649-_ZL20rocblas_gemvt_kernelILb0ELi256E16rocblas_bfloat16ffEviiT2_lPKT1_lilS4_lilS1_lPT3_lili
                                        ; -- End function
	.section	.AMDGPU.csdata,"",@progbits
; Kernel info:
; codeLenInByte = 1688
; NumSgprs: 30
; NumVgprs: 11
; ScratchSize: 0
; MemoryBound: 0
; FloatMode: 240
; IeeeMode: 1
; LDSByteSize: 1024 bytes/workgroup (compile time only)
; SGPRBlocks: 3
; VGPRBlocks: 1
; NumSGPRsForWavesPerEU: 30
; NumVGPRsForWavesPerEU: 11
; Occupancy: 16
; WaveLimiterHint : 1
; COMPUTE_PGM_RSRC2:SCRATCH_EN: 0
; COMPUTE_PGM_RSRC2:USER_SGPR: 14
; COMPUTE_PGM_RSRC2:TRAP_HANDLER: 0
; COMPUTE_PGM_RSRC2:TGID_X_EN: 1
; COMPUTE_PGM_RSRC2:TGID_Y_EN: 0
; COMPUTE_PGM_RSRC2:TGID_Z_EN: 1
; COMPUTE_PGM_RSRC2:TIDIG_COMP_CNT: 0
	.section	.text._ZL32rocblas_gemvt_warp_reduce_kernelILb0ELi1024Ei16rocblas_bfloat16PKffEviiT3_lPKT2_lT1_lS6_lS7_lS3_lPT4_lS7_li,"axG",@progbits,_ZL32rocblas_gemvt_warp_reduce_kernelILb0ELi1024Ei16rocblas_bfloat16PKffEviiT3_lPKT2_lT1_lS6_lS7_lS3_lPT4_lS7_li,comdat
	.globl	_ZL32rocblas_gemvt_warp_reduce_kernelILb0ELi1024Ei16rocblas_bfloat16PKffEviiT3_lPKT2_lT1_lS6_lS7_lS3_lPT4_lS7_li ; -- Begin function _ZL32rocblas_gemvt_warp_reduce_kernelILb0ELi1024Ei16rocblas_bfloat16PKffEviiT3_lPKT2_lT1_lS6_lS7_lS3_lPT4_lS7_li
	.p2align	8
	.type	_ZL32rocblas_gemvt_warp_reduce_kernelILb0ELi1024Ei16rocblas_bfloat16PKffEviiT3_lPKT2_lT1_lS6_lS7_lS3_lPT4_lS7_li,@function
_ZL32rocblas_gemvt_warp_reduce_kernelILb0ELi1024Ei16rocblas_bfloat16PKffEviiT3_lPKT2_lT1_lS6_lS7_lS3_lPT4_lS7_li: ; @_ZL32rocblas_gemvt_warp_reduce_kernelILb0ELi1024Ei16rocblas_bfloat16PKffEviiT3_lPKT2_lT1_lS6_lS7_lS3_lPT4_lS7_li
; %bb.0:
	s_clause 0x1
	s_load_b256 s[4:11], s[0:1], 0x8
	s_load_b256 s[16:23], s[0:1], 0x50
	s_mov_b32 s13, 0
	s_waitcnt lgkmcnt(0)
	s_mul_i32 s3, s15, s7
	s_mul_hi_u32 s7, s15, s6
	s_mul_i32 s2, s15, s6
	s_add_i32 s3, s7, s3
	s_mul_i32 s6, s15, s21
	s_lshl_b64 s[2:3], s[2:3], 2
	s_mul_hi_u32 s7, s15, s20
	s_add_u32 s2, s4, s2
	s_addc_u32 s3, s5, s3
	s_add_i32 s5, s7, s6
	s_mul_i32 s4, s15, s20
	s_delay_alu instid0(SALU_CYCLE_1) | instskip(NEXT) | instid1(SALU_CYCLE_1)
	s_lshl_b64 s[4:5], s[4:5], 2
	s_add_u32 s4, s18, s4
	s_addc_u32 s5, s19, s5
	s_load_b32 s18, s[2:3], 0x0
	s_load_b32 s12, s[4:5], 0x0
	s_waitcnt lgkmcnt(0)
	v_cmp_eq_f32_e64 s2, s18, 0
	v_cmp_eq_f32_e64 s3, s12, 1.0
	s_delay_alu instid0(VALU_DEP_1) | instskip(NEXT) | instid1(SALU_CYCLE_1)
	s_and_b32 s2, s2, s3
	s_and_b32 vcc_lo, exec_lo, s2
	s_cbranch_vccnz .LBB650_37
; %bb.1:
	s_clause 0x2
	s_load_b64 s[2:3], s[0:1], 0x80
	s_load_b64 s[4:5], s[0:1], 0x70
	s_load_b32 s19, s[0:1], 0x78
	v_cmp_neq_f32_e64 s20, s18, 0
	s_waitcnt lgkmcnt(0)
	s_mul_i32 s3, s15, s3
	s_mul_hi_u32 s6, s15, s2
	s_mul_i32 s2, s15, s2
	s_add_i32 s3, s6, s3
	s_delay_alu instid0(SALU_CYCLE_1) | instskip(NEXT) | instid1(SALU_CYCLE_1)
	s_lshl_b64 s[2:3], s[2:3], 2
	s_add_u32 s6, s22, s2
	s_addc_u32 s7, s23, s3
	s_lshl_b64 s[2:3], s[4:5], 2
	s_delay_alu instid0(SALU_CYCLE_1)
	s_add_u32 s6, s6, s2
	v_cmp_eq_u32_e64 s2, 0, v0
	s_addc_u32 s7, s7, s3
	s_and_b32 vcc_lo, exec_lo, s20
	s_cbranch_vccnz .LBB650_6
; %bb.2:
	s_mov_b32 s3, 0
                                        ; implicit-def: $vgpr1
                                        ; implicit-def: $sgpr4_sgpr5
	s_and_saveexec_b32 s20, s2
	s_cbranch_execz .LBB650_7
; %bb.3:
	v_cmp_eq_f32_e64 s2, s12, 0
	v_mov_b32_e32 v1, 0
	s_mul_i32 s4, s14, s19
	s_delay_alu instid0(SALU_CYCLE_1) | instskip(NEXT) | instid1(VALU_DEP_2)
	s_ashr_i32 s5, s4, 31
	s_and_b32 vcc_lo, exec_lo, s2
	s_cbranch_vccnz .LBB650_5
; %bb.4:
	s_lshl_b64 s[22:23], s[4:5], 2
	s_delay_alu instid0(SALU_CYCLE_1)
	s_add_u32 s22, s6, s22
	s_addc_u32 s23, s7, s23
	s_load_b32 s2, s[22:23], 0x0
	s_waitcnt lgkmcnt(0)
	v_mul_f32_e64 v1, s12, s2
.LBB650_5:
	s_mov_b32 s13, exec_lo
	s_or_b32 exec_lo, exec_lo, s20
	s_delay_alu instid0(SALU_CYCLE_1)
	s_and_b32 vcc_lo, exec_lo, s3
	s_cbranch_vccnz .LBB650_8
	s_branch .LBB650_35
.LBB650_6:
                                        ; implicit-def: $vgpr1
                                        ; implicit-def: $sgpr4_sgpr5
	s_cbranch_execnz .LBB650_8
	s_branch .LBB650_35
.LBB650_7:
	s_or_b32 exec_lo, exec_lo, s20
	s_delay_alu instid0(SALU_CYCLE_1)
	s_and_b32 vcc_lo, exec_lo, s3
	s_cbranch_vccz .LBB650_35
.LBB650_8:
	s_mul_i32 s3, s15, s17
	s_mul_hi_u32 s17, s15, s16
	s_mul_i32 s2, s15, s16
	s_add_i32 s3, s17, s3
	s_clause 0x2
	s_load_b128 s[20:23], s[0:1], 0x30
	s_load_b64 s[4:5], s[0:1], 0x40
	s_load_b32 s24, s[0:1], 0x28
	s_lshl_b64 s[16:17], s[2:3], 1
	s_clause 0x1
	s_load_b32 s3, s[0:1], 0x0
	s_load_b32 s1, s[0:1], 0x48
	v_mov_b32_e32 v7, 0
	s_waitcnt lgkmcnt(0)
	s_add_u32 s2, s22, s16
	s_addc_u32 s17, s23, s17
	s_lshl_b64 s[4:5], s[4:5], 1
	s_mul_i32 s21, s15, s21
	s_mul_hi_u32 s22, s15, s20
	s_add_u32 s4, s2, s4
	v_cmp_gt_i32_e32 vcc_lo, s3, v0
	s_mul_i32 s16, s15, s20
	s_addc_u32 s5, s17, s5
	s_add_i32 s17, s22, s21
	s_delay_alu instid0(SALU_CYCLE_1)
	s_lshl_b64 s[16:17], s[16:17], 1
	v_cndmask_b32_e32 v1, 0, v0, vcc_lo
	s_add_u32 s2, s8, s16
	s_addc_u32 s15, s9, s17
	s_lshl_b64 s[8:9], s[10:11], 1
	s_mul_i32 s10, s14, s24
	s_add_u32 s2, s2, s8
	s_addc_u32 s15, s15, s9
	s_ashr_i32 s11, s10, 31
	v_lshlrev_b32_e32 v1, 1, v1
	s_lshl_b64 s[8:9], s[10:11], 1
	s_delay_alu instid0(SALU_CYCLE_1)
	s_add_u32 s0, s8, s2
	s_addc_u32 s8, s9, s15
	s_ashr_i32 s2, s3, 31
	v_add_co_u32 v1, s0, s0, v1
	s_lshr_b32 s2, s2, 22
	v_add_co_ci_u32_e64 v2, null, s8, 0, s0
	s_add_i32 s2, s3, s2
	s_mov_b32 s9, 0
	s_and_b32 s2, s2, 0xfffffc00
	s_mov_b32 s8, exec_lo
	v_cmpx_gt_i32_e64 s2, v0
	s_cbranch_execz .LBB650_16
; %bb.9:
	v_mul_lo_u32 v3, v0, s1
	v_dual_mov_b32 v7, 0 :: v_dual_mov_b32 v6, v2
	v_dual_mov_b32 v5, v1 :: v_dual_mov_b32 v8, v0
	s_lshl_b32 s10, s1, 10
	s_branch .LBB650_11
.LBB650_10:                             ;   in Loop: Header=BB650_11 Depth=1
	s_or_b32 exec_lo, exec_lo, s0
	v_add_nc_u32_e32 v8, 0x400, v8
	s_delay_alu instid0(VALU_DEP_2) | instskip(SKIP_2) | instid1(VALU_DEP_4)
	v_and_b32_e32 v4, 0xffff0000, v9
	v_add_co_u32 v5, s0, 0x800, v5
	v_add_nc_u32_e32 v3, s10, v3
	v_cmp_le_i32_e32 vcc_lo, s2, v8
	s_delay_alu instid0(VALU_DEP_4) | instskip(SKIP_2) | instid1(SALU_CYCLE_1)
	v_add_f32_e32 v7, v7, v4
	v_add_co_ci_u32_e64 v6, s0, 0, v6, s0
	s_or_b32 s9, vcc_lo, s9
	s_and_not1_b32 exec_lo, exec_lo, s9
	s_cbranch_execz .LBB650_15
.LBB650_11:                             ; =>This Inner Loop Header: Depth=1
	s_delay_alu instid0(VALU_DEP_3) | instskip(NEXT) | instid1(VALU_DEP_1)
	v_ashrrev_i32_e32 v4, 31, v3
	v_lshlrev_b64 v[9:10], 1, v[3:4]
	s_delay_alu instid0(VALU_DEP_1) | instskip(NEXT) | instid1(VALU_DEP_2)
	v_add_co_u32 v9, vcc_lo, s4, v9
	v_add_co_ci_u32_e32 v10, vcc_lo, s5, v10, vcc_lo
	global_load_u16 v4, v[5:6], off
	global_load_u16 v9, v[9:10], off
	s_waitcnt vmcnt(1)
	v_lshlrev_b32_e32 v4, 16, v4
	s_waitcnt vmcnt(0)
	v_lshlrev_b32_e32 v9, 16, v9
	s_delay_alu instid0(VALU_DEP_1) | instskip(NEXT) | instid1(VALU_DEP_1)
	v_mul_f32_e32 v4, v4, v9
	v_and_b32_e32 v9, 0x7f800000, v4
	s_delay_alu instid0(VALU_DEP_1) | instskip(SKIP_1) | instid1(SALU_CYCLE_1)
	v_cmp_ne_u32_e32 vcc_lo, 0x7f800000, v9
                                        ; implicit-def: $vgpr9
	s_and_saveexec_b32 s0, vcc_lo
	s_xor_b32 s0, exec_lo, s0
; %bb.12:                               ;   in Loop: Header=BB650_11 Depth=1
	v_bfe_u32 v9, v4, 16, 1
	s_delay_alu instid0(VALU_DEP_1)
	v_add3_u32 v9, v4, v9, 0x7fff
                                        ; implicit-def: $vgpr4
; %bb.13:                               ;   in Loop: Header=BB650_11 Depth=1
	s_and_not1_saveexec_b32 s0, s0
	s_cbranch_execz .LBB650_10
; %bb.14:                               ;   in Loop: Header=BB650_11 Depth=1
	v_and_b32_e32 v9, 0xffff, v4
	v_or_b32_e32 v10, 0x10000, v4
	s_delay_alu instid0(VALU_DEP_2) | instskip(NEXT) | instid1(VALU_DEP_2)
	v_cmp_eq_u32_e32 vcc_lo, 0, v9
	v_cndmask_b32_e32 v9, v10, v4, vcc_lo
	s_branch .LBB650_10
.LBB650_15:
	s_or_b32 exec_lo, exec_lo, s9
.LBB650_16:
	s_delay_alu instid0(SALU_CYCLE_1) | instskip(SKIP_2) | instid1(VALU_DEP_1)
	s_or_b32 exec_lo, exec_lo, s8
	v_or_b32_e32 v3, s2, v0
	s_mov_b32 s0, exec_lo
	v_cmpx_gt_i32_e64 s3, v3
	s_cbranch_execz .LBB650_22
; %bb.17:
	v_mul_lo_u32 v3, v3, s1
	s_ashr_i32 s3, s2, 31
	s_delay_alu instid0(SALU_CYCLE_1) | instskip(NEXT) | instid1(VALU_DEP_1)
	s_lshl_b64 s[2:3], s[2:3], 1
	v_ashrrev_i32_e32 v4, 31, v3
	s_delay_alu instid0(VALU_DEP_1) | instskip(NEXT) | instid1(VALU_DEP_1)
	v_lshlrev_b64 v[3:4], 1, v[3:4]
	v_add_co_u32 v3, vcc_lo, s4, v3
	s_delay_alu instid0(VALU_DEP_2)
	v_add_co_ci_u32_e32 v4, vcc_lo, s5, v4, vcc_lo
	v_add_co_u32 v1, vcc_lo, v1, s2
	v_add_co_ci_u32_e32 v2, vcc_lo, s3, v2, vcc_lo
	global_load_u16 v3, v[3:4], off
	global_load_u16 v1, v[1:2], off
	s_waitcnt vmcnt(1)
	v_lshlrev_b32_e32 v2, 16, v3
	s_waitcnt vmcnt(0)
	v_lshlrev_b32_e32 v1, 16, v1
	s_delay_alu instid0(VALU_DEP_1) | instskip(NEXT) | instid1(VALU_DEP_1)
	v_mul_f32_e32 v1, v1, v2
	v_and_b32_e32 v2, 0x7f800000, v1
	s_delay_alu instid0(VALU_DEP_1) | instskip(SKIP_1) | instid1(SALU_CYCLE_1)
	v_cmp_ne_u32_e32 vcc_lo, 0x7f800000, v2
                                        ; implicit-def: $vgpr2
	s_and_saveexec_b32 s1, vcc_lo
	s_xor_b32 s1, exec_lo, s1
; %bb.18:
	v_bfe_u32 v2, v1, 16, 1
	s_delay_alu instid0(VALU_DEP_1)
	v_add3_u32 v2, v1, v2, 0x7fff
                                        ; implicit-def: $vgpr1
; %bb.19:
	s_and_not1_saveexec_b32 s1, s1
; %bb.20:
	v_and_b32_e32 v2, 0xffff, v1
	v_or_b32_e32 v3, 0x10000, v1
	s_delay_alu instid0(VALU_DEP_2) | instskip(NEXT) | instid1(VALU_DEP_2)
	v_cmp_eq_u32_e32 vcc_lo, 0, v2
	v_cndmask_b32_e32 v2, v3, v1, vcc_lo
; %bb.21:
	s_or_b32 exec_lo, exec_lo, s1
	s_delay_alu instid0(VALU_DEP_1) | instskip(NEXT) | instid1(VALU_DEP_1)
	v_and_b32_e32 v1, 0xffff0000, v2
	v_add_f32_e32 v7, v7, v1
.LBB650_22:
	s_or_b32 exec_lo, exec_lo, s0
	v_and_b32_e32 v6, 31, v0
	v_cmp_gt_u32_e32 vcc_lo, 32, v0
	s_delay_alu instid0(VALU_DEP_2)
	v_lshlrev_b32_e32 v1, 2, v6
	s_and_saveexec_b32 s0, vcc_lo
	s_cbranch_execz .LBB650_24
; %bb.23:
	v_mov_b32_e32 v2, 0
	ds_store_b32 v1, v2
.LBB650_24:
	s_or_b32 exec_lo, exec_lo, s0
	v_mbcnt_lo_u32_b32 v8, -1, 0
	s_mov_b32 s1, exec_lo
	s_waitcnt lgkmcnt(0)
	s_barrier
	buffer_gl0_inv
	v_cmp_gt_u32_e64 s0, 16, v8
	s_delay_alu instid0(VALU_DEP_1) | instskip(SKIP_1) | instid1(VALU_DEP_2)
	v_cndmask_b32_e64 v2, 0, 1, s0
	v_cmp_gt_u32_e64 s0, 24, v8
	v_lshlrev_b32_e32 v2, 4, v2
	s_delay_alu instid0(VALU_DEP_2) | instskip(SKIP_1) | instid1(VALU_DEP_3)
	v_cndmask_b32_e64 v3, 0, 1, s0
	v_cmp_gt_u32_e64 s0, 28, v8
	v_add_lshl_u32 v2, v2, v8, 2
	s_delay_alu instid0(VALU_DEP_3)
	v_lshlrev_b32_e32 v3, 3, v3
	ds_bpermute_b32 v4, v2, v7
	v_add_lshl_u32 v3, v3, v8, 2
	s_waitcnt lgkmcnt(0)
	v_add_f32_e32 v5, v7, v4
	v_cndmask_b32_e64 v4, 0, 1, s0
	v_cmp_gt_u32_e64 s0, 30, v8
	ds_bpermute_b32 v7, v3, v5
	s_waitcnt lgkmcnt(0)
	v_dual_add_f32 v7, v5, v7 :: v_dual_lshlrev_b32 v4, 2, v4
	s_delay_alu instid0(VALU_DEP_1)
	v_add_lshl_u32 v4, v4, v8, 2
	v_cndmask_b32_e64 v5, 0, 1, s0
	v_cmp_ne_u32_e64 s0, 31, v8
	ds_bpermute_b32 v9, v4, v7
	v_lshlrev_b32_e32 v5, 1, v5
	v_add_co_ci_u32_e64 v10, s0, 0, v8, s0
	s_delay_alu instid0(VALU_DEP_2)
	v_add_lshl_u32 v5, v5, v8, 2
	s_waitcnt lgkmcnt(0)
	v_add_f32_e32 v7, v7, v9
	ds_bpermute_b32 v9, v5, v7
	s_waitcnt lgkmcnt(0)
	v_dual_add_f32 v8, v7, v9 :: v_dual_lshlrev_b32 v7, 2, v10
	ds_bpermute_b32 v9, v7, v8
	v_cmpx_eq_u32_e32 0, v6
	s_cbranch_execz .LBB650_26
; %bb.25:
	v_lshrrev_b32_e32 v6, 3, v0
	s_waitcnt lgkmcnt(0)
	v_add_f32_e32 v8, v8, v9
	s_delay_alu instid0(VALU_DEP_2)
	v_and_b32_e32 v6, 0x7c, v6
	ds_store_b32 v6, v8
.LBB650_26:
	s_or_b32 exec_lo, exec_lo, s1
	v_mov_b32_e32 v6, 0
	s_waitcnt lgkmcnt(0)
	s_barrier
	buffer_gl0_inv
	s_and_saveexec_b32 s0, vcc_lo
	s_cbranch_execz .LBB650_28
; %bb.27:
	ds_load_b32 v6, v1
.LBB650_28:
	s_or_b32 exec_lo, exec_lo, s0
	s_and_saveexec_b32 s0, vcc_lo
	s_cbranch_execz .LBB650_30
; %bb.29:
	s_waitcnt lgkmcnt(0)
	ds_bpermute_b32 v1, v2, v6
	s_waitcnt lgkmcnt(0)
	v_add_f32_e32 v1, v6, v1
	ds_bpermute_b32 v2, v3, v1
	s_waitcnt lgkmcnt(0)
	v_add_f32_e32 v1, v1, v2
	;; [unrolled: 3-line block ×5, first 2 shown]
.LBB650_30:
	s_or_b32 exec_lo, exec_lo, s0
	s_delay_alu instid0(SALU_CYCLE_1)
	s_mov_b32 s0, exec_lo
                                        ; implicit-def: $vgpr1
                                        ; implicit-def: $sgpr4_sgpr5
	v_cmpx_eq_u32_e32 0, v0
	s_cbranch_execz .LBB650_34
; %bb.31:
	v_cmp_eq_f32_e64 s1, s12, 0
	s_waitcnt lgkmcnt(0)
	v_mul_f32_e32 v1, s18, v6
	s_mul_i32 s4, s14, s19
	s_delay_alu instid0(SALU_CYCLE_1)
	s_ashr_i32 s5, s4, 31
	s_and_b32 vcc_lo, exec_lo, s1
	s_cbranch_vccnz .LBB650_33
; %bb.32:
	s_lshl_b64 s[2:3], s[4:5], 2
	s_delay_alu instid0(SALU_CYCLE_1)
	s_add_u32 s2, s6, s2
	s_addc_u32 s3, s7, s3
	s_load_b32 s1, s[2:3], 0x0
	s_waitcnt lgkmcnt(0)
	v_fmac_f32_e64 v1, s12, s1
.LBB650_33:
	s_or_b32 s13, s13, exec_lo
.LBB650_34:
	s_or_b32 exec_lo, exec_lo, s0
.LBB650_35:
	s_and_saveexec_b32 s0, s13
	s_cbranch_execz .LBB650_37
; %bb.36:
	s_lshl_b64 s[0:1], s[4:5], 2
	v_mov_b32_e32 v0, 0
	s_add_u32 s0, s6, s0
	s_addc_u32 s1, s7, s1
	global_store_b32 v0, v1, s[0:1]
.LBB650_37:
	s_nop 0
	s_sendmsg sendmsg(MSG_DEALLOC_VGPRS)
	s_endpgm
	.section	.rodata,"a",@progbits
	.p2align	6, 0x0
	.amdhsa_kernel _ZL32rocblas_gemvt_warp_reduce_kernelILb0ELi1024Ei16rocblas_bfloat16PKffEviiT3_lPKT2_lT1_lS6_lS7_lS3_lPT4_lS7_li
		.amdhsa_group_segment_fixed_size 128
		.amdhsa_private_segment_fixed_size 0
		.amdhsa_kernarg_size 140
		.amdhsa_user_sgpr_count 14
		.amdhsa_user_sgpr_dispatch_ptr 0
		.amdhsa_user_sgpr_queue_ptr 0
		.amdhsa_user_sgpr_kernarg_segment_ptr 1
		.amdhsa_user_sgpr_dispatch_id 0
		.amdhsa_user_sgpr_private_segment_size 0
		.amdhsa_wavefront_size32 1
		.amdhsa_uses_dynamic_stack 0
		.amdhsa_enable_private_segment 0
		.amdhsa_system_sgpr_workgroup_id_x 1
		.amdhsa_system_sgpr_workgroup_id_y 0
		.amdhsa_system_sgpr_workgroup_id_z 1
		.amdhsa_system_sgpr_workgroup_info 0
		.amdhsa_system_vgpr_workitem_id 0
		.amdhsa_next_free_vgpr 11
		.amdhsa_next_free_sgpr 25
		.amdhsa_reserve_vcc 1
		.amdhsa_float_round_mode_32 0
		.amdhsa_float_round_mode_16_64 0
		.amdhsa_float_denorm_mode_32 3
		.amdhsa_float_denorm_mode_16_64 3
		.amdhsa_dx10_clamp 1
		.amdhsa_ieee_mode 1
		.amdhsa_fp16_overflow 0
		.amdhsa_workgroup_processor_mode 1
		.amdhsa_memory_ordered 1
		.amdhsa_forward_progress 0
		.amdhsa_shared_vgpr_count 0
		.amdhsa_exception_fp_ieee_invalid_op 0
		.amdhsa_exception_fp_denorm_src 0
		.amdhsa_exception_fp_ieee_div_zero 0
		.amdhsa_exception_fp_ieee_overflow 0
		.amdhsa_exception_fp_ieee_underflow 0
		.amdhsa_exception_fp_ieee_inexact 0
		.amdhsa_exception_int_div_zero 0
	.end_amdhsa_kernel
	.section	.text._ZL32rocblas_gemvt_warp_reduce_kernelILb0ELi1024Ei16rocblas_bfloat16PKffEviiT3_lPKT2_lT1_lS6_lS7_lS3_lPT4_lS7_li,"axG",@progbits,_ZL32rocblas_gemvt_warp_reduce_kernelILb0ELi1024Ei16rocblas_bfloat16PKffEviiT3_lPKT2_lT1_lS6_lS7_lS3_lPT4_lS7_li,comdat
.Lfunc_end650:
	.size	_ZL32rocblas_gemvt_warp_reduce_kernelILb0ELi1024Ei16rocblas_bfloat16PKffEviiT3_lPKT2_lT1_lS6_lS7_lS3_lPT4_lS7_li, .Lfunc_end650-_ZL32rocblas_gemvt_warp_reduce_kernelILb0ELi1024Ei16rocblas_bfloat16PKffEviiT3_lPKT2_lT1_lS6_lS7_lS3_lPT4_lS7_li
                                        ; -- End function
	.section	.AMDGPU.csdata,"",@progbits
; Kernel info:
; codeLenInByte = 1728
; NumSgprs: 27
; NumVgprs: 11
; ScratchSize: 0
; MemoryBound: 0
; FloatMode: 240
; IeeeMode: 1
; LDSByteSize: 128 bytes/workgroup (compile time only)
; SGPRBlocks: 3
; VGPRBlocks: 1
; NumSGPRsForWavesPerEU: 27
; NumVGPRsForWavesPerEU: 11
; Occupancy: 16
; WaveLimiterHint : 1
; COMPUTE_PGM_RSRC2:SCRATCH_EN: 0
; COMPUTE_PGM_RSRC2:USER_SGPR: 14
; COMPUTE_PGM_RSRC2:TRAP_HANDLER: 0
; COMPUTE_PGM_RSRC2:TGID_X_EN: 1
; COMPUTE_PGM_RSRC2:TGID_Y_EN: 0
; COMPUTE_PGM_RSRC2:TGID_Z_EN: 1
; COMPUTE_PGM_RSRC2:TIDIG_COMP_CNT: 0
	.section	.text._ZL32rocblas_gemvt_warp_reduce_kernelILb0ELi1024El16rocblas_bfloat16PKffEviiT3_lPKT2_lT1_lS6_lS7_lS3_lPT4_lS7_li,"axG",@progbits,_ZL32rocblas_gemvt_warp_reduce_kernelILb0ELi1024El16rocblas_bfloat16PKffEviiT3_lPKT2_lT1_lS6_lS7_lS3_lPT4_lS7_li,comdat
	.globl	_ZL32rocblas_gemvt_warp_reduce_kernelILb0ELi1024El16rocblas_bfloat16PKffEviiT3_lPKT2_lT1_lS6_lS7_lS3_lPT4_lS7_li ; -- Begin function _ZL32rocblas_gemvt_warp_reduce_kernelILb0ELi1024El16rocblas_bfloat16PKffEviiT3_lPKT2_lT1_lS6_lS7_lS3_lPT4_lS7_li
	.p2align	8
	.type	_ZL32rocblas_gemvt_warp_reduce_kernelILb0ELi1024El16rocblas_bfloat16PKffEviiT3_lPKT2_lT1_lS6_lS7_lS3_lPT4_lS7_li,@function
_ZL32rocblas_gemvt_warp_reduce_kernelILb0ELi1024El16rocblas_bfloat16PKffEviiT3_lPKT2_lT1_lS6_lS7_lS3_lPT4_lS7_li: ; @_ZL32rocblas_gemvt_warp_reduce_kernelILb0ELi1024El16rocblas_bfloat16PKffEviiT3_lPKT2_lT1_lS6_lS7_lS3_lPT4_lS7_li
; %bb.0:
	s_clause 0x1
	s_load_b512 s[36:51], s[0:1], 0x8
	s_load_b512 s[16:31], s[0:1], 0x48
	s_mov_b32 s11, 0
	s_waitcnt lgkmcnt(0)
	s_mul_i32 s3, s15, s39
	s_mul_hi_u32 s4, s15, s38
	s_mul_i32 s2, s15, s38
	s_add_i32 s3, s4, s3
	s_mul_i32 s4, s15, s23
	s_lshl_b64 s[2:3], s[2:3], 2
	s_mul_hi_u32 s5, s15, s22
	s_add_u32 s2, s36, s2
	s_addc_u32 s3, s37, s3
	s_add_i32 s5, s5, s4
	s_mul_i32 s4, s15, s22
	s_delay_alu instid0(SALU_CYCLE_1) | instskip(NEXT) | instid1(SALU_CYCLE_1)
	s_lshl_b64 s[4:5], s[4:5], 2
	s_add_u32 s4, s20, s4
	s_addc_u32 s5, s21, s5
	s_load_b32 s12, s[2:3], 0x0
	s_load_b32 s10, s[4:5], 0x0
	s_waitcnt lgkmcnt(0)
	v_cmp_eq_f32_e64 s2, s12, 0
	v_cmp_eq_f32_e64 s3, s10, 1.0
	s_delay_alu instid0(VALU_DEP_1) | instskip(NEXT) | instid1(SALU_CYCLE_1)
	s_and_b32 s2, s2, s3
	s_and_b32 vcc_lo, exec_lo, s2
	s_cbranch_vccnz .LBB651_37
; %bb.1:
	s_mul_i32 s3, s15, s31
	s_mul_hi_u32 s4, s15, s30
	s_mul_i32 s2, s15, s30
	s_add_i32 s3, s4, s3
	v_cmp_neq_f32_e64 s4, s12, 0
	s_lshl_b64 s[2:3], s[2:3], 2
	s_delay_alu instid0(SALU_CYCLE_1) | instskip(SKIP_2) | instid1(SALU_CYCLE_1)
	s_add_u32 s5, s24, s2
	s_addc_u32 s6, s25, s3
	s_lshl_b64 s[2:3], s[26:27], 2
	s_add_u32 s8, s5, s2
	v_cmp_eq_u32_e64 s2, 0, v0
	s_addc_u32 s9, s6, s3
	s_and_b32 vcc_lo, exec_lo, s4
	s_cbranch_vccnz .LBB651_6
; %bb.2:
	s_mov_b32 s3, 0
                                        ; implicit-def: $vgpr1
                                        ; implicit-def: $sgpr4_sgpr5
	s_and_saveexec_b32 s6, s2
	s_cbranch_execz .LBB651_7
; %bb.3:
	v_cmp_eq_f32_e64 s2, s10, 0
	s_mul_i32 s4, s14, s29
	s_mul_hi_u32 s5, s14, s28
	s_ashr_i32 s7, s14, 31
	v_mov_b32_e32 v1, 0
	s_add_i32 s4, s5, s4
	s_mul_i32 s7, s7, s28
	s_and_b32 vcc_lo, exec_lo, s2
	s_add_i32 s5, s4, s7
	s_mul_i32 s4, s14, s28
	s_cbranch_vccnz .LBB651_5
; %bb.4:
	s_lshl_b64 s[20:21], s[4:5], 2
	s_delay_alu instid0(SALU_CYCLE_1)
	s_add_u32 s20, s8, s20
	s_addc_u32 s21, s9, s21
	s_load_b32 s2, s[20:21], 0x0
	s_waitcnt lgkmcnt(0)
	v_mul_f32_e64 v1, s10, s2
.LBB651_5:
	s_mov_b32 s11, exec_lo
	s_or_b32 exec_lo, exec_lo, s6
	s_delay_alu instid0(SALU_CYCLE_1)
	s_and_b32 vcc_lo, exec_lo, s3
	s_cbranch_vccnz .LBB651_8
	s_branch .LBB651_35
.LBB651_6:
                                        ; implicit-def: $vgpr1
                                        ; implicit-def: $sgpr4_sgpr5
	s_cbranch_execnz .LBB651_8
	s_branch .LBB651_35
.LBB651_7:
	s_or_b32 exec_lo, exec_lo, s6
	s_delay_alu instid0(SALU_CYCLE_1)
	s_and_b32 vcc_lo, exec_lo, s3
	s_cbranch_vccz .LBB651_35
.LBB651_8:
	s_load_b32 s5, s[0:1], 0x0
	s_mul_i32 s3, s15, s47
	s_mul_hi_u32 s4, s15, s46
	s_mul_i32 s0, s15, s46
	s_add_i32 s1, s4, s3
	s_mul_i32 s2, s15, s19
	s_mul_hi_u32 s3, s15, s18
	s_lshl_b64 s[0:1], s[0:1], 1
	s_add_i32 s3, s3, s2
	s_add_u32 s2, s40, s0
	s_addc_u32 s4, s41, s1
	s_lshl_b64 s[0:1], s[42:43], 1
	s_mul_hi_u32 s6, s14, s44
	s_add_u32 s0, s2, s0
	s_addc_u32 s2, s4, s1
	s_mul_i32 s4, s14, s45
	s_ashr_i32 s1, s14, 31
	s_add_i32 s4, s6, s4
	s_mul_i32 s6, s1, s44
	v_mov_b32_e32 v7, 0
	s_waitcnt lgkmcnt(0)
	v_cmp_gt_i32_e32 vcc_lo, s5, v0
	s_add_i32 s7, s4, s6
	s_mul_i32 s6, s14, s44
	s_mov_b32 s13, exec_lo
	s_lshl_b64 s[6:7], s[6:7], 1
	v_cndmask_b32_e32 v1, 0, v0, vcc_lo
	s_add_u32 s0, s6, s0
	s_addc_u32 s2, s7, s2
	s_ashr_i32 s4, s5, 31
	s_delay_alu instid0(SALU_CYCLE_1) | instskip(SKIP_2) | instid1(SALU_CYCLE_1)
	s_lshr_b32 s4, s4, 22
	v_lshlrev_b32_e32 v1, 1, v1
	s_add_i32 s4, s5, s4
	s_and_b32 s4, s4, 0xfffffc00
	s_delay_alu instid0(VALU_DEP_1) | instskip(NEXT) | instid1(VALU_DEP_1)
	v_add_co_u32 v1, s0, s0, v1
	v_add_co_ci_u32_e64 v2, null, s2, 0, s0
	s_mul_i32 s2, s15, s18
	s_mov_b32 s15, 0
	v_cmpx_gt_i32_e64 s4, v0
	s_cbranch_execz .LBB651_16
; %bb.9:
	v_mad_u64_u32 v[5:6], null, s16, v0, 0
	s_lshl_b64 s[18:19], s[50:51], 1
	s_lshl_b64 s[6:7], s[2:3], 1
	s_add_u32 s0, s48, s18
	s_addc_u32 s18, s49, s19
	s_add_u32 s0, s0, s6
	s_addc_u32 s6, s18, s7
	s_delay_alu instid0(VALU_DEP_1) | instskip(NEXT) | instid1(VALU_DEP_1)
	v_dual_mov_b32 v3, v6 :: v_dual_mov_b32 v8, v0
	v_mad_u64_u32 v[6:7], null, s17, v0, v[3:4]
	v_dual_mov_b32 v7, 0 :: v_dual_mov_b32 v4, v2
	v_mov_b32_e32 v3, v1
	s_delay_alu instid0(VALU_DEP_3) | instskip(NEXT) | instid1(VALU_DEP_1)
	v_lshlrev_b64 v[5:6], 1, v[5:6]
	v_add_co_u32 v5, vcc_lo, s0, v5
	s_delay_alu instid0(VALU_DEP_2)
	v_add_co_ci_u32_e32 v6, vcc_lo, s6, v6, vcc_lo
	s_lshl_b64 s[6:7], s[16:17], 11
	s_set_inst_prefetch_distance 0x1
	s_branch .LBB651_11
	.p2align	6
.LBB651_10:                             ;   in Loop: Header=BB651_11 Depth=1
	s_or_b32 exec_lo, exec_lo, s0
	s_delay_alu instid0(VALU_DEP_1) | instskip(SKIP_3) | instid1(VALU_DEP_4)
	v_and_b32_e32 v9, 0xffff0000, v10
	v_add_nc_u32_e32 v8, 0x400, v8
	v_add_co_u32 v3, vcc_lo, 0x800, v3
	v_add_co_ci_u32_e32 v4, vcc_lo, 0, v4, vcc_lo
	v_add_f32_e32 v7, v7, v9
	s_delay_alu instid0(VALU_DEP_4) | instskip(SKIP_1) | instid1(VALU_DEP_1)
	v_cmp_le_i32_e32 vcc_lo, s4, v8
	v_add_co_u32 v5, s0, v5, s6
	v_add_co_ci_u32_e64 v6, s0, s7, v6, s0
	s_or_b32 s15, vcc_lo, s15
	s_delay_alu instid0(SALU_CYCLE_1)
	s_and_not1_b32 exec_lo, exec_lo, s15
	s_cbranch_execz .LBB651_15
.LBB651_11:                             ; =>This Inner Loop Header: Depth=1
	global_load_u16 v9, v[5:6], off
	global_load_u16 v10, v[3:4], off
	s_waitcnt vmcnt(1)
	v_lshlrev_b32_e32 v9, 16, v9
	s_waitcnt vmcnt(0)
	v_lshlrev_b32_e32 v10, 16, v10
	s_delay_alu instid0(VALU_DEP_1) | instskip(NEXT) | instid1(VALU_DEP_1)
	v_mul_f32_e32 v9, v10, v9
	v_and_b32_e32 v10, 0x7f800000, v9
	s_delay_alu instid0(VALU_DEP_1) | instskip(SKIP_1) | instid1(SALU_CYCLE_1)
	v_cmp_ne_u32_e32 vcc_lo, 0x7f800000, v10
                                        ; implicit-def: $vgpr10
	s_and_saveexec_b32 s0, vcc_lo
	s_xor_b32 s0, exec_lo, s0
; %bb.12:                               ;   in Loop: Header=BB651_11 Depth=1
	v_bfe_u32 v10, v9, 16, 1
	s_delay_alu instid0(VALU_DEP_1)
	v_add3_u32 v10, v9, v10, 0x7fff
                                        ; implicit-def: $vgpr9
; %bb.13:                               ;   in Loop: Header=BB651_11 Depth=1
	s_and_not1_saveexec_b32 s0, s0
	s_cbranch_execz .LBB651_10
; %bb.14:                               ;   in Loop: Header=BB651_11 Depth=1
	v_and_b32_e32 v10, 0xffff, v9
	v_or_b32_e32 v11, 0x10000, v9
	s_delay_alu instid0(VALU_DEP_2) | instskip(NEXT) | instid1(VALU_DEP_2)
	v_cmp_eq_u32_e32 vcc_lo, 0, v10
	v_cndmask_b32_e32 v10, v11, v9, vcc_lo
	s_branch .LBB651_10
.LBB651_15:
	s_set_inst_prefetch_distance 0x2
	s_or_b32 exec_lo, exec_lo, s15
.LBB651_16:
	s_delay_alu instid0(SALU_CYCLE_1) | instskip(SKIP_2) | instid1(VALU_DEP_1)
	s_or_b32 exec_lo, exec_lo, s13
	v_or_b32_e32 v3, s4, v0
	s_mov_b32 s0, exec_lo
	v_cmpx_gt_i32_e64 s5, v3
	s_cbranch_execz .LBB651_22
; %bb.17:
	v_ashrrev_i32_e32 v6, 31, v3
	v_mul_lo_u32 v8, v3, s17
	v_mad_u64_u32 v[4:5], null, v3, s16, 0
	s_lshl_b64 s[2:3], s[2:3], 1
	s_delay_alu instid0(VALU_DEP_3) | instskip(SKIP_3) | instid1(SALU_CYCLE_1)
	v_mul_lo_u32 v3, v6, s16
	s_add_u32 s5, s48, s2
	s_addc_u32 s6, s49, s3
	s_lshl_b64 s[2:3], s[50:51], 1
	s_add_u32 s7, s5, s2
	s_addc_u32 s6, s6, s3
	s_ashr_i32 s5, s4, 31
	s_delay_alu instid0(VALU_DEP_1) | instskip(SKIP_1) | instid1(VALU_DEP_1)
	v_add3_u32 v5, v5, v8, v3
	s_lshl_b64 s[2:3], s[4:5], 1
	v_lshlrev_b64 v[3:4], 1, v[4:5]
	s_delay_alu instid0(VALU_DEP_1) | instskip(NEXT) | instid1(VALU_DEP_2)
	v_add_co_u32 v3, vcc_lo, s7, v3
	v_add_co_ci_u32_e32 v4, vcc_lo, s6, v4, vcc_lo
	v_add_co_u32 v1, vcc_lo, v1, s2
	v_add_co_ci_u32_e32 v2, vcc_lo, s3, v2, vcc_lo
	global_load_u16 v3, v[3:4], off
	global_load_u16 v1, v[1:2], off
	s_waitcnt vmcnt(1)
	v_lshlrev_b32_e32 v2, 16, v3
	s_waitcnt vmcnt(0)
	v_lshlrev_b32_e32 v1, 16, v1
	s_delay_alu instid0(VALU_DEP_1) | instskip(NEXT) | instid1(VALU_DEP_1)
	v_mul_f32_e32 v1, v1, v2
	v_and_b32_e32 v2, 0x7f800000, v1
	s_delay_alu instid0(VALU_DEP_1) | instskip(SKIP_1) | instid1(SALU_CYCLE_1)
	v_cmp_ne_u32_e32 vcc_lo, 0x7f800000, v2
                                        ; implicit-def: $vgpr2
	s_and_saveexec_b32 s2, vcc_lo
	s_xor_b32 s2, exec_lo, s2
; %bb.18:
	v_bfe_u32 v2, v1, 16, 1
	s_delay_alu instid0(VALU_DEP_1)
	v_add3_u32 v2, v1, v2, 0x7fff
                                        ; implicit-def: $vgpr1
; %bb.19:
	s_and_not1_saveexec_b32 s2, s2
; %bb.20:
	v_and_b32_e32 v2, 0xffff, v1
	v_or_b32_e32 v3, 0x10000, v1
	s_delay_alu instid0(VALU_DEP_2) | instskip(NEXT) | instid1(VALU_DEP_2)
	v_cmp_eq_u32_e32 vcc_lo, 0, v2
	v_cndmask_b32_e32 v2, v3, v1, vcc_lo
; %bb.21:
	s_or_b32 exec_lo, exec_lo, s2
	s_delay_alu instid0(VALU_DEP_1) | instskip(NEXT) | instid1(VALU_DEP_1)
	v_and_b32_e32 v1, 0xffff0000, v2
	v_add_f32_e32 v7, v7, v1
.LBB651_22:
	s_or_b32 exec_lo, exec_lo, s0
	v_and_b32_e32 v6, 31, v0
	v_cmp_gt_u32_e32 vcc_lo, 32, v0
	s_delay_alu instid0(VALU_DEP_2)
	v_lshlrev_b32_e32 v1, 2, v6
	s_and_saveexec_b32 s0, vcc_lo
	s_cbranch_execz .LBB651_24
; %bb.23:
	v_mov_b32_e32 v2, 0
	ds_store_b32 v1, v2
.LBB651_24:
	s_or_b32 exec_lo, exec_lo, s0
	v_mbcnt_lo_u32_b32 v8, -1, 0
	s_mov_b32 s2, exec_lo
	s_waitcnt lgkmcnt(0)
	s_barrier
	buffer_gl0_inv
	v_cmp_gt_u32_e64 s0, 16, v8
	s_delay_alu instid0(VALU_DEP_1) | instskip(SKIP_1) | instid1(VALU_DEP_2)
	v_cndmask_b32_e64 v2, 0, 1, s0
	v_cmp_gt_u32_e64 s0, 24, v8
	v_lshlrev_b32_e32 v2, 4, v2
	s_delay_alu instid0(VALU_DEP_2) | instskip(SKIP_1) | instid1(VALU_DEP_3)
	v_cndmask_b32_e64 v3, 0, 1, s0
	v_cmp_gt_u32_e64 s0, 28, v8
	v_add_lshl_u32 v2, v2, v8, 2
	s_delay_alu instid0(VALU_DEP_3)
	v_lshlrev_b32_e32 v3, 3, v3
	ds_bpermute_b32 v4, v2, v7
	v_add_lshl_u32 v3, v3, v8, 2
	s_waitcnt lgkmcnt(0)
	v_add_f32_e32 v5, v7, v4
	v_cndmask_b32_e64 v4, 0, 1, s0
	v_cmp_gt_u32_e64 s0, 30, v8
	ds_bpermute_b32 v7, v3, v5
	s_waitcnt lgkmcnt(0)
	v_dual_add_f32 v7, v5, v7 :: v_dual_lshlrev_b32 v4, 2, v4
	s_delay_alu instid0(VALU_DEP_1)
	v_add_lshl_u32 v4, v4, v8, 2
	v_cndmask_b32_e64 v5, 0, 1, s0
	v_cmp_ne_u32_e64 s0, 31, v8
	ds_bpermute_b32 v9, v4, v7
	v_lshlrev_b32_e32 v5, 1, v5
	v_add_co_ci_u32_e64 v10, s0, 0, v8, s0
	s_delay_alu instid0(VALU_DEP_2)
	v_add_lshl_u32 v5, v5, v8, 2
	s_waitcnt lgkmcnt(0)
	v_add_f32_e32 v7, v7, v9
	ds_bpermute_b32 v9, v5, v7
	s_waitcnt lgkmcnt(0)
	v_dual_add_f32 v8, v7, v9 :: v_dual_lshlrev_b32 v7, 2, v10
	ds_bpermute_b32 v9, v7, v8
	v_cmpx_eq_u32_e32 0, v6
	s_cbranch_execz .LBB651_26
; %bb.25:
	v_lshrrev_b32_e32 v6, 3, v0
	s_waitcnt lgkmcnt(0)
	v_add_f32_e32 v8, v8, v9
	s_delay_alu instid0(VALU_DEP_2)
	v_and_b32_e32 v6, 0x7c, v6
	ds_store_b32 v6, v8
.LBB651_26:
	s_or_b32 exec_lo, exec_lo, s2
	v_mov_b32_e32 v6, 0
	s_waitcnt lgkmcnt(0)
	s_barrier
	buffer_gl0_inv
	s_and_saveexec_b32 s0, vcc_lo
	s_cbranch_execz .LBB651_28
; %bb.27:
	ds_load_b32 v6, v1
.LBB651_28:
	s_or_b32 exec_lo, exec_lo, s0
	s_and_saveexec_b32 s0, vcc_lo
	s_cbranch_execz .LBB651_30
; %bb.29:
	s_waitcnt lgkmcnt(0)
	ds_bpermute_b32 v1, v2, v6
	s_waitcnt lgkmcnt(0)
	v_add_f32_e32 v1, v6, v1
	ds_bpermute_b32 v2, v3, v1
	s_waitcnt lgkmcnt(0)
	v_add_f32_e32 v1, v1, v2
	;; [unrolled: 3-line block ×5, first 2 shown]
.LBB651_30:
	s_or_b32 exec_lo, exec_lo, s0
	s_delay_alu instid0(SALU_CYCLE_1)
	s_mov_b32 s0, exec_lo
                                        ; implicit-def: $vgpr1
                                        ; implicit-def: $sgpr4_sgpr5
	v_cmpx_eq_u32_e32 0, v0
	s_cbranch_execz .LBB651_34
; %bb.31:
	v_cmp_eq_f32_e64 s4, s10, 0
	s_mul_i32 s2, s14, s29
	s_mul_hi_u32 s3, s14, s28
	s_waitcnt lgkmcnt(0)
	v_mul_f32_e32 v1, s12, v6
	s_add_i32 s2, s3, s2
	s_mul_i32 s1, s1, s28
	s_and_b32 vcc_lo, exec_lo, s4
	s_add_i32 s5, s2, s1
	s_mul_i32 s4, s14, s28
	s_cbranch_vccnz .LBB651_33
; %bb.32:
	s_lshl_b64 s[2:3], s[4:5], 2
	s_delay_alu instid0(SALU_CYCLE_1)
	s_add_u32 s2, s8, s2
	s_addc_u32 s3, s9, s3
	s_load_b32 s1, s[2:3], 0x0
	s_waitcnt lgkmcnt(0)
	v_fmac_f32_e64 v1, s10, s1
.LBB651_33:
	s_or_b32 s11, s11, exec_lo
.LBB651_34:
	s_or_b32 exec_lo, exec_lo, s0
.LBB651_35:
	s_and_saveexec_b32 s0, s11
	s_cbranch_execz .LBB651_37
; %bb.36:
	s_lshl_b64 s[0:1], s[4:5], 2
	v_mov_b32_e32 v0, 0
	s_add_u32 s0, s8, s0
	s_addc_u32 s1, s9, s1
	global_store_b32 v0, v1, s[0:1]
.LBB651_37:
	s_nop 0
	s_sendmsg sendmsg(MSG_DEALLOC_VGPRS)
	s_endpgm
	.section	.rodata,"a",@progbits
	.p2align	6, 0x0
	.amdhsa_kernel _ZL32rocblas_gemvt_warp_reduce_kernelILb0ELi1024El16rocblas_bfloat16PKffEviiT3_lPKT2_lT1_lS6_lS7_lS3_lPT4_lS7_li
		.amdhsa_group_segment_fixed_size 128
		.amdhsa_private_segment_fixed_size 0
		.amdhsa_kernarg_size 140
		.amdhsa_user_sgpr_count 14
		.amdhsa_user_sgpr_dispatch_ptr 0
		.amdhsa_user_sgpr_queue_ptr 0
		.amdhsa_user_sgpr_kernarg_segment_ptr 1
		.amdhsa_user_sgpr_dispatch_id 0
		.amdhsa_user_sgpr_private_segment_size 0
		.amdhsa_wavefront_size32 1
		.amdhsa_uses_dynamic_stack 0
		.amdhsa_enable_private_segment 0
		.amdhsa_system_sgpr_workgroup_id_x 1
		.amdhsa_system_sgpr_workgroup_id_y 0
		.amdhsa_system_sgpr_workgroup_id_z 1
		.amdhsa_system_sgpr_workgroup_info 0
		.amdhsa_system_vgpr_workitem_id 0
		.amdhsa_next_free_vgpr 12
		.amdhsa_next_free_sgpr 52
		.amdhsa_reserve_vcc 1
		.amdhsa_float_round_mode_32 0
		.amdhsa_float_round_mode_16_64 0
		.amdhsa_float_denorm_mode_32 3
		.amdhsa_float_denorm_mode_16_64 3
		.amdhsa_dx10_clamp 1
		.amdhsa_ieee_mode 1
		.amdhsa_fp16_overflow 0
		.amdhsa_workgroup_processor_mode 1
		.amdhsa_memory_ordered 1
		.amdhsa_forward_progress 0
		.amdhsa_shared_vgpr_count 0
		.amdhsa_exception_fp_ieee_invalid_op 0
		.amdhsa_exception_fp_denorm_src 0
		.amdhsa_exception_fp_ieee_div_zero 0
		.amdhsa_exception_fp_ieee_overflow 0
		.amdhsa_exception_fp_ieee_underflow 0
		.amdhsa_exception_fp_ieee_inexact 0
		.amdhsa_exception_int_div_zero 0
	.end_amdhsa_kernel
	.section	.text._ZL32rocblas_gemvt_warp_reduce_kernelILb0ELi1024El16rocblas_bfloat16PKffEviiT3_lPKT2_lT1_lS6_lS7_lS3_lPT4_lS7_li,"axG",@progbits,_ZL32rocblas_gemvt_warp_reduce_kernelILb0ELi1024El16rocblas_bfloat16PKffEviiT3_lPKT2_lT1_lS6_lS7_lS3_lPT4_lS7_li,comdat
.Lfunc_end651:
	.size	_ZL32rocblas_gemvt_warp_reduce_kernelILb0ELi1024El16rocblas_bfloat16PKffEviiT3_lPKT2_lT1_lS6_lS7_lS3_lPT4_lS7_li, .Lfunc_end651-_ZL32rocblas_gemvt_warp_reduce_kernelILb0ELi1024El16rocblas_bfloat16PKffEviiT3_lPKT2_lT1_lS6_lS7_lS3_lPT4_lS7_li
                                        ; -- End function
	.section	.AMDGPU.csdata,"",@progbits
; Kernel info:
; codeLenInByte = 1780
; NumSgprs: 54
; NumVgprs: 12
; ScratchSize: 0
; MemoryBound: 0
; FloatMode: 240
; IeeeMode: 1
; LDSByteSize: 128 bytes/workgroup (compile time only)
; SGPRBlocks: 6
; VGPRBlocks: 1
; NumSGPRsForWavesPerEU: 54
; NumVGPRsForWavesPerEU: 12
; Occupancy: 16
; WaveLimiterHint : 0
; COMPUTE_PGM_RSRC2:SCRATCH_EN: 0
; COMPUTE_PGM_RSRC2:USER_SGPR: 14
; COMPUTE_PGM_RSRC2:TRAP_HANDLER: 0
; COMPUTE_PGM_RSRC2:TGID_X_EN: 1
; COMPUTE_PGM_RSRC2:TGID_Y_EN: 0
; COMPUTE_PGM_RSRC2:TGID_Z_EN: 1
; COMPUTE_PGM_RSRC2:TIDIG_COMP_CNT: 0
	.section	.text._ZL32rocblas_gemvt_warp_reduce_kernelILb0ELi1024Ei16rocblas_bfloat16ffEviiT3_lPKT2_lT1_lS4_lS5_lS1_lPT4_lS5_li,"axG",@progbits,_ZL32rocblas_gemvt_warp_reduce_kernelILb0ELi1024Ei16rocblas_bfloat16ffEviiT3_lPKT2_lT1_lS4_lS5_lS1_lPT4_lS5_li,comdat
	.globl	_ZL32rocblas_gemvt_warp_reduce_kernelILb0ELi1024Ei16rocblas_bfloat16ffEviiT3_lPKT2_lT1_lS4_lS5_lS1_lPT4_lS5_li ; -- Begin function _ZL32rocblas_gemvt_warp_reduce_kernelILb0ELi1024Ei16rocblas_bfloat16ffEviiT3_lPKT2_lT1_lS4_lS5_lS1_lPT4_lS5_li
	.p2align	8
	.type	_ZL32rocblas_gemvt_warp_reduce_kernelILb0ELi1024Ei16rocblas_bfloat16ffEviiT3_lPKT2_lT1_lS4_lS5_lS1_lPT4_lS5_li,@function
_ZL32rocblas_gemvt_warp_reduce_kernelILb0ELi1024Ei16rocblas_bfloat16ffEviiT3_lPKT2_lT1_lS4_lS5_lS1_lPT4_lS5_li: ; @_ZL32rocblas_gemvt_warp_reduce_kernelILb0ELi1024Ei16rocblas_bfloat16ffEviiT3_lPKT2_lT1_lS4_lS5_lS1_lPT4_lS5_li
; %bb.0:
	s_clause 0x1
	s_load_b32 s10, s[0:1], 0x8
	s_load_b32 s8, s[0:1], 0x58
	s_mov_b32 s9, 0
	s_waitcnt lgkmcnt(0)
	v_cmp_eq_f32_e64 s2, s10, 0
	v_cmp_eq_f32_e64 s3, s8, 1.0
	s_delay_alu instid0(VALU_DEP_1) | instskip(NEXT) | instid1(SALU_CYCLE_1)
	s_and_b32 s2, s2, s3
	s_and_b32 vcc_lo, exec_lo, s2
	s_cbranch_vccnz .LBB652_37
; %bb.1:
	s_clause 0x2
	s_load_b64 s[2:3], s[0:1], 0x80
	s_load_b128 s[4:7], s[0:1], 0x68
	s_load_b32 s11, s[0:1], 0x78
	s_waitcnt lgkmcnt(0)
	s_mul_i32 s3, s15, s3
	s_mul_hi_u32 s12, s15, s2
	s_mul_i32 s2, s15, s2
	s_add_i32 s3, s12, s3
	v_cmp_neq_f32_e64 s12, s10, 0
	s_lshl_b64 s[2:3], s[2:3], 2
	s_delay_alu instid0(SALU_CYCLE_1) | instskip(SKIP_2) | instid1(SALU_CYCLE_1)
	s_add_u32 s4, s4, s2
	s_addc_u32 s5, s5, s3
	s_lshl_b64 s[2:3], s[6:7], 2
	s_add_u32 s6, s4, s2
	v_cmp_eq_u32_e64 s2, 0, v0
	s_addc_u32 s7, s5, s3
	s_and_b32 vcc_lo, exec_lo, s12
	s_cbranch_vccnz .LBB652_6
; %bb.2:
	s_mov_b32 s3, 0
                                        ; implicit-def: $vgpr1
                                        ; implicit-def: $sgpr4_sgpr5
	s_and_saveexec_b32 s12, s2
	s_cbranch_execz .LBB652_7
; %bb.3:
	v_cmp_eq_f32_e64 s2, s8, 0
	v_mov_b32_e32 v1, 0
	s_mul_i32 s4, s14, s11
	s_delay_alu instid0(SALU_CYCLE_1) | instskip(NEXT) | instid1(VALU_DEP_2)
	s_ashr_i32 s5, s4, 31
	s_and_b32 vcc_lo, exec_lo, s2
	s_cbranch_vccnz .LBB652_5
; %bb.4:
	s_lshl_b64 s[16:17], s[4:5], 2
	s_delay_alu instid0(SALU_CYCLE_1)
	s_add_u32 s16, s6, s16
	s_addc_u32 s17, s7, s17
	s_load_b32 s2, s[16:17], 0x0
	s_waitcnt lgkmcnt(0)
	v_mul_f32_e64 v1, s2, s8
.LBB652_5:
	s_mov_b32 s9, exec_lo
	s_or_b32 exec_lo, exec_lo, s12
	s_delay_alu instid0(SALU_CYCLE_1)
	s_and_b32 vcc_lo, exec_lo, s3
	s_cbranch_vccnz .LBB652_8
	s_branch .LBB652_35
.LBB652_6:
                                        ; implicit-def: $vgpr1
                                        ; implicit-def: $sgpr4_sgpr5
	s_cbranch_execnz .LBB652_8
	s_branch .LBB652_35
.LBB652_7:
	s_or_b32 exec_lo, exec_lo, s12
	s_delay_alu instid0(SALU_CYCLE_1)
	s_and_b32 vcc_lo, exec_lo, s3
	s_cbranch_vccz .LBB652_35
.LBB652_8:
	s_clause 0x6
	s_load_b64 s[4:5], s[0:1], 0x50
	s_load_b128 s[16:19], s[0:1], 0x30
	s_load_b64 s[12:13], s[0:1], 0x40
	s_load_b32 s3, s[0:1], 0x0
	s_load_b128 s[20:23], s[0:1], 0x18
	s_load_b32 s2, s[0:1], 0x28
	s_load_b32 s1, s[0:1], 0x48
	v_mov_b32_e32 v7, 0
	s_waitcnt lgkmcnt(0)
	s_mul_i32 s0, s15, s5
	s_mul_hi_u32 s5, s15, s4
	s_mul_i32 s4, s15, s4
	s_add_i32 s5, s5, s0
	s_mul_i32 s0, s15, s17
	s_lshl_b64 s[4:5], s[4:5], 1
	s_mul_hi_u32 s17, s15, s16
	s_add_u32 s18, s18, s4
	s_addc_u32 s19, s19, s5
	s_lshl_b64 s[4:5], s[12:13], 1
	v_cmp_gt_i32_e32 vcc_lo, s3, v0
	s_add_u32 s4, s18, s4
	s_mul_i32 s12, s15, s16
	s_addc_u32 s5, s19, s5
	s_add_i32 s13, s17, s0
	v_cndmask_b32_e32 v1, 0, v0, vcc_lo
	s_lshl_b64 s[12:13], s[12:13], 1
	s_mul_i32 s16, s14, s2
	s_add_u32 s0, s20, s12
	s_addc_u32 s15, s21, s13
	s_lshl_b64 s[12:13], s[22:23], 1
	v_lshlrev_b32_e32 v1, 1, v1
	s_add_u32 s0, s0, s12
	s_addc_u32 s2, s15, s13
	s_ashr_i32 s17, s16, 31
	s_delay_alu instid0(SALU_CYCLE_1) | instskip(NEXT) | instid1(SALU_CYCLE_1)
	s_lshl_b64 s[12:13], s[16:17], 1
	s_add_u32 s0, s12, s0
	s_addc_u32 s12, s13, s2
	s_ashr_i32 s2, s3, 31
	v_add_co_u32 v1, s0, s0, v1
	s_lshr_b32 s2, s2, 22
	v_add_co_ci_u32_e64 v2, null, s12, 0, s0
	s_add_i32 s2, s3, s2
	s_mov_b32 s13, 0
	s_and_b32 s2, s2, 0xfffffc00
	s_mov_b32 s12, exec_lo
	v_cmpx_gt_i32_e64 s2, v0
	s_cbranch_execz .LBB652_16
; %bb.9:
	v_mul_lo_u32 v3, v0, s1
	v_dual_mov_b32 v7, 0 :: v_dual_mov_b32 v6, v2
	v_dual_mov_b32 v5, v1 :: v_dual_mov_b32 v8, v0
	s_lshl_b32 s15, s1, 10
	s_branch .LBB652_11
.LBB652_10:                             ;   in Loop: Header=BB652_11 Depth=1
	s_or_b32 exec_lo, exec_lo, s0
	v_add_nc_u32_e32 v8, 0x400, v8
	s_delay_alu instid0(VALU_DEP_2) | instskip(SKIP_2) | instid1(VALU_DEP_4)
	v_and_b32_e32 v4, 0xffff0000, v9
	v_add_co_u32 v5, s0, 0x800, v5
	v_add_nc_u32_e32 v3, s15, v3
	v_cmp_le_i32_e32 vcc_lo, s2, v8
	s_delay_alu instid0(VALU_DEP_4) | instskip(SKIP_2) | instid1(SALU_CYCLE_1)
	v_add_f32_e32 v7, v7, v4
	v_add_co_ci_u32_e64 v6, s0, 0, v6, s0
	s_or_b32 s13, vcc_lo, s13
	s_and_not1_b32 exec_lo, exec_lo, s13
	s_cbranch_execz .LBB652_15
.LBB652_11:                             ; =>This Inner Loop Header: Depth=1
	s_delay_alu instid0(VALU_DEP_3) | instskip(NEXT) | instid1(VALU_DEP_1)
	v_ashrrev_i32_e32 v4, 31, v3
	v_lshlrev_b64 v[9:10], 1, v[3:4]
	s_delay_alu instid0(VALU_DEP_1) | instskip(NEXT) | instid1(VALU_DEP_2)
	v_add_co_u32 v9, vcc_lo, s4, v9
	v_add_co_ci_u32_e32 v10, vcc_lo, s5, v10, vcc_lo
	global_load_u16 v4, v[5:6], off
	global_load_u16 v9, v[9:10], off
	s_waitcnt vmcnt(1)
	v_lshlrev_b32_e32 v4, 16, v4
	s_waitcnt vmcnt(0)
	v_lshlrev_b32_e32 v9, 16, v9
	s_delay_alu instid0(VALU_DEP_1) | instskip(NEXT) | instid1(VALU_DEP_1)
	v_mul_f32_e32 v4, v4, v9
	v_and_b32_e32 v9, 0x7f800000, v4
	s_delay_alu instid0(VALU_DEP_1) | instskip(SKIP_1) | instid1(SALU_CYCLE_1)
	v_cmp_ne_u32_e32 vcc_lo, 0x7f800000, v9
                                        ; implicit-def: $vgpr9
	s_and_saveexec_b32 s0, vcc_lo
	s_xor_b32 s0, exec_lo, s0
; %bb.12:                               ;   in Loop: Header=BB652_11 Depth=1
	v_bfe_u32 v9, v4, 16, 1
	s_delay_alu instid0(VALU_DEP_1)
	v_add3_u32 v9, v4, v9, 0x7fff
                                        ; implicit-def: $vgpr4
; %bb.13:                               ;   in Loop: Header=BB652_11 Depth=1
	s_and_not1_saveexec_b32 s0, s0
	s_cbranch_execz .LBB652_10
; %bb.14:                               ;   in Loop: Header=BB652_11 Depth=1
	v_and_b32_e32 v9, 0xffff, v4
	v_or_b32_e32 v10, 0x10000, v4
	s_delay_alu instid0(VALU_DEP_2) | instskip(NEXT) | instid1(VALU_DEP_2)
	v_cmp_eq_u32_e32 vcc_lo, 0, v9
	v_cndmask_b32_e32 v9, v10, v4, vcc_lo
	s_branch .LBB652_10
.LBB652_15:
	s_or_b32 exec_lo, exec_lo, s13
.LBB652_16:
	s_delay_alu instid0(SALU_CYCLE_1) | instskip(SKIP_2) | instid1(VALU_DEP_1)
	s_or_b32 exec_lo, exec_lo, s12
	v_or_b32_e32 v3, s2, v0
	s_mov_b32 s0, exec_lo
	v_cmpx_gt_i32_e64 s3, v3
	s_cbranch_execz .LBB652_22
; %bb.17:
	v_mul_lo_u32 v3, v3, s1
	s_ashr_i32 s3, s2, 31
	s_delay_alu instid0(SALU_CYCLE_1) | instskip(NEXT) | instid1(VALU_DEP_1)
	s_lshl_b64 s[2:3], s[2:3], 1
	v_ashrrev_i32_e32 v4, 31, v3
	s_delay_alu instid0(VALU_DEP_1) | instskip(NEXT) | instid1(VALU_DEP_1)
	v_lshlrev_b64 v[3:4], 1, v[3:4]
	v_add_co_u32 v3, vcc_lo, s4, v3
	s_delay_alu instid0(VALU_DEP_2)
	v_add_co_ci_u32_e32 v4, vcc_lo, s5, v4, vcc_lo
	v_add_co_u32 v1, vcc_lo, v1, s2
	v_add_co_ci_u32_e32 v2, vcc_lo, s3, v2, vcc_lo
	global_load_u16 v3, v[3:4], off
	global_load_u16 v1, v[1:2], off
	s_waitcnt vmcnt(1)
	v_lshlrev_b32_e32 v2, 16, v3
	s_waitcnt vmcnt(0)
	v_lshlrev_b32_e32 v1, 16, v1
	s_delay_alu instid0(VALU_DEP_1) | instskip(NEXT) | instid1(VALU_DEP_1)
	v_mul_f32_e32 v1, v1, v2
	v_and_b32_e32 v2, 0x7f800000, v1
	s_delay_alu instid0(VALU_DEP_1) | instskip(SKIP_1) | instid1(SALU_CYCLE_1)
	v_cmp_ne_u32_e32 vcc_lo, 0x7f800000, v2
                                        ; implicit-def: $vgpr2
	s_and_saveexec_b32 s1, vcc_lo
	s_xor_b32 s1, exec_lo, s1
; %bb.18:
	v_bfe_u32 v2, v1, 16, 1
	s_delay_alu instid0(VALU_DEP_1)
	v_add3_u32 v2, v1, v2, 0x7fff
                                        ; implicit-def: $vgpr1
; %bb.19:
	s_and_not1_saveexec_b32 s1, s1
; %bb.20:
	v_and_b32_e32 v2, 0xffff, v1
	v_or_b32_e32 v3, 0x10000, v1
	s_delay_alu instid0(VALU_DEP_2) | instskip(NEXT) | instid1(VALU_DEP_2)
	v_cmp_eq_u32_e32 vcc_lo, 0, v2
	v_cndmask_b32_e32 v2, v3, v1, vcc_lo
; %bb.21:
	s_or_b32 exec_lo, exec_lo, s1
	s_delay_alu instid0(VALU_DEP_1) | instskip(NEXT) | instid1(VALU_DEP_1)
	v_and_b32_e32 v1, 0xffff0000, v2
	v_add_f32_e32 v7, v7, v1
.LBB652_22:
	s_or_b32 exec_lo, exec_lo, s0
	v_and_b32_e32 v6, 31, v0
	v_cmp_gt_u32_e32 vcc_lo, 32, v0
	s_delay_alu instid0(VALU_DEP_2)
	v_lshlrev_b32_e32 v1, 2, v6
	s_and_saveexec_b32 s0, vcc_lo
	s_cbranch_execz .LBB652_24
; %bb.23:
	v_mov_b32_e32 v2, 0
	ds_store_b32 v1, v2
.LBB652_24:
	s_or_b32 exec_lo, exec_lo, s0
	v_mbcnt_lo_u32_b32 v8, -1, 0
	s_mov_b32 s1, exec_lo
	s_waitcnt lgkmcnt(0)
	s_barrier
	buffer_gl0_inv
	v_cmp_gt_u32_e64 s0, 16, v8
	s_delay_alu instid0(VALU_DEP_1) | instskip(SKIP_1) | instid1(VALU_DEP_2)
	v_cndmask_b32_e64 v2, 0, 1, s0
	v_cmp_gt_u32_e64 s0, 24, v8
	v_lshlrev_b32_e32 v2, 4, v2
	s_delay_alu instid0(VALU_DEP_2) | instskip(SKIP_1) | instid1(VALU_DEP_3)
	v_cndmask_b32_e64 v3, 0, 1, s0
	v_cmp_gt_u32_e64 s0, 28, v8
	v_add_lshl_u32 v2, v2, v8, 2
	s_delay_alu instid0(VALU_DEP_3)
	v_lshlrev_b32_e32 v3, 3, v3
	ds_bpermute_b32 v4, v2, v7
	v_add_lshl_u32 v3, v3, v8, 2
	s_waitcnt lgkmcnt(0)
	v_add_f32_e32 v5, v7, v4
	v_cndmask_b32_e64 v4, 0, 1, s0
	v_cmp_gt_u32_e64 s0, 30, v8
	ds_bpermute_b32 v7, v3, v5
	s_waitcnt lgkmcnt(0)
	v_dual_add_f32 v7, v5, v7 :: v_dual_lshlrev_b32 v4, 2, v4
	s_delay_alu instid0(VALU_DEP_1)
	v_add_lshl_u32 v4, v4, v8, 2
	v_cndmask_b32_e64 v5, 0, 1, s0
	v_cmp_ne_u32_e64 s0, 31, v8
	ds_bpermute_b32 v9, v4, v7
	v_lshlrev_b32_e32 v5, 1, v5
	v_add_co_ci_u32_e64 v10, s0, 0, v8, s0
	s_delay_alu instid0(VALU_DEP_2)
	v_add_lshl_u32 v5, v5, v8, 2
	s_waitcnt lgkmcnt(0)
	v_add_f32_e32 v7, v7, v9
	ds_bpermute_b32 v9, v5, v7
	s_waitcnt lgkmcnt(0)
	v_dual_add_f32 v8, v7, v9 :: v_dual_lshlrev_b32 v7, 2, v10
	ds_bpermute_b32 v9, v7, v8
	v_cmpx_eq_u32_e32 0, v6
	s_cbranch_execz .LBB652_26
; %bb.25:
	v_lshrrev_b32_e32 v6, 3, v0
	s_waitcnt lgkmcnt(0)
	v_add_f32_e32 v8, v8, v9
	s_delay_alu instid0(VALU_DEP_2)
	v_and_b32_e32 v6, 0x7c, v6
	ds_store_b32 v6, v8
.LBB652_26:
	s_or_b32 exec_lo, exec_lo, s1
	v_mov_b32_e32 v6, 0
	s_waitcnt lgkmcnt(0)
	s_barrier
	buffer_gl0_inv
	s_and_saveexec_b32 s0, vcc_lo
	s_cbranch_execz .LBB652_28
; %bb.27:
	ds_load_b32 v6, v1
.LBB652_28:
	s_or_b32 exec_lo, exec_lo, s0
	s_and_saveexec_b32 s0, vcc_lo
	s_cbranch_execz .LBB652_30
; %bb.29:
	s_waitcnt lgkmcnt(0)
	ds_bpermute_b32 v1, v2, v6
	s_waitcnt lgkmcnt(0)
	v_add_f32_e32 v1, v6, v1
	ds_bpermute_b32 v2, v3, v1
	s_waitcnt lgkmcnt(0)
	v_add_f32_e32 v1, v1, v2
	ds_bpermute_b32 v2, v4, v1
	s_waitcnt lgkmcnt(0)
	v_add_f32_e32 v1, v1, v2
	ds_bpermute_b32 v2, v5, v1
	s_waitcnt lgkmcnt(0)
	v_add_f32_e32 v1, v1, v2
	ds_bpermute_b32 v2, v7, v1
	s_waitcnt lgkmcnt(0)
	v_add_f32_e32 v6, v1, v2
.LBB652_30:
	s_or_b32 exec_lo, exec_lo, s0
	s_delay_alu instid0(SALU_CYCLE_1)
	s_mov_b32 s0, exec_lo
                                        ; implicit-def: $vgpr1
                                        ; implicit-def: $sgpr4_sgpr5
	v_cmpx_eq_u32_e32 0, v0
	s_cbranch_execz .LBB652_34
; %bb.31:
	v_cmp_eq_f32_e64 s1, s8, 0
	s_waitcnt lgkmcnt(0)
	v_mul_f32_e32 v1, s10, v6
	s_mul_i32 s4, s14, s11
	s_delay_alu instid0(SALU_CYCLE_1)
	s_ashr_i32 s5, s4, 31
	s_and_b32 vcc_lo, exec_lo, s1
	s_cbranch_vccnz .LBB652_33
; %bb.32:
	s_lshl_b64 s[2:3], s[4:5], 2
	s_delay_alu instid0(SALU_CYCLE_1)
	s_add_u32 s2, s6, s2
	s_addc_u32 s3, s7, s3
	s_load_b32 s1, s[2:3], 0x0
	s_waitcnt lgkmcnt(0)
	v_fmac_f32_e64 v1, s1, s8
.LBB652_33:
	s_or_b32 s9, s9, exec_lo
.LBB652_34:
	s_or_b32 exec_lo, exec_lo, s0
.LBB652_35:
	s_and_saveexec_b32 s0, s9
	s_cbranch_execz .LBB652_37
; %bb.36:
	s_lshl_b64 s[0:1], s[4:5], 2
	v_mov_b32_e32 v0, 0
	s_add_u32 s0, s6, s0
	s_addc_u32 s1, s7, s1
	global_store_b32 v0, v1, s[0:1]
.LBB652_37:
	s_nop 0
	s_sendmsg sendmsg(MSG_DEALLOC_VGPRS)
	s_endpgm
	.section	.rodata,"a",@progbits
	.p2align	6, 0x0
	.amdhsa_kernel _ZL32rocblas_gemvt_warp_reduce_kernelILb0ELi1024Ei16rocblas_bfloat16ffEviiT3_lPKT2_lT1_lS4_lS5_lS1_lPT4_lS5_li
		.amdhsa_group_segment_fixed_size 128
		.amdhsa_private_segment_fixed_size 0
		.amdhsa_kernarg_size 140
		.amdhsa_user_sgpr_count 14
		.amdhsa_user_sgpr_dispatch_ptr 0
		.amdhsa_user_sgpr_queue_ptr 0
		.amdhsa_user_sgpr_kernarg_segment_ptr 1
		.amdhsa_user_sgpr_dispatch_id 0
		.amdhsa_user_sgpr_private_segment_size 0
		.amdhsa_wavefront_size32 1
		.amdhsa_uses_dynamic_stack 0
		.amdhsa_enable_private_segment 0
		.amdhsa_system_sgpr_workgroup_id_x 1
		.amdhsa_system_sgpr_workgroup_id_y 0
		.amdhsa_system_sgpr_workgroup_id_z 1
		.amdhsa_system_sgpr_workgroup_info 0
		.amdhsa_system_vgpr_workitem_id 0
		.amdhsa_next_free_vgpr 11
		.amdhsa_next_free_sgpr 24
		.amdhsa_reserve_vcc 1
		.amdhsa_float_round_mode_32 0
		.amdhsa_float_round_mode_16_64 0
		.amdhsa_float_denorm_mode_32 3
		.amdhsa_float_denorm_mode_16_64 3
		.amdhsa_dx10_clamp 1
		.amdhsa_ieee_mode 1
		.amdhsa_fp16_overflow 0
		.amdhsa_workgroup_processor_mode 1
		.amdhsa_memory_ordered 1
		.amdhsa_forward_progress 0
		.amdhsa_shared_vgpr_count 0
		.amdhsa_exception_fp_ieee_invalid_op 0
		.amdhsa_exception_fp_denorm_src 0
		.amdhsa_exception_fp_ieee_div_zero 0
		.amdhsa_exception_fp_ieee_overflow 0
		.amdhsa_exception_fp_ieee_underflow 0
		.amdhsa_exception_fp_ieee_inexact 0
		.amdhsa_exception_int_div_zero 0
	.end_amdhsa_kernel
	.section	.text._ZL32rocblas_gemvt_warp_reduce_kernelILb0ELi1024Ei16rocblas_bfloat16ffEviiT3_lPKT2_lT1_lS4_lS5_lS1_lPT4_lS5_li,"axG",@progbits,_ZL32rocblas_gemvt_warp_reduce_kernelILb0ELi1024Ei16rocblas_bfloat16ffEviiT3_lPKT2_lT1_lS4_lS5_lS1_lPT4_lS5_li,comdat
.Lfunc_end652:
	.size	_ZL32rocblas_gemvt_warp_reduce_kernelILb0ELi1024Ei16rocblas_bfloat16ffEviiT3_lPKT2_lT1_lS4_lS5_lS1_lPT4_lS5_li, .Lfunc_end652-_ZL32rocblas_gemvt_warp_reduce_kernelILb0ELi1024Ei16rocblas_bfloat16ffEviiT3_lPKT2_lT1_lS4_lS5_lS1_lPT4_lS5_li
                                        ; -- End function
	.section	.AMDGPU.csdata,"",@progbits
; Kernel info:
; codeLenInByte = 1652
; NumSgprs: 26
; NumVgprs: 11
; ScratchSize: 0
; MemoryBound: 0
; FloatMode: 240
; IeeeMode: 1
; LDSByteSize: 128 bytes/workgroup (compile time only)
; SGPRBlocks: 3
; VGPRBlocks: 1
; NumSGPRsForWavesPerEU: 26
; NumVGPRsForWavesPerEU: 11
; Occupancy: 16
; WaveLimiterHint : 1
; COMPUTE_PGM_RSRC2:SCRATCH_EN: 0
; COMPUTE_PGM_RSRC2:USER_SGPR: 14
; COMPUTE_PGM_RSRC2:TRAP_HANDLER: 0
; COMPUTE_PGM_RSRC2:TGID_X_EN: 1
; COMPUTE_PGM_RSRC2:TGID_Y_EN: 0
; COMPUTE_PGM_RSRC2:TGID_Z_EN: 1
; COMPUTE_PGM_RSRC2:TIDIG_COMP_CNT: 0
	.section	.text._ZL32rocblas_gemvt_warp_reduce_kernelILb0ELi1024El16rocblas_bfloat16ffEviiT3_lPKT2_lT1_lS4_lS5_lS1_lPT4_lS5_li,"axG",@progbits,_ZL32rocblas_gemvt_warp_reduce_kernelILb0ELi1024El16rocblas_bfloat16ffEviiT3_lPKT2_lT1_lS4_lS5_lS1_lPT4_lS5_li,comdat
	.globl	_ZL32rocblas_gemvt_warp_reduce_kernelILb0ELi1024El16rocblas_bfloat16ffEviiT3_lPKT2_lT1_lS4_lS5_lS1_lPT4_lS5_li ; -- Begin function _ZL32rocblas_gemvt_warp_reduce_kernelILb0ELi1024El16rocblas_bfloat16ffEviiT3_lPKT2_lT1_lS4_lS5_lS1_lPT4_lS5_li
	.p2align	8
	.type	_ZL32rocblas_gemvt_warp_reduce_kernelILb0ELi1024El16rocblas_bfloat16ffEviiT3_lPKT2_lT1_lS4_lS5_lS1_lPT4_lS5_li,@function
_ZL32rocblas_gemvt_warp_reduce_kernelILb0ELi1024El16rocblas_bfloat16ffEviiT3_lPKT2_lT1_lS4_lS5_lS1_lPT4_lS5_li: ; @_ZL32rocblas_gemvt_warp_reduce_kernelILb0ELi1024El16rocblas_bfloat16ffEviiT3_lPKT2_lT1_lS4_lS5_lS1_lPT4_lS5_li
; %bb.0:
	s_clause 0x1
	s_load_b32 s33, s[0:1], 0x8
	s_load_b32 s12, s[0:1], 0x58
	s_mov_b32 s13, 0
	s_waitcnt lgkmcnt(0)
	v_cmp_eq_f32_e64 s2, s33, 0
	v_cmp_eq_f32_e64 s3, s12, 1.0
	s_delay_alu instid0(VALU_DEP_1) | instskip(NEXT) | instid1(SALU_CYCLE_1)
	s_and_b32 s2, s2, s3
	s_and_b32 vcc_lo, exec_lo, s2
	s_cbranch_vccnz .LBB653_37
; %bb.1:
	s_load_b256 s[4:11], s[0:1], 0x68
	v_cmp_neq_f32_e64 s16, s33, 0
	s_waitcnt lgkmcnt(0)
	s_mul_i32 s3, s15, s11
	s_mul_hi_u32 s11, s15, s10
	s_mul_i32 s2, s15, s10
	s_add_i32 s3, s11, s3
	s_delay_alu instid0(SALU_CYCLE_1) | instskip(NEXT) | instid1(SALU_CYCLE_1)
	s_lshl_b64 s[2:3], s[2:3], 2
	s_add_u32 s4, s4, s2
	s_addc_u32 s5, s5, s3
	s_lshl_b64 s[2:3], s[6:7], 2
	s_delay_alu instid0(SALU_CYCLE_1)
	s_add_u32 s10, s4, s2
	v_cmp_eq_u32_e64 s2, 0, v0
	s_addc_u32 s11, s5, s3
	s_and_b32 vcc_lo, exec_lo, s16
	s_cbranch_vccnz .LBB653_6
; %bb.2:
	s_mov_b32 s3, 0
                                        ; implicit-def: $vgpr1
                                        ; implicit-def: $sgpr4_sgpr5
	s_and_saveexec_b32 s6, s2
	s_cbranch_execz .LBB653_7
; %bb.3:
	v_cmp_eq_f32_e64 s2, s12, 0
	s_mul_i32 s4, s14, s9
	s_mul_hi_u32 s5, s14, s8
	s_ashr_i32 s7, s14, 31
	v_mov_b32_e32 v1, 0
	s_add_i32 s4, s5, s4
	s_mul_i32 s7, s7, s8
	s_and_b32 vcc_lo, exec_lo, s2
	s_add_i32 s5, s4, s7
	s_mul_i32 s4, s14, s8
	s_cbranch_vccnz .LBB653_5
; %bb.4:
	s_lshl_b64 s[16:17], s[4:5], 2
	s_delay_alu instid0(SALU_CYCLE_1)
	s_add_u32 s16, s10, s16
	s_addc_u32 s17, s11, s17
	s_load_b32 s2, s[16:17], 0x0
	s_waitcnt lgkmcnt(0)
	v_mul_f32_e64 v1, s2, s12
.LBB653_5:
	s_mov_b32 s13, exec_lo
	s_or_b32 exec_lo, exec_lo, s6
	s_delay_alu instid0(SALU_CYCLE_1)
	s_and_b32 vcc_lo, exec_lo, s3
	s_cbranch_vccnz .LBB653_8
	s_branch .LBB653_35
.LBB653_6:
                                        ; implicit-def: $vgpr1
                                        ; implicit-def: $sgpr4_sgpr5
	s_cbranch_execnz .LBB653_8
	s_branch .LBB653_35
.LBB653_7:
	s_or_b32 exec_lo, exec_lo, s6
	s_delay_alu instid0(SALU_CYCLE_1)
	s_and_b32 vcc_lo, exec_lo, s3
	s_cbranch_vccz .LBB653_35
.LBB653_8:
	s_clause 0x1
	s_load_b512 s[16:31], s[0:1], 0x18
	s_load_b32 s5, s[0:1], 0x0
	v_mov_b32_e32 v7, 0
	s_waitcnt lgkmcnt(0)
	s_mul_i32 s1, s15, s23
	s_mul_hi_u32 s4, s15, s22
	s_mul_i32 s0, s15, s22
	s_add_i32 s1, s4, s1
	s_mul_i32 s2, s15, s31
	s_mul_hi_u32 s3, s15, s30
	s_lshl_b64 s[0:1], s[0:1], 1
	s_add_i32 s3, s3, s2
	v_cmp_gt_i32_e32 vcc_lo, s5, v0
	s_add_u32 s2, s16, s0
	s_addc_u32 s6, s17, s1
	s_lshl_b64 s[0:1], s[18:19], 1
	s_mul_i32 s4, s14, s21
	s_add_u32 s0, s2, s0
	s_mul_hi_u32 s7, s14, s20
	s_addc_u32 s2, s6, s1
	s_ashr_i32 s1, s14, 31
	v_cndmask_b32_e32 v1, 0, v0, vcc_lo
	s_add_i32 s4, s7, s4
	s_mul_i32 s7, s1, s20
	s_mul_i32 s6, s14, s20
	s_add_i32 s7, s4, s7
	v_lshlrev_b32_e32 v1, 1, v1
	s_lshl_b64 s[6:7], s[6:7], 1
	s_mov_b32 s16, 0
	s_add_u32 s0, s6, s0
	s_addc_u32 s2, s7, s2
	s_ashr_i32 s4, s5, 31
	v_add_co_u32 v1, s0, s0, v1
	s_lshr_b32 s4, s4, 22
	v_add_co_ci_u32_e64 v2, null, s2, 0, s0
	s_add_i32 s4, s5, s4
	s_mul_i32 s2, s15, s30
	s_and_b32 s4, s4, 0xfffffc00
	s_mov_b32 s15, exec_lo
	v_cmpx_gt_i32_e64 s4, v0
	s_cbranch_execz .LBB653_16
; %bb.9:
	v_mad_u64_u32 v[5:6], null, s28, v0, 0
	s_lshl_b64 s[18:19], s[26:27], 1
	s_lshl_b64 s[6:7], s[2:3], 1
	s_add_u32 s0, s24, s18
	s_addc_u32 s17, s25, s19
	s_add_u32 s0, s0, s6
	s_addc_u32 s6, s17, s7
	s_delay_alu instid0(VALU_DEP_1) | instskip(NEXT) | instid1(VALU_DEP_1)
	v_dual_mov_b32 v3, v6 :: v_dual_mov_b32 v8, v0
	v_mad_u64_u32 v[6:7], null, s29, v0, v[3:4]
	v_dual_mov_b32 v7, 0 :: v_dual_mov_b32 v4, v2
	v_mov_b32_e32 v3, v1
	s_delay_alu instid0(VALU_DEP_3) | instskip(NEXT) | instid1(VALU_DEP_1)
	v_lshlrev_b64 v[5:6], 1, v[5:6]
	v_add_co_u32 v5, vcc_lo, s0, v5
	s_delay_alu instid0(VALU_DEP_2)
	v_add_co_ci_u32_e32 v6, vcc_lo, s6, v6, vcc_lo
	s_lshl_b64 s[6:7], s[28:29], 11
	s_set_inst_prefetch_distance 0x1
	s_branch .LBB653_11
	.p2align	6
.LBB653_10:                             ;   in Loop: Header=BB653_11 Depth=1
	s_or_b32 exec_lo, exec_lo, s0
	s_delay_alu instid0(VALU_DEP_1) | instskip(SKIP_3) | instid1(VALU_DEP_4)
	v_and_b32_e32 v9, 0xffff0000, v10
	v_add_nc_u32_e32 v8, 0x400, v8
	v_add_co_u32 v3, vcc_lo, 0x800, v3
	v_add_co_ci_u32_e32 v4, vcc_lo, 0, v4, vcc_lo
	v_add_f32_e32 v7, v7, v9
	s_delay_alu instid0(VALU_DEP_4) | instskip(SKIP_1) | instid1(VALU_DEP_1)
	v_cmp_le_i32_e32 vcc_lo, s4, v8
	v_add_co_u32 v5, s0, v5, s6
	v_add_co_ci_u32_e64 v6, s0, s7, v6, s0
	s_or_b32 s16, vcc_lo, s16
	s_delay_alu instid0(SALU_CYCLE_1)
	s_and_not1_b32 exec_lo, exec_lo, s16
	s_cbranch_execz .LBB653_15
.LBB653_11:                             ; =>This Inner Loop Header: Depth=1
	global_load_u16 v9, v[5:6], off
	global_load_u16 v10, v[3:4], off
	s_waitcnt vmcnt(1)
	v_lshlrev_b32_e32 v9, 16, v9
	s_waitcnt vmcnt(0)
	v_lshlrev_b32_e32 v10, 16, v10
	s_delay_alu instid0(VALU_DEP_1) | instskip(NEXT) | instid1(VALU_DEP_1)
	v_mul_f32_e32 v9, v10, v9
	v_and_b32_e32 v10, 0x7f800000, v9
	s_delay_alu instid0(VALU_DEP_1) | instskip(SKIP_1) | instid1(SALU_CYCLE_1)
	v_cmp_ne_u32_e32 vcc_lo, 0x7f800000, v10
                                        ; implicit-def: $vgpr10
	s_and_saveexec_b32 s0, vcc_lo
	s_xor_b32 s0, exec_lo, s0
; %bb.12:                               ;   in Loop: Header=BB653_11 Depth=1
	v_bfe_u32 v10, v9, 16, 1
	s_delay_alu instid0(VALU_DEP_1)
	v_add3_u32 v10, v9, v10, 0x7fff
                                        ; implicit-def: $vgpr9
; %bb.13:                               ;   in Loop: Header=BB653_11 Depth=1
	s_and_not1_saveexec_b32 s0, s0
	s_cbranch_execz .LBB653_10
; %bb.14:                               ;   in Loop: Header=BB653_11 Depth=1
	v_and_b32_e32 v10, 0xffff, v9
	v_or_b32_e32 v11, 0x10000, v9
	s_delay_alu instid0(VALU_DEP_2) | instskip(NEXT) | instid1(VALU_DEP_2)
	v_cmp_eq_u32_e32 vcc_lo, 0, v10
	v_cndmask_b32_e32 v10, v11, v9, vcc_lo
	s_branch .LBB653_10
.LBB653_15:
	s_set_inst_prefetch_distance 0x2
	s_or_b32 exec_lo, exec_lo, s16
.LBB653_16:
	s_delay_alu instid0(SALU_CYCLE_1) | instskip(SKIP_2) | instid1(VALU_DEP_1)
	s_or_b32 exec_lo, exec_lo, s15
	v_or_b32_e32 v3, s4, v0
	s_mov_b32 s0, exec_lo
	v_cmpx_gt_i32_e64 s5, v3
	s_cbranch_execz .LBB653_22
; %bb.17:
	v_ashrrev_i32_e32 v6, 31, v3
	v_mul_lo_u32 v8, v3, s29
	v_mad_u64_u32 v[4:5], null, v3, s28, 0
	s_lshl_b64 s[2:3], s[2:3], 1
	s_delay_alu instid0(VALU_DEP_3) | instskip(SKIP_3) | instid1(SALU_CYCLE_1)
	v_mul_lo_u32 v3, v6, s28
	s_add_u32 s5, s24, s2
	s_addc_u32 s6, s25, s3
	s_lshl_b64 s[2:3], s[26:27], 1
	s_add_u32 s7, s5, s2
	s_addc_u32 s6, s6, s3
	s_ashr_i32 s5, s4, 31
	s_delay_alu instid0(VALU_DEP_1) | instskip(SKIP_1) | instid1(VALU_DEP_1)
	v_add3_u32 v5, v5, v8, v3
	s_lshl_b64 s[2:3], s[4:5], 1
	v_lshlrev_b64 v[3:4], 1, v[4:5]
	s_delay_alu instid0(VALU_DEP_1) | instskip(NEXT) | instid1(VALU_DEP_2)
	v_add_co_u32 v3, vcc_lo, s7, v3
	v_add_co_ci_u32_e32 v4, vcc_lo, s6, v4, vcc_lo
	v_add_co_u32 v1, vcc_lo, v1, s2
	v_add_co_ci_u32_e32 v2, vcc_lo, s3, v2, vcc_lo
	global_load_u16 v3, v[3:4], off
	global_load_u16 v1, v[1:2], off
	s_waitcnt vmcnt(1)
	v_lshlrev_b32_e32 v2, 16, v3
	s_waitcnt vmcnt(0)
	v_lshlrev_b32_e32 v1, 16, v1
	s_delay_alu instid0(VALU_DEP_1) | instskip(NEXT) | instid1(VALU_DEP_1)
	v_mul_f32_e32 v1, v1, v2
	v_and_b32_e32 v2, 0x7f800000, v1
	s_delay_alu instid0(VALU_DEP_1) | instskip(SKIP_1) | instid1(SALU_CYCLE_1)
	v_cmp_ne_u32_e32 vcc_lo, 0x7f800000, v2
                                        ; implicit-def: $vgpr2
	s_and_saveexec_b32 s2, vcc_lo
	s_xor_b32 s2, exec_lo, s2
; %bb.18:
	v_bfe_u32 v2, v1, 16, 1
	s_delay_alu instid0(VALU_DEP_1)
	v_add3_u32 v2, v1, v2, 0x7fff
                                        ; implicit-def: $vgpr1
; %bb.19:
	s_and_not1_saveexec_b32 s2, s2
; %bb.20:
	v_and_b32_e32 v2, 0xffff, v1
	v_or_b32_e32 v3, 0x10000, v1
	s_delay_alu instid0(VALU_DEP_2) | instskip(NEXT) | instid1(VALU_DEP_2)
	v_cmp_eq_u32_e32 vcc_lo, 0, v2
	v_cndmask_b32_e32 v2, v3, v1, vcc_lo
; %bb.21:
	s_or_b32 exec_lo, exec_lo, s2
	s_delay_alu instid0(VALU_DEP_1) | instskip(NEXT) | instid1(VALU_DEP_1)
	v_and_b32_e32 v1, 0xffff0000, v2
	v_add_f32_e32 v7, v7, v1
.LBB653_22:
	s_or_b32 exec_lo, exec_lo, s0
	v_and_b32_e32 v6, 31, v0
	v_cmp_gt_u32_e32 vcc_lo, 32, v0
	s_delay_alu instid0(VALU_DEP_2)
	v_lshlrev_b32_e32 v1, 2, v6
	s_and_saveexec_b32 s0, vcc_lo
	s_cbranch_execz .LBB653_24
; %bb.23:
	v_mov_b32_e32 v2, 0
	ds_store_b32 v1, v2
.LBB653_24:
	s_or_b32 exec_lo, exec_lo, s0
	v_mbcnt_lo_u32_b32 v8, -1, 0
	s_mov_b32 s2, exec_lo
	s_waitcnt lgkmcnt(0)
	s_barrier
	buffer_gl0_inv
	v_cmp_gt_u32_e64 s0, 16, v8
	s_delay_alu instid0(VALU_DEP_1) | instskip(SKIP_1) | instid1(VALU_DEP_2)
	v_cndmask_b32_e64 v2, 0, 1, s0
	v_cmp_gt_u32_e64 s0, 24, v8
	v_lshlrev_b32_e32 v2, 4, v2
	s_delay_alu instid0(VALU_DEP_2) | instskip(SKIP_1) | instid1(VALU_DEP_3)
	v_cndmask_b32_e64 v3, 0, 1, s0
	v_cmp_gt_u32_e64 s0, 28, v8
	v_add_lshl_u32 v2, v2, v8, 2
	s_delay_alu instid0(VALU_DEP_3)
	v_lshlrev_b32_e32 v3, 3, v3
	ds_bpermute_b32 v4, v2, v7
	v_add_lshl_u32 v3, v3, v8, 2
	s_waitcnt lgkmcnt(0)
	v_add_f32_e32 v5, v7, v4
	v_cndmask_b32_e64 v4, 0, 1, s0
	v_cmp_gt_u32_e64 s0, 30, v8
	ds_bpermute_b32 v7, v3, v5
	s_waitcnt lgkmcnt(0)
	v_dual_add_f32 v7, v5, v7 :: v_dual_lshlrev_b32 v4, 2, v4
	s_delay_alu instid0(VALU_DEP_1)
	v_add_lshl_u32 v4, v4, v8, 2
	v_cndmask_b32_e64 v5, 0, 1, s0
	v_cmp_ne_u32_e64 s0, 31, v8
	ds_bpermute_b32 v9, v4, v7
	v_lshlrev_b32_e32 v5, 1, v5
	v_add_co_ci_u32_e64 v10, s0, 0, v8, s0
	s_delay_alu instid0(VALU_DEP_2)
	v_add_lshl_u32 v5, v5, v8, 2
	s_waitcnt lgkmcnt(0)
	v_add_f32_e32 v7, v7, v9
	ds_bpermute_b32 v9, v5, v7
	s_waitcnt lgkmcnt(0)
	v_dual_add_f32 v8, v7, v9 :: v_dual_lshlrev_b32 v7, 2, v10
	ds_bpermute_b32 v9, v7, v8
	v_cmpx_eq_u32_e32 0, v6
	s_cbranch_execz .LBB653_26
; %bb.25:
	v_lshrrev_b32_e32 v6, 3, v0
	s_waitcnt lgkmcnt(0)
	v_add_f32_e32 v8, v8, v9
	s_delay_alu instid0(VALU_DEP_2)
	v_and_b32_e32 v6, 0x7c, v6
	ds_store_b32 v6, v8
.LBB653_26:
	s_or_b32 exec_lo, exec_lo, s2
	v_mov_b32_e32 v6, 0
	s_waitcnt lgkmcnt(0)
	s_barrier
	buffer_gl0_inv
	s_and_saveexec_b32 s0, vcc_lo
	s_cbranch_execz .LBB653_28
; %bb.27:
	ds_load_b32 v6, v1
.LBB653_28:
	s_or_b32 exec_lo, exec_lo, s0
	s_and_saveexec_b32 s0, vcc_lo
	s_cbranch_execz .LBB653_30
; %bb.29:
	s_waitcnt lgkmcnt(0)
	ds_bpermute_b32 v1, v2, v6
	s_waitcnt lgkmcnt(0)
	v_add_f32_e32 v1, v6, v1
	ds_bpermute_b32 v2, v3, v1
	s_waitcnt lgkmcnt(0)
	v_add_f32_e32 v1, v1, v2
	;; [unrolled: 3-line block ×5, first 2 shown]
.LBB653_30:
	s_or_b32 exec_lo, exec_lo, s0
	s_delay_alu instid0(SALU_CYCLE_1)
	s_mov_b32 s0, exec_lo
                                        ; implicit-def: $vgpr1
                                        ; implicit-def: $sgpr4_sgpr5
	v_cmpx_eq_u32_e32 0, v0
	s_cbranch_execz .LBB653_34
; %bb.31:
	v_cmp_eq_f32_e64 s4, s12, 0
	s_mul_i32 s2, s14, s9
	s_mul_hi_u32 s3, s14, s8
	s_waitcnt lgkmcnt(0)
	v_mul_f32_e32 v1, s33, v6
	s_add_i32 s2, s3, s2
	s_mul_i32 s1, s1, s8
	s_and_b32 vcc_lo, exec_lo, s4
	s_add_i32 s5, s2, s1
	s_mul_i32 s4, s14, s8
	s_cbranch_vccnz .LBB653_33
; %bb.32:
	s_lshl_b64 s[2:3], s[4:5], 2
	s_delay_alu instid0(SALU_CYCLE_1)
	s_add_u32 s2, s10, s2
	s_addc_u32 s3, s11, s3
	s_load_b32 s1, s[2:3], 0x0
	s_waitcnt lgkmcnt(0)
	v_fmac_f32_e64 v1, s1, s12
.LBB653_33:
	s_or_b32 s13, s13, exec_lo
.LBB653_34:
	s_or_b32 exec_lo, exec_lo, s0
.LBB653_35:
	s_and_saveexec_b32 s0, s13
	s_cbranch_execz .LBB653_37
; %bb.36:
	s_lshl_b64 s[0:1], s[4:5], 2
	v_mov_b32_e32 v0, 0
	s_add_u32 s0, s10, s0
	s_addc_u32 s1, s11, s1
	global_store_b32 v0, v1, s[0:1]
.LBB653_37:
	s_nop 0
	s_sendmsg sendmsg(MSG_DEALLOC_VGPRS)
	s_endpgm
	.section	.rodata,"a",@progbits
	.p2align	6, 0x0
	.amdhsa_kernel _ZL32rocblas_gemvt_warp_reduce_kernelILb0ELi1024El16rocblas_bfloat16ffEviiT3_lPKT2_lT1_lS4_lS5_lS1_lPT4_lS5_li
		.amdhsa_group_segment_fixed_size 128
		.amdhsa_private_segment_fixed_size 0
		.amdhsa_kernarg_size 140
		.amdhsa_user_sgpr_count 14
		.amdhsa_user_sgpr_dispatch_ptr 0
		.amdhsa_user_sgpr_queue_ptr 0
		.amdhsa_user_sgpr_kernarg_segment_ptr 1
		.amdhsa_user_sgpr_dispatch_id 0
		.amdhsa_user_sgpr_private_segment_size 0
		.amdhsa_wavefront_size32 1
		.amdhsa_uses_dynamic_stack 0
		.amdhsa_enable_private_segment 0
		.amdhsa_system_sgpr_workgroup_id_x 1
		.amdhsa_system_sgpr_workgroup_id_y 0
		.amdhsa_system_sgpr_workgroup_id_z 1
		.amdhsa_system_sgpr_workgroup_info 0
		.amdhsa_system_vgpr_workitem_id 0
		.amdhsa_next_free_vgpr 12
		.amdhsa_next_free_sgpr 34
		.amdhsa_reserve_vcc 1
		.amdhsa_float_round_mode_32 0
		.amdhsa_float_round_mode_16_64 0
		.amdhsa_float_denorm_mode_32 3
		.amdhsa_float_denorm_mode_16_64 3
		.amdhsa_dx10_clamp 1
		.amdhsa_ieee_mode 1
		.amdhsa_fp16_overflow 0
		.amdhsa_workgroup_processor_mode 1
		.amdhsa_memory_ordered 1
		.amdhsa_forward_progress 0
		.amdhsa_shared_vgpr_count 0
		.amdhsa_exception_fp_ieee_invalid_op 0
		.amdhsa_exception_fp_denorm_src 0
		.amdhsa_exception_fp_ieee_div_zero 0
		.amdhsa_exception_fp_ieee_overflow 0
		.amdhsa_exception_fp_ieee_underflow 0
		.amdhsa_exception_fp_ieee_inexact 0
		.amdhsa_exception_int_div_zero 0
	.end_amdhsa_kernel
	.section	.text._ZL32rocblas_gemvt_warp_reduce_kernelILb0ELi1024El16rocblas_bfloat16ffEviiT3_lPKT2_lT1_lS4_lS5_lS1_lPT4_lS5_li,"axG",@progbits,_ZL32rocblas_gemvt_warp_reduce_kernelILb0ELi1024El16rocblas_bfloat16ffEviiT3_lPKT2_lT1_lS4_lS5_lS1_lPT4_lS5_li,comdat
.Lfunc_end653:
	.size	_ZL32rocblas_gemvt_warp_reduce_kernelILb0ELi1024El16rocblas_bfloat16ffEviiT3_lPKT2_lT1_lS4_lS5_lS1_lPT4_lS5_li, .Lfunc_end653-_ZL32rocblas_gemvt_warp_reduce_kernelILb0ELi1024El16rocblas_bfloat16ffEviiT3_lPKT2_lT1_lS4_lS5_lS1_lPT4_lS5_li
                                        ; -- End function
	.section	.AMDGPU.csdata,"",@progbits
; Kernel info:
; codeLenInByte = 1720
; NumSgprs: 36
; NumVgprs: 12
; ScratchSize: 0
; MemoryBound: 0
; FloatMode: 240
; IeeeMode: 1
; LDSByteSize: 128 bytes/workgroup (compile time only)
; SGPRBlocks: 4
; VGPRBlocks: 1
; NumSGPRsForWavesPerEU: 36
; NumVGPRsForWavesPerEU: 12
; Occupancy: 16
; WaveLimiterHint : 1
; COMPUTE_PGM_RSRC2:SCRATCH_EN: 0
; COMPUTE_PGM_RSRC2:USER_SGPR: 14
; COMPUTE_PGM_RSRC2:TRAP_HANDLER: 0
; COMPUTE_PGM_RSRC2:TGID_X_EN: 1
; COMPUTE_PGM_RSRC2:TGID_Y_EN: 0
; COMPUTE_PGM_RSRC2:TGID_Z_EN: 1
; COMPUTE_PGM_RSRC2:TIDIG_COMP_CNT: 0
	.section	.text._ZL22rocblas_gemvtsm_kernelILb1ELi256E16rocblas_bfloat16PKffEviiT2_lPKT1_lilS6_lilS3_lPT3_lil,"axG",@progbits,_ZL22rocblas_gemvtsm_kernelILb1ELi256E16rocblas_bfloat16PKffEviiT2_lPKT1_lilS6_lilS3_lPT3_lil,comdat
	.globl	_ZL22rocblas_gemvtsm_kernelILb1ELi256E16rocblas_bfloat16PKffEviiT2_lPKT1_lilS6_lilS3_lPT3_lil ; -- Begin function _ZL22rocblas_gemvtsm_kernelILb1ELi256E16rocblas_bfloat16PKffEviiT2_lPKT1_lilS6_lilS3_lPT3_lil
	.p2align	8
	.type	_ZL22rocblas_gemvtsm_kernelILb1ELi256E16rocblas_bfloat16PKffEviiT2_lPKT1_lilS6_lilS3_lPT3_lil,@function
_ZL22rocblas_gemvtsm_kernelILb1ELi256E16rocblas_bfloat16PKffEviiT2_lPKT1_lilS6_lilS3_lPT3_lil: ; @_ZL22rocblas_gemvtsm_kernelILb1ELi256E16rocblas_bfloat16PKffEviiT2_lPKT1_lilS6_lilS3_lPT3_lil
; %bb.0:
	s_clause 0x1
	s_load_b256 s[4:11], s[0:1], 0x8
	s_load_b256 s[16:23], s[0:1], 0x50
	s_waitcnt lgkmcnt(0)
	s_mul_i32 s3, s15, s7
	s_mul_hi_u32 s7, s15, s6
	s_mul_i32 s2, s15, s6
	s_add_i32 s3, s7, s3
	s_mul_i32 s6, s15, s21
	s_lshl_b64 s[2:3], s[2:3], 2
	s_mul_hi_u32 s7, s15, s20
	s_add_u32 s2, s4, s2
	s_addc_u32 s3, s5, s3
	s_add_i32 s5, s7, s6
	s_mul_i32 s4, s15, s20
	s_delay_alu instid0(SALU_CYCLE_1) | instskip(NEXT) | instid1(SALU_CYCLE_1)
	s_lshl_b64 s[4:5], s[4:5], 2
	s_add_u32 s4, s18, s4
	s_addc_u32 s5, s19, s5
	s_load_b32 s26, s[2:3], 0x0
	s_load_b32 s14, s[4:5], 0x0
	s_waitcnt lgkmcnt(0)
	v_cmp_eq_f32_e64 s2, s26, 0
	v_cmp_eq_f32_e64 s3, s14, 1.0
	s_delay_alu instid0(VALU_DEP_1) | instskip(NEXT) | instid1(SALU_CYCLE_1)
	s_and_b32 s2, s2, s3
	s_and_b32 vcc_lo, exec_lo, s2
	s_cbranch_vccnz .LBB654_58
; %bb.1:
	s_clause 0x3
	s_load_b64 s[2:3], s[0:1], 0x80
	s_load_b32 s12, s[0:1], 0x78
	s_load_b64 s[20:21], s[0:1], 0x70
	s_load_b64 s[18:19], s[0:1], 0x0
	v_cmp_neq_f32_e64 s4, s26, 0
	s_delay_alu instid0(VALU_DEP_1)
	s_and_b32 vcc_lo, exec_lo, s4
	s_waitcnt lgkmcnt(0)
	s_mul_i32 s3, s15, s3
	s_mul_hi_u32 s4, s15, s2
	s_mul_i32 s24, s15, s2
	s_add_i32 s25, s4, s3
	s_cbranch_vccnz .LBB654_9
; %bb.2:
	s_cmp_gt_i32 s19, 0
	v_cmp_neq_f32_e64 s2, s14, 0
	s_cselect_b32 s4, -1, 0
	s_delay_alu instid0(SALU_CYCLE_1) | instskip(NEXT) | instid1(VALU_DEP_2)
	v_cndmask_b32_e64 v1, 0, 1, s4
	s_and_b32 vcc_lo, exec_lo, s2
	s_delay_alu instid0(VALU_DEP_1)
	v_cmp_ne_u32_e64 s2, 1, v1
	s_cbranch_vccnz .LBB654_10
; %bb.3:
	s_delay_alu instid0(VALU_DEP_1)
	s_and_b32 vcc_lo, exec_lo, s2
	s_cbranch_vccnz .LBB654_8
; %bb.4:
	v_mad_i64_i32 v[1:2], null, s12, v0, 0
	s_lshl_b64 s[6:7], s[20:21], 2
	s_ashr_i32 s13, s12, 31
	s_lshl_b64 s[2:3], s[24:25], 2
	s_add_u32 s5, s22, s6
	s_addc_u32 s6, s23, s7
	s_add_u32 s2, s5, s2
	s_delay_alu instid0(VALU_DEP_1) | instskip(SKIP_3) | instid1(VALU_DEP_2)
	v_lshlrev_b64 v[1:2], 2, v[1:2]
	s_addc_u32 s3, s6, s3
	v_mov_b32_e32 v3, 0
	s_mov_b32 s5, 0
	v_add_co_u32 v1, vcc_lo, s2, v1
	s_delay_alu instid0(VALU_DEP_3)
	v_add_co_ci_u32_e32 v2, vcc_lo, s3, v2, vcc_lo
	s_lshl_b64 s[2:3], s[12:13], 10
	s_branch .LBB654_6
.LBB654_5:                              ;   in Loop: Header=BB654_6 Depth=1
	s_or_b32 exec_lo, exec_lo, s6
	v_add_co_u32 v1, vcc_lo, v1, s2
	v_add_co_ci_u32_e32 v2, vcc_lo, s3, v2, vcc_lo
	s_addk_i32 s5, 0x100
	s_delay_alu instid0(SALU_CYCLE_1)
	s_cmp_ge_i32 s5, s19
	s_cbranch_scc1 .LBB654_8
.LBB654_6:                              ; =>This Inner Loop Header: Depth=1
	v_add_nc_u32_e32 v4, s5, v0
	s_mov_b32 s6, exec_lo
	s_delay_alu instid0(VALU_DEP_1)
	v_cmpx_gt_i32_e64 s19, v4
	s_cbranch_execz .LBB654_5
; %bb.7:                                ;   in Loop: Header=BB654_6 Depth=1
	global_store_b32 v[1:2], v3, off
	s_branch .LBB654_5
.LBB654_8:
	s_cbranch_execz .LBB654_11
	s_branch .LBB654_16
.LBB654_9:
	s_branch .LBB654_17
.LBB654_10:
.LBB654_11:
	s_and_not1_b32 vcc_lo, exec_lo, s4
	s_cbranch_vccnz .LBB654_16
; %bb.12:
	v_mad_i64_i32 v[1:2], null, s12, v0, 0
	s_lshl_b64 s[4:5], s[20:21], 2
	s_ashr_i32 s13, s12, 31
	s_lshl_b64 s[2:3], s[24:25], 2
	s_add_u32 s4, s22, s4
	s_addc_u32 s5, s23, s5
	s_add_u32 s2, s4, s2
	s_delay_alu instid0(VALU_DEP_1) | instskip(SKIP_2) | instid1(VALU_DEP_1)
	v_lshlrev_b64 v[1:2], 2, v[1:2]
	s_addc_u32 s3, s5, s3
	s_mov_b32 s4, 0
	v_add_co_u32 v1, vcc_lo, s2, v1
	s_delay_alu instid0(VALU_DEP_2)
	v_add_co_ci_u32_e32 v2, vcc_lo, s3, v2, vcc_lo
	s_lshl_b64 s[2:3], s[12:13], 10
	s_branch .LBB654_14
	.p2align	6
.LBB654_13:                             ;   in Loop: Header=BB654_14 Depth=1
	s_or_b32 exec_lo, exec_lo, s5
	v_add_co_u32 v1, vcc_lo, v1, s2
	v_add_co_ci_u32_e32 v2, vcc_lo, s3, v2, vcc_lo
	s_addk_i32 s4, 0x100
	s_delay_alu instid0(SALU_CYCLE_1)
	s_cmp_ge_i32 s4, s19
	s_cbranch_scc1 .LBB654_16
.LBB654_14:                             ; =>This Inner Loop Header: Depth=1
	v_add_nc_u32_e32 v3, s4, v0
	s_mov_b32 s5, exec_lo
	s_delay_alu instid0(VALU_DEP_1)
	v_cmpx_gt_i32_e64 s19, v3
	s_cbranch_execz .LBB654_13
; %bb.15:                               ;   in Loop: Header=BB654_14 Depth=1
	global_load_b32 v3, v[1:2], off
	s_waitcnt vmcnt(0)
	v_mul_f32_e32 v3, s14, v3
	global_store_b32 v[1:2], v3, off
	s_branch .LBB654_13
.LBB654_16:
	s_cbranch_execnz .LBB654_58
.LBB654_17:
	s_clause 0x1
	s_load_b128 s[4:7], s[0:1], 0x30
	s_load_b64 s[2:3], s[0:1], 0x40
	s_mov_b32 s13, exec_lo
	v_cmpx_gt_i32_e64 s18, v0
	s_cbranch_execz .LBB654_23
; %bb.18:
	s_load_b32 s27, s[0:1], 0x48
	s_mul_i32 s17, s15, s17
	s_mul_hi_u32 s28, s15, s16
	s_mul_i32 s16, s15, s16
	s_add_i32 s17, s28, s17
	s_delay_alu instid0(SALU_CYCLE_1) | instskip(SKIP_4) | instid1(SALU_CYCLE_1)
	s_lshl_b64 s[16:17], s[16:17], 1
	s_waitcnt lgkmcnt(0)
	s_add_u32 s6, s6, s16
	s_addc_u32 s7, s7, s17
	s_lshl_b64 s[2:3], s[2:3], 1
	s_add_u32 s2, s6, s2
	s_addc_u32 s3, s7, s3
	v_mad_i64_i32 v[1:2], null, s27, v0, 0
	s_delay_alu instid0(VALU_DEP_1) | instskip(NEXT) | instid1(VALU_DEP_1)
	v_lshlrev_b64 v[1:2], 1, v[1:2]
	v_add_co_u32 v1, vcc_lo, s2, v1
	s_delay_alu instid0(VALU_DEP_2) | instskip(SKIP_3) | instid1(VALU_DEP_1)
	v_add_co_ci_u32_e32 v2, vcc_lo, s3, v2, vcc_lo
	global_load_u16 v1, v[1:2], off
	s_waitcnt vmcnt(0)
	v_lshlrev_b32_e32 v1, 16, v1
	v_mul_f32_e32 v1, s26, v1
	s_delay_alu instid0(VALU_DEP_1) | instskip(NEXT) | instid1(VALU_DEP_1)
	v_and_b32_e32 v2, 0x7f800000, v1
	v_cmp_ne_u32_e32 vcc_lo, 0x7f800000, v2
                                        ; implicit-def: $vgpr2
	s_and_saveexec_b32 s2, vcc_lo
	s_delay_alu instid0(SALU_CYCLE_1)
	s_xor_b32 s2, exec_lo, s2
; %bb.19:
	v_bfe_u32 v2, v1, 16, 1
	s_delay_alu instid0(VALU_DEP_1)
	v_add3_u32 v2, v1, v2, 0x7fff
                                        ; implicit-def: $vgpr1
; %bb.20:
	s_and_not1_saveexec_b32 s2, s2
; %bb.21:
	v_and_b32_e32 v2, 0xffff, v1
	v_or_b32_e32 v3, 0x10000, v1
	s_delay_alu instid0(VALU_DEP_2) | instskip(NEXT) | instid1(VALU_DEP_2)
	v_cmp_eq_u32_e32 vcc_lo, 0, v2
	v_cndmask_b32_e32 v2, v3, v1, vcc_lo
; %bb.22:
	s_or_b32 exec_lo, exec_lo, s2
	s_delay_alu instid0(VALU_DEP_1)
	v_and_b32_e32 v1, 0xffff0000, v2
	v_lshlrev_b32_e32 v2, 2, v0
	ds_store_b32 v2, v1
.LBB654_23:
	s_or_b32 exec_lo, exec_lo, s13
	s_cmp_lt_i32 s19, 1
	s_waitcnt lgkmcnt(0)
	s_waitcnt_vscnt null, 0x0
	s_barrier
	buffer_gl0_inv
	s_cbranch_scc1 .LBB654_58
; %bb.24:
	s_load_b32 s0, s[0:1], 0x28
	s_lshl_b64 s[2:3], s[24:25], 2
	s_mul_i32 s17, s5, s15
	s_add_u32 s1, s22, s2
	s_mul_hi_u32 s25, s4, s15
	s_mul_i32 s24, s4, s15
	s_addc_u32 s6, s23, s3
	s_lshl_b64 s[4:5], s[20:21], 2
	v_cmp_neq_f32_e64 s2, s14, 0
	s_add_u32 s3, s1, s4
	s_addc_u32 s4, s6, s5
	s_ashr_i32 s5, s12, 31
	s_waitcnt lgkmcnt(0)
	s_ashr_i32 s1, s0, 31
	s_cmp_gt_i32 s18, 0
	v_mad_i64_i32 v[1:2], null, s0, v0, 0
	s_cselect_b32 s6, -1, 0
	s_and_b32 s7, s18, 3
	s_cmp_gt_u32 s18, 3
	s_cselect_b32 s13, -1, 0
	s_and_b32 s15, s18, 0x7ffffffc
	s_cmp_lg_u32 s7, 0
	s_delay_alu instid0(VALU_DEP_1)
	v_lshlrev_b64 v[1:2], 1, v[1:2]
	s_cselect_b32 s16, -1, 0
	s_add_i32 s25, s25, s17
	s_lshl_b64 s[10:11], s[10:11], 1
	s_lshl_b64 s[20:21], s[24:25], 1
	s_add_u32 s8, s8, s10
	s_addc_u32 s9, s9, s11
	s_add_u32 s8, s8, s20
	s_addc_u32 s9, s9, s21
	v_add_co_u32 v7, vcc_lo, s8, v1
	v_add_co_ci_u32_e32 v8, vcc_lo, s9, v2, vcc_lo
	s_mov_b32 s8, 0
	s_delay_alu instid0(VALU_DEP_2) | instskip(NEXT) | instid1(VALU_DEP_2)
	v_add_co_u32 v1, vcc_lo, v7, 4
	v_add_co_ci_u32_e32 v2, vcc_lo, 0, v8, vcc_lo
	s_lshl_b64 s[0:1], s[0:1], 9
	s_branch .LBB654_27
.LBB654_25:                             ;   in Loop: Header=BB654_27 Depth=1
	s_set_inst_prefetch_distance 0x2
	v_add_co_u32 v3, vcc_lo, s3, v3
	v_add_co_ci_u32_e32 v4, vcc_lo, s4, v4, vcc_lo
	global_store_b32 v[3:4], v9, off
.LBB654_26:                             ;   in Loop: Header=BB654_27 Depth=1
	s_or_b32 exec_lo, exec_lo, s9
	v_add_co_u32 v1, vcc_lo, v1, s0
	v_add_co_ci_u32_e32 v2, vcc_lo, s1, v2, vcc_lo
	v_add_co_u32 v7, vcc_lo, v7, s0
	v_add_co_ci_u32_e32 v8, vcc_lo, s1, v8, vcc_lo
	s_addk_i32 s8, 0x100
	s_delay_alu instid0(SALU_CYCLE_1)
	s_cmp_ge_i32 s8, s19
	s_cbranch_scc1 .LBB654_58
.LBB654_27:                             ; =>This Loop Header: Depth=1
                                        ;     Child Loop BB654_34 Depth 2
                                        ;     Child Loop BB654_54 Depth 2
	v_add_nc_u32_e32 v3, s8, v0
	s_mov_b32 s9, exec_lo
	s_delay_alu instid0(VALU_DEP_1)
	v_cmpx_gt_i32_e64 s19, v3
	s_cbranch_execz .LBB654_26
; %bb.28:                               ;   in Loop: Header=BB654_27 Depth=1
	v_mad_u64_u32 v[4:5], null, v3, s12, 0
	s_and_not1_b32 vcc_lo, exec_lo, s2
	s_delay_alu instid0(VALU_DEP_1) | instskip(NEXT) | instid1(VALU_DEP_1)
	v_mad_u64_u32 v[9:10], null, v3, s5, v[5:6]
	v_mov_b32_e32 v5, v9
	s_delay_alu instid0(VALU_DEP_1)
	v_lshlrev_b64 v[3:4], 2, v[4:5]
	s_cbranch_vccnz .LBB654_30
; %bb.29:                               ;   in Loop: Header=BB654_27 Depth=1
	s_delay_alu instid0(VALU_DEP_1) | instskip(NEXT) | instid1(VALU_DEP_2)
	v_add_co_u32 v5, vcc_lo, s3, v3
	v_add_co_ci_u32_e32 v6, vcc_lo, s4, v4, vcc_lo
	global_load_b32 v5, v[5:6], off
	s_waitcnt vmcnt(0)
	v_mul_f32_e32 v9, s14, v5
	s_and_not1_b32 vcc_lo, exec_lo, s6
	s_cbranch_vccz .LBB654_31
	s_branch .LBB654_25
.LBB654_30:                             ;   in Loop: Header=BB654_27 Depth=1
	v_mov_b32_e32 v9, 0
	s_and_not1_b32 vcc_lo, exec_lo, s6
	s_cbranch_vccnz .LBB654_25
.LBB654_31:                             ;   in Loop: Header=BB654_27 Depth=1
	s_and_not1_b32 vcc_lo, exec_lo, s13
	s_cbranch_vccnz .LBB654_50
; %bb.32:                               ;   in Loop: Header=BB654_27 Depth=1
	v_dual_mov_b32 v6, v2 :: v_dual_mov_b32 v5, v1
	s_mov_b32 s10, 0
	s_mov_b32 s11, 0
	s_branch .LBB654_34
.LBB654_33:                             ;   in Loop: Header=BB654_34 Depth=2
	s_or_b32 exec_lo, exec_lo, s17
	v_and_b32_e32 v11, 0xffff0000, v11
	v_and_b32_e32 v10, 0xffff0000, v10
	v_add_co_u32 v5, vcc_lo, v5, 8
	v_add_co_ci_u32_e32 v6, vcc_lo, 0, v6, vcc_lo
	s_delay_alu instid0(VALU_DEP_3) | instskip(SKIP_3) | instid1(VALU_DEP_1)
	v_dual_add_f32 v9, v9, v10 :: v_dual_and_b32 v10, 0xffff0000, v12
	s_add_i32 s11, s11, 4
	s_add_i32 s10, s10, 16
	s_cmp_eq_u32 s15, s11
	v_add_f32_e32 v9, v9, v11
	v_and_b32_e32 v11, 0xffff0000, v13
	s_delay_alu instid0(VALU_DEP_2) | instskip(NEXT) | instid1(VALU_DEP_1)
	v_add_f32_e32 v9, v9, v10
	v_add_f32_e32 v9, v9, v11
	s_cbranch_scc1 .LBB654_51
.LBB654_34:                             ;   Parent Loop BB654_27 Depth=1
                                        ; =>  This Inner Loop Header: Depth=2
	global_load_u16 v10, v[5:6], off offset:-4
	s_waitcnt vmcnt(0)
	v_dual_mov_b32 v11, s10 :: v_dual_lshlrev_b32 v10, 16, v10
	ds_load_b32 v11, v11
	s_waitcnt lgkmcnt(0)
	v_mul_f32_e32 v11, v11, v10
	s_delay_alu instid0(VALU_DEP_1) | instskip(NEXT) | instid1(VALU_DEP_1)
	v_and_b32_e32 v10, 0x7f800000, v11
	v_cmp_ne_u32_e32 vcc_lo, 0x7f800000, v10
                                        ; implicit-def: $vgpr10
	s_and_saveexec_b32 s17, vcc_lo
	s_delay_alu instid0(SALU_CYCLE_1)
	s_xor_b32 s17, exec_lo, s17
; %bb.35:                               ;   in Loop: Header=BB654_34 Depth=2
	v_bfe_u32 v10, v11, 16, 1
	s_delay_alu instid0(VALU_DEP_1)
	v_add3_u32 v10, v11, v10, 0x7fff
                                        ; implicit-def: $vgpr11
; %bb.36:                               ;   in Loop: Header=BB654_34 Depth=2
	s_and_not1_saveexec_b32 s17, s17
; %bb.37:                               ;   in Loop: Header=BB654_34 Depth=2
	v_and_b32_e32 v10, 0xffff, v11
	v_or_b32_e32 v12, 0x10000, v11
	s_delay_alu instid0(VALU_DEP_2) | instskip(NEXT) | instid1(VALU_DEP_2)
	v_cmp_eq_u32_e32 vcc_lo, 0, v10
	v_cndmask_b32_e32 v10, v12, v11, vcc_lo
; %bb.38:                               ;   in Loop: Header=BB654_34 Depth=2
	s_or_b32 exec_lo, exec_lo, s17
	global_load_u16 v11, v[5:6], off offset:-2
	s_waitcnt vmcnt(0)
	v_dual_mov_b32 v12, s10 :: v_dual_lshlrev_b32 v11, 16, v11
	ds_load_b32 v12, v12 offset:4
	s_waitcnt lgkmcnt(0)
	v_mul_f32_e32 v12, v12, v11
	s_delay_alu instid0(VALU_DEP_1) | instskip(NEXT) | instid1(VALU_DEP_1)
	v_and_b32_e32 v11, 0x7f800000, v12
	v_cmp_ne_u32_e32 vcc_lo, 0x7f800000, v11
                                        ; implicit-def: $vgpr11
	s_and_saveexec_b32 s17, vcc_lo
	s_delay_alu instid0(SALU_CYCLE_1)
	s_xor_b32 s17, exec_lo, s17
; %bb.39:                               ;   in Loop: Header=BB654_34 Depth=2
	v_bfe_u32 v11, v12, 16, 1
	s_delay_alu instid0(VALU_DEP_1)
	v_add3_u32 v11, v12, v11, 0x7fff
                                        ; implicit-def: $vgpr12
; %bb.40:                               ;   in Loop: Header=BB654_34 Depth=2
	s_and_not1_saveexec_b32 s17, s17
; %bb.41:                               ;   in Loop: Header=BB654_34 Depth=2
	v_and_b32_e32 v11, 0xffff, v12
	v_or_b32_e32 v13, 0x10000, v12
	s_delay_alu instid0(VALU_DEP_2) | instskip(NEXT) | instid1(VALU_DEP_2)
	v_cmp_eq_u32_e32 vcc_lo, 0, v11
	v_cndmask_b32_e32 v11, v13, v12, vcc_lo
; %bb.42:                               ;   in Loop: Header=BB654_34 Depth=2
	s_or_b32 exec_lo, exec_lo, s17
	global_load_u16 v12, v[5:6], off
	s_waitcnt vmcnt(0)
	v_dual_mov_b32 v13, s10 :: v_dual_lshlrev_b32 v12, 16, v12
	ds_load_b32 v13, v13 offset:8
	s_waitcnt lgkmcnt(0)
	v_mul_f32_e32 v13, v13, v12
	s_delay_alu instid0(VALU_DEP_1) | instskip(NEXT) | instid1(VALU_DEP_1)
	v_and_b32_e32 v12, 0x7f800000, v13
	v_cmp_ne_u32_e32 vcc_lo, 0x7f800000, v12
                                        ; implicit-def: $vgpr12
	s_and_saveexec_b32 s17, vcc_lo
	s_delay_alu instid0(SALU_CYCLE_1)
	s_xor_b32 s17, exec_lo, s17
; %bb.43:                               ;   in Loop: Header=BB654_34 Depth=2
	v_bfe_u32 v12, v13, 16, 1
	s_delay_alu instid0(VALU_DEP_1)
	v_add3_u32 v12, v13, v12, 0x7fff
                                        ; implicit-def: $vgpr13
; %bb.44:                               ;   in Loop: Header=BB654_34 Depth=2
	s_and_not1_saveexec_b32 s17, s17
; %bb.45:                               ;   in Loop: Header=BB654_34 Depth=2
	v_and_b32_e32 v12, 0xffff, v13
	v_or_b32_e32 v14, 0x10000, v13
	s_delay_alu instid0(VALU_DEP_2) | instskip(NEXT) | instid1(VALU_DEP_2)
	v_cmp_eq_u32_e32 vcc_lo, 0, v12
	v_cndmask_b32_e32 v12, v14, v13, vcc_lo
; %bb.46:                               ;   in Loop: Header=BB654_34 Depth=2
	s_or_b32 exec_lo, exec_lo, s17
	global_load_u16 v13, v[5:6], off offset:2
	s_waitcnt vmcnt(0)
	v_dual_mov_b32 v14, s10 :: v_dual_lshlrev_b32 v13, 16, v13
	ds_load_b32 v14, v14 offset:12
	s_waitcnt lgkmcnt(0)
	v_mul_f32_e32 v14, v14, v13
	s_delay_alu instid0(VALU_DEP_1) | instskip(NEXT) | instid1(VALU_DEP_1)
	v_and_b32_e32 v13, 0x7f800000, v14
	v_cmp_ne_u32_e32 vcc_lo, 0x7f800000, v13
                                        ; implicit-def: $vgpr13
	s_and_saveexec_b32 s17, vcc_lo
	s_delay_alu instid0(SALU_CYCLE_1)
	s_xor_b32 s17, exec_lo, s17
; %bb.47:                               ;   in Loop: Header=BB654_34 Depth=2
	v_bfe_u32 v13, v14, 16, 1
	s_delay_alu instid0(VALU_DEP_1)
	v_add3_u32 v13, v14, v13, 0x7fff
                                        ; implicit-def: $vgpr14
; %bb.48:                               ;   in Loop: Header=BB654_34 Depth=2
	s_and_not1_saveexec_b32 s17, s17
	s_cbranch_execz .LBB654_33
; %bb.49:                               ;   in Loop: Header=BB654_34 Depth=2
	v_and_b32_e32 v13, 0xffff, v14
	v_or_b32_e32 v15, 0x10000, v14
	s_delay_alu instid0(VALU_DEP_2) | instskip(NEXT) | instid1(VALU_DEP_2)
	v_cmp_eq_u32_e32 vcc_lo, 0, v13
	v_cndmask_b32_e32 v13, v15, v14, vcc_lo
	s_branch .LBB654_33
.LBB654_50:                             ;   in Loop: Header=BB654_27 Depth=1
	s_mov_b32 s10, 0
	s_and_not1_b32 vcc_lo, exec_lo, s16
	s_cbranch_vccz .LBB654_52
	s_branch .LBB654_25
.LBB654_51:                             ;   in Loop: Header=BB654_27 Depth=1
	s_mov_b32 s10, s15
	s_and_not1_b32 vcc_lo, exec_lo, s16
	s_cbranch_vccnz .LBB654_25
.LBB654_52:                             ;   in Loop: Header=BB654_27 Depth=1
	s_lshl_b32 s11, s10, 1
	s_lshl_b32 s10, s10, 2
	v_add_co_u32 v5, vcc_lo, v7, s11
	v_add_co_ci_u32_e32 v6, vcc_lo, 0, v8, vcc_lo
	s_mov_b32 s11, s7
	s_set_inst_prefetch_distance 0x1
	s_branch .LBB654_54
	.p2align	6
.LBB654_53:                             ;   in Loop: Header=BB654_54 Depth=2
	s_or_b32 exec_lo, exec_lo, s17
	s_delay_alu instid0(VALU_DEP_1) | instskip(SKIP_2) | instid1(VALU_DEP_3)
	v_and_b32_e32 v10, 0xffff0000, v11
	v_add_co_u32 v5, vcc_lo, v5, 2
	v_add_co_ci_u32_e32 v6, vcc_lo, 0, v6, vcc_lo
	v_add_f32_e32 v9, v9, v10
	s_add_i32 s11, s11, -1
	s_add_i32 s10, s10, 4
	s_cmp_lg_u32 s11, 0
	s_cbranch_scc0 .LBB654_25
.LBB654_54:                             ;   Parent Loop BB654_27 Depth=1
                                        ; =>  This Inner Loop Header: Depth=2
	global_load_u16 v10, v[5:6], off
	s_waitcnt vmcnt(0)
	v_dual_mov_b32 v11, s10 :: v_dual_lshlrev_b32 v10, 16, v10
	ds_load_b32 v11, v11
	s_waitcnt lgkmcnt(0)
	v_mul_f32_e32 v10, v11, v10
	s_delay_alu instid0(VALU_DEP_1) | instskip(NEXT) | instid1(VALU_DEP_1)
	v_and_b32_e32 v11, 0x7f800000, v10
	v_cmp_ne_u32_e32 vcc_lo, 0x7f800000, v11
                                        ; implicit-def: $vgpr11
	s_and_saveexec_b32 s17, vcc_lo
	s_delay_alu instid0(SALU_CYCLE_1)
	s_xor_b32 s17, exec_lo, s17
; %bb.55:                               ;   in Loop: Header=BB654_54 Depth=2
	v_bfe_u32 v11, v10, 16, 1
	s_delay_alu instid0(VALU_DEP_1)
	v_add3_u32 v11, v10, v11, 0x7fff
                                        ; implicit-def: $vgpr10
; %bb.56:                               ;   in Loop: Header=BB654_54 Depth=2
	s_and_not1_saveexec_b32 s17, s17
	s_cbranch_execz .LBB654_53
; %bb.57:                               ;   in Loop: Header=BB654_54 Depth=2
	v_and_b32_e32 v11, 0xffff, v10
	v_or_b32_e32 v12, 0x10000, v10
	s_delay_alu instid0(VALU_DEP_2) | instskip(NEXT) | instid1(VALU_DEP_2)
	v_cmp_eq_u32_e32 vcc_lo, 0, v11
	v_cndmask_b32_e32 v11, v12, v10, vcc_lo
	s_branch .LBB654_53
.LBB654_58:
	s_nop 0
	s_sendmsg sendmsg(MSG_DEALLOC_VGPRS)
	s_endpgm
	.section	.rodata,"a",@progbits
	.p2align	6, 0x0
	.amdhsa_kernel _ZL22rocblas_gemvtsm_kernelILb1ELi256E16rocblas_bfloat16PKffEviiT2_lPKT1_lilS6_lilS3_lPT3_lil
		.amdhsa_group_segment_fixed_size 256
		.amdhsa_private_segment_fixed_size 0
		.amdhsa_kernarg_size 136
		.amdhsa_user_sgpr_count 15
		.amdhsa_user_sgpr_dispatch_ptr 0
		.amdhsa_user_sgpr_queue_ptr 0
		.amdhsa_user_sgpr_kernarg_segment_ptr 1
		.amdhsa_user_sgpr_dispatch_id 0
		.amdhsa_user_sgpr_private_segment_size 0
		.amdhsa_wavefront_size32 1
		.amdhsa_uses_dynamic_stack 0
		.amdhsa_enable_private_segment 0
		.amdhsa_system_sgpr_workgroup_id_x 1
		.amdhsa_system_sgpr_workgroup_id_y 0
		.amdhsa_system_sgpr_workgroup_id_z 0
		.amdhsa_system_sgpr_workgroup_info 0
		.amdhsa_system_vgpr_workitem_id 0
		.amdhsa_next_free_vgpr 16
		.amdhsa_next_free_sgpr 29
		.amdhsa_reserve_vcc 1
		.amdhsa_float_round_mode_32 0
		.amdhsa_float_round_mode_16_64 0
		.amdhsa_float_denorm_mode_32 3
		.amdhsa_float_denorm_mode_16_64 3
		.amdhsa_dx10_clamp 1
		.amdhsa_ieee_mode 1
		.amdhsa_fp16_overflow 0
		.amdhsa_workgroup_processor_mode 1
		.amdhsa_memory_ordered 1
		.amdhsa_forward_progress 0
		.amdhsa_shared_vgpr_count 0
		.amdhsa_exception_fp_ieee_invalid_op 0
		.amdhsa_exception_fp_denorm_src 0
		.amdhsa_exception_fp_ieee_div_zero 0
		.amdhsa_exception_fp_ieee_overflow 0
		.amdhsa_exception_fp_ieee_underflow 0
		.amdhsa_exception_fp_ieee_inexact 0
		.amdhsa_exception_int_div_zero 0
	.end_amdhsa_kernel
	.section	.text._ZL22rocblas_gemvtsm_kernelILb1ELi256E16rocblas_bfloat16PKffEviiT2_lPKT1_lilS6_lilS3_lPT3_lil,"axG",@progbits,_ZL22rocblas_gemvtsm_kernelILb1ELi256E16rocblas_bfloat16PKffEviiT2_lPKT1_lilS6_lilS3_lPT3_lil,comdat
.Lfunc_end654:
	.size	_ZL22rocblas_gemvtsm_kernelILb1ELi256E16rocblas_bfloat16PKffEviiT2_lPKT1_lilS6_lilS3_lPT3_lil, .Lfunc_end654-_ZL22rocblas_gemvtsm_kernelILb1ELi256E16rocblas_bfloat16PKffEviiT2_lPKT1_lilS6_lilS3_lPT3_lil
                                        ; -- End function
	.section	.AMDGPU.csdata,"",@progbits
; Kernel info:
; codeLenInByte = 2164
; NumSgprs: 31
; NumVgprs: 16
; ScratchSize: 0
; MemoryBound: 0
; FloatMode: 240
; IeeeMode: 1
; LDSByteSize: 256 bytes/workgroup (compile time only)
; SGPRBlocks: 3
; VGPRBlocks: 1
; NumSGPRsForWavesPerEU: 31
; NumVGPRsForWavesPerEU: 16
; Occupancy: 16
; WaveLimiterHint : 1
; COMPUTE_PGM_RSRC2:SCRATCH_EN: 0
; COMPUTE_PGM_RSRC2:USER_SGPR: 15
; COMPUTE_PGM_RSRC2:TRAP_HANDLER: 0
; COMPUTE_PGM_RSRC2:TGID_X_EN: 1
; COMPUTE_PGM_RSRC2:TGID_Y_EN: 0
; COMPUTE_PGM_RSRC2:TGID_Z_EN: 0
; COMPUTE_PGM_RSRC2:TIDIG_COMP_CNT: 0
	.section	.text._ZL22rocblas_gemvtsm_kernelILb1ELi256E16rocblas_bfloat16ffEviiT2_lPKT1_lilS4_lilS1_lPT3_lil,"axG",@progbits,_ZL22rocblas_gemvtsm_kernelILb1ELi256E16rocblas_bfloat16ffEviiT2_lPKT1_lilS4_lilS1_lPT3_lil,comdat
	.globl	_ZL22rocblas_gemvtsm_kernelILb1ELi256E16rocblas_bfloat16ffEviiT2_lPKT1_lilS4_lilS1_lPT3_lil ; -- Begin function _ZL22rocblas_gemvtsm_kernelILb1ELi256E16rocblas_bfloat16ffEviiT2_lPKT1_lilS4_lilS1_lPT3_lil
	.p2align	8
	.type	_ZL22rocblas_gemvtsm_kernelILb1ELi256E16rocblas_bfloat16ffEviiT2_lPKT1_lilS4_lilS1_lPT3_lil,@function
_ZL22rocblas_gemvtsm_kernelILb1ELi256E16rocblas_bfloat16ffEviiT2_lPKT1_lilS4_lilS1_lPT3_lil: ; @_ZL22rocblas_gemvtsm_kernelILb1ELi256E16rocblas_bfloat16ffEviiT2_lPKT1_lilS4_lilS1_lPT3_lil
; %bb.0:
	s_load_b128 s[4:7], s[0:1], 0x0
	s_waitcnt lgkmcnt(0)
	s_load_b32 s7, s[0:1], 0x58
	v_cmp_eq_f32_e64 s2, s6, 0
	s_waitcnt lgkmcnt(0)
	v_cmp_eq_f32_e64 s3, s7, 1.0
	s_delay_alu instid0(VALU_DEP_1) | instskip(NEXT) | instid1(SALU_CYCLE_1)
	s_and_b32 s2, s2, s3
	s_and_b32 vcc_lo, exec_lo, s2
	s_cbranch_vccnz .LBB655_58
; %bb.1:
	s_clause 0x2
	s_load_b64 s[2:3], s[0:1], 0x80
	s_load_b128 s[8:11], s[0:1], 0x68
	s_load_b32 s12, s[0:1], 0x78
	v_cmp_neq_f32_e64 s13, s6, 0
	s_delay_alu instid0(VALU_DEP_1)
	s_and_b32 vcc_lo, exec_lo, s13
	s_waitcnt lgkmcnt(0)
	s_mul_i32 s3, s15, s3
	s_mul_hi_u32 s13, s15, s2
	s_mul_i32 s20, s15, s2
	s_add_i32 s21, s13, s3
	s_cbranch_vccnz .LBB655_9
; %bb.2:
	s_cmp_gt_i32 s5, 0
	v_cmp_neq_f32_e64 s2, s7, 0
	s_cselect_b32 s14, -1, 0
	s_delay_alu instid0(SALU_CYCLE_1) | instskip(NEXT) | instid1(VALU_DEP_2)
	v_cndmask_b32_e64 v1, 0, 1, s14
	s_and_b32 vcc_lo, exec_lo, s2
	s_delay_alu instid0(VALU_DEP_1)
	v_cmp_ne_u32_e64 s2, 1, v1
	s_cbranch_vccnz .LBB655_10
; %bb.3:
	s_delay_alu instid0(VALU_DEP_1)
	s_and_b32 vcc_lo, exec_lo, s2
	s_cbranch_vccnz .LBB655_8
; %bb.4:
	v_mad_i64_i32 v[1:2], null, s12, v0, 0
	s_lshl_b64 s[16:17], s[10:11], 2
	s_ashr_i32 s13, s12, 31
	s_lshl_b64 s[2:3], s[20:21], 2
	s_add_u32 s16, s8, s16
	s_addc_u32 s17, s9, s17
	s_add_u32 s2, s16, s2
	s_delay_alu instid0(VALU_DEP_1) | instskip(SKIP_2) | instid1(VALU_DEP_2)
	v_lshlrev_b64 v[1:2], 2, v[1:2]
	s_addc_u32 s3, s17, s3
	v_mov_b32_e32 v3, 0
	v_add_co_u32 v1, vcc_lo, s2, v1
	s_delay_alu instid0(VALU_DEP_3)
	v_add_co_ci_u32_e32 v2, vcc_lo, s3, v2, vcc_lo
	s_lshl_b64 s[2:3], s[12:13], 10
	s_mov_b32 s13, 0
	s_branch .LBB655_6
.LBB655_5:                              ;   in Loop: Header=BB655_6 Depth=1
	s_or_b32 exec_lo, exec_lo, s16
	v_add_co_u32 v1, vcc_lo, v1, s2
	v_add_co_ci_u32_e32 v2, vcc_lo, s3, v2, vcc_lo
	s_addk_i32 s13, 0x100
	s_delay_alu instid0(SALU_CYCLE_1)
	s_cmp_ge_i32 s13, s5
	s_cbranch_scc1 .LBB655_8
.LBB655_6:                              ; =>This Inner Loop Header: Depth=1
	v_add_nc_u32_e32 v4, s13, v0
	s_mov_b32 s16, exec_lo
	s_delay_alu instid0(VALU_DEP_1)
	v_cmpx_gt_i32_e64 s5, v4
	s_cbranch_execz .LBB655_5
; %bb.7:                                ;   in Loop: Header=BB655_6 Depth=1
	global_store_b32 v[1:2], v3, off
	s_branch .LBB655_5
.LBB655_8:
	s_cbranch_execz .LBB655_11
	s_branch .LBB655_16
.LBB655_9:
	s_branch .LBB655_17
.LBB655_10:
.LBB655_11:
	s_and_not1_b32 vcc_lo, exec_lo, s14
	s_cbranch_vccnz .LBB655_16
; %bb.12:
	v_mad_i64_i32 v[1:2], null, s12, v0, 0
	s_lshl_b64 s[16:17], s[10:11], 2
	s_ashr_i32 s13, s12, 31
	s_lshl_b64 s[2:3], s[20:21], 2
	s_add_u32 s14, s8, s16
	s_addc_u32 s16, s9, s17
	s_add_u32 s2, s14, s2
	s_delay_alu instid0(VALU_DEP_1) | instskip(SKIP_1) | instid1(VALU_DEP_1)
	v_lshlrev_b64 v[1:2], 2, v[1:2]
	s_addc_u32 s3, s16, s3
	v_add_co_u32 v1, vcc_lo, s2, v1
	s_delay_alu instid0(VALU_DEP_2)
	v_add_co_ci_u32_e32 v2, vcc_lo, s3, v2, vcc_lo
	s_lshl_b64 s[2:3], s[12:13], 10
	s_mov_b32 s13, 0
	s_branch .LBB655_14
	.p2align	6
.LBB655_13:                             ;   in Loop: Header=BB655_14 Depth=1
	s_or_b32 exec_lo, exec_lo, s14
	v_add_co_u32 v1, vcc_lo, v1, s2
	v_add_co_ci_u32_e32 v2, vcc_lo, s3, v2, vcc_lo
	s_addk_i32 s13, 0x100
	s_delay_alu instid0(SALU_CYCLE_1)
	s_cmp_ge_i32 s13, s5
	s_cbranch_scc1 .LBB655_16
.LBB655_14:                             ; =>This Inner Loop Header: Depth=1
	v_add_nc_u32_e32 v3, s13, v0
	s_mov_b32 s14, exec_lo
	s_delay_alu instid0(VALU_DEP_1)
	v_cmpx_gt_i32_e64 s5, v3
	s_cbranch_execz .LBB655_13
; %bb.15:                               ;   in Loop: Header=BB655_14 Depth=1
	global_load_b32 v3, v[1:2], off
	s_waitcnt vmcnt(0)
	v_mul_f32_e32 v3, s7, v3
	global_store_b32 v[1:2], v3, off
	s_branch .LBB655_13
.LBB655_16:
	s_cbranch_execnz .LBB655_58
.LBB655_17:
	s_clause 0x1
	s_load_b128 s[16:19], s[0:1], 0x30
	s_load_b64 s[2:3], s[0:1], 0x40
	s_mov_b32 s13, exec_lo
	v_cmpx_gt_i32_e64 s4, v0
	s_cbranch_execz .LBB655_23
; %bb.18:
	s_clause 0x1
	s_load_b64 s[22:23], s[0:1], 0x50
	s_load_b32 s14, s[0:1], 0x48
	s_waitcnt lgkmcnt(0)
	s_mul_i32 s23, s15, s23
	v_mad_i64_i32 v[1:2], null, s14, v0, 0
	s_mul_hi_u32 s24, s15, s22
	s_mul_i32 s22, s15, s22
	s_add_i32 s23, s24, s23
	s_delay_alu instid0(SALU_CYCLE_1) | instskip(NEXT) | instid1(SALU_CYCLE_1)
	s_lshl_b64 s[22:23], s[22:23], 1
	s_add_u32 s14, s18, s22
	s_delay_alu instid0(VALU_DEP_1) | instskip(SKIP_2) | instid1(SALU_CYCLE_1)
	v_lshlrev_b64 v[1:2], 1, v[1:2]
	s_addc_u32 s18, s19, s23
	s_lshl_b64 s[2:3], s[2:3], 1
	s_add_u32 s2, s14, s2
	s_addc_u32 s3, s18, s3
	s_delay_alu instid0(VALU_DEP_1) | instskip(SKIP_4) | instid1(VALU_DEP_1)
	v_add_co_u32 v1, vcc_lo, s2, v1
	v_add_co_ci_u32_e32 v2, vcc_lo, s3, v2, vcc_lo
	global_load_u16 v1, v[1:2], off
	s_waitcnt vmcnt(0)
	v_lshlrev_b32_e32 v1, 16, v1
	v_mul_f32_e32 v1, s6, v1
	s_delay_alu instid0(VALU_DEP_1) | instskip(NEXT) | instid1(VALU_DEP_1)
	v_and_b32_e32 v2, 0x7f800000, v1
	v_cmp_ne_u32_e32 vcc_lo, 0x7f800000, v2
                                        ; implicit-def: $vgpr2
	s_and_saveexec_b32 s2, vcc_lo
	s_delay_alu instid0(SALU_CYCLE_1)
	s_xor_b32 s2, exec_lo, s2
; %bb.19:
	v_bfe_u32 v2, v1, 16, 1
	s_delay_alu instid0(VALU_DEP_1)
	v_add3_u32 v2, v1, v2, 0x7fff
                                        ; implicit-def: $vgpr1
; %bb.20:
	s_and_not1_saveexec_b32 s2, s2
; %bb.21:
	v_and_b32_e32 v2, 0xffff, v1
	v_or_b32_e32 v3, 0x10000, v1
	s_delay_alu instid0(VALU_DEP_2) | instskip(NEXT) | instid1(VALU_DEP_2)
	v_cmp_eq_u32_e32 vcc_lo, 0, v2
	v_cndmask_b32_e32 v2, v3, v1, vcc_lo
; %bb.22:
	s_or_b32 exec_lo, exec_lo, s2
	s_delay_alu instid0(VALU_DEP_1)
	v_and_b32_e32 v1, 0xffff0000, v2
	v_lshlrev_b32_e32 v2, 2, v0
	ds_store_b32 v2, v1
.LBB655_23:
	s_or_b32 exec_lo, exec_lo, s13
	s_cmp_lt_i32 s5, 1
	s_waitcnt lgkmcnt(0)
	s_waitcnt_vscnt null, 0x0
	s_barrier
	buffer_gl0_inv
	s_cbranch_scc1 .LBB655_58
; %bb.24:
	s_clause 0x1
	s_load_b32 s18, s[0:1], 0x28
	s_load_b128 s[0:3], s[0:1], 0x18
	s_lshl_b64 s[20:21], s[20:21], 2
	s_mul_i32 s17, s17, s15
	s_add_u32 s13, s8, s20
	s_addc_u32 s14, s9, s21
	s_lshl_b64 s[8:9], s[10:11], 2
	s_mul_hi_u32 s22, s16, s15
	s_add_u32 s8, s13, s8
	s_addc_u32 s9, s14, s9
	s_ashr_i32 s10, s12, 31
	s_mul_i32 s16, s16, s15
	v_cmp_neq_f32_e64 s6, s7, 0
	s_waitcnt lgkmcnt(0)
	s_ashr_i32 s19, s18, 31
	s_cmp_gt_i32 s4, 0
	v_mad_i64_i32 v[1:2], null, s18, v0, 0
	s_cselect_b32 s11, -1, 0
	s_and_b32 s13, s4, 3
	s_cmp_gt_u32 s4, 3
	s_cselect_b32 s14, -1, 0
	s_and_b32 s4, s4, 0x7ffffffc
	s_cmp_lg_u32 s13, 0
	s_delay_alu instid0(VALU_DEP_1)
	v_lshlrev_b64 v[1:2], 1, v[1:2]
	s_cselect_b32 s15, -1, 0
	s_add_i32 s17, s22, s17
	s_lshl_b64 s[2:3], s[2:3], 1
	s_lshl_b64 s[16:17], s[16:17], 1
	s_add_u32 s0, s0, s2
	s_addc_u32 s1, s1, s3
	s_add_u32 s0, s0, s16
	s_addc_u32 s1, s1, s17
	v_add_co_u32 v7, vcc_lo, s0, v1
	v_add_co_ci_u32_e32 v8, vcc_lo, s1, v2, vcc_lo
	s_mov_b32 s2, 0
	s_delay_alu instid0(VALU_DEP_2) | instskip(NEXT) | instid1(VALU_DEP_2)
	v_add_co_u32 v1, vcc_lo, v7, 4
	v_add_co_ci_u32_e32 v2, vcc_lo, 0, v8, vcc_lo
	s_lshl_b64 s[0:1], s[18:19], 9
	s_branch .LBB655_27
.LBB655_25:                             ;   in Loop: Header=BB655_27 Depth=1
	s_set_inst_prefetch_distance 0x2
	v_add_co_u32 v3, vcc_lo, s8, v3
	v_add_co_ci_u32_e32 v4, vcc_lo, s9, v4, vcc_lo
	global_store_b32 v[3:4], v9, off
.LBB655_26:                             ;   in Loop: Header=BB655_27 Depth=1
	s_or_b32 exec_lo, exec_lo, s3
	v_add_co_u32 v1, vcc_lo, v1, s0
	v_add_co_ci_u32_e32 v2, vcc_lo, s1, v2, vcc_lo
	v_add_co_u32 v7, vcc_lo, v7, s0
	v_add_co_ci_u32_e32 v8, vcc_lo, s1, v8, vcc_lo
	s_addk_i32 s2, 0x100
	s_delay_alu instid0(SALU_CYCLE_1)
	s_cmp_ge_i32 s2, s5
	s_cbranch_scc1 .LBB655_58
.LBB655_27:                             ; =>This Loop Header: Depth=1
                                        ;     Child Loop BB655_34 Depth 2
                                        ;     Child Loop BB655_54 Depth 2
	v_add_nc_u32_e32 v3, s2, v0
	s_mov_b32 s3, exec_lo
	s_delay_alu instid0(VALU_DEP_1)
	v_cmpx_gt_i32_e64 s5, v3
	s_cbranch_execz .LBB655_26
; %bb.28:                               ;   in Loop: Header=BB655_27 Depth=1
	v_mad_u64_u32 v[4:5], null, v3, s12, 0
	s_and_not1_b32 vcc_lo, exec_lo, s6
	s_delay_alu instid0(VALU_DEP_1) | instskip(NEXT) | instid1(VALU_DEP_1)
	v_mad_u64_u32 v[9:10], null, v3, s10, v[5:6]
	v_mov_b32_e32 v5, v9
	s_delay_alu instid0(VALU_DEP_1)
	v_lshlrev_b64 v[3:4], 2, v[4:5]
	s_cbranch_vccnz .LBB655_30
; %bb.29:                               ;   in Loop: Header=BB655_27 Depth=1
	s_delay_alu instid0(VALU_DEP_1) | instskip(NEXT) | instid1(VALU_DEP_2)
	v_add_co_u32 v5, vcc_lo, s8, v3
	v_add_co_ci_u32_e32 v6, vcc_lo, s9, v4, vcc_lo
	global_load_b32 v5, v[5:6], off
	s_waitcnt vmcnt(0)
	v_mul_f32_e32 v9, s7, v5
	s_and_not1_b32 vcc_lo, exec_lo, s11
	s_cbranch_vccz .LBB655_31
	s_branch .LBB655_25
.LBB655_30:                             ;   in Loop: Header=BB655_27 Depth=1
	v_mov_b32_e32 v9, 0
	s_and_not1_b32 vcc_lo, exec_lo, s11
	s_cbranch_vccnz .LBB655_25
.LBB655_31:                             ;   in Loop: Header=BB655_27 Depth=1
	s_and_not1_b32 vcc_lo, exec_lo, s14
	s_cbranch_vccnz .LBB655_50
; %bb.32:                               ;   in Loop: Header=BB655_27 Depth=1
	v_dual_mov_b32 v6, v2 :: v_dual_mov_b32 v5, v1
	s_mov_b32 s16, 0
	s_mov_b32 s17, 0
	s_branch .LBB655_34
.LBB655_33:                             ;   in Loop: Header=BB655_34 Depth=2
	s_or_b32 exec_lo, exec_lo, s18
	v_and_b32_e32 v11, 0xffff0000, v11
	v_and_b32_e32 v10, 0xffff0000, v10
	v_add_co_u32 v5, vcc_lo, v5, 8
	v_add_co_ci_u32_e32 v6, vcc_lo, 0, v6, vcc_lo
	s_delay_alu instid0(VALU_DEP_3) | instskip(SKIP_3) | instid1(VALU_DEP_1)
	v_dual_add_f32 v9, v9, v10 :: v_dual_and_b32 v10, 0xffff0000, v12
	s_add_i32 s17, s17, 4
	s_add_i32 s16, s16, 16
	s_cmp_eq_u32 s4, s17
	v_add_f32_e32 v9, v9, v11
	v_and_b32_e32 v11, 0xffff0000, v13
	s_delay_alu instid0(VALU_DEP_2) | instskip(NEXT) | instid1(VALU_DEP_1)
	v_add_f32_e32 v9, v9, v10
	v_add_f32_e32 v9, v9, v11
	s_cbranch_scc1 .LBB655_51
.LBB655_34:                             ;   Parent Loop BB655_27 Depth=1
                                        ; =>  This Inner Loop Header: Depth=2
	global_load_u16 v10, v[5:6], off offset:-4
	s_waitcnt vmcnt(0)
	v_dual_mov_b32 v11, s16 :: v_dual_lshlrev_b32 v10, 16, v10
	ds_load_b32 v11, v11
	s_waitcnt lgkmcnt(0)
	v_mul_f32_e32 v11, v11, v10
	s_delay_alu instid0(VALU_DEP_1) | instskip(NEXT) | instid1(VALU_DEP_1)
	v_and_b32_e32 v10, 0x7f800000, v11
	v_cmp_ne_u32_e32 vcc_lo, 0x7f800000, v10
                                        ; implicit-def: $vgpr10
	s_and_saveexec_b32 s18, vcc_lo
	s_delay_alu instid0(SALU_CYCLE_1)
	s_xor_b32 s18, exec_lo, s18
; %bb.35:                               ;   in Loop: Header=BB655_34 Depth=2
	v_bfe_u32 v10, v11, 16, 1
	s_delay_alu instid0(VALU_DEP_1)
	v_add3_u32 v10, v11, v10, 0x7fff
                                        ; implicit-def: $vgpr11
; %bb.36:                               ;   in Loop: Header=BB655_34 Depth=2
	s_and_not1_saveexec_b32 s18, s18
; %bb.37:                               ;   in Loop: Header=BB655_34 Depth=2
	v_and_b32_e32 v10, 0xffff, v11
	v_or_b32_e32 v12, 0x10000, v11
	s_delay_alu instid0(VALU_DEP_2) | instskip(NEXT) | instid1(VALU_DEP_2)
	v_cmp_eq_u32_e32 vcc_lo, 0, v10
	v_cndmask_b32_e32 v10, v12, v11, vcc_lo
; %bb.38:                               ;   in Loop: Header=BB655_34 Depth=2
	s_or_b32 exec_lo, exec_lo, s18
	global_load_u16 v11, v[5:6], off offset:-2
	s_waitcnt vmcnt(0)
	v_dual_mov_b32 v12, s16 :: v_dual_lshlrev_b32 v11, 16, v11
	ds_load_b32 v12, v12 offset:4
	s_waitcnt lgkmcnt(0)
	v_mul_f32_e32 v12, v12, v11
	s_delay_alu instid0(VALU_DEP_1) | instskip(NEXT) | instid1(VALU_DEP_1)
	v_and_b32_e32 v11, 0x7f800000, v12
	v_cmp_ne_u32_e32 vcc_lo, 0x7f800000, v11
                                        ; implicit-def: $vgpr11
	s_and_saveexec_b32 s18, vcc_lo
	s_delay_alu instid0(SALU_CYCLE_1)
	s_xor_b32 s18, exec_lo, s18
; %bb.39:                               ;   in Loop: Header=BB655_34 Depth=2
	v_bfe_u32 v11, v12, 16, 1
	s_delay_alu instid0(VALU_DEP_1)
	v_add3_u32 v11, v12, v11, 0x7fff
                                        ; implicit-def: $vgpr12
; %bb.40:                               ;   in Loop: Header=BB655_34 Depth=2
	s_and_not1_saveexec_b32 s18, s18
; %bb.41:                               ;   in Loop: Header=BB655_34 Depth=2
	v_and_b32_e32 v11, 0xffff, v12
	v_or_b32_e32 v13, 0x10000, v12
	s_delay_alu instid0(VALU_DEP_2) | instskip(NEXT) | instid1(VALU_DEP_2)
	v_cmp_eq_u32_e32 vcc_lo, 0, v11
	v_cndmask_b32_e32 v11, v13, v12, vcc_lo
; %bb.42:                               ;   in Loop: Header=BB655_34 Depth=2
	s_or_b32 exec_lo, exec_lo, s18
	global_load_u16 v12, v[5:6], off
	s_waitcnt vmcnt(0)
	v_dual_mov_b32 v13, s16 :: v_dual_lshlrev_b32 v12, 16, v12
	ds_load_b32 v13, v13 offset:8
	s_waitcnt lgkmcnt(0)
	v_mul_f32_e32 v13, v13, v12
	s_delay_alu instid0(VALU_DEP_1) | instskip(NEXT) | instid1(VALU_DEP_1)
	v_and_b32_e32 v12, 0x7f800000, v13
	v_cmp_ne_u32_e32 vcc_lo, 0x7f800000, v12
                                        ; implicit-def: $vgpr12
	s_and_saveexec_b32 s18, vcc_lo
	s_delay_alu instid0(SALU_CYCLE_1)
	s_xor_b32 s18, exec_lo, s18
; %bb.43:                               ;   in Loop: Header=BB655_34 Depth=2
	v_bfe_u32 v12, v13, 16, 1
	s_delay_alu instid0(VALU_DEP_1)
	v_add3_u32 v12, v13, v12, 0x7fff
                                        ; implicit-def: $vgpr13
; %bb.44:                               ;   in Loop: Header=BB655_34 Depth=2
	s_and_not1_saveexec_b32 s18, s18
; %bb.45:                               ;   in Loop: Header=BB655_34 Depth=2
	v_and_b32_e32 v12, 0xffff, v13
	v_or_b32_e32 v14, 0x10000, v13
	s_delay_alu instid0(VALU_DEP_2) | instskip(NEXT) | instid1(VALU_DEP_2)
	v_cmp_eq_u32_e32 vcc_lo, 0, v12
	v_cndmask_b32_e32 v12, v14, v13, vcc_lo
; %bb.46:                               ;   in Loop: Header=BB655_34 Depth=2
	s_or_b32 exec_lo, exec_lo, s18
	global_load_u16 v13, v[5:6], off offset:2
	s_waitcnt vmcnt(0)
	v_dual_mov_b32 v14, s16 :: v_dual_lshlrev_b32 v13, 16, v13
	ds_load_b32 v14, v14 offset:12
	s_waitcnt lgkmcnt(0)
	v_mul_f32_e32 v14, v14, v13
	s_delay_alu instid0(VALU_DEP_1) | instskip(NEXT) | instid1(VALU_DEP_1)
	v_and_b32_e32 v13, 0x7f800000, v14
	v_cmp_ne_u32_e32 vcc_lo, 0x7f800000, v13
                                        ; implicit-def: $vgpr13
	s_and_saveexec_b32 s18, vcc_lo
	s_delay_alu instid0(SALU_CYCLE_1)
	s_xor_b32 s18, exec_lo, s18
; %bb.47:                               ;   in Loop: Header=BB655_34 Depth=2
	v_bfe_u32 v13, v14, 16, 1
	s_delay_alu instid0(VALU_DEP_1)
	v_add3_u32 v13, v14, v13, 0x7fff
                                        ; implicit-def: $vgpr14
; %bb.48:                               ;   in Loop: Header=BB655_34 Depth=2
	s_and_not1_saveexec_b32 s18, s18
	s_cbranch_execz .LBB655_33
; %bb.49:                               ;   in Loop: Header=BB655_34 Depth=2
	v_and_b32_e32 v13, 0xffff, v14
	v_or_b32_e32 v15, 0x10000, v14
	s_delay_alu instid0(VALU_DEP_2) | instskip(NEXT) | instid1(VALU_DEP_2)
	v_cmp_eq_u32_e32 vcc_lo, 0, v13
	v_cndmask_b32_e32 v13, v15, v14, vcc_lo
	s_branch .LBB655_33
.LBB655_50:                             ;   in Loop: Header=BB655_27 Depth=1
	s_mov_b32 s16, 0
	s_and_not1_b32 vcc_lo, exec_lo, s15
	s_cbranch_vccz .LBB655_52
	s_branch .LBB655_25
.LBB655_51:                             ;   in Loop: Header=BB655_27 Depth=1
	s_mov_b32 s16, s4
	s_and_not1_b32 vcc_lo, exec_lo, s15
	s_cbranch_vccnz .LBB655_25
.LBB655_52:                             ;   in Loop: Header=BB655_27 Depth=1
	s_lshl_b32 s17, s16, 1
	s_lshl_b32 s16, s16, 2
	v_add_co_u32 v5, vcc_lo, v7, s17
	v_add_co_ci_u32_e32 v6, vcc_lo, 0, v8, vcc_lo
	s_mov_b32 s17, s13
	s_set_inst_prefetch_distance 0x1
	s_branch .LBB655_54
	.p2align	6
.LBB655_53:                             ;   in Loop: Header=BB655_54 Depth=2
	s_or_b32 exec_lo, exec_lo, s18
	s_delay_alu instid0(VALU_DEP_1) | instskip(SKIP_2) | instid1(VALU_DEP_3)
	v_and_b32_e32 v10, 0xffff0000, v11
	v_add_co_u32 v5, vcc_lo, v5, 2
	v_add_co_ci_u32_e32 v6, vcc_lo, 0, v6, vcc_lo
	v_add_f32_e32 v9, v9, v10
	s_add_i32 s17, s17, -1
	s_add_i32 s16, s16, 4
	s_cmp_lg_u32 s17, 0
	s_cbranch_scc0 .LBB655_25
.LBB655_54:                             ;   Parent Loop BB655_27 Depth=1
                                        ; =>  This Inner Loop Header: Depth=2
	global_load_u16 v10, v[5:6], off
	s_waitcnt vmcnt(0)
	v_dual_mov_b32 v11, s16 :: v_dual_lshlrev_b32 v10, 16, v10
	ds_load_b32 v11, v11
	s_waitcnt lgkmcnt(0)
	v_mul_f32_e32 v10, v11, v10
	s_delay_alu instid0(VALU_DEP_1) | instskip(NEXT) | instid1(VALU_DEP_1)
	v_and_b32_e32 v11, 0x7f800000, v10
	v_cmp_ne_u32_e32 vcc_lo, 0x7f800000, v11
                                        ; implicit-def: $vgpr11
	s_and_saveexec_b32 s18, vcc_lo
	s_delay_alu instid0(SALU_CYCLE_1)
	s_xor_b32 s18, exec_lo, s18
; %bb.55:                               ;   in Loop: Header=BB655_54 Depth=2
	v_bfe_u32 v11, v10, 16, 1
	s_delay_alu instid0(VALU_DEP_1)
	v_add3_u32 v11, v10, v11, 0x7fff
                                        ; implicit-def: $vgpr10
; %bb.56:                               ;   in Loop: Header=BB655_54 Depth=2
	s_and_not1_saveexec_b32 s18, s18
	s_cbranch_execz .LBB655_53
; %bb.57:                               ;   in Loop: Header=BB655_54 Depth=2
	v_and_b32_e32 v11, 0xffff, v10
	v_or_b32_e32 v12, 0x10000, v10
	s_delay_alu instid0(VALU_DEP_2) | instskip(NEXT) | instid1(VALU_DEP_2)
	v_cmp_eq_u32_e32 vcc_lo, 0, v11
	v_cndmask_b32_e32 v11, v12, v10, vcc_lo
	s_branch .LBB655_53
.LBB655_58:
	s_nop 0
	s_sendmsg sendmsg(MSG_DEALLOC_VGPRS)
	s_endpgm
	.section	.rodata,"a",@progbits
	.p2align	6, 0x0
	.amdhsa_kernel _ZL22rocblas_gemvtsm_kernelILb1ELi256E16rocblas_bfloat16ffEviiT2_lPKT1_lilS4_lilS1_lPT3_lil
		.amdhsa_group_segment_fixed_size 256
		.amdhsa_private_segment_fixed_size 0
		.amdhsa_kernarg_size 136
		.amdhsa_user_sgpr_count 15
		.amdhsa_user_sgpr_dispatch_ptr 0
		.amdhsa_user_sgpr_queue_ptr 0
		.amdhsa_user_sgpr_kernarg_segment_ptr 1
		.amdhsa_user_sgpr_dispatch_id 0
		.amdhsa_user_sgpr_private_segment_size 0
		.amdhsa_wavefront_size32 1
		.amdhsa_uses_dynamic_stack 0
		.amdhsa_enable_private_segment 0
		.amdhsa_system_sgpr_workgroup_id_x 1
		.amdhsa_system_sgpr_workgroup_id_y 0
		.amdhsa_system_sgpr_workgroup_id_z 0
		.amdhsa_system_sgpr_workgroup_info 0
		.amdhsa_system_vgpr_workitem_id 0
		.amdhsa_next_free_vgpr 16
		.amdhsa_next_free_sgpr 25
		.amdhsa_reserve_vcc 1
		.amdhsa_float_round_mode_32 0
		.amdhsa_float_round_mode_16_64 0
		.amdhsa_float_denorm_mode_32 3
		.amdhsa_float_denorm_mode_16_64 3
		.amdhsa_dx10_clamp 1
		.amdhsa_ieee_mode 1
		.amdhsa_fp16_overflow 0
		.amdhsa_workgroup_processor_mode 1
		.amdhsa_memory_ordered 1
		.amdhsa_forward_progress 0
		.amdhsa_shared_vgpr_count 0
		.amdhsa_exception_fp_ieee_invalid_op 0
		.amdhsa_exception_fp_denorm_src 0
		.amdhsa_exception_fp_ieee_div_zero 0
		.amdhsa_exception_fp_ieee_overflow 0
		.amdhsa_exception_fp_ieee_underflow 0
		.amdhsa_exception_fp_ieee_inexact 0
		.amdhsa_exception_int_div_zero 0
	.end_amdhsa_kernel
	.section	.text._ZL22rocblas_gemvtsm_kernelILb1ELi256E16rocblas_bfloat16ffEviiT2_lPKT1_lilS4_lilS1_lPT3_lil,"axG",@progbits,_ZL22rocblas_gemvtsm_kernelILb1ELi256E16rocblas_bfloat16ffEviiT2_lPKT1_lilS4_lilS1_lPT3_lil,comdat
.Lfunc_end655:
	.size	_ZL22rocblas_gemvtsm_kernelILb1ELi256E16rocblas_bfloat16ffEviiT2_lPKT1_lilS4_lilS1_lPT3_lil, .Lfunc_end655-_ZL22rocblas_gemvtsm_kernelILb1ELi256E16rocblas_bfloat16ffEviiT2_lPKT1_lilS4_lilS1_lPT3_lil
                                        ; -- End function
	.section	.AMDGPU.csdata,"",@progbits
; Kernel info:
; codeLenInByte = 2100
; NumSgprs: 27
; NumVgprs: 16
; ScratchSize: 0
; MemoryBound: 0
; FloatMode: 240
; IeeeMode: 1
; LDSByteSize: 256 bytes/workgroup (compile time only)
; SGPRBlocks: 3
; VGPRBlocks: 1
; NumSGPRsForWavesPerEU: 27
; NumVGPRsForWavesPerEU: 16
; Occupancy: 16
; WaveLimiterHint : 1
; COMPUTE_PGM_RSRC2:SCRATCH_EN: 0
; COMPUTE_PGM_RSRC2:USER_SGPR: 15
; COMPUTE_PGM_RSRC2:TRAP_HANDLER: 0
; COMPUTE_PGM_RSRC2:TGID_X_EN: 1
; COMPUTE_PGM_RSRC2:TGID_Y_EN: 0
; COMPUTE_PGM_RSRC2:TGID_Z_EN: 0
; COMPUTE_PGM_RSRC2:TIDIG_COMP_CNT: 0
	.section	.text._ZL20rocblas_gemvt_kernelILb1ELi256E16rocblas_bfloat16PKffEviiT2_lPKT1_lilS6_lilS3_lPT3_lili,"axG",@progbits,_ZL20rocblas_gemvt_kernelILb1ELi256E16rocblas_bfloat16PKffEviiT2_lPKT1_lilS6_lilS3_lPT3_lili,comdat
	.globl	_ZL20rocblas_gemvt_kernelILb1ELi256E16rocblas_bfloat16PKffEviiT2_lPKT1_lilS6_lilS3_lPT3_lili ; -- Begin function _ZL20rocblas_gemvt_kernelILb1ELi256E16rocblas_bfloat16PKffEviiT2_lPKT1_lilS6_lilS3_lPT3_lili
	.p2align	8
	.type	_ZL20rocblas_gemvt_kernelILb1ELi256E16rocblas_bfloat16PKffEviiT2_lPKT1_lilS6_lilS3_lPT3_lili,@function
_ZL20rocblas_gemvt_kernelILb1ELi256E16rocblas_bfloat16PKffEviiT2_lPKT1_lilS6_lilS3_lPT3_lili: ; @_ZL20rocblas_gemvt_kernelILb1ELi256E16rocblas_bfloat16PKffEviiT2_lPKT1_lilS6_lilS3_lPT3_lili
; %bb.0:
	s_clause 0x1
	s_load_b256 s[16:23], s[0:1], 0x8
	s_load_b256 s[4:11], s[0:1], 0x50
	s_waitcnt lgkmcnt(0)
	s_mul_i32 s3, s15, s19
	s_mul_hi_u32 s12, s15, s18
	s_mul_i32 s2, s15, s18
	s_add_i32 s3, s12, s3
	s_mul_i32 s9, s15, s9
	s_lshl_b64 s[2:3], s[2:3], 2
	s_mul_hi_u32 s12, s15, s8
	s_add_u32 s2, s16, s2
	s_addc_u32 s3, s17, s3
	s_add_i32 s9, s12, s9
	s_mul_i32 s8, s15, s8
	s_mov_b32 s17, 0
	s_lshl_b64 s[8:9], s[8:9], 2
	s_delay_alu instid0(SALU_CYCLE_1)
	s_add_u32 s6, s6, s8
	s_addc_u32 s7, s7, s9
	s_load_b32 s18, s[2:3], 0x0
	s_load_b32 s16, s[6:7], 0x0
	s_waitcnt lgkmcnt(0)
	v_cmp_eq_f32_e64 s2, s18, 0
	v_cmp_eq_f32_e64 s3, s16, 1.0
	s_delay_alu instid0(VALU_DEP_1) | instskip(NEXT) | instid1(SALU_CYCLE_1)
	s_and_b32 s2, s2, s3
	s_and_b32 vcc_lo, exec_lo, s2
	s_cbranch_vccnz .LBB656_44
; %bb.1:
	s_clause 0x2
	s_load_b64 s[2:3], s[0:1], 0x80
	s_load_b64 s[6:7], s[0:1], 0x70
	s_load_b32 s19, s[0:1], 0x78
	s_waitcnt lgkmcnt(0)
	s_mul_i32 s3, s15, s3
	s_mul_hi_u32 s8, s15, s2
	s_mul_i32 s2, s15, s2
	s_add_i32 s3, s8, s3
	v_cmp_neq_f32_e64 s8, s18, 0
	s_lshl_b64 s[2:3], s[2:3], 2
	s_delay_alu instid0(SALU_CYCLE_1) | instskip(SKIP_2) | instid1(SALU_CYCLE_1)
	s_add_u32 s9, s10, s2
	s_addc_u32 s10, s11, s3
	s_lshl_b64 s[2:3], s[6:7], 2
	s_add_u32 s12, s9, s2
	v_cmp_eq_u32_e64 s2, 0, v0
	s_addc_u32 s13, s10, s3
	s_and_b32 vcc_lo, exec_lo, s8
	s_cbranch_vccnz .LBB656_6
; %bb.2:
	s_mov_b32 s3, 0
                                        ; implicit-def: $vgpr1
                                        ; implicit-def: $sgpr6_sgpr7
	s_and_saveexec_b32 s8, s2
	s_cbranch_execz .LBB656_7
; %bb.3:
	v_cmp_eq_f32_e64 s2, s16, 0
	v_mov_b32_e32 v1, 0
	s_mul_hi_i32 s7, s19, s14
	s_mul_i32 s6, s19, s14
	s_delay_alu instid0(VALU_DEP_2)
	s_and_b32 vcc_lo, exec_lo, s2
	s_cbranch_vccnz .LBB656_5
; %bb.4:
	s_lshl_b64 s[10:11], s[6:7], 2
	s_delay_alu instid0(SALU_CYCLE_1)
	s_add_u32 s10, s12, s10
	s_addc_u32 s11, s13, s11
	s_load_b32 s2, s[10:11], 0x0
	s_waitcnt lgkmcnt(0)
	v_mul_f32_e64 v1, s16, s2
.LBB656_5:
	s_mov_b32 s17, exec_lo
	s_or_b32 exec_lo, exec_lo, s8
	s_delay_alu instid0(SALU_CYCLE_1)
	s_and_b32 vcc_lo, exec_lo, s3
	s_cbranch_vccnz .LBB656_8
	s_branch .LBB656_42
.LBB656_6:
                                        ; implicit-def: $vgpr1
                                        ; implicit-def: $sgpr6_sgpr7
	s_cbranch_execnz .LBB656_8
	s_branch .LBB656_42
.LBB656_7:
	s_or_b32 exec_lo, exec_lo, s8
	s_delay_alu instid0(SALU_CYCLE_1)
	s_and_b32 vcc_lo, exec_lo, s3
	s_cbranch_vccz .LBB656_42
.LBB656_8:
	s_clause 0x3
	s_load_b128 s[8:11], s[0:1], 0x30
	s_load_b32 s24, s[0:1], 0x0
	s_load_b32 s7, s[0:1], 0x28
	s_load_b64 s[2:3], s[0:1], 0x40
	s_mul_i32 s5, s15, s5
	s_mul_hi_u32 s25, s15, s4
	s_load_b32 s6, s[0:1], 0x48
	s_add_i32 s1, s25, s5
	v_mov_b32_e32 v7, 0
	s_waitcnt lgkmcnt(0)
	s_mul_i32 s0, s15, s9
	s_mul_hi_u32 s5, s15, s8
	v_cmp_gt_i32_e32 vcc_lo, s24, v0
	s_mul_i32 s8, s15, s8
	s_add_i32 s9, s5, s0
	s_mul_hi_i32 s27, s7, s14
	s_lshl_b64 s[8:9], s[8:9], 1
	v_cndmask_b32_e32 v1, 0, v0, vcc_lo
	s_add_u32 s0, s20, s8
	s_addc_u32 s5, s21, s9
	s_lshl_b64 s[8:9], s[22:23], 1
	s_mul_i32 s26, s7, s14
	s_add_u32 s7, s0, s8
	s_addc_u32 s5, s5, s9
	s_lshl_b64 s[8:9], s[26:27], 1
	v_lshlrev_b32_e32 v1, 1, v1
	s_mul_i32 s0, s15, s4
	s_add_u32 s4, s8, s7
	s_addc_u32 s5, s9, s5
	s_ashr_i32 s7, s24, 31
	v_add_co_u32 v1, s4, s4, v1
	s_lshr_b32 s7, s7, 24
	v_add_co_ci_u32_e64 v2, null, s5, 0, s4
	s_add_i32 s7, s24, s7
	s_mov_b32 s5, 0
	s_and_b32 s4, s7, 0xffffff00
	s_cmpk_lt_i32 s24, 0x100
	s_cbranch_scc1 .LBB656_15
; %bb.9:
	v_mad_i64_i32 v[3:4], null, s6, v0, 0
	s_lshl_b64 s[20:21], s[2:3], 1
	s_ashr_i32 s7, s6, 31
	s_lshl_b64 s[8:9], s[0:1], 1
	s_add_u32 s15, s10, s20
	s_addc_u32 s20, s11, s21
	s_add_u32 s8, s15, s8
	s_delay_alu instid0(VALU_DEP_1) | instskip(SKIP_3) | instid1(VALU_DEP_3)
	v_lshlrev_b64 v[3:4], 1, v[3:4]
	s_addc_u32 s9, s20, s9
	v_dual_mov_b32 v7, 0 :: v_dual_mov_b32 v6, v2
	v_mov_b32_e32 v5, v1
	v_add_co_u32 v3, vcc_lo, s8, v3
	s_delay_alu instid0(VALU_DEP_4)
	v_add_co_ci_u32_e32 v4, vcc_lo, s9, v4, vcc_lo
	s_lshl_b64 s[8:9], s[6:7], 9
	s_set_inst_prefetch_distance 0x1
	s_branch .LBB656_11
	.p2align	6
.LBB656_10:                             ;   in Loop: Header=BB656_11 Depth=1
	s_or_b32 exec_lo, exec_lo, s7
	s_delay_alu instid0(VALU_DEP_1) | instskip(SKIP_3) | instid1(VALU_DEP_4)
	v_and_b32_e32 v8, 0xffff0000, v9
	v_add_co_u32 v3, vcc_lo, v3, s8
	v_add_co_ci_u32_e32 v4, vcc_lo, s9, v4, vcc_lo
	v_add_co_u32 v5, vcc_lo, 0x200, v5
	v_add_f32_e32 v7, v7, v8
	v_add_co_ci_u32_e32 v6, vcc_lo, 0, v6, vcc_lo
	s_addk_i32 s5, 0x100
	s_delay_alu instid0(SALU_CYCLE_1)
	s_cmp_ge_i32 s5, s4
	s_cbranch_scc1 .LBB656_15
.LBB656_11:                             ; =>This Inner Loop Header: Depth=1
	global_load_u16 v8, v[3:4], off
	global_load_u16 v9, v[5:6], off
	s_waitcnt vmcnt(1)
	v_lshlrev_b32_e32 v8, 16, v8
	s_waitcnt vmcnt(0)
	v_lshlrev_b32_e32 v9, 16, v9
	s_delay_alu instid0(VALU_DEP_1) | instskip(NEXT) | instid1(VALU_DEP_1)
	v_mul_f32_e32 v8, v9, v8
	v_and_b32_e32 v9, 0x7f800000, v8
	s_delay_alu instid0(VALU_DEP_1) | instskip(SKIP_1) | instid1(SALU_CYCLE_1)
	v_cmp_ne_u32_e32 vcc_lo, 0x7f800000, v9
                                        ; implicit-def: $vgpr9
	s_and_saveexec_b32 s7, vcc_lo
	s_xor_b32 s7, exec_lo, s7
; %bb.12:                               ;   in Loop: Header=BB656_11 Depth=1
	v_bfe_u32 v9, v8, 16, 1
	s_delay_alu instid0(VALU_DEP_1)
	v_add3_u32 v9, v8, v9, 0x7fff
                                        ; implicit-def: $vgpr8
; %bb.13:                               ;   in Loop: Header=BB656_11 Depth=1
	s_and_not1_saveexec_b32 s7, s7
	s_cbranch_execz .LBB656_10
; %bb.14:                               ;   in Loop: Header=BB656_11 Depth=1
	v_and_b32_e32 v9, 0xffff, v8
	v_or_b32_e32 v10, 0x10000, v8
	s_delay_alu instid0(VALU_DEP_2) | instskip(NEXT) | instid1(VALU_DEP_2)
	v_cmp_eq_u32_e32 vcc_lo, 0, v9
	v_cndmask_b32_e32 v9, v10, v8, vcc_lo
	s_branch .LBB656_10
.LBB656_15:
	s_set_inst_prefetch_distance 0x2
	v_add_nc_u32_e32 v3, s4, v0
	s_mov_b32 s7, exec_lo
	s_delay_alu instid0(VALU_DEP_1)
	v_cmpx_gt_i32_e64 s24, v3
	s_cbranch_execz .LBB656_21
; %bb.16:
	v_mad_i64_i32 v[4:5], null, s6, v3, 0
	s_lshl_b64 s[0:1], s[0:1], 1
	s_delay_alu instid0(SALU_CYCLE_1) | instskip(SKIP_2) | instid1(SALU_CYCLE_1)
	s_add_u32 s5, s10, s0
	s_addc_u32 s6, s11, s1
	s_lshl_b64 s[0:1], s[2:3], 1
	s_add_u32 s2, s5, s0
	s_delay_alu instid0(VALU_DEP_1) | instskip(SKIP_2) | instid1(SALU_CYCLE_1)
	v_lshlrev_b64 v[3:4], 1, v[4:5]
	s_addc_u32 s3, s6, s1
	s_ashr_i32 s5, s4, 31
	s_lshl_b64 s[0:1], s[4:5], 1
	s_delay_alu instid0(VALU_DEP_1) | instskip(NEXT) | instid1(VALU_DEP_2)
	v_add_co_u32 v3, vcc_lo, s2, v3
	v_add_co_ci_u32_e32 v4, vcc_lo, s3, v4, vcc_lo
	v_add_co_u32 v1, vcc_lo, v1, s0
	v_add_co_ci_u32_e32 v2, vcc_lo, s1, v2, vcc_lo
	global_load_u16 v3, v[3:4], off
	global_load_u16 v1, v[1:2], off
	s_waitcnt vmcnt(1)
	v_lshlrev_b32_e32 v2, 16, v3
	s_waitcnt vmcnt(0)
	v_lshlrev_b32_e32 v1, 16, v1
	s_delay_alu instid0(VALU_DEP_1) | instskip(NEXT) | instid1(VALU_DEP_1)
	v_mul_f32_e32 v1, v1, v2
	v_and_b32_e32 v2, 0x7f800000, v1
	s_delay_alu instid0(VALU_DEP_1) | instskip(SKIP_1) | instid1(SALU_CYCLE_1)
	v_cmp_ne_u32_e32 vcc_lo, 0x7f800000, v2
                                        ; implicit-def: $vgpr2
	s_and_saveexec_b32 s0, vcc_lo
	s_xor_b32 s0, exec_lo, s0
; %bb.17:
	v_bfe_u32 v2, v1, 16, 1
	s_delay_alu instid0(VALU_DEP_1)
	v_add3_u32 v2, v1, v2, 0x7fff
                                        ; implicit-def: $vgpr1
; %bb.18:
	s_and_not1_saveexec_b32 s0, s0
; %bb.19:
	v_and_b32_e32 v2, 0xffff, v1
	v_or_b32_e32 v3, 0x10000, v1
	s_delay_alu instid0(VALU_DEP_2) | instskip(NEXT) | instid1(VALU_DEP_2)
	v_cmp_eq_u32_e32 vcc_lo, 0, v2
	v_cndmask_b32_e32 v2, v3, v1, vcc_lo
; %bb.20:
	s_or_b32 exec_lo, exec_lo, s0
	s_delay_alu instid0(VALU_DEP_1) | instskip(NEXT) | instid1(VALU_DEP_1)
	v_and_b32_e32 v1, 0xffff0000, v2
	v_add_f32_e32 v7, v7, v1
.LBB656_21:
	s_or_b32 exec_lo, exec_lo, s7
	v_lshlrev_b32_e32 v1, 2, v0
	s_mov_b32 s0, exec_lo
	ds_store_b32 v1, v7
	s_waitcnt lgkmcnt(0)
	s_barrier
	buffer_gl0_inv
	v_cmpx_gt_u32_e32 0x80, v0
	s_cbranch_execz .LBB656_23
; %bb.22:
	ds_load_2addr_stride64_b32 v[2:3], v1 offset1:2
	s_waitcnt lgkmcnt(0)
	v_add_f32_e32 v2, v3, v2
	ds_store_b32 v1, v2
.LBB656_23:
	s_or_b32 exec_lo, exec_lo, s0
	s_delay_alu instid0(SALU_CYCLE_1)
	s_mov_b32 s0, exec_lo
	s_waitcnt lgkmcnt(0)
	s_barrier
	buffer_gl0_inv
	v_cmpx_gt_u32_e32 64, v0
	s_cbranch_execz .LBB656_25
; %bb.24:
	ds_load_2addr_stride64_b32 v[2:3], v1 offset1:1
	s_waitcnt lgkmcnt(0)
	v_add_f32_e32 v2, v3, v2
	ds_store_b32 v1, v2
.LBB656_25:
	s_or_b32 exec_lo, exec_lo, s0
	s_delay_alu instid0(SALU_CYCLE_1)
	s_mov_b32 s0, exec_lo
	s_waitcnt lgkmcnt(0)
	s_barrier
	buffer_gl0_inv
	v_cmpx_gt_u32_e32 32, v0
	s_cbranch_execz .LBB656_27
; %bb.26:
	ds_load_2addr_b32 v[2:3], v1 offset1:32
	s_waitcnt lgkmcnt(0)
	v_add_f32_e32 v2, v3, v2
	ds_store_b32 v1, v2
.LBB656_27:
	s_or_b32 exec_lo, exec_lo, s0
	s_delay_alu instid0(SALU_CYCLE_1)
	s_mov_b32 s0, exec_lo
	s_waitcnt lgkmcnt(0)
	s_barrier
	buffer_gl0_inv
	v_cmpx_gt_u32_e32 16, v0
	s_cbranch_execz .LBB656_29
; %bb.28:
	ds_load_2addr_b32 v[2:3], v1 offset1:16
	s_waitcnt lgkmcnt(0)
	v_add_f32_e32 v2, v3, v2
	ds_store_b32 v1, v2
.LBB656_29:
	;; [unrolled: 14-line block ×5, first 2 shown]
	s_or_b32 exec_lo, exec_lo, s0
	v_cmp_eq_u32_e32 vcc_lo, 0, v0
	s_waitcnt lgkmcnt(0)
	s_barrier
	buffer_gl0_inv
	s_and_saveexec_b32 s0, vcc_lo
	s_cbranch_execz .LBB656_37
; %bb.36:
	v_mov_b32_e32 v2, 0
	ds_load_b64 v[0:1], v2
	s_waitcnt lgkmcnt(0)
	v_add_f32_e32 v0, v1, v0
	ds_store_b32 v2, v0
.LBB656_37:
	s_or_b32 exec_lo, exec_lo, s0
	s_waitcnt lgkmcnt(0)
	s_barrier
	buffer_gl0_inv
                                        ; implicit-def: $vgpr1
                                        ; implicit-def: $sgpr6_sgpr7
	s_and_saveexec_b32 s0, vcc_lo
	s_cbranch_execz .LBB656_41
; %bb.38:
	v_mov_b32_e32 v0, 0
	v_cmp_eq_f32_e64 s1, s16, 0
	s_mul_hi_i32 s7, s19, s14
	s_mul_i32 s6, s19, s14
	ds_load_b32 v0, v0
	s_and_b32 vcc_lo, exec_lo, s1
	s_waitcnt lgkmcnt(0)
	v_mul_f32_e32 v1, s18, v0
	s_cbranch_vccnz .LBB656_40
; %bb.39:
	s_lshl_b64 s[2:3], s[6:7], 2
	s_delay_alu instid0(SALU_CYCLE_1)
	s_add_u32 s2, s12, s2
	s_addc_u32 s3, s13, s3
	s_load_b32 s1, s[2:3], 0x0
	s_waitcnt lgkmcnt(0)
	v_fmac_f32_e64 v1, s16, s1
.LBB656_40:
	s_or_b32 s17, s17, exec_lo
.LBB656_41:
	s_or_b32 exec_lo, exec_lo, s0
.LBB656_42:
	s_and_saveexec_b32 s0, s17
	s_cbranch_execz .LBB656_44
; %bb.43:
	s_lshl_b64 s[0:1], s[6:7], 2
	v_mov_b32_e32 v0, 0
	s_add_u32 s0, s12, s0
	s_addc_u32 s1, s13, s1
	global_store_b32 v0, v1, s[0:1]
.LBB656_44:
	s_nop 0
	s_sendmsg sendmsg(MSG_DEALLOC_VGPRS)
	s_endpgm
	.section	.rodata,"a",@progbits
	.p2align	6, 0x0
	.amdhsa_kernel _ZL20rocblas_gemvt_kernelILb1ELi256E16rocblas_bfloat16PKffEviiT2_lPKT1_lilS6_lilS3_lPT3_lili
		.amdhsa_group_segment_fixed_size 1024
		.amdhsa_private_segment_fixed_size 0
		.amdhsa_kernarg_size 140
		.amdhsa_user_sgpr_count 14
		.amdhsa_user_sgpr_dispatch_ptr 0
		.amdhsa_user_sgpr_queue_ptr 0
		.amdhsa_user_sgpr_kernarg_segment_ptr 1
		.amdhsa_user_sgpr_dispatch_id 0
		.amdhsa_user_sgpr_private_segment_size 0
		.amdhsa_wavefront_size32 1
		.amdhsa_uses_dynamic_stack 0
		.amdhsa_enable_private_segment 0
		.amdhsa_system_sgpr_workgroup_id_x 1
		.amdhsa_system_sgpr_workgroup_id_y 0
		.amdhsa_system_sgpr_workgroup_id_z 1
		.amdhsa_system_sgpr_workgroup_info 0
		.amdhsa_system_vgpr_workitem_id 0
		.amdhsa_next_free_vgpr 11
		.amdhsa_next_free_sgpr 28
		.amdhsa_reserve_vcc 1
		.amdhsa_float_round_mode_32 0
		.amdhsa_float_round_mode_16_64 0
		.amdhsa_float_denorm_mode_32 3
		.amdhsa_float_denorm_mode_16_64 3
		.amdhsa_dx10_clamp 1
		.amdhsa_ieee_mode 1
		.amdhsa_fp16_overflow 0
		.amdhsa_workgroup_processor_mode 1
		.amdhsa_memory_ordered 1
		.amdhsa_forward_progress 0
		.amdhsa_shared_vgpr_count 0
		.amdhsa_exception_fp_ieee_invalid_op 0
		.amdhsa_exception_fp_denorm_src 0
		.amdhsa_exception_fp_ieee_div_zero 0
		.amdhsa_exception_fp_ieee_overflow 0
		.amdhsa_exception_fp_ieee_underflow 0
		.amdhsa_exception_fp_ieee_inexact 0
		.amdhsa_exception_int_div_zero 0
	.end_amdhsa_kernel
	.section	.text._ZL20rocblas_gemvt_kernelILb1ELi256E16rocblas_bfloat16PKffEviiT2_lPKT1_lilS6_lilS3_lPT3_lili,"axG",@progbits,_ZL20rocblas_gemvt_kernelILb1ELi256E16rocblas_bfloat16PKffEviiT2_lPKT1_lilS6_lilS3_lPT3_lili,comdat
.Lfunc_end656:
	.size	_ZL20rocblas_gemvt_kernelILb1ELi256E16rocblas_bfloat16PKffEviiT2_lPKT1_lilS6_lilS3_lPT3_lili, .Lfunc_end656-_ZL20rocblas_gemvt_kernelILb1ELi256E16rocblas_bfloat16PKffEviiT2_lPKT1_lilS6_lilS3_lPT3_lili
                                        ; -- End function
	.section	.AMDGPU.csdata,"",@progbits
; Kernel info:
; codeLenInByte = 1748
; NumSgprs: 30
; NumVgprs: 11
; ScratchSize: 0
; MemoryBound: 0
; FloatMode: 240
; IeeeMode: 1
; LDSByteSize: 1024 bytes/workgroup (compile time only)
; SGPRBlocks: 3
; VGPRBlocks: 1
; NumSGPRsForWavesPerEU: 30
; NumVGPRsForWavesPerEU: 11
; Occupancy: 16
; WaveLimiterHint : 1
; COMPUTE_PGM_RSRC2:SCRATCH_EN: 0
; COMPUTE_PGM_RSRC2:USER_SGPR: 14
; COMPUTE_PGM_RSRC2:TRAP_HANDLER: 0
; COMPUTE_PGM_RSRC2:TGID_X_EN: 1
; COMPUTE_PGM_RSRC2:TGID_Y_EN: 0
; COMPUTE_PGM_RSRC2:TGID_Z_EN: 1
; COMPUTE_PGM_RSRC2:TIDIG_COMP_CNT: 0
	.section	.text._ZL20rocblas_gemvt_kernelILb1ELi256E16rocblas_bfloat16ffEviiT2_lPKT1_lilS4_lilS1_lPT3_lili,"axG",@progbits,_ZL20rocblas_gemvt_kernelILb1ELi256E16rocblas_bfloat16ffEviiT2_lPKT1_lilS4_lilS1_lPT3_lili,comdat
	.globl	_ZL20rocblas_gemvt_kernelILb1ELi256E16rocblas_bfloat16ffEviiT2_lPKT1_lilS4_lilS1_lPT3_lili ; -- Begin function _ZL20rocblas_gemvt_kernelILb1ELi256E16rocblas_bfloat16ffEviiT2_lPKT1_lilS4_lilS1_lPT3_lili
	.p2align	8
	.type	_ZL20rocblas_gemvt_kernelILb1ELi256E16rocblas_bfloat16ffEviiT2_lPKT1_lilS4_lilS1_lPT3_lili,@function
_ZL20rocblas_gemvt_kernelILb1ELi256E16rocblas_bfloat16ffEviiT2_lPKT1_lilS4_lilS1_lPT3_lili: ; @_ZL20rocblas_gemvt_kernelILb1ELi256E16rocblas_bfloat16ffEviiT2_lPKT1_lilS4_lilS1_lPT3_lili
; %bb.0:
	s_clause 0x1
	s_load_b32 s18, s[0:1], 0x8
	s_load_b32 s16, s[0:1], 0x58
	s_mov_b32 s17, 0
	s_waitcnt lgkmcnt(0)
	v_cmp_eq_f32_e64 s2, s18, 0
	v_cmp_eq_f32_e64 s3, s16, 1.0
	s_delay_alu instid0(VALU_DEP_1) | instskip(NEXT) | instid1(SALU_CYCLE_1)
	s_and_b32 s2, s2, s3
	s_and_b32 vcc_lo, exec_lo, s2
	s_cbranch_vccnz .LBB657_44
; %bb.1:
	s_clause 0x2
	s_load_b64 s[2:3], s[0:1], 0x80
	s_load_b128 s[4:7], s[0:1], 0x68
	s_load_b32 s19, s[0:1], 0x78
	s_waitcnt lgkmcnt(0)
	s_mul_i32 s3, s15, s3
	s_mul_hi_u32 s8, s15, s2
	s_mul_i32 s2, s15, s2
	s_add_i32 s3, s8, s3
	v_cmp_neq_f32_e64 s8, s18, 0
	s_lshl_b64 s[2:3], s[2:3], 2
	s_delay_alu instid0(SALU_CYCLE_1) | instskip(SKIP_2) | instid1(SALU_CYCLE_1)
	s_add_u32 s4, s4, s2
	s_addc_u32 s5, s5, s3
	s_lshl_b64 s[2:3], s[6:7], 2
	s_add_u32 s12, s4, s2
	v_cmp_eq_u32_e64 s2, 0, v0
	s_addc_u32 s13, s5, s3
	s_and_b32 vcc_lo, exec_lo, s8
	s_cbranch_vccnz .LBB657_6
; %bb.2:
	s_mov_b32 s3, 0
                                        ; implicit-def: $vgpr1
                                        ; implicit-def: $sgpr4_sgpr5
	s_and_saveexec_b32 s6, s2
	s_cbranch_execz .LBB657_7
; %bb.3:
	v_cmp_eq_f32_e64 s2, s16, 0
	v_mov_b32_e32 v1, 0
	s_mul_hi_i32 s5, s19, s14
	s_mul_i32 s4, s19, s14
	s_delay_alu instid0(VALU_DEP_2)
	s_and_b32 vcc_lo, exec_lo, s2
	s_cbranch_vccnz .LBB657_5
; %bb.4:
	s_lshl_b64 s[8:9], s[4:5], 2
	s_delay_alu instid0(SALU_CYCLE_1)
	s_add_u32 s8, s12, s8
	s_addc_u32 s9, s13, s9
	s_load_b32 s2, s[8:9], 0x0
	s_waitcnt lgkmcnt(0)
	v_mul_f32_e64 v1, s2, s16
.LBB657_5:
	s_mov_b32 s17, exec_lo
	s_or_b32 exec_lo, exec_lo, s6
	s_delay_alu instid0(SALU_CYCLE_1)
	s_and_b32 vcc_lo, exec_lo, s3
	s_cbranch_vccnz .LBB657_8
	s_branch .LBB657_42
.LBB657_6:
                                        ; implicit-def: $vgpr1
                                        ; implicit-def: $sgpr4_sgpr5
	s_cbranch_execnz .LBB657_8
	s_branch .LBB657_42
.LBB657_7:
	s_or_b32 exec_lo, exec_lo, s6
	s_delay_alu instid0(SALU_CYCLE_1)
	s_and_b32 vcc_lo, exec_lo, s3
	s_cbranch_vccz .LBB657_42
.LBB657_8:
	s_clause 0x6
	s_load_b64 s[10:11], s[0:1], 0x50
	s_load_b128 s[4:7], s[0:1], 0x30
	s_load_b32 s9, s[0:1], 0x0
	s_load_b32 s8, s[0:1], 0x28
	s_load_b128 s[20:23], s[0:1], 0x18
	s_load_b64 s[2:3], s[0:1], 0x40
	s_load_b32 s0, s[0:1], 0x48
	v_mov_b32_e32 v7, 0
	s_waitcnt lgkmcnt(0)
	s_mul_i32 s1, s15, s11
	s_mul_i32 s5, s15, s5
	s_mul_hi_u32 s24, s15, s4
	v_cmp_gt_i32_e32 vcc_lo, s9, v0
	s_mul_i32 s4, s15, s4
	s_add_i32 s5, s24, s5
	s_mul_hi_u32 s11, s15, s10
	s_lshl_b64 s[26:27], s[4:5], 1
	v_cndmask_b32_e32 v1, 0, v0, vcc_lo
	s_add_i32 s5, s11, s1
	s_add_u32 s1, s20, s26
	s_addc_u32 s4, s21, s27
	s_lshl_b64 s[20:21], s[22:23], 1
	s_mul_hi_i32 s25, s8, s14
	s_mul_i32 s24, s8, s14
	s_add_u32 s1, s1, s20
	s_addc_u32 s4, s4, s21
	s_lshl_b64 s[20:21], s[24:25], 1
	v_lshlrev_b32_e32 v1, 1, v1
	s_add_u32 s1, s20, s1
	s_addc_u32 s8, s21, s4
	s_ashr_i32 s4, s9, 31
	s_delay_alu instid0(SALU_CYCLE_1)
	s_lshr_b32 s11, s4, 24
	v_add_co_u32 v1, s1, s1, v1
	s_mul_i32 s4, s15, s10
	s_add_i32 s10, s9, s11
	v_add_co_ci_u32_e64 v2, null, s8, 0, s1
	s_and_b32 s8, s10, 0xffffff00
	s_cmpk_lt_i32 s9, 0x100
	s_mov_b32 s15, 0
	s_cbranch_scc1 .LBB657_15
; %bb.9:
	v_mad_i64_i32 v[3:4], null, s0, v0, 0
	s_lshl_b64 s[20:21], s[2:3], 1
	s_ashr_i32 s1, s0, 31
	s_lshl_b64 s[10:11], s[4:5], 1
	s_add_u32 s20, s6, s20
	s_addc_u32 s21, s7, s21
	s_add_u32 s10, s20, s10
	s_delay_alu instid0(VALU_DEP_1) | instskip(SKIP_3) | instid1(VALU_DEP_3)
	v_lshlrev_b64 v[3:4], 1, v[3:4]
	s_addc_u32 s11, s21, s11
	v_dual_mov_b32 v7, 0 :: v_dual_mov_b32 v6, v2
	v_mov_b32_e32 v5, v1
	v_add_co_u32 v3, vcc_lo, s10, v3
	s_delay_alu instid0(VALU_DEP_4)
	v_add_co_ci_u32_e32 v4, vcc_lo, s11, v4, vcc_lo
	s_lshl_b64 s[10:11], s[0:1], 9
	s_set_inst_prefetch_distance 0x1
	s_branch .LBB657_11
	.p2align	6
.LBB657_10:                             ;   in Loop: Header=BB657_11 Depth=1
	s_or_b32 exec_lo, exec_lo, s1
	s_delay_alu instid0(VALU_DEP_1) | instskip(SKIP_3) | instid1(VALU_DEP_4)
	v_and_b32_e32 v8, 0xffff0000, v9
	v_add_co_u32 v3, vcc_lo, v3, s10
	v_add_co_ci_u32_e32 v4, vcc_lo, s11, v4, vcc_lo
	v_add_co_u32 v5, vcc_lo, 0x200, v5
	v_add_f32_e32 v7, v7, v8
	v_add_co_ci_u32_e32 v6, vcc_lo, 0, v6, vcc_lo
	s_addk_i32 s15, 0x100
	s_delay_alu instid0(SALU_CYCLE_1)
	s_cmp_ge_i32 s15, s8
	s_cbranch_scc1 .LBB657_15
.LBB657_11:                             ; =>This Inner Loop Header: Depth=1
	global_load_u16 v8, v[3:4], off
	global_load_u16 v9, v[5:6], off
	s_waitcnt vmcnt(1)
	v_lshlrev_b32_e32 v8, 16, v8
	s_waitcnt vmcnt(0)
	v_lshlrev_b32_e32 v9, 16, v9
	s_delay_alu instid0(VALU_DEP_1) | instskip(NEXT) | instid1(VALU_DEP_1)
	v_mul_f32_e32 v8, v9, v8
	v_and_b32_e32 v9, 0x7f800000, v8
	s_delay_alu instid0(VALU_DEP_1) | instskip(SKIP_1) | instid1(SALU_CYCLE_1)
	v_cmp_ne_u32_e32 vcc_lo, 0x7f800000, v9
                                        ; implicit-def: $vgpr9
	s_and_saveexec_b32 s1, vcc_lo
	s_xor_b32 s1, exec_lo, s1
; %bb.12:                               ;   in Loop: Header=BB657_11 Depth=1
	v_bfe_u32 v9, v8, 16, 1
	s_delay_alu instid0(VALU_DEP_1)
	v_add3_u32 v9, v8, v9, 0x7fff
                                        ; implicit-def: $vgpr8
; %bb.13:                               ;   in Loop: Header=BB657_11 Depth=1
	s_and_not1_saveexec_b32 s1, s1
	s_cbranch_execz .LBB657_10
; %bb.14:                               ;   in Loop: Header=BB657_11 Depth=1
	v_and_b32_e32 v9, 0xffff, v8
	v_or_b32_e32 v10, 0x10000, v8
	s_delay_alu instid0(VALU_DEP_2) | instskip(NEXT) | instid1(VALU_DEP_2)
	v_cmp_eq_u32_e32 vcc_lo, 0, v9
	v_cndmask_b32_e32 v9, v10, v8, vcc_lo
	s_branch .LBB657_10
.LBB657_15:
	s_set_inst_prefetch_distance 0x2
	v_add_nc_u32_e32 v3, s8, v0
	s_mov_b32 s1, exec_lo
	s_delay_alu instid0(VALU_DEP_1)
	v_cmpx_gt_i32_e64 s9, v3
	s_cbranch_execz .LBB657_21
; %bb.16:
	v_mad_i64_i32 v[4:5], null, s0, v3, 0
	s_lshl_b64 s[4:5], s[4:5], 1
	s_delay_alu instid0(SALU_CYCLE_1) | instskip(SKIP_2) | instid1(SALU_CYCLE_1)
	s_add_u32 s0, s6, s4
	s_addc_u32 s4, s7, s5
	s_lshl_b64 s[2:3], s[2:3], 1
	s_add_u32 s0, s0, s2
	s_delay_alu instid0(VALU_DEP_1) | instskip(SKIP_2) | instid1(SALU_CYCLE_1)
	v_lshlrev_b64 v[3:4], 1, v[4:5]
	s_addc_u32 s4, s4, s3
	s_ashr_i32 s9, s8, 31
	s_lshl_b64 s[2:3], s[8:9], 1
	s_delay_alu instid0(VALU_DEP_1) | instskip(NEXT) | instid1(VALU_DEP_2)
	v_add_co_u32 v3, vcc_lo, s0, v3
	v_add_co_ci_u32_e32 v4, vcc_lo, s4, v4, vcc_lo
	v_add_co_u32 v1, vcc_lo, v1, s2
	v_add_co_ci_u32_e32 v2, vcc_lo, s3, v2, vcc_lo
	global_load_u16 v3, v[3:4], off
	global_load_u16 v1, v[1:2], off
	s_waitcnt vmcnt(1)
	v_lshlrev_b32_e32 v2, 16, v3
	s_waitcnt vmcnt(0)
	v_lshlrev_b32_e32 v1, 16, v1
	s_delay_alu instid0(VALU_DEP_1) | instskip(NEXT) | instid1(VALU_DEP_1)
	v_mul_f32_e32 v1, v1, v2
	v_and_b32_e32 v2, 0x7f800000, v1
	s_delay_alu instid0(VALU_DEP_1) | instskip(SKIP_1) | instid1(SALU_CYCLE_1)
	v_cmp_ne_u32_e32 vcc_lo, 0x7f800000, v2
                                        ; implicit-def: $vgpr2
	s_and_saveexec_b32 s0, vcc_lo
	s_xor_b32 s0, exec_lo, s0
; %bb.17:
	v_bfe_u32 v2, v1, 16, 1
	s_delay_alu instid0(VALU_DEP_1)
	v_add3_u32 v2, v1, v2, 0x7fff
                                        ; implicit-def: $vgpr1
; %bb.18:
	s_and_not1_saveexec_b32 s0, s0
; %bb.19:
	v_and_b32_e32 v2, 0xffff, v1
	v_or_b32_e32 v3, 0x10000, v1
	s_delay_alu instid0(VALU_DEP_2) | instskip(NEXT) | instid1(VALU_DEP_2)
	v_cmp_eq_u32_e32 vcc_lo, 0, v2
	v_cndmask_b32_e32 v2, v3, v1, vcc_lo
; %bb.20:
	s_or_b32 exec_lo, exec_lo, s0
	s_delay_alu instid0(VALU_DEP_1) | instskip(NEXT) | instid1(VALU_DEP_1)
	v_and_b32_e32 v1, 0xffff0000, v2
	v_add_f32_e32 v7, v7, v1
.LBB657_21:
	s_or_b32 exec_lo, exec_lo, s1
	v_lshlrev_b32_e32 v1, 2, v0
	s_mov_b32 s0, exec_lo
	ds_store_b32 v1, v7
	s_waitcnt lgkmcnt(0)
	s_barrier
	buffer_gl0_inv
	v_cmpx_gt_u32_e32 0x80, v0
	s_cbranch_execz .LBB657_23
; %bb.22:
	ds_load_2addr_stride64_b32 v[2:3], v1 offset1:2
	s_waitcnt lgkmcnt(0)
	v_add_f32_e32 v2, v3, v2
	ds_store_b32 v1, v2
.LBB657_23:
	s_or_b32 exec_lo, exec_lo, s0
	s_delay_alu instid0(SALU_CYCLE_1)
	s_mov_b32 s0, exec_lo
	s_waitcnt lgkmcnt(0)
	s_barrier
	buffer_gl0_inv
	v_cmpx_gt_u32_e32 64, v0
	s_cbranch_execz .LBB657_25
; %bb.24:
	ds_load_2addr_stride64_b32 v[2:3], v1 offset1:1
	s_waitcnt lgkmcnt(0)
	v_add_f32_e32 v2, v3, v2
	ds_store_b32 v1, v2
.LBB657_25:
	s_or_b32 exec_lo, exec_lo, s0
	s_delay_alu instid0(SALU_CYCLE_1)
	s_mov_b32 s0, exec_lo
	s_waitcnt lgkmcnt(0)
	s_barrier
	buffer_gl0_inv
	v_cmpx_gt_u32_e32 32, v0
	s_cbranch_execz .LBB657_27
; %bb.26:
	ds_load_2addr_b32 v[2:3], v1 offset1:32
	s_waitcnt lgkmcnt(0)
	v_add_f32_e32 v2, v3, v2
	ds_store_b32 v1, v2
.LBB657_27:
	s_or_b32 exec_lo, exec_lo, s0
	s_delay_alu instid0(SALU_CYCLE_1)
	s_mov_b32 s0, exec_lo
	s_waitcnt lgkmcnt(0)
	s_barrier
	buffer_gl0_inv
	v_cmpx_gt_u32_e32 16, v0
	s_cbranch_execz .LBB657_29
; %bb.28:
	ds_load_2addr_b32 v[2:3], v1 offset1:16
	s_waitcnt lgkmcnt(0)
	v_add_f32_e32 v2, v3, v2
	ds_store_b32 v1, v2
.LBB657_29:
	;; [unrolled: 14-line block ×5, first 2 shown]
	s_or_b32 exec_lo, exec_lo, s0
	v_cmp_eq_u32_e32 vcc_lo, 0, v0
	s_waitcnt lgkmcnt(0)
	s_barrier
	buffer_gl0_inv
	s_and_saveexec_b32 s0, vcc_lo
	s_cbranch_execz .LBB657_37
; %bb.36:
	v_mov_b32_e32 v2, 0
	ds_load_b64 v[0:1], v2
	s_waitcnt lgkmcnt(0)
	v_add_f32_e32 v0, v1, v0
	ds_store_b32 v2, v0
.LBB657_37:
	s_or_b32 exec_lo, exec_lo, s0
	s_waitcnt lgkmcnt(0)
	s_barrier
	buffer_gl0_inv
                                        ; implicit-def: $vgpr1
                                        ; implicit-def: $sgpr4_sgpr5
	s_and_saveexec_b32 s0, vcc_lo
	s_cbranch_execz .LBB657_41
; %bb.38:
	v_mov_b32_e32 v0, 0
	v_cmp_eq_f32_e64 s1, s16, 0
	s_mul_hi_i32 s5, s19, s14
	s_mul_i32 s4, s19, s14
	ds_load_b32 v0, v0
	s_and_b32 vcc_lo, exec_lo, s1
	s_waitcnt lgkmcnt(0)
	v_mul_f32_e32 v1, s18, v0
	s_cbranch_vccnz .LBB657_40
; %bb.39:
	s_lshl_b64 s[2:3], s[4:5], 2
	s_delay_alu instid0(SALU_CYCLE_1)
	s_add_u32 s2, s12, s2
	s_addc_u32 s3, s13, s3
	s_load_b32 s1, s[2:3], 0x0
	s_waitcnt lgkmcnt(0)
	v_fmac_f32_e64 v1, s1, s16
.LBB657_40:
	s_or_b32 s17, s17, exec_lo
.LBB657_41:
	s_or_b32 exec_lo, exec_lo, s0
.LBB657_42:
	s_and_saveexec_b32 s0, s17
	s_cbranch_execz .LBB657_44
; %bb.43:
	s_lshl_b64 s[0:1], s[4:5], 2
	v_mov_b32_e32 v0, 0
	s_add_u32 s0, s12, s0
	s_addc_u32 s1, s13, s1
	global_store_b32 v0, v1, s[0:1]
.LBB657_44:
	s_nop 0
	s_sendmsg sendmsg(MSG_DEALLOC_VGPRS)
	s_endpgm
	.section	.rodata,"a",@progbits
	.p2align	6, 0x0
	.amdhsa_kernel _ZL20rocblas_gemvt_kernelILb1ELi256E16rocblas_bfloat16ffEviiT2_lPKT1_lilS4_lilS1_lPT3_lili
		.amdhsa_group_segment_fixed_size 1024
		.amdhsa_private_segment_fixed_size 0
		.amdhsa_kernarg_size 140
		.amdhsa_user_sgpr_count 14
		.amdhsa_user_sgpr_dispatch_ptr 0
		.amdhsa_user_sgpr_queue_ptr 0
		.amdhsa_user_sgpr_kernarg_segment_ptr 1
		.amdhsa_user_sgpr_dispatch_id 0
		.amdhsa_user_sgpr_private_segment_size 0
		.amdhsa_wavefront_size32 1
		.amdhsa_uses_dynamic_stack 0
		.amdhsa_enable_private_segment 0
		.amdhsa_system_sgpr_workgroup_id_x 1
		.amdhsa_system_sgpr_workgroup_id_y 0
		.amdhsa_system_sgpr_workgroup_id_z 1
		.amdhsa_system_sgpr_workgroup_info 0
		.amdhsa_system_vgpr_workitem_id 0
		.amdhsa_next_free_vgpr 11
		.amdhsa_next_free_sgpr 28
		.amdhsa_reserve_vcc 1
		.amdhsa_float_round_mode_32 0
		.amdhsa_float_round_mode_16_64 0
		.amdhsa_float_denorm_mode_32 3
		.amdhsa_float_denorm_mode_16_64 3
		.amdhsa_dx10_clamp 1
		.amdhsa_ieee_mode 1
		.amdhsa_fp16_overflow 0
		.amdhsa_workgroup_processor_mode 1
		.amdhsa_memory_ordered 1
		.amdhsa_forward_progress 0
		.amdhsa_shared_vgpr_count 0
		.amdhsa_exception_fp_ieee_invalid_op 0
		.amdhsa_exception_fp_denorm_src 0
		.amdhsa_exception_fp_ieee_div_zero 0
		.amdhsa_exception_fp_ieee_overflow 0
		.amdhsa_exception_fp_ieee_underflow 0
		.amdhsa_exception_fp_ieee_inexact 0
		.amdhsa_exception_int_div_zero 0
	.end_amdhsa_kernel
	.section	.text._ZL20rocblas_gemvt_kernelILb1ELi256E16rocblas_bfloat16ffEviiT2_lPKT1_lilS4_lilS1_lPT3_lili,"axG",@progbits,_ZL20rocblas_gemvt_kernelILb1ELi256E16rocblas_bfloat16ffEviiT2_lPKT1_lilS4_lilS1_lPT3_lili,comdat
.Lfunc_end657:
	.size	_ZL20rocblas_gemvt_kernelILb1ELi256E16rocblas_bfloat16ffEviiT2_lPKT1_lilS4_lilS1_lPT3_lili, .Lfunc_end657-_ZL20rocblas_gemvt_kernelILb1ELi256E16rocblas_bfloat16ffEviiT2_lPKT1_lilS4_lilS1_lPT3_lili
                                        ; -- End function
	.section	.AMDGPU.csdata,"",@progbits
; Kernel info:
; codeLenInByte = 1688
; NumSgprs: 30
; NumVgprs: 11
; ScratchSize: 0
; MemoryBound: 0
; FloatMode: 240
; IeeeMode: 1
; LDSByteSize: 1024 bytes/workgroup (compile time only)
; SGPRBlocks: 3
; VGPRBlocks: 1
; NumSGPRsForWavesPerEU: 30
; NumVGPRsForWavesPerEU: 11
; Occupancy: 16
; WaveLimiterHint : 1
; COMPUTE_PGM_RSRC2:SCRATCH_EN: 0
; COMPUTE_PGM_RSRC2:USER_SGPR: 14
; COMPUTE_PGM_RSRC2:TRAP_HANDLER: 0
; COMPUTE_PGM_RSRC2:TGID_X_EN: 1
; COMPUTE_PGM_RSRC2:TGID_Y_EN: 0
; COMPUTE_PGM_RSRC2:TGID_Z_EN: 1
; COMPUTE_PGM_RSRC2:TIDIG_COMP_CNT: 0
	.section	.text._ZL32rocblas_gemvt_warp_reduce_kernelILb1ELi1024Ei16rocblas_bfloat16PKffEviiT3_lPKT2_lT1_lS6_lS7_lS3_lPT4_lS7_li,"axG",@progbits,_ZL32rocblas_gemvt_warp_reduce_kernelILb1ELi1024Ei16rocblas_bfloat16PKffEviiT3_lPKT2_lT1_lS6_lS7_lS3_lPT4_lS7_li,comdat
	.globl	_ZL32rocblas_gemvt_warp_reduce_kernelILb1ELi1024Ei16rocblas_bfloat16PKffEviiT3_lPKT2_lT1_lS6_lS7_lS3_lPT4_lS7_li ; -- Begin function _ZL32rocblas_gemvt_warp_reduce_kernelILb1ELi1024Ei16rocblas_bfloat16PKffEviiT3_lPKT2_lT1_lS6_lS7_lS3_lPT4_lS7_li
	.p2align	8
	.type	_ZL32rocblas_gemvt_warp_reduce_kernelILb1ELi1024Ei16rocblas_bfloat16PKffEviiT3_lPKT2_lT1_lS6_lS7_lS3_lPT4_lS7_li,@function
_ZL32rocblas_gemvt_warp_reduce_kernelILb1ELi1024Ei16rocblas_bfloat16PKffEviiT3_lPKT2_lT1_lS6_lS7_lS3_lPT4_lS7_li: ; @_ZL32rocblas_gemvt_warp_reduce_kernelILb1ELi1024Ei16rocblas_bfloat16PKffEviiT3_lPKT2_lT1_lS6_lS7_lS3_lPT4_lS7_li
; %bb.0:
	s_clause 0x1
	s_load_b256 s[4:11], s[0:1], 0x8
	s_load_b256 s[16:23], s[0:1], 0x50
	s_mov_b32 s13, 0
	s_waitcnt lgkmcnt(0)
	s_mul_i32 s3, s15, s7
	s_mul_hi_u32 s7, s15, s6
	s_mul_i32 s2, s15, s6
	s_add_i32 s3, s7, s3
	s_mul_i32 s6, s15, s21
	s_lshl_b64 s[2:3], s[2:3], 2
	s_mul_hi_u32 s7, s15, s20
	s_add_u32 s2, s4, s2
	s_addc_u32 s3, s5, s3
	s_add_i32 s5, s7, s6
	s_mul_i32 s4, s15, s20
	s_delay_alu instid0(SALU_CYCLE_1) | instskip(NEXT) | instid1(SALU_CYCLE_1)
	s_lshl_b64 s[4:5], s[4:5], 2
	s_add_u32 s4, s18, s4
	s_addc_u32 s5, s19, s5
	s_load_b32 s18, s[2:3], 0x0
	s_load_b32 s12, s[4:5], 0x0
	s_waitcnt lgkmcnt(0)
	v_cmp_eq_f32_e64 s2, s18, 0
	v_cmp_eq_f32_e64 s3, s12, 1.0
	s_delay_alu instid0(VALU_DEP_1) | instskip(NEXT) | instid1(SALU_CYCLE_1)
	s_and_b32 s2, s2, s3
	s_and_b32 vcc_lo, exec_lo, s2
	s_cbranch_vccnz .LBB658_37
; %bb.1:
	s_clause 0x2
	s_load_b64 s[2:3], s[0:1], 0x80
	s_load_b64 s[4:5], s[0:1], 0x70
	s_load_b32 s19, s[0:1], 0x78
	v_cmp_neq_f32_e64 s20, s18, 0
	s_waitcnt lgkmcnt(0)
	s_mul_i32 s3, s15, s3
	s_mul_hi_u32 s6, s15, s2
	s_mul_i32 s2, s15, s2
	s_add_i32 s3, s6, s3
	s_delay_alu instid0(SALU_CYCLE_1) | instskip(NEXT) | instid1(SALU_CYCLE_1)
	s_lshl_b64 s[2:3], s[2:3], 2
	s_add_u32 s6, s22, s2
	s_addc_u32 s7, s23, s3
	s_lshl_b64 s[2:3], s[4:5], 2
	s_delay_alu instid0(SALU_CYCLE_1)
	s_add_u32 s6, s6, s2
	v_cmp_eq_u32_e64 s2, 0, v0
	s_addc_u32 s7, s7, s3
	s_and_b32 vcc_lo, exec_lo, s20
	s_cbranch_vccnz .LBB658_6
; %bb.2:
	s_mov_b32 s3, 0
                                        ; implicit-def: $vgpr1
                                        ; implicit-def: $sgpr4_sgpr5
	s_and_saveexec_b32 s20, s2
	s_cbranch_execz .LBB658_7
; %bb.3:
	v_cmp_eq_f32_e64 s2, s12, 0
	v_mov_b32_e32 v1, 0
	s_mul_i32 s4, s14, s19
	s_delay_alu instid0(SALU_CYCLE_1) | instskip(NEXT) | instid1(VALU_DEP_2)
	s_ashr_i32 s5, s4, 31
	s_and_b32 vcc_lo, exec_lo, s2
	s_cbranch_vccnz .LBB658_5
; %bb.4:
	s_lshl_b64 s[22:23], s[4:5], 2
	s_delay_alu instid0(SALU_CYCLE_1)
	s_add_u32 s22, s6, s22
	s_addc_u32 s23, s7, s23
	s_load_b32 s2, s[22:23], 0x0
	s_waitcnt lgkmcnt(0)
	v_mul_f32_e64 v1, s12, s2
.LBB658_5:
	s_mov_b32 s13, exec_lo
	s_or_b32 exec_lo, exec_lo, s20
	s_delay_alu instid0(SALU_CYCLE_1)
	s_and_b32 vcc_lo, exec_lo, s3
	s_cbranch_vccnz .LBB658_8
	s_branch .LBB658_35
.LBB658_6:
                                        ; implicit-def: $vgpr1
                                        ; implicit-def: $sgpr4_sgpr5
	s_cbranch_execnz .LBB658_8
	s_branch .LBB658_35
.LBB658_7:
	s_or_b32 exec_lo, exec_lo, s20
	s_delay_alu instid0(SALU_CYCLE_1)
	s_and_b32 vcc_lo, exec_lo, s3
	s_cbranch_vccz .LBB658_35
.LBB658_8:
	s_mul_i32 s3, s15, s17
	s_mul_hi_u32 s17, s15, s16
	s_mul_i32 s2, s15, s16
	s_add_i32 s3, s17, s3
	s_clause 0x2
	s_load_b128 s[20:23], s[0:1], 0x30
	s_load_b64 s[4:5], s[0:1], 0x40
	s_load_b32 s24, s[0:1], 0x28
	s_lshl_b64 s[16:17], s[2:3], 1
	s_clause 0x1
	s_load_b32 s3, s[0:1], 0x0
	s_load_b32 s1, s[0:1], 0x48
	v_mov_b32_e32 v7, 0
	s_waitcnt lgkmcnt(0)
	s_add_u32 s2, s22, s16
	s_addc_u32 s17, s23, s17
	s_lshl_b64 s[4:5], s[4:5], 1
	s_mul_i32 s21, s15, s21
	s_mul_hi_u32 s22, s15, s20
	s_add_u32 s4, s2, s4
	v_cmp_gt_i32_e32 vcc_lo, s3, v0
	s_mul_i32 s16, s15, s20
	s_addc_u32 s5, s17, s5
	s_add_i32 s17, s22, s21
	s_delay_alu instid0(SALU_CYCLE_1)
	s_lshl_b64 s[16:17], s[16:17], 1
	v_cndmask_b32_e32 v1, 0, v0, vcc_lo
	s_add_u32 s2, s8, s16
	s_addc_u32 s15, s9, s17
	s_lshl_b64 s[8:9], s[10:11], 1
	s_mul_i32 s10, s14, s24
	s_add_u32 s2, s2, s8
	s_addc_u32 s15, s15, s9
	s_ashr_i32 s11, s10, 31
	v_lshlrev_b32_e32 v1, 1, v1
	s_lshl_b64 s[8:9], s[10:11], 1
	s_delay_alu instid0(SALU_CYCLE_1)
	s_add_u32 s0, s8, s2
	s_addc_u32 s8, s9, s15
	s_ashr_i32 s2, s3, 31
	v_add_co_u32 v1, s0, s0, v1
	s_lshr_b32 s2, s2, 22
	v_add_co_ci_u32_e64 v2, null, s8, 0, s0
	s_add_i32 s2, s3, s2
	s_mov_b32 s9, 0
	s_and_b32 s2, s2, 0xfffffc00
	s_mov_b32 s8, exec_lo
	v_cmpx_gt_i32_e64 s2, v0
	s_cbranch_execz .LBB658_16
; %bb.9:
	v_mul_lo_u32 v3, v0, s1
	v_dual_mov_b32 v7, 0 :: v_dual_mov_b32 v6, v2
	v_dual_mov_b32 v5, v1 :: v_dual_mov_b32 v8, v0
	s_lshl_b32 s10, s1, 10
	s_branch .LBB658_11
.LBB658_10:                             ;   in Loop: Header=BB658_11 Depth=1
	s_or_b32 exec_lo, exec_lo, s0
	v_add_nc_u32_e32 v8, 0x400, v8
	s_delay_alu instid0(VALU_DEP_2) | instskip(SKIP_2) | instid1(VALU_DEP_4)
	v_and_b32_e32 v4, 0xffff0000, v9
	v_add_co_u32 v5, s0, 0x800, v5
	v_add_nc_u32_e32 v3, s10, v3
	v_cmp_le_i32_e32 vcc_lo, s2, v8
	s_delay_alu instid0(VALU_DEP_4) | instskip(SKIP_2) | instid1(SALU_CYCLE_1)
	v_add_f32_e32 v7, v7, v4
	v_add_co_ci_u32_e64 v6, s0, 0, v6, s0
	s_or_b32 s9, vcc_lo, s9
	s_and_not1_b32 exec_lo, exec_lo, s9
	s_cbranch_execz .LBB658_15
.LBB658_11:                             ; =>This Inner Loop Header: Depth=1
	s_delay_alu instid0(VALU_DEP_3) | instskip(NEXT) | instid1(VALU_DEP_1)
	v_ashrrev_i32_e32 v4, 31, v3
	v_lshlrev_b64 v[9:10], 1, v[3:4]
	s_delay_alu instid0(VALU_DEP_1) | instskip(NEXT) | instid1(VALU_DEP_2)
	v_add_co_u32 v9, vcc_lo, s4, v9
	v_add_co_ci_u32_e32 v10, vcc_lo, s5, v10, vcc_lo
	global_load_u16 v4, v[5:6], off
	global_load_u16 v9, v[9:10], off
	s_waitcnt vmcnt(1)
	v_lshlrev_b32_e32 v4, 16, v4
	s_waitcnt vmcnt(0)
	v_lshlrev_b32_e32 v9, 16, v9
	s_delay_alu instid0(VALU_DEP_1) | instskip(NEXT) | instid1(VALU_DEP_1)
	v_mul_f32_e32 v4, v4, v9
	v_and_b32_e32 v9, 0x7f800000, v4
	s_delay_alu instid0(VALU_DEP_1) | instskip(SKIP_1) | instid1(SALU_CYCLE_1)
	v_cmp_ne_u32_e32 vcc_lo, 0x7f800000, v9
                                        ; implicit-def: $vgpr9
	s_and_saveexec_b32 s0, vcc_lo
	s_xor_b32 s0, exec_lo, s0
; %bb.12:                               ;   in Loop: Header=BB658_11 Depth=1
	v_bfe_u32 v9, v4, 16, 1
	s_delay_alu instid0(VALU_DEP_1)
	v_add3_u32 v9, v4, v9, 0x7fff
                                        ; implicit-def: $vgpr4
; %bb.13:                               ;   in Loop: Header=BB658_11 Depth=1
	s_and_not1_saveexec_b32 s0, s0
	s_cbranch_execz .LBB658_10
; %bb.14:                               ;   in Loop: Header=BB658_11 Depth=1
	v_and_b32_e32 v9, 0xffff, v4
	v_or_b32_e32 v10, 0x10000, v4
	s_delay_alu instid0(VALU_DEP_2) | instskip(NEXT) | instid1(VALU_DEP_2)
	v_cmp_eq_u32_e32 vcc_lo, 0, v9
	v_cndmask_b32_e32 v9, v10, v4, vcc_lo
	s_branch .LBB658_10
.LBB658_15:
	s_or_b32 exec_lo, exec_lo, s9
.LBB658_16:
	s_delay_alu instid0(SALU_CYCLE_1) | instskip(SKIP_2) | instid1(VALU_DEP_1)
	s_or_b32 exec_lo, exec_lo, s8
	v_or_b32_e32 v3, s2, v0
	s_mov_b32 s0, exec_lo
	v_cmpx_gt_i32_e64 s3, v3
	s_cbranch_execz .LBB658_22
; %bb.17:
	v_mul_lo_u32 v3, v3, s1
	s_ashr_i32 s3, s2, 31
	s_delay_alu instid0(SALU_CYCLE_1) | instskip(NEXT) | instid1(VALU_DEP_1)
	s_lshl_b64 s[2:3], s[2:3], 1
	v_ashrrev_i32_e32 v4, 31, v3
	s_delay_alu instid0(VALU_DEP_1) | instskip(NEXT) | instid1(VALU_DEP_1)
	v_lshlrev_b64 v[3:4], 1, v[3:4]
	v_add_co_u32 v3, vcc_lo, s4, v3
	s_delay_alu instid0(VALU_DEP_2)
	v_add_co_ci_u32_e32 v4, vcc_lo, s5, v4, vcc_lo
	v_add_co_u32 v1, vcc_lo, v1, s2
	v_add_co_ci_u32_e32 v2, vcc_lo, s3, v2, vcc_lo
	global_load_u16 v3, v[3:4], off
	global_load_u16 v1, v[1:2], off
	s_waitcnt vmcnt(1)
	v_lshlrev_b32_e32 v2, 16, v3
	s_waitcnt vmcnt(0)
	v_lshlrev_b32_e32 v1, 16, v1
	s_delay_alu instid0(VALU_DEP_1) | instskip(NEXT) | instid1(VALU_DEP_1)
	v_mul_f32_e32 v1, v1, v2
	v_and_b32_e32 v2, 0x7f800000, v1
	s_delay_alu instid0(VALU_DEP_1) | instskip(SKIP_1) | instid1(SALU_CYCLE_1)
	v_cmp_ne_u32_e32 vcc_lo, 0x7f800000, v2
                                        ; implicit-def: $vgpr2
	s_and_saveexec_b32 s1, vcc_lo
	s_xor_b32 s1, exec_lo, s1
; %bb.18:
	v_bfe_u32 v2, v1, 16, 1
	s_delay_alu instid0(VALU_DEP_1)
	v_add3_u32 v2, v1, v2, 0x7fff
                                        ; implicit-def: $vgpr1
; %bb.19:
	s_and_not1_saveexec_b32 s1, s1
; %bb.20:
	v_and_b32_e32 v2, 0xffff, v1
	v_or_b32_e32 v3, 0x10000, v1
	s_delay_alu instid0(VALU_DEP_2) | instskip(NEXT) | instid1(VALU_DEP_2)
	v_cmp_eq_u32_e32 vcc_lo, 0, v2
	v_cndmask_b32_e32 v2, v3, v1, vcc_lo
; %bb.21:
	s_or_b32 exec_lo, exec_lo, s1
	s_delay_alu instid0(VALU_DEP_1) | instskip(NEXT) | instid1(VALU_DEP_1)
	v_and_b32_e32 v1, 0xffff0000, v2
	v_add_f32_e32 v7, v7, v1
.LBB658_22:
	s_or_b32 exec_lo, exec_lo, s0
	v_and_b32_e32 v6, 31, v0
	v_cmp_gt_u32_e32 vcc_lo, 32, v0
	s_delay_alu instid0(VALU_DEP_2)
	v_lshlrev_b32_e32 v1, 2, v6
	s_and_saveexec_b32 s0, vcc_lo
	s_cbranch_execz .LBB658_24
; %bb.23:
	v_mov_b32_e32 v2, 0
	ds_store_b32 v1, v2
.LBB658_24:
	s_or_b32 exec_lo, exec_lo, s0
	v_mbcnt_lo_u32_b32 v8, -1, 0
	s_mov_b32 s1, exec_lo
	s_waitcnt lgkmcnt(0)
	s_barrier
	buffer_gl0_inv
	v_cmp_gt_u32_e64 s0, 16, v8
	s_delay_alu instid0(VALU_DEP_1) | instskip(SKIP_1) | instid1(VALU_DEP_2)
	v_cndmask_b32_e64 v2, 0, 1, s0
	v_cmp_gt_u32_e64 s0, 24, v8
	v_lshlrev_b32_e32 v2, 4, v2
	s_delay_alu instid0(VALU_DEP_2) | instskip(SKIP_1) | instid1(VALU_DEP_3)
	v_cndmask_b32_e64 v3, 0, 1, s0
	v_cmp_gt_u32_e64 s0, 28, v8
	v_add_lshl_u32 v2, v2, v8, 2
	s_delay_alu instid0(VALU_DEP_3)
	v_lshlrev_b32_e32 v3, 3, v3
	ds_bpermute_b32 v4, v2, v7
	v_add_lshl_u32 v3, v3, v8, 2
	s_waitcnt lgkmcnt(0)
	v_add_f32_e32 v5, v7, v4
	v_cndmask_b32_e64 v4, 0, 1, s0
	v_cmp_gt_u32_e64 s0, 30, v8
	ds_bpermute_b32 v7, v3, v5
	s_waitcnt lgkmcnt(0)
	v_dual_add_f32 v7, v5, v7 :: v_dual_lshlrev_b32 v4, 2, v4
	s_delay_alu instid0(VALU_DEP_1)
	v_add_lshl_u32 v4, v4, v8, 2
	v_cndmask_b32_e64 v5, 0, 1, s0
	v_cmp_ne_u32_e64 s0, 31, v8
	ds_bpermute_b32 v9, v4, v7
	v_lshlrev_b32_e32 v5, 1, v5
	v_add_co_ci_u32_e64 v10, s0, 0, v8, s0
	s_delay_alu instid0(VALU_DEP_2)
	v_add_lshl_u32 v5, v5, v8, 2
	s_waitcnt lgkmcnt(0)
	v_add_f32_e32 v7, v7, v9
	ds_bpermute_b32 v9, v5, v7
	s_waitcnt lgkmcnt(0)
	v_dual_add_f32 v8, v7, v9 :: v_dual_lshlrev_b32 v7, 2, v10
	ds_bpermute_b32 v9, v7, v8
	v_cmpx_eq_u32_e32 0, v6
	s_cbranch_execz .LBB658_26
; %bb.25:
	v_lshrrev_b32_e32 v6, 3, v0
	s_waitcnt lgkmcnt(0)
	v_add_f32_e32 v8, v8, v9
	s_delay_alu instid0(VALU_DEP_2)
	v_and_b32_e32 v6, 0x7c, v6
	ds_store_b32 v6, v8
.LBB658_26:
	s_or_b32 exec_lo, exec_lo, s1
	v_mov_b32_e32 v6, 0
	s_waitcnt lgkmcnt(0)
	s_barrier
	buffer_gl0_inv
	s_and_saveexec_b32 s0, vcc_lo
	s_cbranch_execz .LBB658_28
; %bb.27:
	ds_load_b32 v6, v1
.LBB658_28:
	s_or_b32 exec_lo, exec_lo, s0
	s_and_saveexec_b32 s0, vcc_lo
	s_cbranch_execz .LBB658_30
; %bb.29:
	s_waitcnt lgkmcnt(0)
	ds_bpermute_b32 v1, v2, v6
	s_waitcnt lgkmcnt(0)
	v_add_f32_e32 v1, v6, v1
	ds_bpermute_b32 v2, v3, v1
	s_waitcnt lgkmcnt(0)
	v_add_f32_e32 v1, v1, v2
	;; [unrolled: 3-line block ×5, first 2 shown]
.LBB658_30:
	s_or_b32 exec_lo, exec_lo, s0
	s_delay_alu instid0(SALU_CYCLE_1)
	s_mov_b32 s0, exec_lo
                                        ; implicit-def: $vgpr1
                                        ; implicit-def: $sgpr4_sgpr5
	v_cmpx_eq_u32_e32 0, v0
	s_cbranch_execz .LBB658_34
; %bb.31:
	v_cmp_eq_f32_e64 s1, s12, 0
	s_waitcnt lgkmcnt(0)
	v_mul_f32_e32 v1, s18, v6
	s_mul_i32 s4, s14, s19
	s_delay_alu instid0(SALU_CYCLE_1)
	s_ashr_i32 s5, s4, 31
	s_and_b32 vcc_lo, exec_lo, s1
	s_cbranch_vccnz .LBB658_33
; %bb.32:
	s_lshl_b64 s[2:3], s[4:5], 2
	s_delay_alu instid0(SALU_CYCLE_1)
	s_add_u32 s2, s6, s2
	s_addc_u32 s3, s7, s3
	s_load_b32 s1, s[2:3], 0x0
	s_waitcnt lgkmcnt(0)
	v_fmac_f32_e64 v1, s12, s1
.LBB658_33:
	s_or_b32 s13, s13, exec_lo
.LBB658_34:
	s_or_b32 exec_lo, exec_lo, s0
.LBB658_35:
	s_and_saveexec_b32 s0, s13
	s_cbranch_execz .LBB658_37
; %bb.36:
	s_lshl_b64 s[0:1], s[4:5], 2
	v_mov_b32_e32 v0, 0
	s_add_u32 s0, s6, s0
	s_addc_u32 s1, s7, s1
	global_store_b32 v0, v1, s[0:1]
.LBB658_37:
	s_nop 0
	s_sendmsg sendmsg(MSG_DEALLOC_VGPRS)
	s_endpgm
	.section	.rodata,"a",@progbits
	.p2align	6, 0x0
	.amdhsa_kernel _ZL32rocblas_gemvt_warp_reduce_kernelILb1ELi1024Ei16rocblas_bfloat16PKffEviiT3_lPKT2_lT1_lS6_lS7_lS3_lPT4_lS7_li
		.amdhsa_group_segment_fixed_size 128
		.amdhsa_private_segment_fixed_size 0
		.amdhsa_kernarg_size 140
		.amdhsa_user_sgpr_count 14
		.amdhsa_user_sgpr_dispatch_ptr 0
		.amdhsa_user_sgpr_queue_ptr 0
		.amdhsa_user_sgpr_kernarg_segment_ptr 1
		.amdhsa_user_sgpr_dispatch_id 0
		.amdhsa_user_sgpr_private_segment_size 0
		.amdhsa_wavefront_size32 1
		.amdhsa_uses_dynamic_stack 0
		.amdhsa_enable_private_segment 0
		.amdhsa_system_sgpr_workgroup_id_x 1
		.amdhsa_system_sgpr_workgroup_id_y 0
		.amdhsa_system_sgpr_workgroup_id_z 1
		.amdhsa_system_sgpr_workgroup_info 0
		.amdhsa_system_vgpr_workitem_id 0
		.amdhsa_next_free_vgpr 11
		.amdhsa_next_free_sgpr 25
		.amdhsa_reserve_vcc 1
		.amdhsa_float_round_mode_32 0
		.amdhsa_float_round_mode_16_64 0
		.amdhsa_float_denorm_mode_32 3
		.amdhsa_float_denorm_mode_16_64 3
		.amdhsa_dx10_clamp 1
		.amdhsa_ieee_mode 1
		.amdhsa_fp16_overflow 0
		.amdhsa_workgroup_processor_mode 1
		.amdhsa_memory_ordered 1
		.amdhsa_forward_progress 0
		.amdhsa_shared_vgpr_count 0
		.amdhsa_exception_fp_ieee_invalid_op 0
		.amdhsa_exception_fp_denorm_src 0
		.amdhsa_exception_fp_ieee_div_zero 0
		.amdhsa_exception_fp_ieee_overflow 0
		.amdhsa_exception_fp_ieee_underflow 0
		.amdhsa_exception_fp_ieee_inexact 0
		.amdhsa_exception_int_div_zero 0
	.end_amdhsa_kernel
	.section	.text._ZL32rocblas_gemvt_warp_reduce_kernelILb1ELi1024Ei16rocblas_bfloat16PKffEviiT3_lPKT2_lT1_lS6_lS7_lS3_lPT4_lS7_li,"axG",@progbits,_ZL32rocblas_gemvt_warp_reduce_kernelILb1ELi1024Ei16rocblas_bfloat16PKffEviiT3_lPKT2_lT1_lS6_lS7_lS3_lPT4_lS7_li,comdat
.Lfunc_end658:
	.size	_ZL32rocblas_gemvt_warp_reduce_kernelILb1ELi1024Ei16rocblas_bfloat16PKffEviiT3_lPKT2_lT1_lS6_lS7_lS3_lPT4_lS7_li, .Lfunc_end658-_ZL32rocblas_gemvt_warp_reduce_kernelILb1ELi1024Ei16rocblas_bfloat16PKffEviiT3_lPKT2_lT1_lS6_lS7_lS3_lPT4_lS7_li
                                        ; -- End function
	.section	.AMDGPU.csdata,"",@progbits
; Kernel info:
; codeLenInByte = 1728
; NumSgprs: 27
; NumVgprs: 11
; ScratchSize: 0
; MemoryBound: 0
; FloatMode: 240
; IeeeMode: 1
; LDSByteSize: 128 bytes/workgroup (compile time only)
; SGPRBlocks: 3
; VGPRBlocks: 1
; NumSGPRsForWavesPerEU: 27
; NumVGPRsForWavesPerEU: 11
; Occupancy: 16
; WaveLimiterHint : 1
; COMPUTE_PGM_RSRC2:SCRATCH_EN: 0
; COMPUTE_PGM_RSRC2:USER_SGPR: 14
; COMPUTE_PGM_RSRC2:TRAP_HANDLER: 0
; COMPUTE_PGM_RSRC2:TGID_X_EN: 1
; COMPUTE_PGM_RSRC2:TGID_Y_EN: 0
; COMPUTE_PGM_RSRC2:TGID_Z_EN: 1
; COMPUTE_PGM_RSRC2:TIDIG_COMP_CNT: 0
	.section	.text._ZL32rocblas_gemvt_warp_reduce_kernelILb1ELi1024El16rocblas_bfloat16PKffEviiT3_lPKT2_lT1_lS6_lS7_lS3_lPT4_lS7_li,"axG",@progbits,_ZL32rocblas_gemvt_warp_reduce_kernelILb1ELi1024El16rocblas_bfloat16PKffEviiT3_lPKT2_lT1_lS6_lS7_lS3_lPT4_lS7_li,comdat
	.globl	_ZL32rocblas_gemvt_warp_reduce_kernelILb1ELi1024El16rocblas_bfloat16PKffEviiT3_lPKT2_lT1_lS6_lS7_lS3_lPT4_lS7_li ; -- Begin function _ZL32rocblas_gemvt_warp_reduce_kernelILb1ELi1024El16rocblas_bfloat16PKffEviiT3_lPKT2_lT1_lS6_lS7_lS3_lPT4_lS7_li
	.p2align	8
	.type	_ZL32rocblas_gemvt_warp_reduce_kernelILb1ELi1024El16rocblas_bfloat16PKffEviiT3_lPKT2_lT1_lS6_lS7_lS3_lPT4_lS7_li,@function
_ZL32rocblas_gemvt_warp_reduce_kernelILb1ELi1024El16rocblas_bfloat16PKffEviiT3_lPKT2_lT1_lS6_lS7_lS3_lPT4_lS7_li: ; @_ZL32rocblas_gemvt_warp_reduce_kernelILb1ELi1024El16rocblas_bfloat16PKffEviiT3_lPKT2_lT1_lS6_lS7_lS3_lPT4_lS7_li
; %bb.0:
	s_clause 0x1
	s_load_b512 s[36:51], s[0:1], 0x8
	s_load_b512 s[16:31], s[0:1], 0x48
	s_mov_b32 s11, 0
	s_waitcnt lgkmcnt(0)
	s_mul_i32 s3, s15, s39
	s_mul_hi_u32 s4, s15, s38
	s_mul_i32 s2, s15, s38
	s_add_i32 s3, s4, s3
	s_mul_i32 s4, s15, s23
	s_lshl_b64 s[2:3], s[2:3], 2
	s_mul_hi_u32 s5, s15, s22
	s_add_u32 s2, s36, s2
	s_addc_u32 s3, s37, s3
	s_add_i32 s5, s5, s4
	s_mul_i32 s4, s15, s22
	s_delay_alu instid0(SALU_CYCLE_1) | instskip(NEXT) | instid1(SALU_CYCLE_1)
	s_lshl_b64 s[4:5], s[4:5], 2
	s_add_u32 s4, s20, s4
	s_addc_u32 s5, s21, s5
	s_load_b32 s12, s[2:3], 0x0
	s_load_b32 s10, s[4:5], 0x0
	s_waitcnt lgkmcnt(0)
	v_cmp_eq_f32_e64 s2, s12, 0
	v_cmp_eq_f32_e64 s3, s10, 1.0
	s_delay_alu instid0(VALU_DEP_1) | instskip(NEXT) | instid1(SALU_CYCLE_1)
	s_and_b32 s2, s2, s3
	s_and_b32 vcc_lo, exec_lo, s2
	s_cbranch_vccnz .LBB659_37
; %bb.1:
	s_mul_i32 s3, s15, s31
	s_mul_hi_u32 s4, s15, s30
	s_mul_i32 s2, s15, s30
	s_add_i32 s3, s4, s3
	v_cmp_neq_f32_e64 s4, s12, 0
	s_lshl_b64 s[2:3], s[2:3], 2
	s_delay_alu instid0(SALU_CYCLE_1) | instskip(SKIP_2) | instid1(SALU_CYCLE_1)
	s_add_u32 s5, s24, s2
	s_addc_u32 s6, s25, s3
	s_lshl_b64 s[2:3], s[26:27], 2
	s_add_u32 s8, s5, s2
	v_cmp_eq_u32_e64 s2, 0, v0
	s_addc_u32 s9, s6, s3
	s_and_b32 vcc_lo, exec_lo, s4
	s_cbranch_vccnz .LBB659_6
; %bb.2:
	s_mov_b32 s3, 0
                                        ; implicit-def: $vgpr1
                                        ; implicit-def: $sgpr4_sgpr5
	s_and_saveexec_b32 s6, s2
	s_cbranch_execz .LBB659_7
; %bb.3:
	v_cmp_eq_f32_e64 s2, s10, 0
	s_mul_i32 s4, s14, s29
	s_mul_hi_u32 s5, s14, s28
	s_ashr_i32 s7, s14, 31
	v_mov_b32_e32 v1, 0
	s_add_i32 s4, s5, s4
	s_mul_i32 s7, s7, s28
	s_and_b32 vcc_lo, exec_lo, s2
	s_add_i32 s5, s4, s7
	s_mul_i32 s4, s14, s28
	s_cbranch_vccnz .LBB659_5
; %bb.4:
	s_lshl_b64 s[20:21], s[4:5], 2
	s_delay_alu instid0(SALU_CYCLE_1)
	s_add_u32 s20, s8, s20
	s_addc_u32 s21, s9, s21
	s_load_b32 s2, s[20:21], 0x0
	s_waitcnt lgkmcnt(0)
	v_mul_f32_e64 v1, s10, s2
.LBB659_5:
	s_mov_b32 s11, exec_lo
	s_or_b32 exec_lo, exec_lo, s6
	s_delay_alu instid0(SALU_CYCLE_1)
	s_and_b32 vcc_lo, exec_lo, s3
	s_cbranch_vccnz .LBB659_8
	s_branch .LBB659_35
.LBB659_6:
                                        ; implicit-def: $vgpr1
                                        ; implicit-def: $sgpr4_sgpr5
	s_cbranch_execnz .LBB659_8
	s_branch .LBB659_35
.LBB659_7:
	s_or_b32 exec_lo, exec_lo, s6
	s_delay_alu instid0(SALU_CYCLE_1)
	s_and_b32 vcc_lo, exec_lo, s3
	s_cbranch_vccz .LBB659_35
.LBB659_8:
	s_load_b32 s5, s[0:1], 0x0
	s_mul_i32 s3, s15, s47
	s_mul_hi_u32 s4, s15, s46
	s_mul_i32 s0, s15, s46
	s_add_i32 s1, s4, s3
	s_mul_i32 s2, s15, s19
	s_mul_hi_u32 s3, s15, s18
	s_lshl_b64 s[0:1], s[0:1], 1
	s_add_i32 s3, s3, s2
	s_add_u32 s2, s40, s0
	s_addc_u32 s4, s41, s1
	s_lshl_b64 s[0:1], s[42:43], 1
	s_mul_hi_u32 s6, s14, s44
	s_add_u32 s0, s2, s0
	s_addc_u32 s2, s4, s1
	s_mul_i32 s4, s14, s45
	s_ashr_i32 s1, s14, 31
	s_add_i32 s4, s6, s4
	s_mul_i32 s6, s1, s44
	v_mov_b32_e32 v7, 0
	s_waitcnt lgkmcnt(0)
	v_cmp_gt_i32_e32 vcc_lo, s5, v0
	s_add_i32 s7, s4, s6
	s_mul_i32 s6, s14, s44
	s_mov_b32 s13, exec_lo
	s_lshl_b64 s[6:7], s[6:7], 1
	v_cndmask_b32_e32 v1, 0, v0, vcc_lo
	s_add_u32 s0, s6, s0
	s_addc_u32 s2, s7, s2
	s_ashr_i32 s4, s5, 31
	s_delay_alu instid0(SALU_CYCLE_1) | instskip(SKIP_2) | instid1(SALU_CYCLE_1)
	s_lshr_b32 s4, s4, 22
	v_lshlrev_b32_e32 v1, 1, v1
	s_add_i32 s4, s5, s4
	s_and_b32 s4, s4, 0xfffffc00
	s_delay_alu instid0(VALU_DEP_1) | instskip(NEXT) | instid1(VALU_DEP_1)
	v_add_co_u32 v1, s0, s0, v1
	v_add_co_ci_u32_e64 v2, null, s2, 0, s0
	s_mul_i32 s2, s15, s18
	s_mov_b32 s15, 0
	v_cmpx_gt_i32_e64 s4, v0
	s_cbranch_execz .LBB659_16
; %bb.9:
	v_mad_u64_u32 v[5:6], null, s16, v0, 0
	s_lshl_b64 s[18:19], s[50:51], 1
	s_lshl_b64 s[6:7], s[2:3], 1
	s_add_u32 s0, s48, s18
	s_addc_u32 s18, s49, s19
	s_add_u32 s0, s0, s6
	s_addc_u32 s6, s18, s7
	s_delay_alu instid0(VALU_DEP_1) | instskip(NEXT) | instid1(VALU_DEP_1)
	v_dual_mov_b32 v3, v6 :: v_dual_mov_b32 v8, v0
	v_mad_u64_u32 v[6:7], null, s17, v0, v[3:4]
	v_dual_mov_b32 v7, 0 :: v_dual_mov_b32 v4, v2
	v_mov_b32_e32 v3, v1
	s_delay_alu instid0(VALU_DEP_3) | instskip(NEXT) | instid1(VALU_DEP_1)
	v_lshlrev_b64 v[5:6], 1, v[5:6]
	v_add_co_u32 v5, vcc_lo, s0, v5
	s_delay_alu instid0(VALU_DEP_2)
	v_add_co_ci_u32_e32 v6, vcc_lo, s6, v6, vcc_lo
	s_lshl_b64 s[6:7], s[16:17], 11
	s_set_inst_prefetch_distance 0x1
	s_branch .LBB659_11
	.p2align	6
.LBB659_10:                             ;   in Loop: Header=BB659_11 Depth=1
	s_or_b32 exec_lo, exec_lo, s0
	s_delay_alu instid0(VALU_DEP_1) | instskip(SKIP_3) | instid1(VALU_DEP_4)
	v_and_b32_e32 v9, 0xffff0000, v10
	v_add_nc_u32_e32 v8, 0x400, v8
	v_add_co_u32 v3, vcc_lo, 0x800, v3
	v_add_co_ci_u32_e32 v4, vcc_lo, 0, v4, vcc_lo
	v_add_f32_e32 v7, v7, v9
	s_delay_alu instid0(VALU_DEP_4) | instskip(SKIP_1) | instid1(VALU_DEP_1)
	v_cmp_le_i32_e32 vcc_lo, s4, v8
	v_add_co_u32 v5, s0, v5, s6
	v_add_co_ci_u32_e64 v6, s0, s7, v6, s0
	s_or_b32 s15, vcc_lo, s15
	s_delay_alu instid0(SALU_CYCLE_1)
	s_and_not1_b32 exec_lo, exec_lo, s15
	s_cbranch_execz .LBB659_15
.LBB659_11:                             ; =>This Inner Loop Header: Depth=1
	global_load_u16 v9, v[5:6], off
	global_load_u16 v10, v[3:4], off
	s_waitcnt vmcnt(1)
	v_lshlrev_b32_e32 v9, 16, v9
	s_waitcnt vmcnt(0)
	v_lshlrev_b32_e32 v10, 16, v10
	s_delay_alu instid0(VALU_DEP_1) | instskip(NEXT) | instid1(VALU_DEP_1)
	v_mul_f32_e32 v9, v10, v9
	v_and_b32_e32 v10, 0x7f800000, v9
	s_delay_alu instid0(VALU_DEP_1) | instskip(SKIP_1) | instid1(SALU_CYCLE_1)
	v_cmp_ne_u32_e32 vcc_lo, 0x7f800000, v10
                                        ; implicit-def: $vgpr10
	s_and_saveexec_b32 s0, vcc_lo
	s_xor_b32 s0, exec_lo, s0
; %bb.12:                               ;   in Loop: Header=BB659_11 Depth=1
	v_bfe_u32 v10, v9, 16, 1
	s_delay_alu instid0(VALU_DEP_1)
	v_add3_u32 v10, v9, v10, 0x7fff
                                        ; implicit-def: $vgpr9
; %bb.13:                               ;   in Loop: Header=BB659_11 Depth=1
	s_and_not1_saveexec_b32 s0, s0
	s_cbranch_execz .LBB659_10
; %bb.14:                               ;   in Loop: Header=BB659_11 Depth=1
	v_and_b32_e32 v10, 0xffff, v9
	v_or_b32_e32 v11, 0x10000, v9
	s_delay_alu instid0(VALU_DEP_2) | instskip(NEXT) | instid1(VALU_DEP_2)
	v_cmp_eq_u32_e32 vcc_lo, 0, v10
	v_cndmask_b32_e32 v10, v11, v9, vcc_lo
	s_branch .LBB659_10
.LBB659_15:
	s_set_inst_prefetch_distance 0x2
	s_or_b32 exec_lo, exec_lo, s15
.LBB659_16:
	s_delay_alu instid0(SALU_CYCLE_1) | instskip(SKIP_2) | instid1(VALU_DEP_1)
	s_or_b32 exec_lo, exec_lo, s13
	v_or_b32_e32 v3, s4, v0
	s_mov_b32 s0, exec_lo
	v_cmpx_gt_i32_e64 s5, v3
	s_cbranch_execz .LBB659_22
; %bb.17:
	v_ashrrev_i32_e32 v6, 31, v3
	v_mul_lo_u32 v8, v3, s17
	v_mad_u64_u32 v[4:5], null, v3, s16, 0
	s_lshl_b64 s[2:3], s[2:3], 1
	s_delay_alu instid0(VALU_DEP_3) | instskip(SKIP_3) | instid1(SALU_CYCLE_1)
	v_mul_lo_u32 v3, v6, s16
	s_add_u32 s5, s48, s2
	s_addc_u32 s6, s49, s3
	s_lshl_b64 s[2:3], s[50:51], 1
	s_add_u32 s7, s5, s2
	s_addc_u32 s6, s6, s3
	s_ashr_i32 s5, s4, 31
	s_delay_alu instid0(VALU_DEP_1) | instskip(SKIP_1) | instid1(VALU_DEP_1)
	v_add3_u32 v5, v5, v8, v3
	s_lshl_b64 s[2:3], s[4:5], 1
	v_lshlrev_b64 v[3:4], 1, v[4:5]
	s_delay_alu instid0(VALU_DEP_1) | instskip(NEXT) | instid1(VALU_DEP_2)
	v_add_co_u32 v3, vcc_lo, s7, v3
	v_add_co_ci_u32_e32 v4, vcc_lo, s6, v4, vcc_lo
	v_add_co_u32 v1, vcc_lo, v1, s2
	v_add_co_ci_u32_e32 v2, vcc_lo, s3, v2, vcc_lo
	global_load_u16 v3, v[3:4], off
	global_load_u16 v1, v[1:2], off
	s_waitcnt vmcnt(1)
	v_lshlrev_b32_e32 v2, 16, v3
	s_waitcnt vmcnt(0)
	v_lshlrev_b32_e32 v1, 16, v1
	s_delay_alu instid0(VALU_DEP_1) | instskip(NEXT) | instid1(VALU_DEP_1)
	v_mul_f32_e32 v1, v1, v2
	v_and_b32_e32 v2, 0x7f800000, v1
	s_delay_alu instid0(VALU_DEP_1) | instskip(SKIP_1) | instid1(SALU_CYCLE_1)
	v_cmp_ne_u32_e32 vcc_lo, 0x7f800000, v2
                                        ; implicit-def: $vgpr2
	s_and_saveexec_b32 s2, vcc_lo
	s_xor_b32 s2, exec_lo, s2
; %bb.18:
	v_bfe_u32 v2, v1, 16, 1
	s_delay_alu instid0(VALU_DEP_1)
	v_add3_u32 v2, v1, v2, 0x7fff
                                        ; implicit-def: $vgpr1
; %bb.19:
	s_and_not1_saveexec_b32 s2, s2
; %bb.20:
	v_and_b32_e32 v2, 0xffff, v1
	v_or_b32_e32 v3, 0x10000, v1
	s_delay_alu instid0(VALU_DEP_2) | instskip(NEXT) | instid1(VALU_DEP_2)
	v_cmp_eq_u32_e32 vcc_lo, 0, v2
	v_cndmask_b32_e32 v2, v3, v1, vcc_lo
; %bb.21:
	s_or_b32 exec_lo, exec_lo, s2
	s_delay_alu instid0(VALU_DEP_1) | instskip(NEXT) | instid1(VALU_DEP_1)
	v_and_b32_e32 v1, 0xffff0000, v2
	v_add_f32_e32 v7, v7, v1
.LBB659_22:
	s_or_b32 exec_lo, exec_lo, s0
	v_and_b32_e32 v6, 31, v0
	v_cmp_gt_u32_e32 vcc_lo, 32, v0
	s_delay_alu instid0(VALU_DEP_2)
	v_lshlrev_b32_e32 v1, 2, v6
	s_and_saveexec_b32 s0, vcc_lo
	s_cbranch_execz .LBB659_24
; %bb.23:
	v_mov_b32_e32 v2, 0
	ds_store_b32 v1, v2
.LBB659_24:
	s_or_b32 exec_lo, exec_lo, s0
	v_mbcnt_lo_u32_b32 v8, -1, 0
	s_mov_b32 s2, exec_lo
	s_waitcnt lgkmcnt(0)
	s_barrier
	buffer_gl0_inv
	v_cmp_gt_u32_e64 s0, 16, v8
	s_delay_alu instid0(VALU_DEP_1) | instskip(SKIP_1) | instid1(VALU_DEP_2)
	v_cndmask_b32_e64 v2, 0, 1, s0
	v_cmp_gt_u32_e64 s0, 24, v8
	v_lshlrev_b32_e32 v2, 4, v2
	s_delay_alu instid0(VALU_DEP_2) | instskip(SKIP_1) | instid1(VALU_DEP_3)
	v_cndmask_b32_e64 v3, 0, 1, s0
	v_cmp_gt_u32_e64 s0, 28, v8
	v_add_lshl_u32 v2, v2, v8, 2
	s_delay_alu instid0(VALU_DEP_3)
	v_lshlrev_b32_e32 v3, 3, v3
	ds_bpermute_b32 v4, v2, v7
	v_add_lshl_u32 v3, v3, v8, 2
	s_waitcnt lgkmcnt(0)
	v_add_f32_e32 v5, v7, v4
	v_cndmask_b32_e64 v4, 0, 1, s0
	v_cmp_gt_u32_e64 s0, 30, v8
	ds_bpermute_b32 v7, v3, v5
	s_waitcnt lgkmcnt(0)
	v_dual_add_f32 v7, v5, v7 :: v_dual_lshlrev_b32 v4, 2, v4
	s_delay_alu instid0(VALU_DEP_1)
	v_add_lshl_u32 v4, v4, v8, 2
	v_cndmask_b32_e64 v5, 0, 1, s0
	v_cmp_ne_u32_e64 s0, 31, v8
	ds_bpermute_b32 v9, v4, v7
	v_lshlrev_b32_e32 v5, 1, v5
	v_add_co_ci_u32_e64 v10, s0, 0, v8, s0
	s_delay_alu instid0(VALU_DEP_2)
	v_add_lshl_u32 v5, v5, v8, 2
	s_waitcnt lgkmcnt(0)
	v_add_f32_e32 v7, v7, v9
	ds_bpermute_b32 v9, v5, v7
	s_waitcnt lgkmcnt(0)
	v_dual_add_f32 v8, v7, v9 :: v_dual_lshlrev_b32 v7, 2, v10
	ds_bpermute_b32 v9, v7, v8
	v_cmpx_eq_u32_e32 0, v6
	s_cbranch_execz .LBB659_26
; %bb.25:
	v_lshrrev_b32_e32 v6, 3, v0
	s_waitcnt lgkmcnt(0)
	v_add_f32_e32 v8, v8, v9
	s_delay_alu instid0(VALU_DEP_2)
	v_and_b32_e32 v6, 0x7c, v6
	ds_store_b32 v6, v8
.LBB659_26:
	s_or_b32 exec_lo, exec_lo, s2
	v_mov_b32_e32 v6, 0
	s_waitcnt lgkmcnt(0)
	s_barrier
	buffer_gl0_inv
	s_and_saveexec_b32 s0, vcc_lo
	s_cbranch_execz .LBB659_28
; %bb.27:
	ds_load_b32 v6, v1
.LBB659_28:
	s_or_b32 exec_lo, exec_lo, s0
	s_and_saveexec_b32 s0, vcc_lo
	s_cbranch_execz .LBB659_30
; %bb.29:
	s_waitcnt lgkmcnt(0)
	ds_bpermute_b32 v1, v2, v6
	s_waitcnt lgkmcnt(0)
	v_add_f32_e32 v1, v6, v1
	ds_bpermute_b32 v2, v3, v1
	s_waitcnt lgkmcnt(0)
	v_add_f32_e32 v1, v1, v2
	ds_bpermute_b32 v2, v4, v1
	s_waitcnt lgkmcnt(0)
	v_add_f32_e32 v1, v1, v2
	ds_bpermute_b32 v2, v5, v1
	s_waitcnt lgkmcnt(0)
	v_add_f32_e32 v1, v1, v2
	ds_bpermute_b32 v2, v7, v1
	s_waitcnt lgkmcnt(0)
	v_add_f32_e32 v6, v1, v2
.LBB659_30:
	s_or_b32 exec_lo, exec_lo, s0
	s_delay_alu instid0(SALU_CYCLE_1)
	s_mov_b32 s0, exec_lo
                                        ; implicit-def: $vgpr1
                                        ; implicit-def: $sgpr4_sgpr5
	v_cmpx_eq_u32_e32 0, v0
	s_cbranch_execz .LBB659_34
; %bb.31:
	v_cmp_eq_f32_e64 s4, s10, 0
	s_mul_i32 s2, s14, s29
	s_mul_hi_u32 s3, s14, s28
	s_waitcnt lgkmcnt(0)
	v_mul_f32_e32 v1, s12, v6
	s_add_i32 s2, s3, s2
	s_mul_i32 s1, s1, s28
	s_and_b32 vcc_lo, exec_lo, s4
	s_add_i32 s5, s2, s1
	s_mul_i32 s4, s14, s28
	s_cbranch_vccnz .LBB659_33
; %bb.32:
	s_lshl_b64 s[2:3], s[4:5], 2
	s_delay_alu instid0(SALU_CYCLE_1)
	s_add_u32 s2, s8, s2
	s_addc_u32 s3, s9, s3
	s_load_b32 s1, s[2:3], 0x0
	s_waitcnt lgkmcnt(0)
	v_fmac_f32_e64 v1, s10, s1
.LBB659_33:
	s_or_b32 s11, s11, exec_lo
.LBB659_34:
	s_or_b32 exec_lo, exec_lo, s0
.LBB659_35:
	s_and_saveexec_b32 s0, s11
	s_cbranch_execz .LBB659_37
; %bb.36:
	s_lshl_b64 s[0:1], s[4:5], 2
	v_mov_b32_e32 v0, 0
	s_add_u32 s0, s8, s0
	s_addc_u32 s1, s9, s1
	global_store_b32 v0, v1, s[0:1]
.LBB659_37:
	s_nop 0
	s_sendmsg sendmsg(MSG_DEALLOC_VGPRS)
	s_endpgm
	.section	.rodata,"a",@progbits
	.p2align	6, 0x0
	.amdhsa_kernel _ZL32rocblas_gemvt_warp_reduce_kernelILb1ELi1024El16rocblas_bfloat16PKffEviiT3_lPKT2_lT1_lS6_lS7_lS3_lPT4_lS7_li
		.amdhsa_group_segment_fixed_size 128
		.amdhsa_private_segment_fixed_size 0
		.amdhsa_kernarg_size 140
		.amdhsa_user_sgpr_count 14
		.amdhsa_user_sgpr_dispatch_ptr 0
		.amdhsa_user_sgpr_queue_ptr 0
		.amdhsa_user_sgpr_kernarg_segment_ptr 1
		.amdhsa_user_sgpr_dispatch_id 0
		.amdhsa_user_sgpr_private_segment_size 0
		.amdhsa_wavefront_size32 1
		.amdhsa_uses_dynamic_stack 0
		.amdhsa_enable_private_segment 0
		.amdhsa_system_sgpr_workgroup_id_x 1
		.amdhsa_system_sgpr_workgroup_id_y 0
		.amdhsa_system_sgpr_workgroup_id_z 1
		.amdhsa_system_sgpr_workgroup_info 0
		.amdhsa_system_vgpr_workitem_id 0
		.amdhsa_next_free_vgpr 12
		.amdhsa_next_free_sgpr 52
		.amdhsa_reserve_vcc 1
		.amdhsa_float_round_mode_32 0
		.amdhsa_float_round_mode_16_64 0
		.amdhsa_float_denorm_mode_32 3
		.amdhsa_float_denorm_mode_16_64 3
		.amdhsa_dx10_clamp 1
		.amdhsa_ieee_mode 1
		.amdhsa_fp16_overflow 0
		.amdhsa_workgroup_processor_mode 1
		.amdhsa_memory_ordered 1
		.amdhsa_forward_progress 0
		.amdhsa_shared_vgpr_count 0
		.amdhsa_exception_fp_ieee_invalid_op 0
		.amdhsa_exception_fp_denorm_src 0
		.amdhsa_exception_fp_ieee_div_zero 0
		.amdhsa_exception_fp_ieee_overflow 0
		.amdhsa_exception_fp_ieee_underflow 0
		.amdhsa_exception_fp_ieee_inexact 0
		.amdhsa_exception_int_div_zero 0
	.end_amdhsa_kernel
	.section	.text._ZL32rocblas_gemvt_warp_reduce_kernelILb1ELi1024El16rocblas_bfloat16PKffEviiT3_lPKT2_lT1_lS6_lS7_lS3_lPT4_lS7_li,"axG",@progbits,_ZL32rocblas_gemvt_warp_reduce_kernelILb1ELi1024El16rocblas_bfloat16PKffEviiT3_lPKT2_lT1_lS6_lS7_lS3_lPT4_lS7_li,comdat
.Lfunc_end659:
	.size	_ZL32rocblas_gemvt_warp_reduce_kernelILb1ELi1024El16rocblas_bfloat16PKffEviiT3_lPKT2_lT1_lS6_lS7_lS3_lPT4_lS7_li, .Lfunc_end659-_ZL32rocblas_gemvt_warp_reduce_kernelILb1ELi1024El16rocblas_bfloat16PKffEviiT3_lPKT2_lT1_lS6_lS7_lS3_lPT4_lS7_li
                                        ; -- End function
	.section	.AMDGPU.csdata,"",@progbits
; Kernel info:
; codeLenInByte = 1780
; NumSgprs: 54
; NumVgprs: 12
; ScratchSize: 0
; MemoryBound: 0
; FloatMode: 240
; IeeeMode: 1
; LDSByteSize: 128 bytes/workgroup (compile time only)
; SGPRBlocks: 6
; VGPRBlocks: 1
; NumSGPRsForWavesPerEU: 54
; NumVGPRsForWavesPerEU: 12
; Occupancy: 16
; WaveLimiterHint : 0
; COMPUTE_PGM_RSRC2:SCRATCH_EN: 0
; COMPUTE_PGM_RSRC2:USER_SGPR: 14
; COMPUTE_PGM_RSRC2:TRAP_HANDLER: 0
; COMPUTE_PGM_RSRC2:TGID_X_EN: 1
; COMPUTE_PGM_RSRC2:TGID_Y_EN: 0
; COMPUTE_PGM_RSRC2:TGID_Z_EN: 1
; COMPUTE_PGM_RSRC2:TIDIG_COMP_CNT: 0
	.section	.text._ZL32rocblas_gemvt_warp_reduce_kernelILb1ELi1024Ei16rocblas_bfloat16ffEviiT3_lPKT2_lT1_lS4_lS5_lS1_lPT4_lS5_li,"axG",@progbits,_ZL32rocblas_gemvt_warp_reduce_kernelILb1ELi1024Ei16rocblas_bfloat16ffEviiT3_lPKT2_lT1_lS4_lS5_lS1_lPT4_lS5_li,comdat
	.globl	_ZL32rocblas_gemvt_warp_reduce_kernelILb1ELi1024Ei16rocblas_bfloat16ffEviiT3_lPKT2_lT1_lS4_lS5_lS1_lPT4_lS5_li ; -- Begin function _ZL32rocblas_gemvt_warp_reduce_kernelILb1ELi1024Ei16rocblas_bfloat16ffEviiT3_lPKT2_lT1_lS4_lS5_lS1_lPT4_lS5_li
	.p2align	8
	.type	_ZL32rocblas_gemvt_warp_reduce_kernelILb1ELi1024Ei16rocblas_bfloat16ffEviiT3_lPKT2_lT1_lS4_lS5_lS1_lPT4_lS5_li,@function
_ZL32rocblas_gemvt_warp_reduce_kernelILb1ELi1024Ei16rocblas_bfloat16ffEviiT3_lPKT2_lT1_lS4_lS5_lS1_lPT4_lS5_li: ; @_ZL32rocblas_gemvt_warp_reduce_kernelILb1ELi1024Ei16rocblas_bfloat16ffEviiT3_lPKT2_lT1_lS4_lS5_lS1_lPT4_lS5_li
; %bb.0:
	s_clause 0x1
	s_load_b32 s10, s[0:1], 0x8
	s_load_b32 s8, s[0:1], 0x58
	s_mov_b32 s9, 0
	s_waitcnt lgkmcnt(0)
	v_cmp_eq_f32_e64 s2, s10, 0
	v_cmp_eq_f32_e64 s3, s8, 1.0
	s_delay_alu instid0(VALU_DEP_1) | instskip(NEXT) | instid1(SALU_CYCLE_1)
	s_and_b32 s2, s2, s3
	s_and_b32 vcc_lo, exec_lo, s2
	s_cbranch_vccnz .LBB660_37
; %bb.1:
	s_clause 0x2
	s_load_b64 s[2:3], s[0:1], 0x80
	s_load_b128 s[4:7], s[0:1], 0x68
	s_load_b32 s11, s[0:1], 0x78
	s_waitcnt lgkmcnt(0)
	s_mul_i32 s3, s15, s3
	s_mul_hi_u32 s12, s15, s2
	s_mul_i32 s2, s15, s2
	s_add_i32 s3, s12, s3
	v_cmp_neq_f32_e64 s12, s10, 0
	s_lshl_b64 s[2:3], s[2:3], 2
	s_delay_alu instid0(SALU_CYCLE_1) | instskip(SKIP_2) | instid1(SALU_CYCLE_1)
	s_add_u32 s4, s4, s2
	s_addc_u32 s5, s5, s3
	s_lshl_b64 s[2:3], s[6:7], 2
	s_add_u32 s6, s4, s2
	v_cmp_eq_u32_e64 s2, 0, v0
	s_addc_u32 s7, s5, s3
	s_and_b32 vcc_lo, exec_lo, s12
	s_cbranch_vccnz .LBB660_6
; %bb.2:
	s_mov_b32 s3, 0
                                        ; implicit-def: $vgpr1
                                        ; implicit-def: $sgpr4_sgpr5
	s_and_saveexec_b32 s12, s2
	s_cbranch_execz .LBB660_7
; %bb.3:
	v_cmp_eq_f32_e64 s2, s8, 0
	v_mov_b32_e32 v1, 0
	s_mul_i32 s4, s14, s11
	s_delay_alu instid0(SALU_CYCLE_1) | instskip(NEXT) | instid1(VALU_DEP_2)
	s_ashr_i32 s5, s4, 31
	s_and_b32 vcc_lo, exec_lo, s2
	s_cbranch_vccnz .LBB660_5
; %bb.4:
	s_lshl_b64 s[16:17], s[4:5], 2
	s_delay_alu instid0(SALU_CYCLE_1)
	s_add_u32 s16, s6, s16
	s_addc_u32 s17, s7, s17
	s_load_b32 s2, s[16:17], 0x0
	s_waitcnt lgkmcnt(0)
	v_mul_f32_e64 v1, s2, s8
.LBB660_5:
	s_mov_b32 s9, exec_lo
	s_or_b32 exec_lo, exec_lo, s12
	s_delay_alu instid0(SALU_CYCLE_1)
	s_and_b32 vcc_lo, exec_lo, s3
	s_cbranch_vccnz .LBB660_8
	s_branch .LBB660_35
.LBB660_6:
                                        ; implicit-def: $vgpr1
                                        ; implicit-def: $sgpr4_sgpr5
	s_cbranch_execnz .LBB660_8
	s_branch .LBB660_35
.LBB660_7:
	s_or_b32 exec_lo, exec_lo, s12
	s_delay_alu instid0(SALU_CYCLE_1)
	s_and_b32 vcc_lo, exec_lo, s3
	s_cbranch_vccz .LBB660_35
.LBB660_8:
	s_clause 0x6
	s_load_b64 s[4:5], s[0:1], 0x50
	s_load_b128 s[16:19], s[0:1], 0x30
	s_load_b64 s[12:13], s[0:1], 0x40
	s_load_b32 s3, s[0:1], 0x0
	s_load_b128 s[20:23], s[0:1], 0x18
	s_load_b32 s2, s[0:1], 0x28
	s_load_b32 s1, s[0:1], 0x48
	v_mov_b32_e32 v7, 0
	s_waitcnt lgkmcnt(0)
	s_mul_i32 s0, s15, s5
	s_mul_hi_u32 s5, s15, s4
	s_mul_i32 s4, s15, s4
	s_add_i32 s5, s5, s0
	s_mul_i32 s0, s15, s17
	s_lshl_b64 s[4:5], s[4:5], 1
	s_mul_hi_u32 s17, s15, s16
	s_add_u32 s18, s18, s4
	s_addc_u32 s19, s19, s5
	s_lshl_b64 s[4:5], s[12:13], 1
	v_cmp_gt_i32_e32 vcc_lo, s3, v0
	s_add_u32 s4, s18, s4
	s_mul_i32 s12, s15, s16
	s_addc_u32 s5, s19, s5
	s_add_i32 s13, s17, s0
	v_cndmask_b32_e32 v1, 0, v0, vcc_lo
	s_lshl_b64 s[12:13], s[12:13], 1
	s_mul_i32 s16, s14, s2
	s_add_u32 s0, s20, s12
	s_addc_u32 s15, s21, s13
	s_lshl_b64 s[12:13], s[22:23], 1
	v_lshlrev_b32_e32 v1, 1, v1
	s_add_u32 s0, s0, s12
	s_addc_u32 s2, s15, s13
	s_ashr_i32 s17, s16, 31
	s_delay_alu instid0(SALU_CYCLE_1) | instskip(NEXT) | instid1(SALU_CYCLE_1)
	s_lshl_b64 s[12:13], s[16:17], 1
	s_add_u32 s0, s12, s0
	s_addc_u32 s12, s13, s2
	s_ashr_i32 s2, s3, 31
	v_add_co_u32 v1, s0, s0, v1
	s_lshr_b32 s2, s2, 22
	v_add_co_ci_u32_e64 v2, null, s12, 0, s0
	s_add_i32 s2, s3, s2
	s_mov_b32 s13, 0
	s_and_b32 s2, s2, 0xfffffc00
	s_mov_b32 s12, exec_lo
	v_cmpx_gt_i32_e64 s2, v0
	s_cbranch_execz .LBB660_16
; %bb.9:
	v_mul_lo_u32 v3, v0, s1
	v_dual_mov_b32 v7, 0 :: v_dual_mov_b32 v6, v2
	v_dual_mov_b32 v5, v1 :: v_dual_mov_b32 v8, v0
	s_lshl_b32 s15, s1, 10
	s_branch .LBB660_11
.LBB660_10:                             ;   in Loop: Header=BB660_11 Depth=1
	s_or_b32 exec_lo, exec_lo, s0
	v_add_nc_u32_e32 v8, 0x400, v8
	s_delay_alu instid0(VALU_DEP_2) | instskip(SKIP_2) | instid1(VALU_DEP_4)
	v_and_b32_e32 v4, 0xffff0000, v9
	v_add_co_u32 v5, s0, 0x800, v5
	v_add_nc_u32_e32 v3, s15, v3
	v_cmp_le_i32_e32 vcc_lo, s2, v8
	s_delay_alu instid0(VALU_DEP_4) | instskip(SKIP_2) | instid1(SALU_CYCLE_1)
	v_add_f32_e32 v7, v7, v4
	v_add_co_ci_u32_e64 v6, s0, 0, v6, s0
	s_or_b32 s13, vcc_lo, s13
	s_and_not1_b32 exec_lo, exec_lo, s13
	s_cbranch_execz .LBB660_15
.LBB660_11:                             ; =>This Inner Loop Header: Depth=1
	s_delay_alu instid0(VALU_DEP_3) | instskip(NEXT) | instid1(VALU_DEP_1)
	v_ashrrev_i32_e32 v4, 31, v3
	v_lshlrev_b64 v[9:10], 1, v[3:4]
	s_delay_alu instid0(VALU_DEP_1) | instskip(NEXT) | instid1(VALU_DEP_2)
	v_add_co_u32 v9, vcc_lo, s4, v9
	v_add_co_ci_u32_e32 v10, vcc_lo, s5, v10, vcc_lo
	global_load_u16 v4, v[5:6], off
	global_load_u16 v9, v[9:10], off
	s_waitcnt vmcnt(1)
	v_lshlrev_b32_e32 v4, 16, v4
	s_waitcnt vmcnt(0)
	v_lshlrev_b32_e32 v9, 16, v9
	s_delay_alu instid0(VALU_DEP_1) | instskip(NEXT) | instid1(VALU_DEP_1)
	v_mul_f32_e32 v4, v4, v9
	v_and_b32_e32 v9, 0x7f800000, v4
	s_delay_alu instid0(VALU_DEP_1) | instskip(SKIP_1) | instid1(SALU_CYCLE_1)
	v_cmp_ne_u32_e32 vcc_lo, 0x7f800000, v9
                                        ; implicit-def: $vgpr9
	s_and_saveexec_b32 s0, vcc_lo
	s_xor_b32 s0, exec_lo, s0
; %bb.12:                               ;   in Loop: Header=BB660_11 Depth=1
	v_bfe_u32 v9, v4, 16, 1
	s_delay_alu instid0(VALU_DEP_1)
	v_add3_u32 v9, v4, v9, 0x7fff
                                        ; implicit-def: $vgpr4
; %bb.13:                               ;   in Loop: Header=BB660_11 Depth=1
	s_and_not1_saveexec_b32 s0, s0
	s_cbranch_execz .LBB660_10
; %bb.14:                               ;   in Loop: Header=BB660_11 Depth=1
	v_and_b32_e32 v9, 0xffff, v4
	v_or_b32_e32 v10, 0x10000, v4
	s_delay_alu instid0(VALU_DEP_2) | instskip(NEXT) | instid1(VALU_DEP_2)
	v_cmp_eq_u32_e32 vcc_lo, 0, v9
	v_cndmask_b32_e32 v9, v10, v4, vcc_lo
	s_branch .LBB660_10
.LBB660_15:
	s_or_b32 exec_lo, exec_lo, s13
.LBB660_16:
	s_delay_alu instid0(SALU_CYCLE_1) | instskip(SKIP_2) | instid1(VALU_DEP_1)
	s_or_b32 exec_lo, exec_lo, s12
	v_or_b32_e32 v3, s2, v0
	s_mov_b32 s0, exec_lo
	v_cmpx_gt_i32_e64 s3, v3
	s_cbranch_execz .LBB660_22
; %bb.17:
	v_mul_lo_u32 v3, v3, s1
	s_ashr_i32 s3, s2, 31
	s_delay_alu instid0(SALU_CYCLE_1) | instskip(NEXT) | instid1(VALU_DEP_1)
	s_lshl_b64 s[2:3], s[2:3], 1
	v_ashrrev_i32_e32 v4, 31, v3
	s_delay_alu instid0(VALU_DEP_1) | instskip(NEXT) | instid1(VALU_DEP_1)
	v_lshlrev_b64 v[3:4], 1, v[3:4]
	v_add_co_u32 v3, vcc_lo, s4, v3
	s_delay_alu instid0(VALU_DEP_2)
	v_add_co_ci_u32_e32 v4, vcc_lo, s5, v4, vcc_lo
	v_add_co_u32 v1, vcc_lo, v1, s2
	v_add_co_ci_u32_e32 v2, vcc_lo, s3, v2, vcc_lo
	global_load_u16 v3, v[3:4], off
	global_load_u16 v1, v[1:2], off
	s_waitcnt vmcnt(1)
	v_lshlrev_b32_e32 v2, 16, v3
	s_waitcnt vmcnt(0)
	v_lshlrev_b32_e32 v1, 16, v1
	s_delay_alu instid0(VALU_DEP_1) | instskip(NEXT) | instid1(VALU_DEP_1)
	v_mul_f32_e32 v1, v1, v2
	v_and_b32_e32 v2, 0x7f800000, v1
	s_delay_alu instid0(VALU_DEP_1) | instskip(SKIP_1) | instid1(SALU_CYCLE_1)
	v_cmp_ne_u32_e32 vcc_lo, 0x7f800000, v2
                                        ; implicit-def: $vgpr2
	s_and_saveexec_b32 s1, vcc_lo
	s_xor_b32 s1, exec_lo, s1
; %bb.18:
	v_bfe_u32 v2, v1, 16, 1
	s_delay_alu instid0(VALU_DEP_1)
	v_add3_u32 v2, v1, v2, 0x7fff
                                        ; implicit-def: $vgpr1
; %bb.19:
	s_and_not1_saveexec_b32 s1, s1
; %bb.20:
	v_and_b32_e32 v2, 0xffff, v1
	v_or_b32_e32 v3, 0x10000, v1
	s_delay_alu instid0(VALU_DEP_2) | instskip(NEXT) | instid1(VALU_DEP_2)
	v_cmp_eq_u32_e32 vcc_lo, 0, v2
	v_cndmask_b32_e32 v2, v3, v1, vcc_lo
; %bb.21:
	s_or_b32 exec_lo, exec_lo, s1
	s_delay_alu instid0(VALU_DEP_1) | instskip(NEXT) | instid1(VALU_DEP_1)
	v_and_b32_e32 v1, 0xffff0000, v2
	v_add_f32_e32 v7, v7, v1
.LBB660_22:
	s_or_b32 exec_lo, exec_lo, s0
	v_and_b32_e32 v6, 31, v0
	v_cmp_gt_u32_e32 vcc_lo, 32, v0
	s_delay_alu instid0(VALU_DEP_2)
	v_lshlrev_b32_e32 v1, 2, v6
	s_and_saveexec_b32 s0, vcc_lo
	s_cbranch_execz .LBB660_24
; %bb.23:
	v_mov_b32_e32 v2, 0
	ds_store_b32 v1, v2
.LBB660_24:
	s_or_b32 exec_lo, exec_lo, s0
	v_mbcnt_lo_u32_b32 v8, -1, 0
	s_mov_b32 s1, exec_lo
	s_waitcnt lgkmcnt(0)
	s_barrier
	buffer_gl0_inv
	v_cmp_gt_u32_e64 s0, 16, v8
	s_delay_alu instid0(VALU_DEP_1) | instskip(SKIP_1) | instid1(VALU_DEP_2)
	v_cndmask_b32_e64 v2, 0, 1, s0
	v_cmp_gt_u32_e64 s0, 24, v8
	v_lshlrev_b32_e32 v2, 4, v2
	s_delay_alu instid0(VALU_DEP_2) | instskip(SKIP_1) | instid1(VALU_DEP_3)
	v_cndmask_b32_e64 v3, 0, 1, s0
	v_cmp_gt_u32_e64 s0, 28, v8
	v_add_lshl_u32 v2, v2, v8, 2
	s_delay_alu instid0(VALU_DEP_3)
	v_lshlrev_b32_e32 v3, 3, v3
	ds_bpermute_b32 v4, v2, v7
	v_add_lshl_u32 v3, v3, v8, 2
	s_waitcnt lgkmcnt(0)
	v_add_f32_e32 v5, v7, v4
	v_cndmask_b32_e64 v4, 0, 1, s0
	v_cmp_gt_u32_e64 s0, 30, v8
	ds_bpermute_b32 v7, v3, v5
	s_waitcnt lgkmcnt(0)
	v_dual_add_f32 v7, v5, v7 :: v_dual_lshlrev_b32 v4, 2, v4
	s_delay_alu instid0(VALU_DEP_1)
	v_add_lshl_u32 v4, v4, v8, 2
	v_cndmask_b32_e64 v5, 0, 1, s0
	v_cmp_ne_u32_e64 s0, 31, v8
	ds_bpermute_b32 v9, v4, v7
	v_lshlrev_b32_e32 v5, 1, v5
	v_add_co_ci_u32_e64 v10, s0, 0, v8, s0
	s_delay_alu instid0(VALU_DEP_2)
	v_add_lshl_u32 v5, v5, v8, 2
	s_waitcnt lgkmcnt(0)
	v_add_f32_e32 v7, v7, v9
	ds_bpermute_b32 v9, v5, v7
	s_waitcnt lgkmcnt(0)
	v_dual_add_f32 v8, v7, v9 :: v_dual_lshlrev_b32 v7, 2, v10
	ds_bpermute_b32 v9, v7, v8
	v_cmpx_eq_u32_e32 0, v6
	s_cbranch_execz .LBB660_26
; %bb.25:
	v_lshrrev_b32_e32 v6, 3, v0
	s_waitcnt lgkmcnt(0)
	v_add_f32_e32 v8, v8, v9
	s_delay_alu instid0(VALU_DEP_2)
	v_and_b32_e32 v6, 0x7c, v6
	ds_store_b32 v6, v8
.LBB660_26:
	s_or_b32 exec_lo, exec_lo, s1
	v_mov_b32_e32 v6, 0
	s_waitcnt lgkmcnt(0)
	s_barrier
	buffer_gl0_inv
	s_and_saveexec_b32 s0, vcc_lo
	s_cbranch_execz .LBB660_28
; %bb.27:
	ds_load_b32 v6, v1
.LBB660_28:
	s_or_b32 exec_lo, exec_lo, s0
	s_and_saveexec_b32 s0, vcc_lo
	s_cbranch_execz .LBB660_30
; %bb.29:
	s_waitcnt lgkmcnt(0)
	ds_bpermute_b32 v1, v2, v6
	s_waitcnt lgkmcnt(0)
	v_add_f32_e32 v1, v6, v1
	ds_bpermute_b32 v2, v3, v1
	s_waitcnt lgkmcnt(0)
	v_add_f32_e32 v1, v1, v2
	;; [unrolled: 3-line block ×5, first 2 shown]
.LBB660_30:
	s_or_b32 exec_lo, exec_lo, s0
	s_delay_alu instid0(SALU_CYCLE_1)
	s_mov_b32 s0, exec_lo
                                        ; implicit-def: $vgpr1
                                        ; implicit-def: $sgpr4_sgpr5
	v_cmpx_eq_u32_e32 0, v0
	s_cbranch_execz .LBB660_34
; %bb.31:
	v_cmp_eq_f32_e64 s1, s8, 0
	s_waitcnt lgkmcnt(0)
	v_mul_f32_e32 v1, s10, v6
	s_mul_i32 s4, s14, s11
	s_delay_alu instid0(SALU_CYCLE_1)
	s_ashr_i32 s5, s4, 31
	s_and_b32 vcc_lo, exec_lo, s1
	s_cbranch_vccnz .LBB660_33
; %bb.32:
	s_lshl_b64 s[2:3], s[4:5], 2
	s_delay_alu instid0(SALU_CYCLE_1)
	s_add_u32 s2, s6, s2
	s_addc_u32 s3, s7, s3
	s_load_b32 s1, s[2:3], 0x0
	s_waitcnt lgkmcnt(0)
	v_fmac_f32_e64 v1, s1, s8
.LBB660_33:
	s_or_b32 s9, s9, exec_lo
.LBB660_34:
	s_or_b32 exec_lo, exec_lo, s0
.LBB660_35:
	s_and_saveexec_b32 s0, s9
	s_cbranch_execz .LBB660_37
; %bb.36:
	s_lshl_b64 s[0:1], s[4:5], 2
	v_mov_b32_e32 v0, 0
	s_add_u32 s0, s6, s0
	s_addc_u32 s1, s7, s1
	global_store_b32 v0, v1, s[0:1]
.LBB660_37:
	s_nop 0
	s_sendmsg sendmsg(MSG_DEALLOC_VGPRS)
	s_endpgm
	.section	.rodata,"a",@progbits
	.p2align	6, 0x0
	.amdhsa_kernel _ZL32rocblas_gemvt_warp_reduce_kernelILb1ELi1024Ei16rocblas_bfloat16ffEviiT3_lPKT2_lT1_lS4_lS5_lS1_lPT4_lS5_li
		.amdhsa_group_segment_fixed_size 128
		.amdhsa_private_segment_fixed_size 0
		.amdhsa_kernarg_size 140
		.amdhsa_user_sgpr_count 14
		.amdhsa_user_sgpr_dispatch_ptr 0
		.amdhsa_user_sgpr_queue_ptr 0
		.amdhsa_user_sgpr_kernarg_segment_ptr 1
		.amdhsa_user_sgpr_dispatch_id 0
		.amdhsa_user_sgpr_private_segment_size 0
		.amdhsa_wavefront_size32 1
		.amdhsa_uses_dynamic_stack 0
		.amdhsa_enable_private_segment 0
		.amdhsa_system_sgpr_workgroup_id_x 1
		.amdhsa_system_sgpr_workgroup_id_y 0
		.amdhsa_system_sgpr_workgroup_id_z 1
		.amdhsa_system_sgpr_workgroup_info 0
		.amdhsa_system_vgpr_workitem_id 0
		.amdhsa_next_free_vgpr 11
		.amdhsa_next_free_sgpr 24
		.amdhsa_reserve_vcc 1
		.amdhsa_float_round_mode_32 0
		.amdhsa_float_round_mode_16_64 0
		.amdhsa_float_denorm_mode_32 3
		.amdhsa_float_denorm_mode_16_64 3
		.amdhsa_dx10_clamp 1
		.amdhsa_ieee_mode 1
		.amdhsa_fp16_overflow 0
		.amdhsa_workgroup_processor_mode 1
		.amdhsa_memory_ordered 1
		.amdhsa_forward_progress 0
		.amdhsa_shared_vgpr_count 0
		.amdhsa_exception_fp_ieee_invalid_op 0
		.amdhsa_exception_fp_denorm_src 0
		.amdhsa_exception_fp_ieee_div_zero 0
		.amdhsa_exception_fp_ieee_overflow 0
		.amdhsa_exception_fp_ieee_underflow 0
		.amdhsa_exception_fp_ieee_inexact 0
		.amdhsa_exception_int_div_zero 0
	.end_amdhsa_kernel
	.section	.text._ZL32rocblas_gemvt_warp_reduce_kernelILb1ELi1024Ei16rocblas_bfloat16ffEviiT3_lPKT2_lT1_lS4_lS5_lS1_lPT4_lS5_li,"axG",@progbits,_ZL32rocblas_gemvt_warp_reduce_kernelILb1ELi1024Ei16rocblas_bfloat16ffEviiT3_lPKT2_lT1_lS4_lS5_lS1_lPT4_lS5_li,comdat
.Lfunc_end660:
	.size	_ZL32rocblas_gemvt_warp_reduce_kernelILb1ELi1024Ei16rocblas_bfloat16ffEviiT3_lPKT2_lT1_lS4_lS5_lS1_lPT4_lS5_li, .Lfunc_end660-_ZL32rocblas_gemvt_warp_reduce_kernelILb1ELi1024Ei16rocblas_bfloat16ffEviiT3_lPKT2_lT1_lS4_lS5_lS1_lPT4_lS5_li
                                        ; -- End function
	.section	.AMDGPU.csdata,"",@progbits
; Kernel info:
; codeLenInByte = 1652
; NumSgprs: 26
; NumVgprs: 11
; ScratchSize: 0
; MemoryBound: 0
; FloatMode: 240
; IeeeMode: 1
; LDSByteSize: 128 bytes/workgroup (compile time only)
; SGPRBlocks: 3
; VGPRBlocks: 1
; NumSGPRsForWavesPerEU: 26
; NumVGPRsForWavesPerEU: 11
; Occupancy: 16
; WaveLimiterHint : 1
; COMPUTE_PGM_RSRC2:SCRATCH_EN: 0
; COMPUTE_PGM_RSRC2:USER_SGPR: 14
; COMPUTE_PGM_RSRC2:TRAP_HANDLER: 0
; COMPUTE_PGM_RSRC2:TGID_X_EN: 1
; COMPUTE_PGM_RSRC2:TGID_Y_EN: 0
; COMPUTE_PGM_RSRC2:TGID_Z_EN: 1
; COMPUTE_PGM_RSRC2:TIDIG_COMP_CNT: 0
	.section	.text._ZL32rocblas_gemvt_warp_reduce_kernelILb1ELi1024El16rocblas_bfloat16ffEviiT3_lPKT2_lT1_lS4_lS5_lS1_lPT4_lS5_li,"axG",@progbits,_ZL32rocblas_gemvt_warp_reduce_kernelILb1ELi1024El16rocblas_bfloat16ffEviiT3_lPKT2_lT1_lS4_lS5_lS1_lPT4_lS5_li,comdat
	.globl	_ZL32rocblas_gemvt_warp_reduce_kernelILb1ELi1024El16rocblas_bfloat16ffEviiT3_lPKT2_lT1_lS4_lS5_lS1_lPT4_lS5_li ; -- Begin function _ZL32rocblas_gemvt_warp_reduce_kernelILb1ELi1024El16rocblas_bfloat16ffEviiT3_lPKT2_lT1_lS4_lS5_lS1_lPT4_lS5_li
	.p2align	8
	.type	_ZL32rocblas_gemvt_warp_reduce_kernelILb1ELi1024El16rocblas_bfloat16ffEviiT3_lPKT2_lT1_lS4_lS5_lS1_lPT4_lS5_li,@function
_ZL32rocblas_gemvt_warp_reduce_kernelILb1ELi1024El16rocblas_bfloat16ffEviiT3_lPKT2_lT1_lS4_lS5_lS1_lPT4_lS5_li: ; @_ZL32rocblas_gemvt_warp_reduce_kernelILb1ELi1024El16rocblas_bfloat16ffEviiT3_lPKT2_lT1_lS4_lS5_lS1_lPT4_lS5_li
; %bb.0:
	s_clause 0x1
	s_load_b32 s33, s[0:1], 0x8
	s_load_b32 s12, s[0:1], 0x58
	s_mov_b32 s13, 0
	s_waitcnt lgkmcnt(0)
	v_cmp_eq_f32_e64 s2, s33, 0
	v_cmp_eq_f32_e64 s3, s12, 1.0
	s_delay_alu instid0(VALU_DEP_1) | instskip(NEXT) | instid1(SALU_CYCLE_1)
	s_and_b32 s2, s2, s3
	s_and_b32 vcc_lo, exec_lo, s2
	s_cbranch_vccnz .LBB661_37
; %bb.1:
	s_load_b256 s[4:11], s[0:1], 0x68
	v_cmp_neq_f32_e64 s16, s33, 0
	s_waitcnt lgkmcnt(0)
	s_mul_i32 s3, s15, s11
	s_mul_hi_u32 s11, s15, s10
	s_mul_i32 s2, s15, s10
	s_add_i32 s3, s11, s3
	s_delay_alu instid0(SALU_CYCLE_1) | instskip(NEXT) | instid1(SALU_CYCLE_1)
	s_lshl_b64 s[2:3], s[2:3], 2
	s_add_u32 s4, s4, s2
	s_addc_u32 s5, s5, s3
	s_lshl_b64 s[2:3], s[6:7], 2
	s_delay_alu instid0(SALU_CYCLE_1)
	s_add_u32 s10, s4, s2
	v_cmp_eq_u32_e64 s2, 0, v0
	s_addc_u32 s11, s5, s3
	s_and_b32 vcc_lo, exec_lo, s16
	s_cbranch_vccnz .LBB661_6
; %bb.2:
	s_mov_b32 s3, 0
                                        ; implicit-def: $vgpr1
                                        ; implicit-def: $sgpr4_sgpr5
	s_and_saveexec_b32 s6, s2
	s_cbranch_execz .LBB661_7
; %bb.3:
	v_cmp_eq_f32_e64 s2, s12, 0
	s_mul_i32 s4, s14, s9
	s_mul_hi_u32 s5, s14, s8
	s_ashr_i32 s7, s14, 31
	v_mov_b32_e32 v1, 0
	s_add_i32 s4, s5, s4
	s_mul_i32 s7, s7, s8
	s_and_b32 vcc_lo, exec_lo, s2
	s_add_i32 s5, s4, s7
	s_mul_i32 s4, s14, s8
	s_cbranch_vccnz .LBB661_5
; %bb.4:
	s_lshl_b64 s[16:17], s[4:5], 2
	s_delay_alu instid0(SALU_CYCLE_1)
	s_add_u32 s16, s10, s16
	s_addc_u32 s17, s11, s17
	s_load_b32 s2, s[16:17], 0x0
	s_waitcnt lgkmcnt(0)
	v_mul_f32_e64 v1, s2, s12
.LBB661_5:
	s_mov_b32 s13, exec_lo
	s_or_b32 exec_lo, exec_lo, s6
	s_delay_alu instid0(SALU_CYCLE_1)
	s_and_b32 vcc_lo, exec_lo, s3
	s_cbranch_vccnz .LBB661_8
	s_branch .LBB661_35
.LBB661_6:
                                        ; implicit-def: $vgpr1
                                        ; implicit-def: $sgpr4_sgpr5
	s_cbranch_execnz .LBB661_8
	s_branch .LBB661_35
.LBB661_7:
	s_or_b32 exec_lo, exec_lo, s6
	s_delay_alu instid0(SALU_CYCLE_1)
	s_and_b32 vcc_lo, exec_lo, s3
	s_cbranch_vccz .LBB661_35
.LBB661_8:
	s_clause 0x1
	s_load_b512 s[16:31], s[0:1], 0x18
	s_load_b32 s5, s[0:1], 0x0
	v_mov_b32_e32 v7, 0
	s_waitcnt lgkmcnt(0)
	s_mul_i32 s1, s15, s23
	s_mul_hi_u32 s4, s15, s22
	s_mul_i32 s0, s15, s22
	s_add_i32 s1, s4, s1
	s_mul_i32 s2, s15, s31
	s_mul_hi_u32 s3, s15, s30
	s_lshl_b64 s[0:1], s[0:1], 1
	s_add_i32 s3, s3, s2
	v_cmp_gt_i32_e32 vcc_lo, s5, v0
	s_add_u32 s2, s16, s0
	s_addc_u32 s6, s17, s1
	s_lshl_b64 s[0:1], s[18:19], 1
	s_mul_i32 s4, s14, s21
	s_add_u32 s0, s2, s0
	s_mul_hi_u32 s7, s14, s20
	s_addc_u32 s2, s6, s1
	s_ashr_i32 s1, s14, 31
	v_cndmask_b32_e32 v1, 0, v0, vcc_lo
	s_add_i32 s4, s7, s4
	s_mul_i32 s7, s1, s20
	s_mul_i32 s6, s14, s20
	s_add_i32 s7, s4, s7
	v_lshlrev_b32_e32 v1, 1, v1
	s_lshl_b64 s[6:7], s[6:7], 1
	s_mov_b32 s16, 0
	s_add_u32 s0, s6, s0
	s_addc_u32 s2, s7, s2
	s_ashr_i32 s4, s5, 31
	v_add_co_u32 v1, s0, s0, v1
	s_lshr_b32 s4, s4, 22
	v_add_co_ci_u32_e64 v2, null, s2, 0, s0
	s_add_i32 s4, s5, s4
	s_mul_i32 s2, s15, s30
	s_and_b32 s4, s4, 0xfffffc00
	s_mov_b32 s15, exec_lo
	v_cmpx_gt_i32_e64 s4, v0
	s_cbranch_execz .LBB661_16
; %bb.9:
	v_mad_u64_u32 v[5:6], null, s28, v0, 0
	s_lshl_b64 s[18:19], s[26:27], 1
	s_lshl_b64 s[6:7], s[2:3], 1
	s_add_u32 s0, s24, s18
	s_addc_u32 s17, s25, s19
	s_add_u32 s0, s0, s6
	s_addc_u32 s6, s17, s7
	s_delay_alu instid0(VALU_DEP_1) | instskip(NEXT) | instid1(VALU_DEP_1)
	v_dual_mov_b32 v3, v6 :: v_dual_mov_b32 v8, v0
	v_mad_u64_u32 v[6:7], null, s29, v0, v[3:4]
	v_dual_mov_b32 v7, 0 :: v_dual_mov_b32 v4, v2
	v_mov_b32_e32 v3, v1
	s_delay_alu instid0(VALU_DEP_3) | instskip(NEXT) | instid1(VALU_DEP_1)
	v_lshlrev_b64 v[5:6], 1, v[5:6]
	v_add_co_u32 v5, vcc_lo, s0, v5
	s_delay_alu instid0(VALU_DEP_2)
	v_add_co_ci_u32_e32 v6, vcc_lo, s6, v6, vcc_lo
	s_lshl_b64 s[6:7], s[28:29], 11
	s_set_inst_prefetch_distance 0x1
	s_branch .LBB661_11
	.p2align	6
.LBB661_10:                             ;   in Loop: Header=BB661_11 Depth=1
	s_or_b32 exec_lo, exec_lo, s0
	s_delay_alu instid0(VALU_DEP_1) | instskip(SKIP_3) | instid1(VALU_DEP_4)
	v_and_b32_e32 v9, 0xffff0000, v10
	v_add_nc_u32_e32 v8, 0x400, v8
	v_add_co_u32 v3, vcc_lo, 0x800, v3
	v_add_co_ci_u32_e32 v4, vcc_lo, 0, v4, vcc_lo
	v_add_f32_e32 v7, v7, v9
	s_delay_alu instid0(VALU_DEP_4) | instskip(SKIP_1) | instid1(VALU_DEP_1)
	v_cmp_le_i32_e32 vcc_lo, s4, v8
	v_add_co_u32 v5, s0, v5, s6
	v_add_co_ci_u32_e64 v6, s0, s7, v6, s0
	s_or_b32 s16, vcc_lo, s16
	s_delay_alu instid0(SALU_CYCLE_1)
	s_and_not1_b32 exec_lo, exec_lo, s16
	s_cbranch_execz .LBB661_15
.LBB661_11:                             ; =>This Inner Loop Header: Depth=1
	global_load_u16 v9, v[5:6], off
	global_load_u16 v10, v[3:4], off
	s_waitcnt vmcnt(1)
	v_lshlrev_b32_e32 v9, 16, v9
	s_waitcnt vmcnt(0)
	v_lshlrev_b32_e32 v10, 16, v10
	s_delay_alu instid0(VALU_DEP_1) | instskip(NEXT) | instid1(VALU_DEP_1)
	v_mul_f32_e32 v9, v10, v9
	v_and_b32_e32 v10, 0x7f800000, v9
	s_delay_alu instid0(VALU_DEP_1) | instskip(SKIP_1) | instid1(SALU_CYCLE_1)
	v_cmp_ne_u32_e32 vcc_lo, 0x7f800000, v10
                                        ; implicit-def: $vgpr10
	s_and_saveexec_b32 s0, vcc_lo
	s_xor_b32 s0, exec_lo, s0
; %bb.12:                               ;   in Loop: Header=BB661_11 Depth=1
	v_bfe_u32 v10, v9, 16, 1
	s_delay_alu instid0(VALU_DEP_1)
	v_add3_u32 v10, v9, v10, 0x7fff
                                        ; implicit-def: $vgpr9
; %bb.13:                               ;   in Loop: Header=BB661_11 Depth=1
	s_and_not1_saveexec_b32 s0, s0
	s_cbranch_execz .LBB661_10
; %bb.14:                               ;   in Loop: Header=BB661_11 Depth=1
	v_and_b32_e32 v10, 0xffff, v9
	v_or_b32_e32 v11, 0x10000, v9
	s_delay_alu instid0(VALU_DEP_2) | instskip(NEXT) | instid1(VALU_DEP_2)
	v_cmp_eq_u32_e32 vcc_lo, 0, v10
	v_cndmask_b32_e32 v10, v11, v9, vcc_lo
	s_branch .LBB661_10
.LBB661_15:
	s_set_inst_prefetch_distance 0x2
	s_or_b32 exec_lo, exec_lo, s16
.LBB661_16:
	s_delay_alu instid0(SALU_CYCLE_1) | instskip(SKIP_2) | instid1(VALU_DEP_1)
	s_or_b32 exec_lo, exec_lo, s15
	v_or_b32_e32 v3, s4, v0
	s_mov_b32 s0, exec_lo
	v_cmpx_gt_i32_e64 s5, v3
	s_cbranch_execz .LBB661_22
; %bb.17:
	v_ashrrev_i32_e32 v6, 31, v3
	v_mul_lo_u32 v8, v3, s29
	v_mad_u64_u32 v[4:5], null, v3, s28, 0
	s_lshl_b64 s[2:3], s[2:3], 1
	s_delay_alu instid0(VALU_DEP_3) | instskip(SKIP_3) | instid1(SALU_CYCLE_1)
	v_mul_lo_u32 v3, v6, s28
	s_add_u32 s5, s24, s2
	s_addc_u32 s6, s25, s3
	s_lshl_b64 s[2:3], s[26:27], 1
	s_add_u32 s7, s5, s2
	s_addc_u32 s6, s6, s3
	s_ashr_i32 s5, s4, 31
	s_delay_alu instid0(VALU_DEP_1) | instskip(SKIP_1) | instid1(VALU_DEP_1)
	v_add3_u32 v5, v5, v8, v3
	s_lshl_b64 s[2:3], s[4:5], 1
	v_lshlrev_b64 v[3:4], 1, v[4:5]
	s_delay_alu instid0(VALU_DEP_1) | instskip(NEXT) | instid1(VALU_DEP_2)
	v_add_co_u32 v3, vcc_lo, s7, v3
	v_add_co_ci_u32_e32 v4, vcc_lo, s6, v4, vcc_lo
	v_add_co_u32 v1, vcc_lo, v1, s2
	v_add_co_ci_u32_e32 v2, vcc_lo, s3, v2, vcc_lo
	global_load_u16 v3, v[3:4], off
	global_load_u16 v1, v[1:2], off
	s_waitcnt vmcnt(1)
	v_lshlrev_b32_e32 v2, 16, v3
	s_waitcnt vmcnt(0)
	v_lshlrev_b32_e32 v1, 16, v1
	s_delay_alu instid0(VALU_DEP_1) | instskip(NEXT) | instid1(VALU_DEP_1)
	v_mul_f32_e32 v1, v1, v2
	v_and_b32_e32 v2, 0x7f800000, v1
	s_delay_alu instid0(VALU_DEP_1) | instskip(SKIP_1) | instid1(SALU_CYCLE_1)
	v_cmp_ne_u32_e32 vcc_lo, 0x7f800000, v2
                                        ; implicit-def: $vgpr2
	s_and_saveexec_b32 s2, vcc_lo
	s_xor_b32 s2, exec_lo, s2
; %bb.18:
	v_bfe_u32 v2, v1, 16, 1
	s_delay_alu instid0(VALU_DEP_1)
	v_add3_u32 v2, v1, v2, 0x7fff
                                        ; implicit-def: $vgpr1
; %bb.19:
	s_and_not1_saveexec_b32 s2, s2
; %bb.20:
	v_and_b32_e32 v2, 0xffff, v1
	v_or_b32_e32 v3, 0x10000, v1
	s_delay_alu instid0(VALU_DEP_2) | instskip(NEXT) | instid1(VALU_DEP_2)
	v_cmp_eq_u32_e32 vcc_lo, 0, v2
	v_cndmask_b32_e32 v2, v3, v1, vcc_lo
; %bb.21:
	s_or_b32 exec_lo, exec_lo, s2
	s_delay_alu instid0(VALU_DEP_1) | instskip(NEXT) | instid1(VALU_DEP_1)
	v_and_b32_e32 v1, 0xffff0000, v2
	v_add_f32_e32 v7, v7, v1
.LBB661_22:
	s_or_b32 exec_lo, exec_lo, s0
	v_and_b32_e32 v6, 31, v0
	v_cmp_gt_u32_e32 vcc_lo, 32, v0
	s_delay_alu instid0(VALU_DEP_2)
	v_lshlrev_b32_e32 v1, 2, v6
	s_and_saveexec_b32 s0, vcc_lo
	s_cbranch_execz .LBB661_24
; %bb.23:
	v_mov_b32_e32 v2, 0
	ds_store_b32 v1, v2
.LBB661_24:
	s_or_b32 exec_lo, exec_lo, s0
	v_mbcnt_lo_u32_b32 v8, -1, 0
	s_mov_b32 s2, exec_lo
	s_waitcnt lgkmcnt(0)
	s_barrier
	buffer_gl0_inv
	v_cmp_gt_u32_e64 s0, 16, v8
	s_delay_alu instid0(VALU_DEP_1) | instskip(SKIP_1) | instid1(VALU_DEP_2)
	v_cndmask_b32_e64 v2, 0, 1, s0
	v_cmp_gt_u32_e64 s0, 24, v8
	v_lshlrev_b32_e32 v2, 4, v2
	s_delay_alu instid0(VALU_DEP_2) | instskip(SKIP_1) | instid1(VALU_DEP_3)
	v_cndmask_b32_e64 v3, 0, 1, s0
	v_cmp_gt_u32_e64 s0, 28, v8
	v_add_lshl_u32 v2, v2, v8, 2
	s_delay_alu instid0(VALU_DEP_3)
	v_lshlrev_b32_e32 v3, 3, v3
	ds_bpermute_b32 v4, v2, v7
	v_add_lshl_u32 v3, v3, v8, 2
	s_waitcnt lgkmcnt(0)
	v_add_f32_e32 v5, v7, v4
	v_cndmask_b32_e64 v4, 0, 1, s0
	v_cmp_gt_u32_e64 s0, 30, v8
	ds_bpermute_b32 v7, v3, v5
	s_waitcnt lgkmcnt(0)
	v_dual_add_f32 v7, v5, v7 :: v_dual_lshlrev_b32 v4, 2, v4
	s_delay_alu instid0(VALU_DEP_1)
	v_add_lshl_u32 v4, v4, v8, 2
	v_cndmask_b32_e64 v5, 0, 1, s0
	v_cmp_ne_u32_e64 s0, 31, v8
	ds_bpermute_b32 v9, v4, v7
	v_lshlrev_b32_e32 v5, 1, v5
	v_add_co_ci_u32_e64 v10, s0, 0, v8, s0
	s_delay_alu instid0(VALU_DEP_2)
	v_add_lshl_u32 v5, v5, v8, 2
	s_waitcnt lgkmcnt(0)
	v_add_f32_e32 v7, v7, v9
	ds_bpermute_b32 v9, v5, v7
	s_waitcnt lgkmcnt(0)
	v_dual_add_f32 v8, v7, v9 :: v_dual_lshlrev_b32 v7, 2, v10
	ds_bpermute_b32 v9, v7, v8
	v_cmpx_eq_u32_e32 0, v6
	s_cbranch_execz .LBB661_26
; %bb.25:
	v_lshrrev_b32_e32 v6, 3, v0
	s_waitcnt lgkmcnt(0)
	v_add_f32_e32 v8, v8, v9
	s_delay_alu instid0(VALU_DEP_2)
	v_and_b32_e32 v6, 0x7c, v6
	ds_store_b32 v6, v8
.LBB661_26:
	s_or_b32 exec_lo, exec_lo, s2
	v_mov_b32_e32 v6, 0
	s_waitcnt lgkmcnt(0)
	s_barrier
	buffer_gl0_inv
	s_and_saveexec_b32 s0, vcc_lo
	s_cbranch_execz .LBB661_28
; %bb.27:
	ds_load_b32 v6, v1
.LBB661_28:
	s_or_b32 exec_lo, exec_lo, s0
	s_and_saveexec_b32 s0, vcc_lo
	s_cbranch_execz .LBB661_30
; %bb.29:
	s_waitcnt lgkmcnt(0)
	ds_bpermute_b32 v1, v2, v6
	s_waitcnt lgkmcnt(0)
	v_add_f32_e32 v1, v6, v1
	ds_bpermute_b32 v2, v3, v1
	s_waitcnt lgkmcnt(0)
	v_add_f32_e32 v1, v1, v2
	;; [unrolled: 3-line block ×5, first 2 shown]
.LBB661_30:
	s_or_b32 exec_lo, exec_lo, s0
	s_delay_alu instid0(SALU_CYCLE_1)
	s_mov_b32 s0, exec_lo
                                        ; implicit-def: $vgpr1
                                        ; implicit-def: $sgpr4_sgpr5
	v_cmpx_eq_u32_e32 0, v0
	s_cbranch_execz .LBB661_34
; %bb.31:
	v_cmp_eq_f32_e64 s4, s12, 0
	s_mul_i32 s2, s14, s9
	s_mul_hi_u32 s3, s14, s8
	s_waitcnt lgkmcnt(0)
	v_mul_f32_e32 v1, s33, v6
	s_add_i32 s2, s3, s2
	s_mul_i32 s1, s1, s8
	s_and_b32 vcc_lo, exec_lo, s4
	s_add_i32 s5, s2, s1
	s_mul_i32 s4, s14, s8
	s_cbranch_vccnz .LBB661_33
; %bb.32:
	s_lshl_b64 s[2:3], s[4:5], 2
	s_delay_alu instid0(SALU_CYCLE_1)
	s_add_u32 s2, s10, s2
	s_addc_u32 s3, s11, s3
	s_load_b32 s1, s[2:3], 0x0
	s_waitcnt lgkmcnt(0)
	v_fmac_f32_e64 v1, s1, s12
.LBB661_33:
	s_or_b32 s13, s13, exec_lo
.LBB661_34:
	s_or_b32 exec_lo, exec_lo, s0
.LBB661_35:
	s_and_saveexec_b32 s0, s13
	s_cbranch_execz .LBB661_37
; %bb.36:
	s_lshl_b64 s[0:1], s[4:5], 2
	v_mov_b32_e32 v0, 0
	s_add_u32 s0, s10, s0
	s_addc_u32 s1, s11, s1
	global_store_b32 v0, v1, s[0:1]
.LBB661_37:
	s_nop 0
	s_sendmsg sendmsg(MSG_DEALLOC_VGPRS)
	s_endpgm
	.section	.rodata,"a",@progbits
	.p2align	6, 0x0
	.amdhsa_kernel _ZL32rocblas_gemvt_warp_reduce_kernelILb1ELi1024El16rocblas_bfloat16ffEviiT3_lPKT2_lT1_lS4_lS5_lS1_lPT4_lS5_li
		.amdhsa_group_segment_fixed_size 128
		.amdhsa_private_segment_fixed_size 0
		.amdhsa_kernarg_size 140
		.amdhsa_user_sgpr_count 14
		.amdhsa_user_sgpr_dispatch_ptr 0
		.amdhsa_user_sgpr_queue_ptr 0
		.amdhsa_user_sgpr_kernarg_segment_ptr 1
		.amdhsa_user_sgpr_dispatch_id 0
		.amdhsa_user_sgpr_private_segment_size 0
		.amdhsa_wavefront_size32 1
		.amdhsa_uses_dynamic_stack 0
		.amdhsa_enable_private_segment 0
		.amdhsa_system_sgpr_workgroup_id_x 1
		.amdhsa_system_sgpr_workgroup_id_y 0
		.amdhsa_system_sgpr_workgroup_id_z 1
		.amdhsa_system_sgpr_workgroup_info 0
		.amdhsa_system_vgpr_workitem_id 0
		.amdhsa_next_free_vgpr 12
		.amdhsa_next_free_sgpr 34
		.amdhsa_reserve_vcc 1
		.amdhsa_float_round_mode_32 0
		.amdhsa_float_round_mode_16_64 0
		.amdhsa_float_denorm_mode_32 3
		.amdhsa_float_denorm_mode_16_64 3
		.amdhsa_dx10_clamp 1
		.amdhsa_ieee_mode 1
		.amdhsa_fp16_overflow 0
		.amdhsa_workgroup_processor_mode 1
		.amdhsa_memory_ordered 1
		.amdhsa_forward_progress 0
		.amdhsa_shared_vgpr_count 0
		.amdhsa_exception_fp_ieee_invalid_op 0
		.amdhsa_exception_fp_denorm_src 0
		.amdhsa_exception_fp_ieee_div_zero 0
		.amdhsa_exception_fp_ieee_overflow 0
		.amdhsa_exception_fp_ieee_underflow 0
		.amdhsa_exception_fp_ieee_inexact 0
		.amdhsa_exception_int_div_zero 0
	.end_amdhsa_kernel
	.section	.text._ZL32rocblas_gemvt_warp_reduce_kernelILb1ELi1024El16rocblas_bfloat16ffEviiT3_lPKT2_lT1_lS4_lS5_lS1_lPT4_lS5_li,"axG",@progbits,_ZL32rocblas_gemvt_warp_reduce_kernelILb1ELi1024El16rocblas_bfloat16ffEviiT3_lPKT2_lT1_lS4_lS5_lS1_lPT4_lS5_li,comdat
.Lfunc_end661:
	.size	_ZL32rocblas_gemvt_warp_reduce_kernelILb1ELi1024El16rocblas_bfloat16ffEviiT3_lPKT2_lT1_lS4_lS5_lS1_lPT4_lS5_li, .Lfunc_end661-_ZL32rocblas_gemvt_warp_reduce_kernelILb1ELi1024El16rocblas_bfloat16ffEviiT3_lPKT2_lT1_lS4_lS5_lS1_lPT4_lS5_li
                                        ; -- End function
	.section	.AMDGPU.csdata,"",@progbits
; Kernel info:
; codeLenInByte = 1720
; NumSgprs: 36
; NumVgprs: 12
; ScratchSize: 0
; MemoryBound: 0
; FloatMode: 240
; IeeeMode: 1
; LDSByteSize: 128 bytes/workgroup (compile time only)
; SGPRBlocks: 4
; VGPRBlocks: 1
; NumSGPRsForWavesPerEU: 36
; NumVGPRsForWavesPerEU: 12
; Occupancy: 16
; WaveLimiterHint : 1
; COMPUTE_PGM_RSRC2:SCRATCH_EN: 0
; COMPUTE_PGM_RSRC2:USER_SGPR: 14
; COMPUTE_PGM_RSRC2:TRAP_HANDLER: 0
; COMPUTE_PGM_RSRC2:TGID_X_EN: 1
; COMPUTE_PGM_RSRC2:TGID_Y_EN: 0
; COMPUTE_PGM_RSRC2:TGID_Z_EN: 1
; COMPUTE_PGM_RSRC2:TIDIG_COMP_CNT: 0
	.section	.text._ZL34rocblas_gemvn_sm_mn_batched_kernelILi32ELi24EPK16rocblas_bfloat16PKfKPfEviiT2_lPKT1_lilSA_lilS7_lPT3_lili,"axG",@progbits,_ZL34rocblas_gemvn_sm_mn_batched_kernelILi32ELi24EPK16rocblas_bfloat16PKfKPfEviiT2_lPKT1_lilSA_lilS7_lPT3_lili,comdat
	.globl	_ZL34rocblas_gemvn_sm_mn_batched_kernelILi32ELi24EPK16rocblas_bfloat16PKfKPfEviiT2_lPKT1_lilSA_lilS7_lPT3_lili ; -- Begin function _ZL34rocblas_gemvn_sm_mn_batched_kernelILi32ELi24EPK16rocblas_bfloat16PKfKPfEviiT2_lPKT1_lilSA_lilS7_lPT3_lili
	.p2align	8
	.type	_ZL34rocblas_gemvn_sm_mn_batched_kernelILi32ELi24EPK16rocblas_bfloat16PKfKPfEviiT2_lPKT1_lilSA_lilS7_lPT3_lili,@function
_ZL34rocblas_gemvn_sm_mn_batched_kernelILi32ELi24EPK16rocblas_bfloat16PKfKPfEviiT2_lPKT1_lilSA_lilS7_lPT3_lili: ; @_ZL34rocblas_gemvn_sm_mn_batched_kernelILi32ELi24EPK16rocblas_bfloat16PKfKPfEviiT2_lPKT1_lilSA_lilS7_lPT3_lili
; %bb.0:
	s_endpgm
	.section	.rodata,"a",@progbits
	.p2align	6, 0x0
	.amdhsa_kernel _ZL34rocblas_gemvn_sm_mn_batched_kernelILi32ELi24EPK16rocblas_bfloat16PKfKPfEviiT2_lPKT1_lilSA_lilS7_lPT3_lili
		.amdhsa_group_segment_fixed_size 0
		.amdhsa_private_segment_fixed_size 0
		.amdhsa_kernarg_size 140
		.amdhsa_user_sgpr_count 15
		.amdhsa_user_sgpr_dispatch_ptr 0
		.amdhsa_user_sgpr_queue_ptr 0
		.amdhsa_user_sgpr_kernarg_segment_ptr 1
		.amdhsa_user_sgpr_dispatch_id 0
		.amdhsa_user_sgpr_private_segment_size 0
		.amdhsa_wavefront_size32 1
		.amdhsa_uses_dynamic_stack 0
		.amdhsa_enable_private_segment 0
		.amdhsa_system_sgpr_workgroup_id_x 1
		.amdhsa_system_sgpr_workgroup_id_y 0
		.amdhsa_system_sgpr_workgroup_id_z 0
		.amdhsa_system_sgpr_workgroup_info 0
		.amdhsa_system_vgpr_workitem_id 0
		.amdhsa_next_free_vgpr 1
		.amdhsa_next_free_sgpr 1
		.amdhsa_reserve_vcc 0
		.amdhsa_float_round_mode_32 0
		.amdhsa_float_round_mode_16_64 0
		.amdhsa_float_denorm_mode_32 3
		.amdhsa_float_denorm_mode_16_64 3
		.amdhsa_dx10_clamp 1
		.amdhsa_ieee_mode 1
		.amdhsa_fp16_overflow 0
		.amdhsa_workgroup_processor_mode 1
		.amdhsa_memory_ordered 1
		.amdhsa_forward_progress 0
		.amdhsa_shared_vgpr_count 0
		.amdhsa_exception_fp_ieee_invalid_op 0
		.amdhsa_exception_fp_denorm_src 0
		.amdhsa_exception_fp_ieee_div_zero 0
		.amdhsa_exception_fp_ieee_overflow 0
		.amdhsa_exception_fp_ieee_underflow 0
		.amdhsa_exception_fp_ieee_inexact 0
		.amdhsa_exception_int_div_zero 0
	.end_amdhsa_kernel
	.section	.text._ZL34rocblas_gemvn_sm_mn_batched_kernelILi32ELi24EPK16rocblas_bfloat16PKfKPfEviiT2_lPKT1_lilSA_lilS7_lPT3_lili,"axG",@progbits,_ZL34rocblas_gemvn_sm_mn_batched_kernelILi32ELi24EPK16rocblas_bfloat16PKfKPfEviiT2_lPKT1_lilSA_lilS7_lPT3_lili,comdat
.Lfunc_end662:
	.size	_ZL34rocblas_gemvn_sm_mn_batched_kernelILi32ELi24EPK16rocblas_bfloat16PKfKPfEviiT2_lPKT1_lilSA_lilS7_lPT3_lili, .Lfunc_end662-_ZL34rocblas_gemvn_sm_mn_batched_kernelILi32ELi24EPK16rocblas_bfloat16PKfKPfEviiT2_lPKT1_lilSA_lilS7_lPT3_lili
                                        ; -- End function
	.section	.AMDGPU.csdata,"",@progbits
; Kernel info:
; codeLenInByte = 4
; NumSgprs: 0
; NumVgprs: 0
; ScratchSize: 0
; MemoryBound: 0
; FloatMode: 240
; IeeeMode: 1
; LDSByteSize: 0 bytes/workgroup (compile time only)
; SGPRBlocks: 0
; VGPRBlocks: 0
; NumSGPRsForWavesPerEU: 1
; NumVGPRsForWavesPerEU: 1
; Occupancy: 12
; WaveLimiterHint : 0
; COMPUTE_PGM_RSRC2:SCRATCH_EN: 0
; COMPUTE_PGM_RSRC2:USER_SGPR: 15
; COMPUTE_PGM_RSRC2:TRAP_HANDLER: 0
; COMPUTE_PGM_RSRC2:TGID_X_EN: 1
; COMPUTE_PGM_RSRC2:TGID_Y_EN: 0
; COMPUTE_PGM_RSRC2:TGID_Z_EN: 0
; COMPUTE_PGM_RSRC2:TIDIG_COMP_CNT: 0
	.section	.text._ZL34rocblas_gemvn_sm_mn_batched_kernelILi32ELi24EPK16rocblas_bfloat16fKPfEviiT2_lPKT1_lilS8_lilS5_lPT3_lili,"axG",@progbits,_ZL34rocblas_gemvn_sm_mn_batched_kernelILi32ELi24EPK16rocblas_bfloat16fKPfEviiT2_lPKT1_lilS8_lilS5_lPT3_lili,comdat
	.globl	_ZL34rocblas_gemvn_sm_mn_batched_kernelILi32ELi24EPK16rocblas_bfloat16fKPfEviiT2_lPKT1_lilS8_lilS5_lPT3_lili ; -- Begin function _ZL34rocblas_gemvn_sm_mn_batched_kernelILi32ELi24EPK16rocblas_bfloat16fKPfEviiT2_lPKT1_lilS8_lilS5_lPT3_lili
	.p2align	8
	.type	_ZL34rocblas_gemvn_sm_mn_batched_kernelILi32ELi24EPK16rocblas_bfloat16fKPfEviiT2_lPKT1_lilS8_lilS5_lPT3_lili,@function
_ZL34rocblas_gemvn_sm_mn_batched_kernelILi32ELi24EPK16rocblas_bfloat16fKPfEviiT2_lPKT1_lilS8_lilS5_lPT3_lili: ; @_ZL34rocblas_gemvn_sm_mn_batched_kernelILi32ELi24EPK16rocblas_bfloat16fKPfEviiT2_lPKT1_lilS8_lilS5_lPT3_lili
; %bb.0:
	s_endpgm
	.section	.rodata,"a",@progbits
	.p2align	6, 0x0
	.amdhsa_kernel _ZL34rocblas_gemvn_sm_mn_batched_kernelILi32ELi24EPK16rocblas_bfloat16fKPfEviiT2_lPKT1_lilS8_lilS5_lPT3_lili
		.amdhsa_group_segment_fixed_size 0
		.amdhsa_private_segment_fixed_size 0
		.amdhsa_kernarg_size 140
		.amdhsa_user_sgpr_count 15
		.amdhsa_user_sgpr_dispatch_ptr 0
		.amdhsa_user_sgpr_queue_ptr 0
		.amdhsa_user_sgpr_kernarg_segment_ptr 1
		.amdhsa_user_sgpr_dispatch_id 0
		.amdhsa_user_sgpr_private_segment_size 0
		.amdhsa_wavefront_size32 1
		.amdhsa_uses_dynamic_stack 0
		.amdhsa_enable_private_segment 0
		.amdhsa_system_sgpr_workgroup_id_x 1
		.amdhsa_system_sgpr_workgroup_id_y 0
		.amdhsa_system_sgpr_workgroup_id_z 0
		.amdhsa_system_sgpr_workgroup_info 0
		.amdhsa_system_vgpr_workitem_id 0
		.amdhsa_next_free_vgpr 1
		.amdhsa_next_free_sgpr 1
		.amdhsa_reserve_vcc 0
		.amdhsa_float_round_mode_32 0
		.amdhsa_float_round_mode_16_64 0
		.amdhsa_float_denorm_mode_32 3
		.amdhsa_float_denorm_mode_16_64 3
		.amdhsa_dx10_clamp 1
		.amdhsa_ieee_mode 1
		.amdhsa_fp16_overflow 0
		.amdhsa_workgroup_processor_mode 1
		.amdhsa_memory_ordered 1
		.amdhsa_forward_progress 0
		.amdhsa_shared_vgpr_count 0
		.amdhsa_exception_fp_ieee_invalid_op 0
		.amdhsa_exception_fp_denorm_src 0
		.amdhsa_exception_fp_ieee_div_zero 0
		.amdhsa_exception_fp_ieee_overflow 0
		.amdhsa_exception_fp_ieee_underflow 0
		.amdhsa_exception_fp_ieee_inexact 0
		.amdhsa_exception_int_div_zero 0
	.end_amdhsa_kernel
	.section	.text._ZL34rocblas_gemvn_sm_mn_batched_kernelILi32ELi24EPK16rocblas_bfloat16fKPfEviiT2_lPKT1_lilS8_lilS5_lPT3_lili,"axG",@progbits,_ZL34rocblas_gemvn_sm_mn_batched_kernelILi32ELi24EPK16rocblas_bfloat16fKPfEviiT2_lPKT1_lilS8_lilS5_lPT3_lili,comdat
.Lfunc_end663:
	.size	_ZL34rocblas_gemvn_sm_mn_batched_kernelILi32ELi24EPK16rocblas_bfloat16fKPfEviiT2_lPKT1_lilS8_lilS5_lPT3_lili, .Lfunc_end663-_ZL34rocblas_gemvn_sm_mn_batched_kernelILi32ELi24EPK16rocblas_bfloat16fKPfEviiT2_lPKT1_lilS8_lilS5_lPT3_lili
                                        ; -- End function
	.section	.AMDGPU.csdata,"",@progbits
; Kernel info:
; codeLenInByte = 4
; NumSgprs: 0
; NumVgprs: 0
; ScratchSize: 0
; MemoryBound: 0
; FloatMode: 240
; IeeeMode: 1
; LDSByteSize: 0 bytes/workgroup (compile time only)
; SGPRBlocks: 0
; VGPRBlocks: 0
; NumSGPRsForWavesPerEU: 1
; NumVGPRsForWavesPerEU: 1
; Occupancy: 12
; WaveLimiterHint : 0
; COMPUTE_PGM_RSRC2:SCRATCH_EN: 0
; COMPUTE_PGM_RSRC2:USER_SGPR: 15
; COMPUTE_PGM_RSRC2:TRAP_HANDLER: 0
; COMPUTE_PGM_RSRC2:TGID_X_EN: 1
; COMPUTE_PGM_RSRC2:TGID_Y_EN: 0
; COMPUTE_PGM_RSRC2:TGID_Z_EN: 0
; COMPUTE_PGM_RSRC2:TIDIG_COMP_CNT: 0
	.section	.text._ZL20rocblas_gemvn_kernelILi64ELi4EiPK16rocblas_bfloat16PKfKPfEviiT3_lPKT2_lT1_lSA_lSB_lS7_lPT4_lSB_li,"axG",@progbits,_ZL20rocblas_gemvn_kernelILi64ELi4EiPK16rocblas_bfloat16PKfKPfEviiT3_lPKT2_lT1_lSA_lSB_lS7_lPT4_lSB_li,comdat
	.globl	_ZL20rocblas_gemvn_kernelILi64ELi4EiPK16rocblas_bfloat16PKfKPfEviiT3_lPKT2_lT1_lSA_lSB_lS7_lPT4_lSB_li ; -- Begin function _ZL20rocblas_gemvn_kernelILi64ELi4EiPK16rocblas_bfloat16PKfKPfEviiT3_lPKT2_lT1_lSA_lSB_lS7_lPT4_lSB_li
	.p2align	8
	.type	_ZL20rocblas_gemvn_kernelILi64ELi4EiPK16rocblas_bfloat16PKfKPfEviiT3_lPKT2_lT1_lSA_lSB_lS7_lPT4_lSB_li,@function
_ZL20rocblas_gemvn_kernelILi64ELi4EiPK16rocblas_bfloat16PKfKPfEviiT3_lPKT2_lT1_lSA_lSB_lS7_lPT4_lSB_li: ; @_ZL20rocblas_gemvn_kernelILi64ELi4EiPK16rocblas_bfloat16PKfKPfEviiT3_lPKT2_lT1_lSA_lSB_lS7_lPT4_lSB_li
; %bb.0:
	s_load_b64 s[4:5], s[0:1], 0x9c
	s_waitcnt lgkmcnt(0)
	s_lshr_b32 s3, s4, 16
	s_and_b32 s4, s4, 0xffff
	s_and_b32 s5, s5, 0xffff
	s_mul_i32 s3, s3, s4
	s_delay_alu instid0(SALU_CYCLE_1) | instskip(NEXT) | instid1(SALU_CYCLE_1)
	s_mul_i32 s3, s3, s5
	s_cmpk_lg_i32 s3, 0x100
	s_cbranch_scc1 .LBB664_54
; %bb.1:
	s_clause 0x1
	s_load_b256 s[16:23], s[0:1], 0x8
	s_load_b256 s[4:11], s[0:1], 0x58
	s_mov_b32 s2, s15
	s_waitcnt lgkmcnt(0)
	s_mul_i32 s3, s15, s19
	s_mul_hi_u32 s13, s15, s18
	s_mul_i32 s12, s15, s18
	s_add_i32 s13, s13, s3
	s_mul_i32 s3, s15, s7
	s_lshl_b64 s[12:13], s[12:13], 2
	s_mul_hi_u32 s7, s15, s6
	s_add_u32 s12, s16, s12
	s_addc_u32 s13, s17, s13
	s_add_i32 s7, s7, s3
	s_mul_i32 s6, s15, s6
	s_delay_alu instid0(SALU_CYCLE_1) | instskip(NEXT) | instid1(SALU_CYCLE_1)
	s_lshl_b64 s[6:7], s[6:7], 2
	s_add_u32 s4, s4, s6
	s_addc_u32 s5, s5, s7
	s_load_b32 s16, s[12:13], 0x0
	s_load_b32 s15, s[4:5], 0x0
	s_waitcnt lgkmcnt(0)
	v_cmp_eq_f32_e64 s18, s16, 0
	v_cmp_eq_f32_e64 s3, s15, 1.0
	s_delay_alu instid0(VALU_DEP_1) | instskip(NEXT) | instid1(SALU_CYCLE_1)
	s_and_b32 s3, s18, s3
	s_and_b32 vcc_lo, exec_lo, s3
	s_mov_b32 s3, 0
	s_cbranch_vccnz .LBB664_54
; %bb.2:
	v_cmp_neq_f32_e64 s4, s16, 0
	s_mov_b64 s[12:13], 0
	s_and_b32 vcc_lo, exec_lo, s18
	s_mov_b64 s[6:7], 0
	s_cbranch_vccnz .LBB664_4
; %bb.3:
	s_lshl_b64 s[6:7], s[2:3], 3
	s_delay_alu instid0(SALU_CYCLE_1)
	s_add_u32 s6, s20, s6
	s_addc_u32 s7, s21, s7
	s_lshl_b64 s[20:21], s[22:23], 1
	s_load_b64 s[6:7], s[6:7], 0x0
	s_waitcnt lgkmcnt(0)
	s_add_u32 s6, s6, s20
	s_addc_u32 s7, s7, s21
.LBB664_4:
	s_and_not1_b32 vcc_lo, exec_lo, s4
	s_cbranch_vccnz .LBB664_6
; %bb.5:
	s_load_b128 s[20:23], s[0:1], 0x38
	s_lshl_b64 s[4:5], s[2:3], 3
	s_waitcnt lgkmcnt(0)
	s_add_u32 s4, s20, s4
	s_addc_u32 s5, s21, s5
	s_lshl_b64 s[12:13], s[22:23], 1
	s_load_b64 s[4:5], s[4:5], 0x0
	s_waitcnt lgkmcnt(0)
	s_add_u32 s12, s4, s12
	s_addc_u32 s13, s5, s13
.LBB664_6:
	s_lshl_b64 s[2:3], s[2:3], 3
	v_and_b32_e32 v1, 0x3ff, v0
	s_add_u32 s2, s8, s2
	s_addc_u32 s3, s9, s3
	v_bfe_u32 v13, v0, 10, 10
	s_load_b64 s[20:21], s[2:3], 0x0
	s_clause 0x1
	s_load_b64 s[4:5], s[0:1], 0x0
	s_load_b32 s17, s[0:1], 0x78
	s_lshl_b64 s[10:11], s[10:11], 2
	v_lshl_add_u32 v0, v13, 6, v1
	s_delay_alu instid0(VALU_DEP_1)
	v_cmp_gt_u32_e64 s2, 0x100, v0
	s_waitcnt lgkmcnt(0)
	s_add_u32 s9, s20, s10
	s_addc_u32 s10, s21, s11
	s_and_not1_b32 vcc_lo, exec_lo, s18
	s_cbranch_vccnz .LBB664_13
; %bb.7:
	s_mov_b32 s3, 0
	s_mov_b32 s11, 0
                                        ; implicit-def: $vgpr3
                                        ; implicit-def: $vgpr4_vgpr5
	s_and_saveexec_b32 s8, s2
	s_cbranch_execz .LBB664_14
; %bb.8:
	v_lshl_or_b32 v2, s14, 8, v0
	v_mov_b32_e32 v3, 0
	s_ashr_i32 s19, s4, 31
	s_mov_b32 s18, s4
	s_mov_b32 s2, exec_lo
                                        ; implicit-def: $vgpr4_vgpr5
	s_delay_alu instid0(VALU_DEP_1)
	v_cmpx_gt_i64_e64 s[18:19], v[2:3]
	s_cbranch_execz .LBB664_12
; %bb.9:
	v_mad_u64_u32 v[4:5], null, s17, v2, 0
	s_ashr_i32 s11, s17, 31
	s_delay_alu instid0(VALU_DEP_1) | instid1(SALU_CYCLE_1)
	v_mad_u64_u32 v[6:7], null, s11, v2, v[5:6]
	v_cmp_eq_f32_e64 s11, s15, 0
	s_delay_alu instid0(VALU_DEP_1) | instskip(NEXT) | instid1(VALU_DEP_2)
	s_and_b32 vcc_lo, exec_lo, s11
	v_mov_b32_e32 v5, v6
	s_cbranch_vccnz .LBB664_11
; %bb.10:
	s_delay_alu instid0(VALU_DEP_1) | instskip(NEXT) | instid1(VALU_DEP_1)
	v_lshlrev_b64 v[2:3], 2, v[4:5]
	v_add_co_u32 v2, vcc_lo, s9, v2
	s_delay_alu instid0(VALU_DEP_2)
	v_add_co_ci_u32_e32 v3, vcc_lo, s10, v3, vcc_lo
	global_load_b32 v2, v[2:3], off
	s_waitcnt vmcnt(0)
	v_mul_f32_e32 v3, s15, v2
.LBB664_11:
	s_mov_b32 s11, exec_lo
.LBB664_12:
	s_or_b32 exec_lo, exec_lo, s2
	s_delay_alu instid0(SALU_CYCLE_1) | instskip(SKIP_1) | instid1(SALU_CYCLE_1)
	s_and_b32 s11, s11, exec_lo
	s_or_b32 exec_lo, exec_lo, s8
	s_and_b32 vcc_lo, exec_lo, s3
	s_cbranch_vccnz .LBB664_15
	s_branch .LBB664_52
.LBB664_13:
	s_mov_b32 s11, 0
                                        ; implicit-def: $vgpr3
                                        ; implicit-def: $vgpr4_vgpr5
	s_cbranch_execnz .LBB664_15
	s_branch .LBB664_52
.LBB664_14:
	s_or_b32 exec_lo, exec_lo, s8
	s_delay_alu instid0(SALU_CYCLE_1)
	s_and_b32 vcc_lo, exec_lo, s3
	s_cbranch_vccz .LBB664_52
.LBB664_15:
	s_clause 0x1
	s_load_b32 s18, s[0:1], 0x28
	s_load_b32 s8, s[0:1], 0x48
	s_ashr_i32 s0, s5, 31
	s_lshl_b32 s14, s14, 8
	s_lshr_b32 s0, s0, 28
	v_dual_mov_b32 v14, 0 :: v_dual_lshlrev_b32 v19, 2, v13
	v_dual_mov_b32 v15, 0 :: v_dual_add_nc_u32 v18, s14, v1
	v_dual_mov_b32 v16, 0 :: v_dual_mov_b32 v17, 0
	s_add_i32 s0, s5, s0
	s_mov_b32 s20, exec_lo
	s_and_b32 s19, s0, -16
	s_delay_alu instid0(SALU_CYCLE_1)
	v_cmpx_gt_i32_e64 s19, v19
	s_cbranch_execz .LBB664_27
; %bb.16:
	s_waitcnt lgkmcnt(0)
	v_mul_lo_u32 v3, s18, v19
	v_dual_mov_b32 v15, 0 :: v_dual_add_nc_u32 v2, 64, v18
	v_add_nc_u32_e32 v6, 2, v19
	v_dual_mov_b32 v14, 0 :: v_dual_add_nc_u32 v5, 0xc0, v18
	s_delay_alu instid0(VALU_DEP_3)
	v_cmp_gt_i32_e64 s0, s4, v2
	v_dual_mov_b32 v17, 0 :: v_dual_add_nc_u32 v4, 0x80, v18
	v_add3_u32 v20, v3, s18, v1
	v_mad_u64_u32 v[2:3], null, s18, v6, v[1:2]
	v_cmp_gt_i32_e64 s2, s4, v5
	v_mul_lo_u32 v5, v13, s18
	v_dual_mov_b32 v16, 0 :: v_dual_add_nc_u32 v7, 3, v19
	v_mul_lo_u32 v8, v13, s8
	v_cmp_gt_i32_e64 s1, s4, v4
	v_mul_lo_u32 v22, s8, v6
	s_delay_alu instid0(VALU_DEP_4)
	v_mad_u64_u32 v[3:4], null, s18, v7, v[1:2]
	v_lshl_add_u32 v21, v5, 2, v1
	v_mad_u64_u32 v[4:5], null, s8, v19, s[8:9]
	v_mul_lo_u32 v23, s8, v7
	v_cmp_gt_i32_e32 vcc_lo, s4, v18
	v_lshlrev_b32_e32 v24, 2, v8
	s_lshl_b32 s21, s18, 4
	s_lshl_b32 s23, s8, 4
	s_mov_b32 s22, 0
	s_mov_b32 s24, 0
	s_branch .LBB664_21
.LBB664_17:                             ;   in Loop: Header=BB664_21 Depth=1
	s_or_b32 exec_lo, exec_lo, s27
	s_waitcnt vmcnt(2) lgkmcnt(2)
	v_lshlrev_b32_e32 v6, 16, v39
	v_lshlrev_b32_e32 v5, 16, v40
	s_waitcnt vmcnt(1) lgkmcnt(1)
	s_delay_alu instid0(VALU_DEP_1) | instskip(NEXT) | instid1(VALU_DEP_1)
	v_dual_fmac_f32 v16, v32, v5 :: v_dual_lshlrev_b32 v5, 16, v38
	v_fmac_f32_e32 v16, v30, v6
	s_delay_alu instid0(VALU_DEP_1) | instskip(SKIP_2) | instid1(VALU_DEP_1)
	v_fmac_f32_e32 v16, v28, v5
	s_waitcnt vmcnt(0) lgkmcnt(0)
	v_lshlrev_b32_e32 v5, 16, v37
	v_fmac_f32_e32 v16, v27, v5
.LBB664_18:                             ;   in Loop: Header=BB664_21 Depth=1
	s_or_b32 exec_lo, exec_lo, s26
	s_waitcnt vmcnt(3) lgkmcnt(3)
	v_lshlrev_b32_e32 v5, 16, v36
	s_waitcnt vmcnt(2) lgkmcnt(2)
	s_delay_alu instid0(VALU_DEP_1) | instskip(SKIP_2) | instid1(VALU_DEP_2)
	v_dual_fmac_f32 v15, v32, v5 :: v_dual_lshlrev_b32 v6, 16, v35
	s_waitcnt vmcnt(1) lgkmcnt(1)
	v_lshlrev_b32_e32 v5, 16, v34
	v_fmac_f32_e32 v15, v30, v6
	s_delay_alu instid0(VALU_DEP_1) | instskip(SKIP_2) | instid1(VALU_DEP_1)
	v_fmac_f32_e32 v15, v28, v5
	s_waitcnt vmcnt(0) lgkmcnt(0)
	v_lshlrev_b32_e32 v5, 16, v33
	v_fmac_f32_e32 v15, v27, v5
.LBB664_19:                             ;   in Loop: Header=BB664_21 Depth=1
	s_or_b32 exec_lo, exec_lo, s3
	s_waitcnt vmcnt(2) lgkmcnt(2)
	v_lshlrev_b32_e32 v6, 16, v29
	v_lshlrev_b32_e32 v5, 16, v31
	s_waitcnt vmcnt(1) lgkmcnt(1)
	s_delay_alu instid0(VALU_DEP_1) | instskip(NEXT) | instid1(VALU_DEP_1)
	v_dual_fmac_f32 v14, v32, v5 :: v_dual_lshlrev_b32 v5, 16, v26
	v_fmac_f32_e32 v14, v30, v6
	s_delay_alu instid0(VALU_DEP_1) | instskip(SKIP_2) | instid1(VALU_DEP_1)
	v_fmac_f32_e32 v14, v28, v5
	s_waitcnt vmcnt(0) lgkmcnt(0)
	v_lshlrev_b32_e32 v5, 16, v25
	v_fmac_f32_e32 v14, v27, v5
.LBB664_20:                             ;   in Loop: Header=BB664_21 Depth=1
	s_or_b32 exec_lo, exec_lo, s25
	v_add_nc_u32_e32 v19, 16, v19
	v_add_nc_u32_e32 v20, s21, v20
	;; [unrolled: 1-line block ×5, first 2 shown]
	v_cmp_le_i32_e64 s3, s19, v19
	s_add_i32 s24, s24, s23
	s_delay_alu instid0(VALU_DEP_1) | instskip(NEXT) | instid1(SALU_CYCLE_1)
	s_or_b32 s22, s3, s22
	s_and_not1_b32 exec_lo, exec_lo, s22
	s_cbranch_execz .LBB664_26
.LBB664_21:                             ; =>This Inner Loop Header: Depth=1
	s_and_saveexec_b32 s25, vcc_lo
	s_cbranch_execz .LBB664_20
; %bb.22:                               ;   in Loop: Header=BB664_21 Depth=1
	v_add_nc_u32_e32 v5, s24, v24
	v_add_nc_u32_e32 v7, s24, v4
	;; [unrolled: 1-line block ×5, first 2 shown]
	v_ashrrev_i32_e32 v6, 31, v5
	v_ashrrev_i32_e32 v8, 31, v7
	;; [unrolled: 1-line block ×4, first 2 shown]
	v_add_nc_u32_e32 v27, s14, v20
	v_lshlrev_b64 v[5:6], 1, v[5:6]
	v_lshlrev_b64 v[7:8], 1, v[7:8]
	;; [unrolled: 1-line block ×4, first 2 shown]
	v_ashrrev_i32_e32 v26, 31, v25
	v_ashrrev_i32_e32 v28, 31, v27
	v_add_co_u32 v5, s3, s12, v5
	s_delay_alu instid0(VALU_DEP_1) | instskip(SKIP_1) | instid1(VALU_DEP_1)
	v_add_co_ci_u32_e64 v6, s3, s13, v6, s3
	v_add_co_u32 v7, s3, s12, v7
	v_add_co_ci_u32_e64 v8, s3, s13, v8, s3
	v_add_co_u32 v9, s3, s12, v9
	s_delay_alu instid0(VALU_DEP_1)
	v_add_co_ci_u32_e64 v10, s3, s13, v10, s3
	v_add_co_u32 v11, s3, s12, v11
	v_add_nc_u32_e32 v29, s14, v2
	v_add_co_ci_u32_e64 v12, s3, s13, v12, s3
	v_lshlrev_b64 v[25:26], 1, v[25:26]
	s_clause 0x3
	flat_load_u16 v32, v[5:6]
	flat_load_u16 v33, v[7:8]
	;; [unrolled: 1-line block ×4, first 2 shown]
	v_add_nc_u32_e32 v11, s14, v3
	v_lshlrev_b64 v[5:6], 1, v[27:28]
	v_ashrrev_i32_e32 v30, 31, v29
	v_add_co_u32 v7, s3, s6, v25
	s_delay_alu instid0(VALU_DEP_4) | instskip(SKIP_1) | instid1(VALU_DEP_4)
	v_ashrrev_i32_e32 v12, 31, v11
	v_add_co_ci_u32_e64 v8, s3, s7, v26, s3
	v_lshlrev_b64 v[25:26], 1, v[29:30]
	v_add_co_u32 v9, s3, s6, v5
	s_delay_alu instid0(VALU_DEP_1) | instskip(SKIP_1) | instid1(VALU_DEP_4)
	v_add_co_ci_u32_e64 v10, s3, s7, v6, s3
	v_lshlrev_b64 v[5:6], 1, v[11:12]
	v_add_co_u32 v11, s3, s6, v25
	s_delay_alu instid0(VALU_DEP_1) | instskip(NEXT) | instid1(VALU_DEP_3)
	v_add_co_ci_u32_e64 v12, s3, s7, v26, s3
	v_add_co_u32 v5, s3, s6, v5
	s_delay_alu instid0(VALU_DEP_1)
	v_add_co_ci_u32_e64 v6, s3, s7, v6, s3
	s_clause 0x3
	flat_load_u16 v31, v[7:8]
	flat_load_u16 v29, v[9:10]
	;; [unrolled: 1-line block ×4, first 2 shown]
	s_waitcnt vmcnt(7) lgkmcnt(7)
	v_lshlrev_b32_e32 v32, 16, v32
	s_waitcnt vmcnt(6) lgkmcnt(6)
	v_lshlrev_b32_e32 v30, 16, v33
	;; [unrolled: 2-line block ×4, first 2 shown]
	s_and_saveexec_b32 s3, s0
	s_cbranch_execz .LBB664_19
; %bb.23:                               ;   in Loop: Header=BB664_21 Depth=1
	s_clause 0x3
	flat_load_u16 v36, v[7:8] offset:128
	flat_load_u16 v35, v[9:10] offset:128
	flat_load_u16 v34, v[11:12] offset:128
	flat_load_u16 v33, v[5:6] offset:128
	s_and_saveexec_b32 s26, s1
	s_cbranch_execz .LBB664_18
; %bb.24:                               ;   in Loop: Header=BB664_21 Depth=1
	s_clause 0x3
	flat_load_u16 v40, v[7:8] offset:256
	flat_load_u16 v39, v[9:10] offset:256
	flat_load_u16 v38, v[11:12] offset:256
	flat_load_u16 v37, v[5:6] offset:256
	;; [unrolled: 8-line block ×3, first 2 shown]
	s_waitcnt vmcnt(0) lgkmcnt(0)
	v_lshlrev_b32_e32 v5, 16, v5
	v_lshlrev_b32_e32 v6, 16, v7
	v_lshlrev_b32_e32 v7, 16, v8
	s_delay_alu instid0(VALU_DEP_2) | instskip(NEXT) | instid1(VALU_DEP_1)
	v_dual_fmac_f32 v17, v32, v6 :: v_dual_lshlrev_b32 v6, 16, v9
	v_fmac_f32_e32 v17, v30, v7
	s_delay_alu instid0(VALU_DEP_1) | instskip(NEXT) | instid1(VALU_DEP_1)
	v_fmac_f32_e32 v17, v28, v6
	v_fmac_f32_e32 v17, v27, v5
	s_branch .LBB664_17
.LBB664_26:
	s_or_b32 exec_lo, exec_lo, s22
.LBB664_27:
	s_delay_alu instid0(SALU_CYCLE_1) | instskip(SKIP_1) | instid1(SALU_CYCLE_1)
	s_or_b32 exec_lo, exec_lo, s20
	s_sub_i32 s0, s5, s19
	s_cmp_lt_i32 s0, 1
	s_cbranch_scc1 .LBB664_45
; %bb.28:
	v_cmp_gt_i32_e32 vcc_lo, s5, v19
	v_dual_mov_b32 v10, 0 :: v_dual_mov_b32 v11, 0
	v_or_b32_e32 v2, 1, v19
	v_mov_b32_e32 v12, 0
	v_mov_b32_e32 v20, 0
	s_and_saveexec_b32 s1, vcc_lo
	s_cbranch_execz .LBB664_36
; %bb.29:
	s_waitcnt lgkmcnt(0)
	v_mul_lo_u32 v3, v19, s8
	v_dual_mov_b32 v12, 0 :: v_dual_mov_b32 v11, 0
	v_mov_b32_e32 v10, 0
	s_mov_b32 s2, exec_lo
	s_delay_alu instid0(VALU_DEP_3) | instskip(NEXT) | instid1(VALU_DEP_1)
	v_ashrrev_i32_e32 v4, 31, v3
	v_lshlrev_b64 v[3:4], 1, v[3:4]
	s_delay_alu instid0(VALU_DEP_1) | instskip(NEXT) | instid1(VALU_DEP_1)
	v_add_co_u32 v3, s0, s12, v3
	v_add_co_ci_u32_e64 v4, s0, s13, v4, s0
	flat_load_u16 v3, v[3:4]
	v_cmpx_gt_i32_e64 s5, v2
	s_cbranch_execz .LBB664_35
; %bb.30:
	v_mul_lo_u32 v4, v2, s8
	v_dual_mov_b32 v11, 0 :: v_dual_mov_b32 v10, 0
	s_mov_b32 s3, exec_lo
	s_delay_alu instid0(VALU_DEP_2) | instskip(NEXT) | instid1(VALU_DEP_1)
	v_ashrrev_i32_e32 v5, 31, v4
	v_lshlrev_b64 v[4:5], 1, v[4:5]
	s_delay_alu instid0(VALU_DEP_1) | instskip(NEXT) | instid1(VALU_DEP_1)
	v_add_co_u32 v4, s0, s12, v4
	v_add_co_ci_u32_e64 v5, s0, s13, v5, s0
	flat_load_u16 v4, v[4:5]
	v_or_b32_e32 v5, 2, v19
	s_delay_alu instid0(VALU_DEP_1)
	v_cmpx_gt_i32_e64 s5, v5
	s_cbranch_execz .LBB664_34
; %bb.31:
	v_mul_lo_u32 v5, v5, s8
	v_mov_b32_e32 v10, 0
	s_mov_b32 s19, exec_lo
	s_delay_alu instid0(VALU_DEP_2) | instskip(NEXT) | instid1(VALU_DEP_1)
	v_ashrrev_i32_e32 v6, 31, v5
	v_lshlrev_b64 v[5:6], 1, v[5:6]
	s_delay_alu instid0(VALU_DEP_1) | instskip(NEXT) | instid1(VALU_DEP_1)
	v_add_co_u32 v5, s0, s12, v5
	v_add_co_ci_u32_e64 v6, s0, s13, v6, s0
	flat_load_u16 v5, v[5:6]
	v_or_b32_e32 v6, 3, v19
	s_delay_alu instid0(VALU_DEP_1)
	v_cmpx_gt_i32_e64 s5, v6
	s_cbranch_execz .LBB664_33
; %bb.32:
	v_mul_lo_u32 v6, v6, s8
	s_delay_alu instid0(VALU_DEP_1) | instskip(NEXT) | instid1(VALU_DEP_1)
	v_ashrrev_i32_e32 v7, 31, v6
	v_lshlrev_b64 v[6:7], 1, v[6:7]
	s_delay_alu instid0(VALU_DEP_1) | instskip(NEXT) | instid1(VALU_DEP_1)
	v_add_co_u32 v6, s0, s12, v6
	v_add_co_ci_u32_e64 v7, s0, s13, v7, s0
	flat_load_u16 v6, v[6:7]
	s_waitcnt vmcnt(0) lgkmcnt(0)
	v_lshlrev_b32_e32 v10, 16, v6
.LBB664_33:
	s_or_b32 exec_lo, exec_lo, s19
	s_waitcnt vmcnt(0) lgkmcnt(0)
	v_lshlrev_b32_e32 v11, 16, v5
.LBB664_34:
	s_or_b32 exec_lo, exec_lo, s3
	s_waitcnt vmcnt(0) lgkmcnt(0)
	v_lshlrev_b32_e32 v12, 16, v4
.LBB664_35:
	s_or_b32 exec_lo, exec_lo, s2
	s_waitcnt vmcnt(0) lgkmcnt(0)
	v_lshlrev_b32_e32 v20, 16, v3
.LBB664_36:
	s_or_b32 exec_lo, exec_lo, s1
	s_delay_alu instid0(SALU_CYCLE_1)
	s_mov_b32 s1, exec_lo
	v_cmpx_gt_i32_e64 s4, v18
	s_cbranch_execz .LBB664_44
; %bb.37:
	s_waitcnt lgkmcnt(0)
	v_mul_lo_u32 v3, v19, s18
	v_mul_lo_u32 v4, v2, s18
	v_or_b32_e32 v5, 2, v19
	v_or_b32_e32 v6, 3, v19
	s_mov_b32 s0, exec_lo
	s_delay_alu instid0(VALU_DEP_2)
	v_mul_lo_u32 v7, v5, s18
	v_cndmask_b32_e32 v3, 0, v3, vcc_lo
	v_cmp_gt_i32_e32 vcc_lo, s5, v2
	v_mul_lo_u32 v8, v6, s18
	v_cndmask_b32_e32 v4, 0, v4, vcc_lo
	v_cmp_gt_i32_e32 vcc_lo, s5, v5
	v_add_nc_u32_e32 v2, v3, v18
	s_delay_alu instid0(VALU_DEP_3) | instskip(NEXT) | instid1(VALU_DEP_2)
	v_dual_cndmask_b32 v7, 0, v7 :: v_dual_add_nc_u32 v4, v4, v18
	v_ashrrev_i32_e32 v3, 31, v2
	v_cmp_gt_i32_e32 vcc_lo, s5, v6
	s_delay_alu instid0(VALU_DEP_3) | instskip(NEXT) | instid1(VALU_DEP_4)
	v_ashrrev_i32_e32 v5, 31, v4
	v_add_nc_u32_e32 v6, v7, v18
	s_delay_alu instid0(VALU_DEP_4) | instskip(SKIP_1) | instid1(VALU_DEP_4)
	v_lshlrev_b64 v[2:3], 1, v[2:3]
	v_cndmask_b32_e32 v8, 0, v8, vcc_lo
	v_lshlrev_b64 v[21:22], 1, v[4:5]
	s_delay_alu instid0(VALU_DEP_4) | instskip(NEXT) | instid1(VALU_DEP_4)
	v_ashrrev_i32_e32 v7, 31, v6
	v_add_co_u32 v4, vcc_lo, s6, v2
	v_add_co_ci_u32_e32 v5, vcc_lo, s7, v3, vcc_lo
	s_delay_alu instid0(VALU_DEP_4)
	v_add_co_u32 v2, vcc_lo, s6, v21
	v_add_co_ci_u32_e32 v3, vcc_lo, s7, v22, vcc_lo
	s_clause 0x1
	flat_load_u16 v19, v[4:5]
	flat_load_u16 v23, v[2:3]
	v_lshlrev_b64 v[6:7], 1, v[6:7]
	s_waitcnt vmcnt(1) lgkmcnt(1)
	v_lshlrev_b32_e32 v19, 16, v19
	v_add_nc_u32_e32 v8, v8, v18
	s_delay_alu instid0(VALU_DEP_1) | instskip(NEXT) | instid1(VALU_DEP_1)
	v_ashrrev_i32_e32 v9, 31, v8
	v_lshlrev_b64 v[21:22], 1, v[8:9]
	v_add_co_u32 v8, vcc_lo, s6, v6
	v_add_co_ci_u32_e32 v9, vcc_lo, s7, v7, vcc_lo
	s_delay_alu instid0(VALU_DEP_3) | instskip(NEXT) | instid1(VALU_DEP_4)
	v_add_co_u32 v6, vcc_lo, s6, v21
	v_add_co_ci_u32_e32 v7, vcc_lo, s7, v22, vcc_lo
	s_clause 0x1
	flat_load_u16 v21, v[8:9]
	flat_load_u16 v22, v[6:7]
	s_waitcnt vmcnt(1) lgkmcnt(1)
	v_dual_fmac_f32 v14, v20, v19 :: v_dual_lshlrev_b32 v21, 16, v21
	v_lshlrev_b32_e32 v23, 16, v23
	s_waitcnt vmcnt(0) lgkmcnt(0)
	s_delay_alu instid0(VALU_DEP_1) | instskip(NEXT) | instid1(VALU_DEP_1)
	v_dual_fmac_f32 v14, v12, v23 :: v_dual_lshlrev_b32 v19, 16, v22
	v_dual_fmac_f32 v14, v11, v21 :: v_dual_add_nc_u32 v23, 64, v18
	s_delay_alu instid0(VALU_DEP_1)
	v_cmpx_gt_i32_e64 s4, v23
	s_cbranch_execz .LBB664_43
; %bb.38:
	s_clause 0x3
	flat_load_u16 v21, v[4:5] offset:128
	flat_load_u16 v22, v[2:3] offset:128
	;; [unrolled: 1-line block ×4, first 2 shown]
	s_mov_b32 s2, exec_lo
	s_waitcnt vmcnt(3) lgkmcnt(3)
	v_lshlrev_b32_e32 v21, 16, v21
	s_waitcnt vmcnt(2) lgkmcnt(2)
	v_lshlrev_b32_e32 v22, 16, v22
	;; [unrolled: 2-line block ×3, first 2 shown]
	v_fmac_f32_e32 v15, v20, v21
	s_waitcnt vmcnt(0) lgkmcnt(0)
	v_lshlrev_b32_e32 v21, 16, v24
	s_delay_alu instid0(VALU_DEP_2) | instskip(NEXT) | instid1(VALU_DEP_1)
	v_fmac_f32_e32 v15, v12, v22
	v_dual_fmac_f32 v15, v11, v23 :: v_dual_add_nc_u32 v22, 0x80, v18
	s_delay_alu instid0(VALU_DEP_1)
	v_cmpx_gt_i32_e64 s4, v22
	s_cbranch_execz .LBB664_42
; %bb.39:
	s_clause 0x3
	flat_load_u16 v22, v[4:5] offset:256
	flat_load_u16 v23, v[2:3] offset:256
	;; [unrolled: 1-line block ×4, first 2 shown]
	s_mov_b32 s3, exec_lo
	s_waitcnt vmcnt(3) lgkmcnt(3)
	v_lshlrev_b32_e32 v22, 16, v22
	s_waitcnt vmcnt(2) lgkmcnt(2)
	s_delay_alu instid0(VALU_DEP_1) | instskip(SKIP_2) | instid1(VALU_DEP_2)
	v_dual_fmac_f32 v16, v20, v22 :: v_dual_lshlrev_b32 v23, 16, v23
	s_waitcnt vmcnt(1) lgkmcnt(1)
	v_lshlrev_b32_e32 v22, 16, v24
	v_dual_fmac_f32 v16, v12, v23 :: v_dual_add_nc_u32 v23, 0xc0, v18
	s_waitcnt vmcnt(0) lgkmcnt(0)
	v_lshlrev_b32_e32 v18, 16, v25
	s_delay_alu instid0(VALU_DEP_2) | instskip(NEXT) | instid1(VALU_DEP_3)
	v_fmac_f32_e32 v16, v11, v22
	v_cmpx_gt_i32_e64 s4, v23
	s_cbranch_execz .LBB664_41
; %bb.40:
	s_clause 0x3
	flat_load_u16 v4, v[4:5] offset:384
	flat_load_u16 v2, v[2:3] offset:384
	;; [unrolled: 1-line block ×4, first 2 shown]
	s_waitcnt vmcnt(2) lgkmcnt(2)
	v_lshlrev_b32_e32 v2, 16, v2
	v_lshlrev_b32_e32 v4, 16, v4
	s_waitcnt vmcnt(1) lgkmcnt(1)
	v_lshlrev_b32_e32 v3, 16, v3
	s_delay_alu instid0(VALU_DEP_2) | instskip(SKIP_1) | instid1(VALU_DEP_1)
	v_fmac_f32_e32 v17, v20, v4
	s_waitcnt vmcnt(0) lgkmcnt(0)
	v_dual_fmac_f32 v17, v12, v2 :: v_dual_lshlrev_b32 v2, 16, v5
	s_delay_alu instid0(VALU_DEP_1) | instskip(NEXT) | instid1(VALU_DEP_1)
	v_fmac_f32_e32 v17, v11, v3
	v_fmac_f32_e32 v17, v10, v2
.LBB664_41:
	s_or_b32 exec_lo, exec_lo, s3
	s_delay_alu instid0(VALU_DEP_2)
	v_fmac_f32_e32 v16, v10, v18
.LBB664_42:
	s_or_b32 exec_lo, exec_lo, s2
	s_delay_alu instid0(VALU_DEP_2)
	v_fmac_f32_e32 v15, v10, v21
.LBB664_43:
	s_or_b32 exec_lo, exec_lo, s0
	s_delay_alu instid0(VALU_DEP_2)
	v_fmac_f32_e32 v14, v10, v19
.LBB664_44:
	s_or_b32 exec_lo, exec_lo, s1
.LBB664_45:
	v_lshlrev_b32_e32 v2, 8, v13
	s_mov_b32 s0, exec_lo
                                        ; implicit-def: $vgpr3
                                        ; implicit-def: $vgpr4_vgpr5
	s_delay_alu instid0(VALU_DEP_1)
	v_add_lshl_u32 v1, v2, v1, 2
	ds_store_2addr_stride64_b32 v1, v14, v15 offset1:1
	ds_store_2addr_stride64_b32 v1, v16, v17 offset0:2 offset1:3
	s_waitcnt lgkmcnt(0)
	s_barrier
	buffer_gl0_inv
	v_cmpx_gt_u32_e32 0x100, v0
	s_cbranch_execz .LBB664_51
; %bb.46:
	v_lshlrev_b32_e32 v5, 2, v0
	s_mov_b32 s2, s11
	s_mov_b32 s1, exec_lo
	ds_load_2addr_stride64_b32 v[1:2], v5 offset1:4
	ds_load_2addr_stride64_b32 v[3:4], v5 offset0:8 offset1:12
	s_waitcnt lgkmcnt(1)
	v_add_f32_e32 v1, v1, v2
	s_waitcnt lgkmcnt(0)
	s_delay_alu instid0(VALU_DEP_1) | instskip(SKIP_1) | instid1(VALU_DEP_2)
	v_add_f32_e32 v2, v3, v1
	v_or_b32_e32 v1, s14, v0
                                        ; implicit-def: $vgpr3
	v_add_f32_e32 v0, v4, v2
	ds_store_b32 v5, v0
                                        ; implicit-def: $vgpr4_vgpr5
	v_cmpx_gt_i32_e64 s4, v1
	s_cbranch_execz .LBB664_50
; %bb.47:
	v_mul_lo_u32 v4, v1, s17
	v_cmp_eq_f32_e64 s2, s15, 0
	v_mul_f32_e32 v3, s16, v0
	s_delay_alu instid0(VALU_DEP_2) | instskip(NEXT) | instid1(VALU_DEP_3)
	s_and_b32 vcc_lo, exec_lo, s2
	v_ashrrev_i32_e32 v5, 31, v4
	s_cbranch_vccnz .LBB664_49
; %bb.48:
	s_delay_alu instid0(VALU_DEP_1) | instskip(NEXT) | instid1(VALU_DEP_1)
	v_lshlrev_b64 v[0:1], 2, v[4:5]
	v_add_co_u32 v0, vcc_lo, s9, v0
	s_delay_alu instid0(VALU_DEP_2)
	v_add_co_ci_u32_e32 v1, vcc_lo, s10, v1, vcc_lo
	global_load_b32 v0, v[0:1], off
	s_waitcnt vmcnt(0)
	v_fmac_f32_e32 v3, s15, v0
.LBB664_49:
	s_or_b32 s2, s11, exec_lo
.LBB664_50:
	s_or_b32 exec_lo, exec_lo, s1
	s_delay_alu instid0(SALU_CYCLE_1) | instskip(SKIP_1) | instid1(SALU_CYCLE_1)
	s_and_not1_b32 s1, s11, exec_lo
	s_and_b32 s2, s2, exec_lo
	s_or_b32 s11, s1, s2
.LBB664_51:
	s_or_b32 exec_lo, exec_lo, s0
.LBB664_52:
	s_and_saveexec_b32 s0, s11
	s_cbranch_execz .LBB664_54
; %bb.53:
	v_lshlrev_b64 v[0:1], 2, v[4:5]
	s_delay_alu instid0(VALU_DEP_1) | instskip(NEXT) | instid1(VALU_DEP_2)
	v_add_co_u32 v0, vcc_lo, s9, v0
	v_add_co_ci_u32_e32 v1, vcc_lo, s10, v1, vcc_lo
	global_store_b32 v[0:1], v3, off
.LBB664_54:
	s_nop 0
	s_sendmsg sendmsg(MSG_DEALLOC_VGPRS)
	s_endpgm
	.section	.rodata,"a",@progbits
	.p2align	6, 0x0
	.amdhsa_kernel _ZL20rocblas_gemvn_kernelILi64ELi4EiPK16rocblas_bfloat16PKfKPfEviiT3_lPKT2_lT1_lSA_lSB_lS7_lPT4_lSB_li
		.amdhsa_group_segment_fixed_size 4096
		.amdhsa_private_segment_fixed_size 0
		.amdhsa_kernarg_size 400
		.amdhsa_user_sgpr_count 14
		.amdhsa_user_sgpr_dispatch_ptr 0
		.amdhsa_user_sgpr_queue_ptr 0
		.amdhsa_user_sgpr_kernarg_segment_ptr 1
		.amdhsa_user_sgpr_dispatch_id 0
		.amdhsa_user_sgpr_private_segment_size 0
		.amdhsa_wavefront_size32 1
		.amdhsa_uses_dynamic_stack 0
		.amdhsa_enable_private_segment 0
		.amdhsa_system_sgpr_workgroup_id_x 1
		.amdhsa_system_sgpr_workgroup_id_y 0
		.amdhsa_system_sgpr_workgroup_id_z 1
		.amdhsa_system_sgpr_workgroup_info 0
		.amdhsa_system_vgpr_workitem_id 1
		.amdhsa_next_free_vgpr 41
		.amdhsa_next_free_sgpr 28
		.amdhsa_reserve_vcc 1
		.amdhsa_float_round_mode_32 0
		.amdhsa_float_round_mode_16_64 0
		.amdhsa_float_denorm_mode_32 3
		.amdhsa_float_denorm_mode_16_64 3
		.amdhsa_dx10_clamp 1
		.amdhsa_ieee_mode 1
		.amdhsa_fp16_overflow 0
		.amdhsa_workgroup_processor_mode 1
		.amdhsa_memory_ordered 1
		.amdhsa_forward_progress 0
		.amdhsa_shared_vgpr_count 0
		.amdhsa_exception_fp_ieee_invalid_op 0
		.amdhsa_exception_fp_denorm_src 0
		.amdhsa_exception_fp_ieee_div_zero 0
		.amdhsa_exception_fp_ieee_overflow 0
		.amdhsa_exception_fp_ieee_underflow 0
		.amdhsa_exception_fp_ieee_inexact 0
		.amdhsa_exception_int_div_zero 0
	.end_amdhsa_kernel
	.section	.text._ZL20rocblas_gemvn_kernelILi64ELi4EiPK16rocblas_bfloat16PKfKPfEviiT3_lPKT2_lT1_lSA_lSB_lS7_lPT4_lSB_li,"axG",@progbits,_ZL20rocblas_gemvn_kernelILi64ELi4EiPK16rocblas_bfloat16PKfKPfEviiT3_lPKT2_lT1_lSA_lSB_lS7_lPT4_lSB_li,comdat
.Lfunc_end664:
	.size	_ZL20rocblas_gemvn_kernelILi64ELi4EiPK16rocblas_bfloat16PKfKPfEviiT3_lPKT2_lT1_lSA_lSB_lS7_lPT4_lSB_li, .Lfunc_end664-_ZL20rocblas_gemvn_kernelILi64ELi4EiPK16rocblas_bfloat16PKfKPfEviiT3_lPKT2_lT1_lSA_lSB_lS7_lPT4_lSB_li
                                        ; -- End function
	.section	.AMDGPU.csdata,"",@progbits
; Kernel info:
; codeLenInByte = 3096
; NumSgprs: 30
; NumVgprs: 41
; ScratchSize: 0
; MemoryBound: 0
; FloatMode: 240
; IeeeMode: 1
; LDSByteSize: 4096 bytes/workgroup (compile time only)
; SGPRBlocks: 3
; VGPRBlocks: 5
; NumSGPRsForWavesPerEU: 30
; NumVGPRsForWavesPerEU: 41
; Occupancy: 16
; WaveLimiterHint : 1
; COMPUTE_PGM_RSRC2:SCRATCH_EN: 0
; COMPUTE_PGM_RSRC2:USER_SGPR: 14
; COMPUTE_PGM_RSRC2:TRAP_HANDLER: 0
; COMPUTE_PGM_RSRC2:TGID_X_EN: 1
; COMPUTE_PGM_RSRC2:TGID_Y_EN: 0
; COMPUTE_PGM_RSRC2:TGID_Z_EN: 1
; COMPUTE_PGM_RSRC2:TIDIG_COMP_CNT: 1
	.section	.text._ZL20rocblas_gemvn_kernelILi64ELi4ElPK16rocblas_bfloat16PKfKPfEviiT3_lPKT2_lT1_lSA_lSB_lS7_lPT4_lSB_li,"axG",@progbits,_ZL20rocblas_gemvn_kernelILi64ELi4ElPK16rocblas_bfloat16PKfKPfEviiT3_lPKT2_lT1_lSA_lSB_lS7_lPT4_lSB_li,comdat
	.globl	_ZL20rocblas_gemvn_kernelILi64ELi4ElPK16rocblas_bfloat16PKfKPfEviiT3_lPKT2_lT1_lSA_lSB_lS7_lPT4_lSB_li ; -- Begin function _ZL20rocblas_gemvn_kernelILi64ELi4ElPK16rocblas_bfloat16PKfKPfEviiT3_lPKT2_lT1_lSA_lSB_lS7_lPT4_lSB_li
	.p2align	8
	.type	_ZL20rocblas_gemvn_kernelILi64ELi4ElPK16rocblas_bfloat16PKfKPfEviiT3_lPKT2_lT1_lSA_lSB_lS7_lPT4_lSB_li,@function
_ZL20rocblas_gemvn_kernelILi64ELi4ElPK16rocblas_bfloat16PKfKPfEviiT3_lPKT2_lT1_lSA_lSB_lS7_lPT4_lSB_li: ; @_ZL20rocblas_gemvn_kernelILi64ELi4ElPK16rocblas_bfloat16PKfKPfEviiT3_lPKT2_lT1_lSA_lSB_lS7_lPT4_lSB_li
; %bb.0:
	s_load_b64 s[4:5], s[0:1], 0x9c
	s_waitcnt lgkmcnt(0)
	s_lshr_b32 s3, s4, 16
	s_and_b32 s4, s4, 0xffff
	s_and_b32 s5, s5, 0xffff
	s_mul_i32 s3, s3, s4
	s_delay_alu instid0(SALU_CYCLE_1) | instskip(NEXT) | instid1(SALU_CYCLE_1)
	s_mul_i32 s3, s3, s5
	s_cmpk_lg_i32 s3, 0x100
	s_cbranch_scc1 .LBB665_54
; %bb.1:
	s_clause 0x1
	s_load_b256 s[16:23], s[0:1], 0x8
	s_load_b256 s[4:11], s[0:1], 0x58
	s_mov_b32 s2, s15
	s_waitcnt lgkmcnt(0)
	s_mul_i32 s3, s15, s19
	s_mul_hi_u32 s13, s15, s18
	s_mul_i32 s12, s15, s18
	s_add_i32 s13, s13, s3
	s_mul_i32 s3, s15, s7
	s_lshl_b64 s[12:13], s[12:13], 2
	s_mul_hi_u32 s7, s15, s6
	s_add_u32 s12, s16, s12
	s_addc_u32 s13, s17, s13
	s_add_i32 s7, s7, s3
	s_mul_i32 s6, s15, s6
	s_delay_alu instid0(SALU_CYCLE_1) | instskip(NEXT) | instid1(SALU_CYCLE_1)
	s_lshl_b64 s[6:7], s[6:7], 2
	s_add_u32 s4, s4, s6
	s_addc_u32 s5, s5, s7
	s_load_b32 s27, s[12:13], 0x0
	s_load_b32 s26, s[4:5], 0x0
	s_waitcnt lgkmcnt(0)
	v_cmp_eq_f32_e64 s15, s27, 0
	v_cmp_eq_f32_e64 s3, s26, 1.0
	s_delay_alu instid0(VALU_DEP_1) | instskip(NEXT) | instid1(SALU_CYCLE_1)
	s_and_b32 s3, s15, s3
	s_and_b32 vcc_lo, exec_lo, s3
	s_mov_b32 s3, 0
	s_cbranch_vccnz .LBB665_54
; %bb.2:
	s_clause 0x1
	s_load_b64 s[16:17], s[0:1], 0x28
	s_load_b64 s[12:13], s[0:1], 0x78
	v_cmp_neq_f32_e64 s28, s27, 0
	s_mov_b64 s[24:25], 0
	s_and_b32 vcc_lo, exec_lo, s15
	s_mov_b64 s[18:19], 0
	s_cbranch_vccnz .LBB665_4
; %bb.3:
	s_lshl_b64 s[4:5], s[2:3], 3
	s_delay_alu instid0(SALU_CYCLE_1)
	s_add_u32 s4, s20, s4
	s_addc_u32 s5, s21, s5
	s_lshl_b64 s[6:7], s[22:23], 1
	s_load_b64 s[4:5], s[4:5], 0x0
	s_waitcnt lgkmcnt(0)
	s_add_u32 s18, s4, s6
	s_addc_u32 s19, s5, s7
.LBB665_4:
	s_clause 0x1
	s_load_b128 s[4:7], s[0:1], 0x38
	s_load_b64 s[20:21], s[0:1], 0x48
	s_and_not1_b32 vcc_lo, exec_lo, s28
	s_cbranch_vccnz .LBB665_6
; %bb.5:
	s_lshl_b64 s[22:23], s[2:3], 3
	s_waitcnt lgkmcnt(0)
	s_add_u32 s4, s4, s22
	s_addc_u32 s5, s5, s23
	s_lshl_b64 s[6:7], s[6:7], 1
	s_load_b64 s[4:5], s[4:5], 0x0
	s_waitcnt lgkmcnt(0)
	s_add_u32 s24, s4, s6
	s_addc_u32 s25, s5, s7
.LBB665_6:
	s_lshl_b64 s[2:3], s[2:3], 3
	v_and_b32_e32 v20, 0x3ff, v0
	s_add_u32 s2, s8, s2
	s_addc_u32 s3, s9, s3
	v_bfe_u32 v21, v0, 10, 10
	s_load_b64 s[2:3], s[2:3], 0x0
	s_waitcnt lgkmcnt(0)
	s_load_b64 s[6:7], s[0:1], 0x0
	s_lshl_b64 s[8:9], s[10:11], 2
	v_lshl_add_u32 v19, v21, 6, v20
	s_delay_alu instid0(VALU_DEP_1)
	v_cmp_gt_u32_e64 s0, 0x100, v19
	s_add_u32 s5, s2, s8
	s_addc_u32 s22, s3, s9
	s_and_not1_b32 vcc_lo, exec_lo, s15
	s_cbranch_vccnz .LBB665_13
; %bb.7:
	s_mov_b32 s1, 0
	s_mov_b32 s23, 0
                                        ; implicit-def: $vgpr1
                                        ; implicit-def: $vgpr2_vgpr3
	s_and_saveexec_b32 s2, s0
	s_cbranch_execz .LBB665_14
; %bb.8:
	v_lshl_or_b32 v0, s14, 8, v19
	v_mov_b32_e32 v1, 0
	s_waitcnt lgkmcnt(0)
	s_ashr_i32 s9, s6, 31
	s_mov_b32 s8, s6
	s_mov_b32 s3, 0
	s_mov_b32 s0, exec_lo
                                        ; implicit-def: $vgpr2_vgpr3
	v_cmpx_gt_i64_e64 s[8:9], v[0:1]
	s_cbranch_execz .LBB665_12
; %bb.9:
	v_mad_u64_u32 v[2:3], null, v0, s12, 0
	v_cmp_eq_f32_e64 s3, s26, 0
	s_delay_alu instid0(VALU_DEP_1) | instskip(NEXT) | instid1(VALU_DEP_2)
	s_and_b32 vcc_lo, exec_lo, s3
	v_mad_u64_u32 v[4:5], null, v0, s13, v[3:4]
	s_delay_alu instid0(VALU_DEP_1)
	v_mov_b32_e32 v3, v4
	s_cbranch_vccnz .LBB665_11
; %bb.10:
	s_delay_alu instid0(VALU_DEP_1) | instskip(NEXT) | instid1(VALU_DEP_1)
	v_lshlrev_b64 v[0:1], 2, v[2:3]
	v_add_co_u32 v0, vcc_lo, s5, v0
	s_delay_alu instid0(VALU_DEP_2)
	v_add_co_ci_u32_e32 v1, vcc_lo, s22, v1, vcc_lo
	global_load_b32 v0, v[0:1], off
	s_waitcnt vmcnt(0)
	v_mul_f32_e32 v1, s26, v0
.LBB665_11:
	s_mov_b32 s3, exec_lo
.LBB665_12:
	s_or_b32 exec_lo, exec_lo, s0
	s_delay_alu instid0(SALU_CYCLE_1) | instskip(SKIP_1) | instid1(SALU_CYCLE_1)
	s_and_b32 s23, s3, exec_lo
	s_or_b32 exec_lo, exec_lo, s2
	s_and_b32 vcc_lo, exec_lo, s1
	s_cbranch_vccnz .LBB665_15
	s_branch .LBB665_52
.LBB665_13:
	s_mov_b32 s23, 0
                                        ; implicit-def: $vgpr1
                                        ; implicit-def: $vgpr2_vgpr3
	s_cbranch_execnz .LBB665_15
	s_branch .LBB665_52
.LBB665_14:
	s_or_b32 exec_lo, exec_lo, s2
	s_delay_alu instid0(SALU_CYCLE_1)
	s_and_b32 vcc_lo, exec_lo, s1
	s_cbranch_vccz .LBB665_52
.LBB665_15:
	s_waitcnt lgkmcnt(0)
	s_ashr_i32 s0, s7, 31
	s_lshl_b32 s28, s14, 8
	s_lshr_b32 s0, s0, 28
	v_dual_mov_b32 v23, 0 :: v_dual_lshlrev_b32 v26, 2, v21
	v_dual_mov_b32 v22, 0 :: v_dual_mov_b32 v25, 0
	v_add_nc_u32_e32 v0, s28, v20
	v_mov_b32_e32 v24, 0
	s_add_i32 s0, s7, s0
	s_mov_b32 s30, exec_lo
	s_and_b32 s29, s0, -16
	s_delay_alu instid0(SALU_CYCLE_1)
	v_cmpx_gt_i32_e64 s29, v26
	s_cbranch_execz .LBB665_27
; %bb.16:
	v_lshlrev_b32_e32 v29, 2, v21
	v_mad_u64_u32 v[5:6], null, s20, v21, 0
	v_add_nc_u32_e32 v2, 64, v0
	v_mad_u64_u32 v[7:8], null, s16, v21, 0
	s_delay_alu instid0(VALU_DEP_4) | instskip(SKIP_1) | instid1(VALU_DEP_4)
	v_or_b32_e32 v25, 3, v29
	v_add_nc_u32_e32 v9, 0x80, v0
	v_cmp_gt_i32_e64 s0, s6, v2
	v_ashrrev_i32_e32 v1, 31, v0
	v_cmp_gt_i32_e32 vcc_lo, s6, v0
	v_mad_u64_u32 v[3:4], null, s16, v25, 0
	v_mad_u64_u32 v[16:17], null, s20, v25, 0
	v_add_nc_u32_e32 v10, 0xc0, v0
	s_lshl_b64 s[8:9], s[16:17], 5
	s_lshl_b64 s[10:11], s[20:21], 5
	s_mov_b32 s31, 0
	s_delay_alu instid0(VALU_DEP_3)
	v_mov_b32_e32 v2, v4
	v_mov_b32_e32 v4, v6
	v_cmp_gt_i32_e64 s1, s6, v9
	v_cmp_gt_i32_e64 s2, s6, v10
	v_mov_b32_e32 v6, v8
	v_mad_u64_u32 v[9:10], null, s17, v25, v[2:3]
	v_or_b32_e32 v31, 2, v29
	v_mad_u64_u32 v[10:11], null, s21, v21, v[4:5]
	s_delay_alu instid0(VALU_DEP_4) | instskip(SKIP_1) | instid1(VALU_DEP_4)
	v_mad_u64_u32 v[11:12], null, s17, v21, v[6:7]
	v_mad_u64_u32 v[12:13], null, s20, v29, s[20:21]
	;; [unrolled: 1-line block ×3, first 2 shown]
	v_mov_b32_e32 v4, v9
	v_mov_b32_e32 v6, v10
	v_lshlrev_b64 v[1:2], 1, v[0:1]
	s_mov_b64 s[14:15], s[24:25]
	s_delay_alu instid0(VALU_DEP_3) | instskip(NEXT) | instid1(VALU_DEP_3)
	v_lshlrev_b64 v[9:10], 1, v[3:4]
	v_lshlrev_b64 v[3:4], 3, v[5:6]
	v_dual_mov_b32 v5, v15 :: v_dual_mov_b32 v6, v13
	s_delay_alu instid0(VALU_DEP_3) | instskip(NEXT) | instid1(VALU_DEP_2)
	v_add_co_u32 v27, s3, s18, v9
	v_mad_u64_u32 v[22:23], null, s17, v31, v[5:6]
	v_mov_b32_e32 v5, v17
	v_add_co_ci_u32_e64 v28, s3, s19, v10, s3
	v_mad_u64_u32 v[9:10], null, s16, v29, s[16:17]
	s_delay_alu instid0(VALU_DEP_3) | instskip(SKIP_2) | instid1(VALU_DEP_4)
	v_mad_u64_u32 v[23:24], null, s21, v25, v[5:6]
	v_mad_u64_u32 v[24:25], null, s20, v31, 0
	v_dual_mov_b32 v8, v11 :: v_dual_mov_b32 v15, v22
	v_mov_b32_e32 v5, v10
	s_delay_alu instid0(VALU_DEP_2) | instskip(NEXT) | instid1(VALU_DEP_2)
	v_lshlrev_b64 v[14:15], 1, v[14:15]
	v_mad_u64_u32 v[10:11], null, s17, v29, v[5:6]
	v_mov_b32_e32 v5, v25
	v_lshlrev_b64 v[7:8], 3, v[7:8]
	s_delay_alu instid0(VALU_DEP_3) | instskip(NEXT) | instid1(VALU_DEP_2)
	v_lshlrev_b64 v[9:10], 1, v[9:10]
	v_mad_u64_u32 v[17:18], null, s21, v29, v[6:7]
	v_add_co_u32 v29, s3, s18, v7
	s_delay_alu instid0(VALU_DEP_1) | instskip(NEXT) | instid1(VALU_DEP_3)
	v_add_co_ci_u32_e64 v30, s3, s19, v8, s3
	v_mov_b32_e32 v13, v17
	v_mov_b32_e32 v17, v23
	v_mad_u64_u32 v[22:23], null, s21, v31, v[5:6]
	v_add_co_u32 v31, s3, s18, v14
	s_delay_alu instid0(VALU_DEP_1) | instskip(SKIP_1) | instid1(VALU_DEP_4)
	v_add_co_ci_u32_e64 v32, s3, s19, v15, s3
	v_add_co_u32 v33, s3, s18, v9
	v_dual_mov_b32 v25, v22 :: v_dual_mov_b32 v22, 0
	v_lshlrev_b64 v[5:6], 1, v[12:13]
	v_lshlrev_b64 v[7:8], 1, v[16:17]
	v_add_co_ci_u32_e64 v34, s3, s19, v10, s3
	s_delay_alu instid0(VALU_DEP_4)
	v_lshlrev_b64 v[9:10], 1, v[24:25]
	v_dual_mov_b32 v23, 0 :: v_dual_mov_b32 v24, 0
	v_mov_b32_e32 v25, 0
	s_branch .LBB665_21
.LBB665_17:                             ;   in Loop: Header=BB665_21 Depth=1
	s_or_b32 exec_lo, exec_lo, s34
	s_waitcnt vmcnt(2) lgkmcnt(2)
	v_lshlrev_b32_e32 v12, 16, v49
	v_lshlrev_b32_e32 v11, 16, v50
	s_waitcnt vmcnt(1) lgkmcnt(1)
	s_delay_alu instid0(VALU_DEP_1) | instskip(NEXT) | instid1(VALU_DEP_1)
	v_dual_fmac_f32 v24, v42, v11 :: v_dual_lshlrev_b32 v11, 16, v48
	v_fmac_f32_e32 v24, v40, v12
	s_delay_alu instid0(VALU_DEP_1) | instskip(SKIP_2) | instid1(VALU_DEP_1)
	v_fmac_f32_e32 v24, v38, v11
	s_waitcnt vmcnt(0) lgkmcnt(0)
	v_lshlrev_b32_e32 v11, 16, v47
	v_fmac_f32_e32 v24, v37, v11
.LBB665_18:                             ;   in Loop: Header=BB665_21 Depth=1
	s_or_b32 exec_lo, exec_lo, s33
	s_waitcnt vmcnt(3) lgkmcnt(3)
	v_lshlrev_b32_e32 v11, 16, v46
	s_waitcnt vmcnt(2) lgkmcnt(2)
	s_delay_alu instid0(VALU_DEP_1) | instskip(SKIP_2) | instid1(VALU_DEP_2)
	v_dual_fmac_f32 v23, v42, v11 :: v_dual_lshlrev_b32 v12, 16, v45
	s_waitcnt vmcnt(1) lgkmcnt(1)
	v_lshlrev_b32_e32 v11, 16, v44
	v_fmac_f32_e32 v23, v40, v12
	s_delay_alu instid0(VALU_DEP_1) | instskip(SKIP_2) | instid1(VALU_DEP_1)
	v_fmac_f32_e32 v23, v38, v11
	s_waitcnt vmcnt(0) lgkmcnt(0)
	v_lshlrev_b32_e32 v11, 16, v43
	v_fmac_f32_e32 v23, v37, v11
.LBB665_19:                             ;   in Loop: Header=BB665_21 Depth=1
	s_or_b32 exec_lo, exec_lo, s3
	s_waitcnt vmcnt(2) lgkmcnt(2)
	v_lshlrev_b32_e32 v12, 16, v39
	v_lshlrev_b32_e32 v11, 16, v41
	s_waitcnt vmcnt(1) lgkmcnt(1)
	s_delay_alu instid0(VALU_DEP_1) | instskip(NEXT) | instid1(VALU_DEP_1)
	v_dual_fmac_f32 v22, v42, v11 :: v_dual_lshlrev_b32 v11, 16, v36
	v_fmac_f32_e32 v22, v40, v12
	s_delay_alu instid0(VALU_DEP_1) | instskip(SKIP_2) | instid1(VALU_DEP_1)
	v_fmac_f32_e32 v22, v38, v11
	s_waitcnt vmcnt(0) lgkmcnt(0)
	v_lshlrev_b32_e32 v11, 16, v35
	v_fmac_f32_e32 v22, v37, v11
.LBB665_20:                             ;   in Loop: Header=BB665_21 Depth=1
	s_or_b32 exec_lo, exec_lo, s4
	v_add_co_u32 v27, s3, v27, s8
	s_delay_alu instid0(VALU_DEP_1) | instskip(SKIP_4) | instid1(VALU_DEP_1)
	v_add_co_ci_u32_e64 v28, s3, s9, v28, s3
	v_add_co_u32 v29, s3, v29, s8
	v_add_nc_u32_e32 v26, 16, v26
	v_add_co_ci_u32_e64 v30, s3, s9, v30, s3
	v_add_co_u32 v31, s3, v31, s8
	v_add_co_ci_u32_e64 v32, s3, s9, v32, s3
	s_delay_alu instid0(VALU_DEP_4) | instskip(SKIP_1) | instid1(VALU_DEP_1)
	v_cmp_le_i32_e64 s3, s29, v26
	v_add_co_u32 v33, s4, v33, s8
	v_add_co_ci_u32_e64 v34, s4, s9, v34, s4
	s_add_u32 s14, s14, s10
	s_addc_u32 s15, s15, s11
	s_or_b32 s31, s3, s31
	s_delay_alu instid0(SALU_CYCLE_1)
	s_and_not1_b32 exec_lo, exec_lo, s31
	s_cbranch_execz .LBB665_26
.LBB665_21:                             ; =>This Inner Loop Header: Depth=1
	s_and_saveexec_b32 s4, vcc_lo
	s_cbranch_execz .LBB665_20
; %bb.22:                               ;   in Loop: Header=BB665_21 Depth=1
	v_add_co_u32 v11, s3, s14, v3
	s_delay_alu instid0(VALU_DEP_1) | instskip(SKIP_1) | instid1(VALU_DEP_1)
	v_add_co_ci_u32_e64 v12, s3, s15, v4, s3
	v_add_co_u32 v13, s3, s14, v5
	v_add_co_ci_u32_e64 v14, s3, s15, v6, s3
	v_add_co_u32 v15, s3, s14, v9
	s_delay_alu instid0(VALU_DEP_1) | instskip(SKIP_1) | instid1(VALU_DEP_1)
	v_add_co_ci_u32_e64 v16, s3, s15, v10, s3
	v_add_co_u32 v17, s3, s14, v7
	v_add_co_ci_u32_e64 v18, s3, s15, v8, s3
	s_clause 0x3
	flat_load_u16 v37, v[11:12]
	flat_load_u16 v38, v[13:14]
	;; [unrolled: 1-line block ×4, first 2 shown]
	v_add_co_u32 v11, s3, v29, v1
	s_delay_alu instid0(VALU_DEP_1) | instskip(SKIP_1) | instid1(VALU_DEP_1)
	v_add_co_ci_u32_e64 v12, s3, v30, v2, s3
	v_add_co_u32 v13, s3, v33, v1
	v_add_co_ci_u32_e64 v14, s3, v34, v2, s3
	v_add_co_u32 v15, s3, v31, v1
	s_delay_alu instid0(VALU_DEP_1) | instskip(SKIP_1) | instid1(VALU_DEP_1)
	v_add_co_ci_u32_e64 v16, s3, v32, v2, s3
	v_add_co_u32 v17, s3, v27, v1
	v_add_co_ci_u32_e64 v18, s3, v28, v2, s3
	flat_load_u16 v41, v[11:12]
	flat_load_u16 v39, v[13:14]
	;; [unrolled: 1-line block ×4, first 2 shown]
	s_waitcnt vmcnt(7) lgkmcnt(7)
	v_lshlrev_b32_e32 v42, 16, v37
	s_waitcnt vmcnt(6) lgkmcnt(6)
	v_lshlrev_b32_e32 v40, 16, v38
	;; [unrolled: 2-line block ×4, first 2 shown]
	s_and_saveexec_b32 s3, s0
	s_cbranch_execz .LBB665_19
; %bb.23:                               ;   in Loop: Header=BB665_21 Depth=1
	flat_load_u16 v46, v[11:12] offset:128
	flat_load_u16 v45, v[13:14] offset:128
	flat_load_u16 v44, v[15:16] offset:128
	flat_load_u16 v43, v[17:18] offset:128
	s_and_saveexec_b32 s33, s1
	s_cbranch_execz .LBB665_18
; %bb.24:                               ;   in Loop: Header=BB665_21 Depth=1
	flat_load_u16 v50, v[11:12] offset:256
	flat_load_u16 v49, v[13:14] offset:256
	flat_load_u16 v48, v[15:16] offset:256
	flat_load_u16 v47, v[17:18] offset:256
	;; [unrolled: 7-line block ×3, first 2 shown]
	s_waitcnt vmcnt(3) lgkmcnt(3)
	v_lshlrev_b32_e32 v11, 16, v11
	s_waitcnt vmcnt(2) lgkmcnt(2)
	s_delay_alu instid0(VALU_DEP_1) | instskip(SKIP_2) | instid1(VALU_DEP_2)
	v_dual_fmac_f32 v25, v42, v11 :: v_dual_lshlrev_b32 v12, 16, v12
	s_waitcnt vmcnt(1) lgkmcnt(1)
	v_lshlrev_b32_e32 v11, 16, v13
	v_fmac_f32_e32 v25, v40, v12
	s_delay_alu instid0(VALU_DEP_1) | instskip(SKIP_2) | instid1(VALU_DEP_1)
	v_fmac_f32_e32 v25, v38, v11
	s_waitcnt vmcnt(0) lgkmcnt(0)
	v_lshlrev_b32_e32 v11, 16, v14
	v_fmac_f32_e32 v25, v37, v11
	s_branch .LBB665_17
.LBB665_26:
	s_or_b32 exec_lo, exec_lo, s31
.LBB665_27:
	s_delay_alu instid0(SALU_CYCLE_1) | instskip(SKIP_1) | instid1(SALU_CYCLE_1)
	s_or_b32 exec_lo, exec_lo, s30
	s_sub_i32 s0, s7, s29
	s_cmp_lt_i32 s0, 1
	s_cbranch_scc1 .LBB665_45
; %bb.28:
	v_cmp_gt_i32_e32 vcc_lo, s7, v26
	v_dual_mov_b32 v9, 0 :: v_dual_mov_b32 v10, 0
	v_or_b32_e32 v2, 1, v26
	v_dual_mov_b32 v11, 0 :: v_dual_mov_b32 v12, 0
	s_and_saveexec_b32 s1, vcc_lo
	s_cbranch_execz .LBB665_36
; %bb.29:
	v_mad_u64_u32 v[3:4], null, v26, s20, 0
	v_mov_b32_e32 v11, 0
	v_mov_b32_e32 v9, 0
	s_mov_b32 s2, exec_lo
	s_delay_alu instid0(VALU_DEP_3) | instskip(NEXT) | instid1(VALU_DEP_1)
	v_dual_mov_b32 v10, 0 :: v_dual_mov_b32 v1, v4
	v_mad_u64_u32 v[4:5], null, v26, s21, v[1:2]
	s_delay_alu instid0(VALU_DEP_1) | instskip(NEXT) | instid1(VALU_DEP_1)
	v_lshlrev_b64 v[3:4], 1, v[3:4]
	v_add_co_u32 v3, s0, s24, v3
	s_delay_alu instid0(VALU_DEP_1)
	v_add_co_ci_u32_e64 v4, s0, s25, v4, s0
	flat_load_u16 v1, v[3:4]
	v_cmpx_gt_i32_e64 s7, v2
	s_cbranch_execz .LBB665_35
; %bb.30:
	v_mad_u64_u32 v[3:4], null, v2, s20, 0
	v_mov_b32_e32 v10, 0
	s_mov_b32 s3, exec_lo
	v_mov_b32_e32 v9, 0
	s_delay_alu instid0(VALU_DEP_3) | instskip(NEXT) | instid1(VALU_DEP_1)
	v_mad_u64_u32 v[5:6], null, v2, s21, v[4:5]
	v_mov_b32_e32 v4, v5
	s_delay_alu instid0(VALU_DEP_1) | instskip(NEXT) | instid1(VALU_DEP_1)
	v_lshlrev_b64 v[3:4], 1, v[3:4]
	v_add_co_u32 v3, s0, s24, v3
	s_delay_alu instid0(VALU_DEP_1) | instskip(SKIP_2) | instid1(VALU_DEP_1)
	v_add_co_ci_u32_e64 v4, s0, s25, v4, s0
	flat_load_u16 v3, v[3:4]
	v_or_b32_e32 v4, 2, v26
	v_cmpx_gt_i32_e64 s7, v4
	s_cbranch_execz .LBB665_34
; %bb.31:
	v_mad_u64_u32 v[5:6], null, v4, s20, 0
	s_mov_b32 s4, exec_lo
	v_mov_b32_e32 v9, 0
	s_delay_alu instid0(VALU_DEP_2) | instskip(NEXT) | instid1(VALU_DEP_1)
	v_mad_u64_u32 v[7:8], null, v4, s21, v[6:7]
	v_mov_b32_e32 v6, v7
	s_delay_alu instid0(VALU_DEP_1) | instskip(NEXT) | instid1(VALU_DEP_1)
	v_lshlrev_b64 v[4:5], 1, v[5:6]
	v_add_co_u32 v4, s0, s24, v4
	s_delay_alu instid0(VALU_DEP_1) | instskip(SKIP_2) | instid1(VALU_DEP_1)
	v_add_co_ci_u32_e64 v5, s0, s25, v5, s0
	flat_load_u16 v4, v[4:5]
	v_or_b32_e32 v5, 3, v26
	v_cmpx_gt_i32_e64 s7, v5
	s_cbranch_execz .LBB665_33
; %bb.32:
	v_mad_u64_u32 v[6:7], null, v5, s20, 0
	s_delay_alu instid0(VALU_DEP_1) | instskip(NEXT) | instid1(VALU_DEP_1)
	v_mad_u64_u32 v[8:9], null, v5, s21, v[7:8]
	v_mov_b32_e32 v7, v8
	s_delay_alu instid0(VALU_DEP_1) | instskip(NEXT) | instid1(VALU_DEP_1)
	v_lshlrev_b64 v[5:6], 1, v[6:7]
	v_add_co_u32 v5, s0, s24, v5
	s_delay_alu instid0(VALU_DEP_1)
	v_add_co_ci_u32_e64 v6, s0, s25, v6, s0
	flat_load_u16 v5, v[5:6]
	s_waitcnt vmcnt(0) lgkmcnt(0)
	v_lshlrev_b32_e32 v9, 16, v5
.LBB665_33:
	s_or_b32 exec_lo, exec_lo, s4
	s_waitcnt vmcnt(0) lgkmcnt(0)
	v_lshlrev_b32_e32 v10, 16, v4
.LBB665_34:
	s_or_b32 exec_lo, exec_lo, s3
	s_waitcnt vmcnt(0) lgkmcnt(0)
	v_lshlrev_b32_e32 v11, 16, v3
.LBB665_35:
	s_or_b32 exec_lo, exec_lo, s2
	s_waitcnt vmcnt(0) lgkmcnt(0)
	v_lshlrev_b32_e32 v12, 16, v1
.LBB665_36:
	s_or_b32 exec_lo, exec_lo, s1
	s_delay_alu instid0(SALU_CYCLE_1)
	s_mov_b32 s1, exec_lo
	v_cmpx_gt_i32_e64 s6, v0
	s_cbranch_execz .LBB665_44
; %bb.37:
	v_mad_u64_u32 v[3:4], null, v26, s16, 0
	v_mad_u64_u32 v[5:6], null, v2, s16, 0
	v_ashrrev_i32_e32 v1, 31, v0
	v_or_b32_e32 v28, 2, v26
	v_or_b32_e32 v29, 3, v26
	v_cndmask_b32_e32 v3, 0, v3, vcc_lo
	s_delay_alu instid0(VALU_DEP_4)
	v_lshlrev_b64 v[13:14], 1, v[0:1]
	v_mad_u64_u32 v[7:8], null, v26, s17, v[4:5]
	v_mov_b32_e32 v1, v6
	v_mad_u64_u32 v[15:16], null, v28, s16, 0
	v_mad_u64_u32 v[17:18], null, v29, s16, 0
	v_cmp_gt_i32_e64 s0, s7, v28
	v_cndmask_b32_e32 v4, 0, v7, vcc_lo
	v_mad_u64_u32 v[6:7], null, v2, s17, v[1:2]
	v_cmp_gt_i32_e32 vcc_lo, s7, v2
	v_mov_b32_e32 v1, v16
	v_dual_mov_b32 v7, v18 :: v_dual_cndmask_b32 v2, 0, v5
	v_lshlrev_b64 v[4:5], 1, v[3:4]
	v_cndmask_b32_e32 v3, 0, v6, vcc_lo
	s_delay_alu instid0(VALU_DEP_3) | instskip(NEXT) | instid1(VALU_DEP_3)
	v_mad_u64_u32 v[26:27], null, v28, s17, v[1:2]
	v_add_co_u32 v1, vcc_lo, s18, v4
	s_delay_alu instid0(VALU_DEP_4) | instskip(NEXT) | instid1(VALU_DEP_4)
	v_add_co_ci_u32_e32 v5, vcc_lo, s19, v5, vcc_lo
	v_lshlrev_b64 v[3:4], 1, v[2:3]
	s_delay_alu instid0(VALU_DEP_3) | instskip(NEXT) | instid1(VALU_DEP_3)
	v_add_co_u32 v1, vcc_lo, v1, v13
	v_add_co_ci_u32_e32 v2, vcc_lo, v5, v14, vcc_lo
	v_cndmask_b32_e64 v5, 0, v15, s0
	s_delay_alu instid0(VALU_DEP_4) | instskip(SKIP_3) | instid1(VALU_DEP_4)
	v_add_co_u32 v3, vcc_lo, s18, v3
	v_add_co_ci_u32_e32 v4, vcc_lo, s19, v4, vcc_lo
	v_mad_u64_u32 v[15:16], null, v29, s17, v[7:8]
	v_cndmask_b32_e64 v6, 0, v26, s0
	v_add_co_u32 v3, s0, v3, v13
	v_cmp_gt_i32_e32 vcc_lo, s7, v29
	v_add_co_ci_u32_e64 v4, s0, v4, v14, s0
	s_delay_alu instid0(VALU_DEP_4)
	v_lshlrev_b64 v[5:6], 1, v[5:6]
	s_mov_b32 s0, exec_lo
	v_cndmask_b32_e32 v8, 0, v15, vcc_lo
	s_clause 0x1
	flat_load_u16 v15, v[1:2]
	flat_load_u16 v16, v[3:4]
	s_waitcnt vmcnt(1) lgkmcnt(1)
	v_lshlrev_b32_e32 v15, 16, v15
	s_waitcnt vmcnt(0) lgkmcnt(0)
	v_lshlrev_b32_e32 v16, 16, v16
	s_delay_alu instid0(VALU_DEP_2) | instskip(SKIP_2) | instid1(VALU_DEP_3)
	v_dual_fmac_f32 v22, v12, v15 :: v_dual_cndmask_b32 v7, 0, v17
	v_add_co_u32 v5, vcc_lo, s18, v5
	v_add_co_ci_u32_e32 v6, vcc_lo, s19, v6, vcc_lo
	v_fmac_f32_e32 v22, v11, v16
	s_delay_alu instid0(VALU_DEP_4) | instskip(SKIP_1) | instid1(VALU_DEP_2)
	v_lshlrev_b64 v[7:8], 1, v[7:8]
	v_add_nc_u32_e32 v16, 64, v0
	v_add_co_u32 v17, vcc_lo, s18, v7
	s_delay_alu instid0(VALU_DEP_3) | instskip(SKIP_2) | instid1(VALU_DEP_4)
	v_add_co_ci_u32_e32 v18, vcc_lo, s19, v8, vcc_lo
	v_add_co_u32 v7, vcc_lo, v5, v13
	v_add_co_ci_u32_e32 v8, vcc_lo, v6, v14, vcc_lo
	v_add_co_u32 v5, vcc_lo, v17, v13
	s_delay_alu instid0(VALU_DEP_4)
	v_add_co_ci_u32_e32 v6, vcc_lo, v18, v14, vcc_lo
	s_clause 0x1
	flat_load_u16 v13, v[7:8]
	flat_load_u16 v14, v[5:6]
	s_waitcnt vmcnt(1) lgkmcnt(1)
	v_lshlrev_b32_e32 v15, 16, v13
	s_waitcnt vmcnt(0) lgkmcnt(0)
	s_delay_alu instid0(VALU_DEP_1)
	v_dual_fmac_f32 v22, v10, v15 :: v_dual_lshlrev_b32 v13, 16, v14
	v_cmpx_gt_i32_e64 s6, v16
	s_cbranch_execz .LBB665_43
; %bb.38:
	s_clause 0x3
	flat_load_u16 v14, v[1:2] offset:128
	flat_load_u16 v15, v[3:4] offset:128
	;; [unrolled: 1-line block ×4, first 2 shown]
	s_mov_b32 s2, exec_lo
	s_waitcnt vmcnt(2) lgkmcnt(2)
	v_lshlrev_b32_e32 v15, 16, v15
	v_lshlrev_b32_e32 v14, 16, v14
	s_waitcnt vmcnt(1) lgkmcnt(1)
	s_delay_alu instid0(VALU_DEP_1) | instskip(NEXT) | instid1(VALU_DEP_1)
	v_dual_fmac_f32 v23, v12, v14 :: v_dual_lshlrev_b32 v16, 16, v16
	v_fmac_f32_e32 v23, v11, v15
	v_add_nc_u32_e32 v15, 0x80, v0
	s_waitcnt vmcnt(0) lgkmcnt(0)
	s_delay_alu instid0(VALU_DEP_2) | instskip(NEXT) | instid1(VALU_DEP_2)
	v_dual_fmac_f32 v23, v10, v16 :: v_dual_lshlrev_b32 v14, 16, v17
	v_cmpx_gt_i32_e64 s6, v15
	s_cbranch_execz .LBB665_42
; %bb.39:
	s_clause 0x3
	flat_load_u16 v15, v[1:2] offset:256
	flat_load_u16 v16, v[3:4] offset:256
	;; [unrolled: 1-line block ×4, first 2 shown]
	s_mov_b32 s3, exec_lo
	s_waitcnt vmcnt(2) lgkmcnt(2)
	v_lshlrev_b32_e32 v16, 16, v16
	v_lshlrev_b32_e32 v15, 16, v15
	s_waitcnt vmcnt(1) lgkmcnt(1)
	s_delay_alu instid0(VALU_DEP_1) | instskip(NEXT) | instid1(VALU_DEP_1)
	v_dual_fmac_f32 v24, v12, v15 :: v_dual_lshlrev_b32 v15, 16, v17
	v_fmac_f32_e32 v24, v11, v16
	v_add_nc_u32_e32 v16, 0xc0, v0
	s_waitcnt vmcnt(0) lgkmcnt(0)
	v_lshlrev_b32_e32 v0, 16, v18
	s_delay_alu instid0(VALU_DEP_3) | instskip(NEXT) | instid1(VALU_DEP_3)
	v_fmac_f32_e32 v24, v10, v15
	v_cmpx_gt_i32_e64 s6, v16
	s_cbranch_execz .LBB665_41
; %bb.40:
	s_clause 0x3
	flat_load_u16 v1, v[1:2] offset:384
	flat_load_u16 v2, v[3:4] offset:384
	;; [unrolled: 1-line block ×4, first 2 shown]
	s_waitcnt vmcnt(3) lgkmcnt(3)
	v_lshlrev_b32_e32 v1, 16, v1
	s_waitcnt vmcnt(2) lgkmcnt(2)
	s_delay_alu instid0(VALU_DEP_1) | instskip(SKIP_2) | instid1(VALU_DEP_2)
	v_dual_fmac_f32 v25, v12, v1 :: v_dual_lshlrev_b32 v2, 16, v2
	s_waitcnt vmcnt(1) lgkmcnt(1)
	v_lshlrev_b32_e32 v1, 16, v3
	v_fmac_f32_e32 v25, v11, v2
	s_delay_alu instid0(VALU_DEP_1) | instskip(SKIP_2) | instid1(VALU_DEP_1)
	v_fmac_f32_e32 v25, v10, v1
	s_waitcnt vmcnt(0) lgkmcnt(0)
	v_lshlrev_b32_e32 v1, 16, v4
	v_fmac_f32_e32 v25, v9, v1
.LBB665_41:
	s_or_b32 exec_lo, exec_lo, s3
	s_delay_alu instid0(VALU_DEP_2)
	v_fmac_f32_e32 v24, v9, v0
.LBB665_42:
	s_or_b32 exec_lo, exec_lo, s2
	s_delay_alu instid0(VALU_DEP_2)
	v_fmac_f32_e32 v23, v9, v14
.LBB665_43:
	s_or_b32 exec_lo, exec_lo, s0
	s_delay_alu instid0(VALU_DEP_2)
	v_fmac_f32_e32 v22, v9, v13
.LBB665_44:
	s_or_b32 exec_lo, exec_lo, s1
.LBB665_45:
	v_lshlrev_b32_e32 v0, 8, v21
	s_mov_b32 s0, exec_lo
                                        ; implicit-def: $vgpr1
                                        ; implicit-def: $vgpr2_vgpr3
	s_delay_alu instid0(VALU_DEP_1)
	v_add_lshl_u32 v0, v0, v20, 2
	ds_store_2addr_stride64_b32 v0, v22, v23 offset1:1
	ds_store_2addr_stride64_b32 v0, v24, v25 offset0:2 offset1:3
	s_waitcnt lgkmcnt(0)
	s_barrier
	buffer_gl0_inv
	v_cmpx_gt_u32_e32 0x100, v19
	s_cbranch_execz .LBB665_51
; %bb.46:
	v_lshlrev_b32_e32 v5, 2, v19
	v_or_b32_e32 v4, s28, v19
	s_mov_b32 s2, s23
	s_mov_b32 s1, exec_lo
	ds_load_2addr_stride64_b32 v[0:1], v5 offset1:4
	ds_load_2addr_stride64_b32 v[2:3], v5 offset0:8 offset1:12
	s_waitcnt lgkmcnt(1)
	v_add_f32_e32 v0, v0, v1
                                        ; implicit-def: $vgpr1
	s_waitcnt lgkmcnt(0)
	s_delay_alu instid0(VALU_DEP_1) | instskip(NEXT) | instid1(VALU_DEP_1)
	v_add_f32_e32 v0, v2, v0
	v_add_f32_e32 v0, v3, v0
                                        ; implicit-def: $vgpr2_vgpr3
	ds_store_b32 v5, v0
	v_cmpx_gt_i32_e64 s6, v4
	s_cbranch_execz .LBB665_50
; %bb.47:
	v_ashrrev_i32_e32 v1, 31, v4
	v_mul_lo_u32 v5, v4, s13
	v_mad_u64_u32 v[2:3], null, v4, s12, 0
	v_cmp_eq_f32_e64 s2, s26, 0
	s_delay_alu instid0(VALU_DEP_4) | instskip(SKIP_1) | instid1(VALU_DEP_3)
	v_mul_lo_u32 v4, v1, s12
	v_mul_f32_e32 v1, s27, v0
	s_and_b32 vcc_lo, exec_lo, s2
	s_delay_alu instid0(VALU_DEP_2)
	v_add3_u32 v3, v3, v5, v4
	s_cbranch_vccnz .LBB665_49
; %bb.48:
	s_delay_alu instid0(VALU_DEP_1) | instskip(NEXT) | instid1(VALU_DEP_1)
	v_lshlrev_b64 v[4:5], 2, v[2:3]
	v_add_co_u32 v4, vcc_lo, s5, v4
	s_delay_alu instid0(VALU_DEP_2)
	v_add_co_ci_u32_e32 v5, vcc_lo, s22, v5, vcc_lo
	global_load_b32 v0, v[4:5], off
	s_waitcnt vmcnt(0)
	v_fmac_f32_e32 v1, s26, v0
.LBB665_49:
	s_or_b32 s2, s23, exec_lo
.LBB665_50:
	s_or_b32 exec_lo, exec_lo, s1
	s_delay_alu instid0(SALU_CYCLE_1) | instskip(SKIP_1) | instid1(SALU_CYCLE_1)
	s_and_not1_b32 s1, s23, exec_lo
	s_and_b32 s2, s2, exec_lo
	s_or_b32 s23, s1, s2
.LBB665_51:
	s_or_b32 exec_lo, exec_lo, s0
.LBB665_52:
	s_and_saveexec_b32 s0, s23
	s_cbranch_execz .LBB665_54
; %bb.53:
	v_lshlrev_b64 v[2:3], 2, v[2:3]
	s_delay_alu instid0(VALU_DEP_1) | instskip(NEXT) | instid1(VALU_DEP_2)
	v_add_co_u32 v2, vcc_lo, s5, v2
	v_add_co_ci_u32_e32 v3, vcc_lo, s22, v3, vcc_lo
	global_store_b32 v[2:3], v1, off
.LBB665_54:
	s_nop 0
	s_sendmsg sendmsg(MSG_DEALLOC_VGPRS)
	s_endpgm
	.section	.rodata,"a",@progbits
	.p2align	6, 0x0
	.amdhsa_kernel _ZL20rocblas_gemvn_kernelILi64ELi4ElPK16rocblas_bfloat16PKfKPfEviiT3_lPKT2_lT1_lSA_lSB_lS7_lPT4_lSB_li
		.amdhsa_group_segment_fixed_size 4096
		.amdhsa_private_segment_fixed_size 0
		.amdhsa_kernarg_size 400
		.amdhsa_user_sgpr_count 14
		.amdhsa_user_sgpr_dispatch_ptr 0
		.amdhsa_user_sgpr_queue_ptr 0
		.amdhsa_user_sgpr_kernarg_segment_ptr 1
		.amdhsa_user_sgpr_dispatch_id 0
		.amdhsa_user_sgpr_private_segment_size 0
		.amdhsa_wavefront_size32 1
		.amdhsa_uses_dynamic_stack 0
		.amdhsa_enable_private_segment 0
		.amdhsa_system_sgpr_workgroup_id_x 1
		.amdhsa_system_sgpr_workgroup_id_y 0
		.amdhsa_system_sgpr_workgroup_id_z 1
		.amdhsa_system_sgpr_workgroup_info 0
		.amdhsa_system_vgpr_workitem_id 1
		.amdhsa_next_free_vgpr 51
		.amdhsa_next_free_sgpr 35
		.amdhsa_reserve_vcc 1
		.amdhsa_float_round_mode_32 0
		.amdhsa_float_round_mode_16_64 0
		.amdhsa_float_denorm_mode_32 3
		.amdhsa_float_denorm_mode_16_64 3
		.amdhsa_dx10_clamp 1
		.amdhsa_ieee_mode 1
		.amdhsa_fp16_overflow 0
		.amdhsa_workgroup_processor_mode 1
		.amdhsa_memory_ordered 1
		.amdhsa_forward_progress 0
		.amdhsa_shared_vgpr_count 0
		.amdhsa_exception_fp_ieee_invalid_op 0
		.amdhsa_exception_fp_denorm_src 0
		.amdhsa_exception_fp_ieee_div_zero 0
		.amdhsa_exception_fp_ieee_overflow 0
		.amdhsa_exception_fp_ieee_underflow 0
		.amdhsa_exception_fp_ieee_inexact 0
		.amdhsa_exception_int_div_zero 0
	.end_amdhsa_kernel
	.section	.text._ZL20rocblas_gemvn_kernelILi64ELi4ElPK16rocblas_bfloat16PKfKPfEviiT3_lPKT2_lT1_lSA_lSB_lS7_lPT4_lSB_li,"axG",@progbits,_ZL20rocblas_gemvn_kernelILi64ELi4ElPK16rocblas_bfloat16PKfKPfEviiT3_lPKT2_lT1_lSA_lSB_lS7_lPT4_lSB_li,comdat
.Lfunc_end665:
	.size	_ZL20rocblas_gemvn_kernelILi64ELi4ElPK16rocblas_bfloat16PKfKPfEviiT3_lPKT2_lT1_lSA_lSB_lS7_lPT4_lSB_li, .Lfunc_end665-_ZL20rocblas_gemvn_kernelILi64ELi4ElPK16rocblas_bfloat16PKfKPfEviiT3_lPKT2_lT1_lSA_lSB_lS7_lPT4_lSB_li
                                        ; -- End function
	.section	.AMDGPU.csdata,"",@progbits
; Kernel info:
; codeLenInByte = 3468
; NumSgprs: 37
; NumVgprs: 51
; ScratchSize: 0
; MemoryBound: 0
; FloatMode: 240
; IeeeMode: 1
; LDSByteSize: 4096 bytes/workgroup (compile time only)
; SGPRBlocks: 4
; VGPRBlocks: 6
; NumSGPRsForWavesPerEU: 37
; NumVGPRsForWavesPerEU: 51
; Occupancy: 16
; WaveLimiterHint : 1
; COMPUTE_PGM_RSRC2:SCRATCH_EN: 0
; COMPUTE_PGM_RSRC2:USER_SGPR: 14
; COMPUTE_PGM_RSRC2:TRAP_HANDLER: 0
; COMPUTE_PGM_RSRC2:TGID_X_EN: 1
; COMPUTE_PGM_RSRC2:TGID_Y_EN: 0
; COMPUTE_PGM_RSRC2:TGID_Z_EN: 1
; COMPUTE_PGM_RSRC2:TIDIG_COMP_CNT: 1
	.section	.text._ZL20rocblas_gemvn_kernelILi64ELi4EiPK16rocblas_bfloat16fKPfEviiT3_lPKT2_lT1_lS8_lS9_lS5_lPT4_lS9_li,"axG",@progbits,_ZL20rocblas_gemvn_kernelILi64ELi4EiPK16rocblas_bfloat16fKPfEviiT3_lPKT2_lT1_lS8_lS9_lS5_lPT4_lS9_li,comdat
	.globl	_ZL20rocblas_gemvn_kernelILi64ELi4EiPK16rocblas_bfloat16fKPfEviiT3_lPKT2_lT1_lS8_lS9_lS5_lPT4_lS9_li ; -- Begin function _ZL20rocblas_gemvn_kernelILi64ELi4EiPK16rocblas_bfloat16fKPfEviiT3_lPKT2_lT1_lS8_lS9_lS5_lPT4_lS9_li
	.p2align	8
	.type	_ZL20rocblas_gemvn_kernelILi64ELi4EiPK16rocblas_bfloat16fKPfEviiT3_lPKT2_lT1_lS8_lS9_lS5_lPT4_lS9_li,@function
_ZL20rocblas_gemvn_kernelILi64ELi4EiPK16rocblas_bfloat16fKPfEviiT3_lPKT2_lT1_lS8_lS9_lS5_lPT4_lS9_li: ; @_ZL20rocblas_gemvn_kernelILi64ELi4EiPK16rocblas_bfloat16fKPfEviiT3_lPKT2_lT1_lS8_lS9_lS5_lPT4_lS9_li
; %bb.0:
	s_load_b64 s[4:5], s[0:1], 0x9c
	s_waitcnt lgkmcnt(0)
	s_lshr_b32 s3, s4, 16
	s_and_b32 s4, s4, 0xffff
	s_and_b32 s5, s5, 0xffff
	s_mul_i32 s3, s3, s4
	s_delay_alu instid0(SALU_CYCLE_1) | instskip(NEXT) | instid1(SALU_CYCLE_1)
	s_mul_i32 s3, s3, s5
	s_cmpk_lg_i32 s3, 0x100
	s_cbranch_scc1 .LBB666_57
; %bb.1:
	s_load_b128 s[4:7], s[0:1], 0x0
	s_waitcnt lgkmcnt(0)
	s_load_b32 s7, s[0:1], 0x58
	v_cmp_eq_f32_e64 s12, s6, 0
	s_waitcnt lgkmcnt(0)
	v_cmp_eq_f32_e64 s3, s7, 1.0
	s_delay_alu instid0(VALU_DEP_1) | instskip(NEXT) | instid1(SALU_CYCLE_1)
	s_and_b32 s3, s12, s3
	s_and_b32 vcc_lo, exec_lo, s3
	s_cbranch_vccnz .LBB666_57
; %bb.2:
	v_cmp_neq_f32_e64 s10, s6, 0
	s_mov_b32 s2, s15
	s_delay_alu instid0(VALU_DEP_1)
	s_and_b32 vcc_lo, exec_lo, s10
	s_cbranch_vccnz .LBB666_4
; %bb.3:
	s_mov_b32 s3, 0
	s_mov_b64 s[8:9], 0
	s_cbranch_execz .LBB666_5
	s_branch .LBB666_6
.LBB666_4:
	s_mov_b32 s3, -1
                                        ; implicit-def: $sgpr8_sgpr9
.LBB666_5:
	s_load_b128 s[16:19], s[0:1], 0x18
	s_mov_b32 s3, 0
	s_delay_alu instid0(SALU_CYCLE_1)
	s_lshl_b64 s[8:9], s[2:3], 3
	s_waitcnt lgkmcnt(0)
	s_add_u32 s8, s16, s8
	s_addc_u32 s9, s17, s9
	s_lshl_b64 s[16:17], s[18:19], 1
	s_load_b64 s[8:9], s[8:9], 0x0
	s_waitcnt lgkmcnt(0)
	s_add_u32 s8, s8, s16
	s_addc_u32 s9, s9, s17
.LBB666_6:
	s_and_not1_b32 vcc_lo, exec_lo, s10
	s_cbranch_vccnz .LBB666_8
; %bb.7:
	s_load_b128 s[16:19], s[0:1], 0x38
	s_lshl_b64 s[10:11], s[2:3], 3
	s_waitcnt lgkmcnt(0)
	s_add_u32 s10, s16, s10
	s_addc_u32 s11, s17, s11
	s_lshl_b64 s[16:17], s[18:19], 1
	s_load_b64 s[10:11], s[10:11], 0x0
	s_waitcnt lgkmcnt(0)
	s_add_u32 s10, s10, s16
	s_addc_u32 s11, s11, s17
	s_branch .LBB666_9
.LBB666_8:
	s_mov_b64 s[10:11], 0
.LBB666_9:
	s_clause 0x1
	s_load_b128 s[20:23], s[0:1], 0x68
	s_load_b32 s16, s[0:1], 0x78
	s_lshl_b64 s[2:3], s[2:3], 3
	v_and_b32_e32 v1, 0x3ff, v0
	v_bfe_u32 v13, v0, 10, 10
	s_delay_alu instid0(VALU_DEP_1)
	v_lshl_add_u32 v0, v13, 6, v1
	s_waitcnt lgkmcnt(0)
	s_add_u32 s2, s20, s2
	s_addc_u32 s3, s21, s3
	s_lshl_b64 s[20:21], s[22:23], 2
	s_load_b64 s[18:19], s[2:3], 0x0
	v_cmp_gt_u32_e64 s2, 0x100, v0
	s_waitcnt lgkmcnt(0)
	s_add_u32 s13, s18, s20
	s_addc_u32 s15, s19, s21
	s_and_not1_b32 vcc_lo, exec_lo, s12
	s_cbranch_vccnz .LBB666_16
; %bb.10:
	s_mov_b32 s3, 0
	s_mov_b32 s17, 0
                                        ; implicit-def: $vgpr3
                                        ; implicit-def: $vgpr4_vgpr5
	s_and_saveexec_b32 s12, s2
	s_cbranch_execz .LBB666_17
; %bb.11:
	v_lshl_or_b32 v2, s14, 8, v0
	v_mov_b32_e32 v3, 0
	s_ashr_i32 s19, s4, 31
	s_mov_b32 s18, s4
	s_mov_b32 s2, exec_lo
                                        ; implicit-def: $vgpr4_vgpr5
	s_delay_alu instid0(VALU_DEP_1)
	v_cmpx_gt_i64_e64 s[18:19], v[2:3]
	s_cbranch_execz .LBB666_15
; %bb.12:
	v_mad_u64_u32 v[4:5], null, s16, v2, 0
	s_ashr_i32 s17, s16, 31
	s_delay_alu instid0(VALU_DEP_1) | instid1(SALU_CYCLE_1)
	v_mad_u64_u32 v[6:7], null, s17, v2, v[5:6]
	v_cmp_eq_f32_e64 s17, s7, 0
	s_delay_alu instid0(VALU_DEP_1) | instskip(NEXT) | instid1(VALU_DEP_2)
	s_and_b32 vcc_lo, exec_lo, s17
	v_mov_b32_e32 v5, v6
	s_cbranch_vccnz .LBB666_14
; %bb.13:
	s_delay_alu instid0(VALU_DEP_1) | instskip(NEXT) | instid1(VALU_DEP_1)
	v_lshlrev_b64 v[2:3], 2, v[4:5]
	v_add_co_u32 v2, vcc_lo, s13, v2
	s_delay_alu instid0(VALU_DEP_2)
	v_add_co_ci_u32_e32 v3, vcc_lo, s15, v3, vcc_lo
	global_load_b32 v2, v[2:3], off
	s_waitcnt vmcnt(0)
	v_mul_f32_e32 v3, s7, v2
.LBB666_14:
	s_mov_b32 s17, exec_lo
.LBB666_15:
	s_or_b32 exec_lo, exec_lo, s2
	s_delay_alu instid0(SALU_CYCLE_1) | instskip(SKIP_1) | instid1(SALU_CYCLE_1)
	s_and_b32 s17, s17, exec_lo
	s_or_b32 exec_lo, exec_lo, s12
	s_and_b32 vcc_lo, exec_lo, s3
	s_cbranch_vccnz .LBB666_18
	s_branch .LBB666_55
.LBB666_16:
	s_mov_b32 s17, 0
                                        ; implicit-def: $vgpr3
                                        ; implicit-def: $vgpr4_vgpr5
	s_cbranch_execnz .LBB666_18
	s_branch .LBB666_55
.LBB666_17:
	s_or_b32 exec_lo, exec_lo, s12
	s_delay_alu instid0(SALU_CYCLE_1)
	s_and_b32 vcc_lo, exec_lo, s3
	s_cbranch_vccz .LBB666_55
.LBB666_18:
	s_clause 0x1
	s_load_b32 s18, s[0:1], 0x28
	s_load_b32 s12, s[0:1], 0x48
	s_ashr_i32 s0, s5, 31
	s_lshl_b32 s14, s14, 8
	s_lshr_b32 s0, s0, 28
	v_dual_mov_b32 v14, 0 :: v_dual_lshlrev_b32 v19, 2, v13
	v_dual_mov_b32 v15, 0 :: v_dual_add_nc_u32 v18, s14, v1
	v_dual_mov_b32 v16, 0 :: v_dual_mov_b32 v17, 0
	s_add_i32 s0, s5, s0
	s_mov_b32 s20, exec_lo
	s_and_b32 s19, s0, -16
	s_delay_alu instid0(SALU_CYCLE_1)
	v_cmpx_gt_i32_e64 s19, v19
	s_cbranch_execz .LBB666_30
; %bb.19:
	s_waitcnt lgkmcnt(0)
	v_mul_lo_u32 v3, s18, v19
	v_dual_mov_b32 v15, 0 :: v_dual_add_nc_u32 v2, 64, v18
	v_add_nc_u32_e32 v6, 2, v19
	v_dual_mov_b32 v14, 0 :: v_dual_add_nc_u32 v5, 0xc0, v18
	s_delay_alu instid0(VALU_DEP_3)
	v_cmp_gt_i32_e64 s0, s4, v2
	v_dual_mov_b32 v17, 0 :: v_dual_add_nc_u32 v4, 0x80, v18
	v_add3_u32 v20, v3, s18, v1
	v_mad_u64_u32 v[2:3], null, s18, v6, v[1:2]
	v_cmp_gt_i32_e64 s2, s4, v5
	v_mul_lo_u32 v5, v13, s18
	v_dual_mov_b32 v16, 0 :: v_dual_add_nc_u32 v7, 3, v19
	v_mul_lo_u32 v8, v13, s12
	v_cmp_gt_i32_e64 s1, s4, v4
	v_mul_lo_u32 v22, s12, v6
	s_delay_alu instid0(VALU_DEP_4)
	v_mad_u64_u32 v[3:4], null, s18, v7, v[1:2]
	v_lshl_add_u32 v21, v5, 2, v1
	v_mad_u64_u32 v[4:5], null, s12, v19, s[12:13]
	v_mul_lo_u32 v23, s12, v7
	v_cmp_gt_i32_e32 vcc_lo, s4, v18
	v_lshlrev_b32_e32 v24, 2, v8
	s_lshl_b32 s21, s18, 4
	s_lshl_b32 s23, s12, 4
	s_mov_b32 s22, 0
	s_mov_b32 s24, 0
	s_branch .LBB666_24
.LBB666_20:                             ;   in Loop: Header=BB666_24 Depth=1
	s_or_b32 exec_lo, exec_lo, s27
	s_waitcnt vmcnt(2) lgkmcnt(2)
	v_lshlrev_b32_e32 v6, 16, v39
	v_lshlrev_b32_e32 v5, 16, v40
	s_waitcnt vmcnt(1) lgkmcnt(1)
	s_delay_alu instid0(VALU_DEP_1) | instskip(NEXT) | instid1(VALU_DEP_1)
	v_dual_fmac_f32 v16, v32, v5 :: v_dual_lshlrev_b32 v5, 16, v38
	v_fmac_f32_e32 v16, v30, v6
	s_delay_alu instid0(VALU_DEP_1) | instskip(SKIP_2) | instid1(VALU_DEP_1)
	v_fmac_f32_e32 v16, v28, v5
	s_waitcnt vmcnt(0) lgkmcnt(0)
	v_lshlrev_b32_e32 v5, 16, v37
	v_fmac_f32_e32 v16, v27, v5
.LBB666_21:                             ;   in Loop: Header=BB666_24 Depth=1
	s_or_b32 exec_lo, exec_lo, s26
	s_waitcnt vmcnt(3) lgkmcnt(3)
	v_lshlrev_b32_e32 v5, 16, v36
	s_waitcnt vmcnt(2) lgkmcnt(2)
	s_delay_alu instid0(VALU_DEP_1) | instskip(SKIP_2) | instid1(VALU_DEP_2)
	v_dual_fmac_f32 v15, v32, v5 :: v_dual_lshlrev_b32 v6, 16, v35
	s_waitcnt vmcnt(1) lgkmcnt(1)
	v_lshlrev_b32_e32 v5, 16, v34
	v_fmac_f32_e32 v15, v30, v6
	s_delay_alu instid0(VALU_DEP_1) | instskip(SKIP_2) | instid1(VALU_DEP_1)
	v_fmac_f32_e32 v15, v28, v5
	s_waitcnt vmcnt(0) lgkmcnt(0)
	v_lshlrev_b32_e32 v5, 16, v33
	v_fmac_f32_e32 v15, v27, v5
.LBB666_22:                             ;   in Loop: Header=BB666_24 Depth=1
	s_or_b32 exec_lo, exec_lo, s3
	s_waitcnt vmcnt(2) lgkmcnt(2)
	v_lshlrev_b32_e32 v6, 16, v29
	v_lshlrev_b32_e32 v5, 16, v31
	s_waitcnt vmcnt(1) lgkmcnt(1)
	s_delay_alu instid0(VALU_DEP_1) | instskip(NEXT) | instid1(VALU_DEP_1)
	v_dual_fmac_f32 v14, v32, v5 :: v_dual_lshlrev_b32 v5, 16, v26
	v_fmac_f32_e32 v14, v30, v6
	s_delay_alu instid0(VALU_DEP_1) | instskip(SKIP_2) | instid1(VALU_DEP_1)
	v_fmac_f32_e32 v14, v28, v5
	s_waitcnt vmcnt(0) lgkmcnt(0)
	v_lshlrev_b32_e32 v5, 16, v25
	v_fmac_f32_e32 v14, v27, v5
.LBB666_23:                             ;   in Loop: Header=BB666_24 Depth=1
	s_or_b32 exec_lo, exec_lo, s25
	v_add_nc_u32_e32 v19, 16, v19
	v_add_nc_u32_e32 v20, s21, v20
	;; [unrolled: 1-line block ×5, first 2 shown]
	v_cmp_le_i32_e64 s3, s19, v19
	s_add_i32 s24, s24, s23
	s_delay_alu instid0(VALU_DEP_1) | instskip(NEXT) | instid1(SALU_CYCLE_1)
	s_or_b32 s22, s3, s22
	s_and_not1_b32 exec_lo, exec_lo, s22
	s_cbranch_execz .LBB666_29
.LBB666_24:                             ; =>This Inner Loop Header: Depth=1
	s_and_saveexec_b32 s25, vcc_lo
	s_cbranch_execz .LBB666_23
; %bb.25:                               ;   in Loop: Header=BB666_24 Depth=1
	v_add_nc_u32_e32 v5, s24, v24
	v_add_nc_u32_e32 v7, s24, v4
	;; [unrolled: 1-line block ×5, first 2 shown]
	v_ashrrev_i32_e32 v6, 31, v5
	v_ashrrev_i32_e32 v8, 31, v7
	;; [unrolled: 1-line block ×4, first 2 shown]
	v_add_nc_u32_e32 v27, s14, v20
	v_lshlrev_b64 v[5:6], 1, v[5:6]
	v_lshlrev_b64 v[7:8], 1, v[7:8]
	v_lshlrev_b64 v[9:10], 1, v[9:10]
	v_lshlrev_b64 v[11:12], 1, v[11:12]
	v_ashrrev_i32_e32 v26, 31, v25
	v_ashrrev_i32_e32 v28, 31, v27
	v_add_co_u32 v5, s3, s10, v5
	s_delay_alu instid0(VALU_DEP_1) | instskip(SKIP_1) | instid1(VALU_DEP_1)
	v_add_co_ci_u32_e64 v6, s3, s11, v6, s3
	v_add_co_u32 v7, s3, s10, v7
	v_add_co_ci_u32_e64 v8, s3, s11, v8, s3
	v_add_co_u32 v9, s3, s10, v9
	s_delay_alu instid0(VALU_DEP_1)
	v_add_co_ci_u32_e64 v10, s3, s11, v10, s3
	v_add_co_u32 v11, s3, s10, v11
	v_add_nc_u32_e32 v29, s14, v2
	v_add_co_ci_u32_e64 v12, s3, s11, v12, s3
	v_lshlrev_b64 v[25:26], 1, v[25:26]
	s_clause 0x3
	flat_load_u16 v32, v[5:6]
	flat_load_u16 v33, v[7:8]
	;; [unrolled: 1-line block ×4, first 2 shown]
	v_add_nc_u32_e32 v11, s14, v3
	v_lshlrev_b64 v[5:6], 1, v[27:28]
	v_ashrrev_i32_e32 v30, 31, v29
	v_add_co_u32 v7, s3, s8, v25
	s_delay_alu instid0(VALU_DEP_4) | instskip(SKIP_1) | instid1(VALU_DEP_4)
	v_ashrrev_i32_e32 v12, 31, v11
	v_add_co_ci_u32_e64 v8, s3, s9, v26, s3
	v_lshlrev_b64 v[25:26], 1, v[29:30]
	v_add_co_u32 v9, s3, s8, v5
	s_delay_alu instid0(VALU_DEP_1) | instskip(SKIP_1) | instid1(VALU_DEP_4)
	v_add_co_ci_u32_e64 v10, s3, s9, v6, s3
	v_lshlrev_b64 v[5:6], 1, v[11:12]
	v_add_co_u32 v11, s3, s8, v25
	s_delay_alu instid0(VALU_DEP_1) | instskip(NEXT) | instid1(VALU_DEP_3)
	v_add_co_ci_u32_e64 v12, s3, s9, v26, s3
	v_add_co_u32 v5, s3, s8, v5
	s_delay_alu instid0(VALU_DEP_1)
	v_add_co_ci_u32_e64 v6, s3, s9, v6, s3
	s_clause 0x3
	flat_load_u16 v31, v[7:8]
	flat_load_u16 v29, v[9:10]
	;; [unrolled: 1-line block ×4, first 2 shown]
	s_waitcnt vmcnt(7) lgkmcnt(7)
	v_lshlrev_b32_e32 v32, 16, v32
	s_waitcnt vmcnt(6) lgkmcnt(6)
	v_lshlrev_b32_e32 v30, 16, v33
	s_waitcnt vmcnt(5) lgkmcnt(5)
	v_lshlrev_b32_e32 v28, 16, v34
	s_waitcnt vmcnt(4) lgkmcnt(4)
	v_lshlrev_b32_e32 v27, 16, v35
	s_and_saveexec_b32 s3, s0
	s_cbranch_execz .LBB666_22
; %bb.26:                               ;   in Loop: Header=BB666_24 Depth=1
	s_clause 0x3
	flat_load_u16 v36, v[7:8] offset:128
	flat_load_u16 v35, v[9:10] offset:128
	flat_load_u16 v34, v[11:12] offset:128
	flat_load_u16 v33, v[5:6] offset:128
	s_and_saveexec_b32 s26, s1
	s_cbranch_execz .LBB666_21
; %bb.27:                               ;   in Loop: Header=BB666_24 Depth=1
	s_clause 0x3
	flat_load_u16 v40, v[7:8] offset:256
	flat_load_u16 v39, v[9:10] offset:256
	flat_load_u16 v38, v[11:12] offset:256
	flat_load_u16 v37, v[5:6] offset:256
	;; [unrolled: 8-line block ×3, first 2 shown]
	s_waitcnt vmcnt(0) lgkmcnt(0)
	v_lshlrev_b32_e32 v5, 16, v5
	v_lshlrev_b32_e32 v6, 16, v7
	;; [unrolled: 1-line block ×3, first 2 shown]
	s_delay_alu instid0(VALU_DEP_2) | instskip(NEXT) | instid1(VALU_DEP_1)
	v_dual_fmac_f32 v17, v32, v6 :: v_dual_lshlrev_b32 v6, 16, v9
	v_fmac_f32_e32 v17, v30, v7
	s_delay_alu instid0(VALU_DEP_1) | instskip(NEXT) | instid1(VALU_DEP_1)
	v_fmac_f32_e32 v17, v28, v6
	v_fmac_f32_e32 v17, v27, v5
	s_branch .LBB666_20
.LBB666_29:
	s_or_b32 exec_lo, exec_lo, s22
.LBB666_30:
	s_delay_alu instid0(SALU_CYCLE_1) | instskip(SKIP_1) | instid1(SALU_CYCLE_1)
	s_or_b32 exec_lo, exec_lo, s20
	s_sub_i32 s0, s5, s19
	s_cmp_lt_i32 s0, 1
	s_cbranch_scc1 .LBB666_48
; %bb.31:
	v_cmp_gt_i32_e32 vcc_lo, s5, v19
	v_dual_mov_b32 v10, 0 :: v_dual_mov_b32 v11, 0
	v_or_b32_e32 v2, 1, v19
	v_mov_b32_e32 v12, 0
	v_mov_b32_e32 v20, 0
	s_and_saveexec_b32 s1, vcc_lo
	s_cbranch_execz .LBB666_39
; %bb.32:
	s_waitcnt lgkmcnt(0)
	v_mul_lo_u32 v3, v19, s12
	v_dual_mov_b32 v12, 0 :: v_dual_mov_b32 v11, 0
	v_mov_b32_e32 v10, 0
	s_mov_b32 s2, exec_lo
	s_delay_alu instid0(VALU_DEP_3) | instskip(NEXT) | instid1(VALU_DEP_1)
	v_ashrrev_i32_e32 v4, 31, v3
	v_lshlrev_b64 v[3:4], 1, v[3:4]
	s_delay_alu instid0(VALU_DEP_1) | instskip(NEXT) | instid1(VALU_DEP_1)
	v_add_co_u32 v3, s0, s10, v3
	v_add_co_ci_u32_e64 v4, s0, s11, v4, s0
	flat_load_u16 v3, v[3:4]
	v_cmpx_gt_i32_e64 s5, v2
	s_cbranch_execz .LBB666_38
; %bb.33:
	v_mul_lo_u32 v4, v2, s12
	v_dual_mov_b32 v11, 0 :: v_dual_mov_b32 v10, 0
	s_mov_b32 s3, exec_lo
	s_delay_alu instid0(VALU_DEP_2) | instskip(NEXT) | instid1(VALU_DEP_1)
	v_ashrrev_i32_e32 v5, 31, v4
	v_lshlrev_b64 v[4:5], 1, v[4:5]
	s_delay_alu instid0(VALU_DEP_1) | instskip(NEXT) | instid1(VALU_DEP_1)
	v_add_co_u32 v4, s0, s10, v4
	v_add_co_ci_u32_e64 v5, s0, s11, v5, s0
	flat_load_u16 v4, v[4:5]
	v_or_b32_e32 v5, 2, v19
	s_delay_alu instid0(VALU_DEP_1)
	v_cmpx_gt_i32_e64 s5, v5
	s_cbranch_execz .LBB666_37
; %bb.34:
	v_mul_lo_u32 v5, v5, s12
	v_mov_b32_e32 v10, 0
	s_mov_b32 s19, exec_lo
	s_delay_alu instid0(VALU_DEP_2) | instskip(NEXT) | instid1(VALU_DEP_1)
	v_ashrrev_i32_e32 v6, 31, v5
	v_lshlrev_b64 v[5:6], 1, v[5:6]
	s_delay_alu instid0(VALU_DEP_1) | instskip(NEXT) | instid1(VALU_DEP_1)
	v_add_co_u32 v5, s0, s10, v5
	v_add_co_ci_u32_e64 v6, s0, s11, v6, s0
	flat_load_u16 v5, v[5:6]
	v_or_b32_e32 v6, 3, v19
	s_delay_alu instid0(VALU_DEP_1)
	v_cmpx_gt_i32_e64 s5, v6
	s_cbranch_execz .LBB666_36
; %bb.35:
	v_mul_lo_u32 v6, v6, s12
	s_delay_alu instid0(VALU_DEP_1) | instskip(NEXT) | instid1(VALU_DEP_1)
	v_ashrrev_i32_e32 v7, 31, v6
	v_lshlrev_b64 v[6:7], 1, v[6:7]
	s_delay_alu instid0(VALU_DEP_1) | instskip(NEXT) | instid1(VALU_DEP_1)
	v_add_co_u32 v6, s0, s10, v6
	v_add_co_ci_u32_e64 v7, s0, s11, v7, s0
	flat_load_u16 v6, v[6:7]
	s_waitcnt vmcnt(0) lgkmcnt(0)
	v_lshlrev_b32_e32 v10, 16, v6
.LBB666_36:
	s_or_b32 exec_lo, exec_lo, s19
	s_waitcnt vmcnt(0) lgkmcnt(0)
	v_lshlrev_b32_e32 v11, 16, v5
.LBB666_37:
	s_or_b32 exec_lo, exec_lo, s3
	s_waitcnt vmcnt(0) lgkmcnt(0)
	v_lshlrev_b32_e32 v12, 16, v4
.LBB666_38:
	s_or_b32 exec_lo, exec_lo, s2
	s_waitcnt vmcnt(0) lgkmcnt(0)
	v_lshlrev_b32_e32 v20, 16, v3
.LBB666_39:
	s_or_b32 exec_lo, exec_lo, s1
	s_delay_alu instid0(SALU_CYCLE_1)
	s_mov_b32 s1, exec_lo
	v_cmpx_gt_i32_e64 s4, v18
	s_cbranch_execz .LBB666_47
; %bb.40:
	s_waitcnt lgkmcnt(0)
	v_mul_lo_u32 v3, v19, s18
	v_mul_lo_u32 v4, v2, s18
	v_or_b32_e32 v5, 2, v19
	v_or_b32_e32 v6, 3, v19
	s_mov_b32 s0, exec_lo
	s_delay_alu instid0(VALU_DEP_2)
	v_mul_lo_u32 v7, v5, s18
	v_cndmask_b32_e32 v3, 0, v3, vcc_lo
	v_cmp_gt_i32_e32 vcc_lo, s5, v2
	v_mul_lo_u32 v8, v6, s18
	v_cndmask_b32_e32 v4, 0, v4, vcc_lo
	v_cmp_gt_i32_e32 vcc_lo, s5, v5
	v_add_nc_u32_e32 v2, v3, v18
	s_delay_alu instid0(VALU_DEP_3) | instskip(NEXT) | instid1(VALU_DEP_2)
	v_dual_cndmask_b32 v7, 0, v7 :: v_dual_add_nc_u32 v4, v4, v18
	v_ashrrev_i32_e32 v3, 31, v2
	v_cmp_gt_i32_e32 vcc_lo, s5, v6
	s_delay_alu instid0(VALU_DEP_3) | instskip(NEXT) | instid1(VALU_DEP_4)
	v_ashrrev_i32_e32 v5, 31, v4
	v_add_nc_u32_e32 v6, v7, v18
	s_delay_alu instid0(VALU_DEP_4) | instskip(SKIP_1) | instid1(VALU_DEP_4)
	v_lshlrev_b64 v[2:3], 1, v[2:3]
	v_cndmask_b32_e32 v8, 0, v8, vcc_lo
	v_lshlrev_b64 v[21:22], 1, v[4:5]
	s_delay_alu instid0(VALU_DEP_4) | instskip(NEXT) | instid1(VALU_DEP_4)
	v_ashrrev_i32_e32 v7, 31, v6
	v_add_co_u32 v4, vcc_lo, s8, v2
	v_add_co_ci_u32_e32 v5, vcc_lo, s9, v3, vcc_lo
	s_delay_alu instid0(VALU_DEP_4)
	v_add_co_u32 v2, vcc_lo, s8, v21
	v_add_co_ci_u32_e32 v3, vcc_lo, s9, v22, vcc_lo
	s_clause 0x1
	flat_load_u16 v19, v[4:5]
	flat_load_u16 v23, v[2:3]
	v_lshlrev_b64 v[6:7], 1, v[6:7]
	s_waitcnt vmcnt(1) lgkmcnt(1)
	v_lshlrev_b32_e32 v19, 16, v19
	v_add_nc_u32_e32 v8, v8, v18
	s_delay_alu instid0(VALU_DEP_1) | instskip(NEXT) | instid1(VALU_DEP_1)
	v_ashrrev_i32_e32 v9, 31, v8
	v_lshlrev_b64 v[21:22], 1, v[8:9]
	v_add_co_u32 v8, vcc_lo, s8, v6
	v_add_co_ci_u32_e32 v9, vcc_lo, s9, v7, vcc_lo
	s_delay_alu instid0(VALU_DEP_3) | instskip(NEXT) | instid1(VALU_DEP_4)
	v_add_co_u32 v6, vcc_lo, s8, v21
	v_add_co_ci_u32_e32 v7, vcc_lo, s9, v22, vcc_lo
	s_clause 0x1
	flat_load_u16 v21, v[8:9]
	flat_load_u16 v22, v[6:7]
	s_waitcnt vmcnt(1) lgkmcnt(1)
	v_dual_fmac_f32 v14, v20, v19 :: v_dual_lshlrev_b32 v21, 16, v21
	v_lshlrev_b32_e32 v23, 16, v23
	s_waitcnt vmcnt(0) lgkmcnt(0)
	s_delay_alu instid0(VALU_DEP_1) | instskip(NEXT) | instid1(VALU_DEP_1)
	v_dual_fmac_f32 v14, v12, v23 :: v_dual_lshlrev_b32 v19, 16, v22
	v_dual_fmac_f32 v14, v11, v21 :: v_dual_add_nc_u32 v23, 64, v18
	s_delay_alu instid0(VALU_DEP_1)
	v_cmpx_gt_i32_e64 s4, v23
	s_cbranch_execz .LBB666_46
; %bb.41:
	s_clause 0x3
	flat_load_u16 v21, v[4:5] offset:128
	flat_load_u16 v22, v[2:3] offset:128
	;; [unrolled: 1-line block ×4, first 2 shown]
	s_mov_b32 s2, exec_lo
	s_waitcnt vmcnt(3) lgkmcnt(3)
	v_lshlrev_b32_e32 v21, 16, v21
	s_waitcnt vmcnt(2) lgkmcnt(2)
	v_lshlrev_b32_e32 v22, 16, v22
	;; [unrolled: 2-line block ×3, first 2 shown]
	v_fmac_f32_e32 v15, v20, v21
	s_waitcnt vmcnt(0) lgkmcnt(0)
	v_lshlrev_b32_e32 v21, 16, v24
	s_delay_alu instid0(VALU_DEP_2) | instskip(NEXT) | instid1(VALU_DEP_1)
	v_fmac_f32_e32 v15, v12, v22
	v_dual_fmac_f32 v15, v11, v23 :: v_dual_add_nc_u32 v22, 0x80, v18
	s_delay_alu instid0(VALU_DEP_1)
	v_cmpx_gt_i32_e64 s4, v22
	s_cbranch_execz .LBB666_45
; %bb.42:
	s_clause 0x3
	flat_load_u16 v22, v[4:5] offset:256
	flat_load_u16 v23, v[2:3] offset:256
	;; [unrolled: 1-line block ×4, first 2 shown]
	s_mov_b32 s3, exec_lo
	s_waitcnt vmcnt(3) lgkmcnt(3)
	v_lshlrev_b32_e32 v22, 16, v22
	s_waitcnt vmcnt(2) lgkmcnt(2)
	s_delay_alu instid0(VALU_DEP_1) | instskip(SKIP_2) | instid1(VALU_DEP_2)
	v_dual_fmac_f32 v16, v20, v22 :: v_dual_lshlrev_b32 v23, 16, v23
	s_waitcnt vmcnt(1) lgkmcnt(1)
	v_lshlrev_b32_e32 v22, 16, v24
	v_dual_fmac_f32 v16, v12, v23 :: v_dual_add_nc_u32 v23, 0xc0, v18
	s_waitcnt vmcnt(0) lgkmcnt(0)
	v_lshlrev_b32_e32 v18, 16, v25
	s_delay_alu instid0(VALU_DEP_2) | instskip(NEXT) | instid1(VALU_DEP_3)
	v_fmac_f32_e32 v16, v11, v22
	v_cmpx_gt_i32_e64 s4, v23
	s_cbranch_execz .LBB666_44
; %bb.43:
	s_clause 0x3
	flat_load_u16 v4, v[4:5] offset:384
	flat_load_u16 v2, v[2:3] offset:384
	flat_load_u16 v3, v[8:9] offset:384
	flat_load_u16 v5, v[6:7] offset:384
	s_waitcnt vmcnt(2) lgkmcnt(2)
	v_lshlrev_b32_e32 v2, 16, v2
	v_lshlrev_b32_e32 v4, 16, v4
	s_waitcnt vmcnt(1) lgkmcnt(1)
	v_lshlrev_b32_e32 v3, 16, v3
	s_delay_alu instid0(VALU_DEP_2) | instskip(SKIP_1) | instid1(VALU_DEP_1)
	v_fmac_f32_e32 v17, v20, v4
	s_waitcnt vmcnt(0) lgkmcnt(0)
	v_dual_fmac_f32 v17, v12, v2 :: v_dual_lshlrev_b32 v2, 16, v5
	s_delay_alu instid0(VALU_DEP_1) | instskip(NEXT) | instid1(VALU_DEP_1)
	v_fmac_f32_e32 v17, v11, v3
	v_fmac_f32_e32 v17, v10, v2
.LBB666_44:
	s_or_b32 exec_lo, exec_lo, s3
	s_delay_alu instid0(VALU_DEP_2)
	v_fmac_f32_e32 v16, v10, v18
.LBB666_45:
	s_or_b32 exec_lo, exec_lo, s2
	s_delay_alu instid0(VALU_DEP_2)
	v_fmac_f32_e32 v15, v10, v21
.LBB666_46:
	s_or_b32 exec_lo, exec_lo, s0
	s_delay_alu instid0(VALU_DEP_2)
	v_fmac_f32_e32 v14, v10, v19
.LBB666_47:
	s_or_b32 exec_lo, exec_lo, s1
.LBB666_48:
	v_lshlrev_b32_e32 v2, 8, v13
	s_mov_b32 s0, exec_lo
                                        ; implicit-def: $vgpr3
                                        ; implicit-def: $vgpr4_vgpr5
	s_delay_alu instid0(VALU_DEP_1)
	v_add_lshl_u32 v1, v2, v1, 2
	ds_store_2addr_stride64_b32 v1, v14, v15 offset1:1
	ds_store_2addr_stride64_b32 v1, v16, v17 offset0:2 offset1:3
	s_waitcnt lgkmcnt(0)
	s_barrier
	buffer_gl0_inv
	v_cmpx_gt_u32_e32 0x100, v0
	s_cbranch_execz .LBB666_54
; %bb.49:
	v_lshlrev_b32_e32 v5, 2, v0
	s_mov_b32 s2, s17
	s_mov_b32 s1, exec_lo
	ds_load_2addr_stride64_b32 v[1:2], v5 offset1:4
	ds_load_2addr_stride64_b32 v[3:4], v5 offset0:8 offset1:12
	s_waitcnt lgkmcnt(1)
	v_add_f32_e32 v1, v1, v2
	s_waitcnt lgkmcnt(0)
	s_delay_alu instid0(VALU_DEP_1) | instskip(SKIP_1) | instid1(VALU_DEP_2)
	v_add_f32_e32 v2, v3, v1
	v_or_b32_e32 v1, s14, v0
                                        ; implicit-def: $vgpr3
	v_add_f32_e32 v0, v4, v2
	ds_store_b32 v5, v0
                                        ; implicit-def: $vgpr4_vgpr5
	v_cmpx_gt_i32_e64 s4, v1
	s_cbranch_execz .LBB666_53
; %bb.50:
	v_mul_lo_u32 v4, v1, s16
	v_cmp_eq_f32_e64 s2, s7, 0
	v_mul_f32_e32 v3, s6, v0
	s_delay_alu instid0(VALU_DEP_2) | instskip(NEXT) | instid1(VALU_DEP_3)
	s_and_b32 vcc_lo, exec_lo, s2
	v_ashrrev_i32_e32 v5, 31, v4
	s_cbranch_vccnz .LBB666_52
; %bb.51:
	s_delay_alu instid0(VALU_DEP_1) | instskip(NEXT) | instid1(VALU_DEP_1)
	v_lshlrev_b64 v[0:1], 2, v[4:5]
	v_add_co_u32 v0, vcc_lo, s13, v0
	s_delay_alu instid0(VALU_DEP_2)
	v_add_co_ci_u32_e32 v1, vcc_lo, s15, v1, vcc_lo
	global_load_b32 v0, v[0:1], off
	s_waitcnt vmcnt(0)
	v_fmac_f32_e32 v3, s7, v0
.LBB666_52:
	s_or_b32 s2, s17, exec_lo
.LBB666_53:
	s_or_b32 exec_lo, exec_lo, s1
	s_delay_alu instid0(SALU_CYCLE_1) | instskip(SKIP_1) | instid1(SALU_CYCLE_1)
	s_and_not1_b32 s1, s17, exec_lo
	s_and_b32 s2, s2, exec_lo
	s_or_b32 s17, s1, s2
.LBB666_54:
	s_or_b32 exec_lo, exec_lo, s0
.LBB666_55:
	s_and_saveexec_b32 s0, s17
	s_cbranch_execz .LBB666_57
; %bb.56:
	v_lshlrev_b64 v[0:1], 2, v[4:5]
	s_delay_alu instid0(VALU_DEP_1) | instskip(NEXT) | instid1(VALU_DEP_2)
	v_add_co_u32 v0, vcc_lo, s13, v0
	v_add_co_ci_u32_e32 v1, vcc_lo, s15, v1, vcc_lo
	global_store_b32 v[0:1], v3, off
.LBB666_57:
	s_nop 0
	s_sendmsg sendmsg(MSG_DEALLOC_VGPRS)
	s_endpgm
	.section	.rodata,"a",@progbits
	.p2align	6, 0x0
	.amdhsa_kernel _ZL20rocblas_gemvn_kernelILi64ELi4EiPK16rocblas_bfloat16fKPfEviiT3_lPKT2_lT1_lS8_lS9_lS5_lPT4_lS9_li
		.amdhsa_group_segment_fixed_size 4096
		.amdhsa_private_segment_fixed_size 0
		.amdhsa_kernarg_size 400
		.amdhsa_user_sgpr_count 14
		.amdhsa_user_sgpr_dispatch_ptr 0
		.amdhsa_user_sgpr_queue_ptr 0
		.amdhsa_user_sgpr_kernarg_segment_ptr 1
		.amdhsa_user_sgpr_dispatch_id 0
		.amdhsa_user_sgpr_private_segment_size 0
		.amdhsa_wavefront_size32 1
		.amdhsa_uses_dynamic_stack 0
		.amdhsa_enable_private_segment 0
		.amdhsa_system_sgpr_workgroup_id_x 1
		.amdhsa_system_sgpr_workgroup_id_y 0
		.amdhsa_system_sgpr_workgroup_id_z 1
		.amdhsa_system_sgpr_workgroup_info 0
		.amdhsa_system_vgpr_workitem_id 1
		.amdhsa_next_free_vgpr 41
		.amdhsa_next_free_sgpr 28
		.amdhsa_reserve_vcc 1
		.amdhsa_float_round_mode_32 0
		.amdhsa_float_round_mode_16_64 0
		.amdhsa_float_denorm_mode_32 3
		.amdhsa_float_denorm_mode_16_64 3
		.amdhsa_dx10_clamp 1
		.amdhsa_ieee_mode 1
		.amdhsa_fp16_overflow 0
		.amdhsa_workgroup_processor_mode 1
		.amdhsa_memory_ordered 1
		.amdhsa_forward_progress 0
		.amdhsa_shared_vgpr_count 0
		.amdhsa_exception_fp_ieee_invalid_op 0
		.amdhsa_exception_fp_denorm_src 0
		.amdhsa_exception_fp_ieee_div_zero 0
		.amdhsa_exception_fp_ieee_overflow 0
		.amdhsa_exception_fp_ieee_underflow 0
		.amdhsa_exception_fp_ieee_inexact 0
		.amdhsa_exception_int_div_zero 0
	.end_amdhsa_kernel
	.section	.text._ZL20rocblas_gemvn_kernelILi64ELi4EiPK16rocblas_bfloat16fKPfEviiT3_lPKT2_lT1_lS8_lS9_lS5_lPT4_lS9_li,"axG",@progbits,_ZL20rocblas_gemvn_kernelILi64ELi4EiPK16rocblas_bfloat16fKPfEviiT3_lPKT2_lT1_lS8_lS9_lS5_lPT4_lS9_li,comdat
.Lfunc_end666:
	.size	_ZL20rocblas_gemvn_kernelILi64ELi4EiPK16rocblas_bfloat16fKPfEviiT3_lPKT2_lT1_lS8_lS9_lS5_lPT4_lS9_li, .Lfunc_end666-_ZL20rocblas_gemvn_kernelILi64ELi4EiPK16rocblas_bfloat16fKPfEviiT3_lPKT2_lT1_lS8_lS9_lS5_lPT4_lS9_li
                                        ; -- End function
	.section	.AMDGPU.csdata,"",@progbits
; Kernel info:
; codeLenInByte = 3056
; NumSgprs: 30
; NumVgprs: 41
; ScratchSize: 0
; MemoryBound: 0
; FloatMode: 240
; IeeeMode: 1
; LDSByteSize: 4096 bytes/workgroup (compile time only)
; SGPRBlocks: 3
; VGPRBlocks: 5
; NumSGPRsForWavesPerEU: 30
; NumVGPRsForWavesPerEU: 41
; Occupancy: 16
; WaveLimiterHint : 1
; COMPUTE_PGM_RSRC2:SCRATCH_EN: 0
; COMPUTE_PGM_RSRC2:USER_SGPR: 14
; COMPUTE_PGM_RSRC2:TRAP_HANDLER: 0
; COMPUTE_PGM_RSRC2:TGID_X_EN: 1
; COMPUTE_PGM_RSRC2:TGID_Y_EN: 0
; COMPUTE_PGM_RSRC2:TGID_Z_EN: 1
; COMPUTE_PGM_RSRC2:TIDIG_COMP_CNT: 1
	.section	.text._ZL20rocblas_gemvn_kernelILi64ELi4ElPK16rocblas_bfloat16fKPfEviiT3_lPKT2_lT1_lS8_lS9_lS5_lPT4_lS9_li,"axG",@progbits,_ZL20rocblas_gemvn_kernelILi64ELi4ElPK16rocblas_bfloat16fKPfEviiT3_lPKT2_lT1_lS8_lS9_lS5_lPT4_lS9_li,comdat
	.globl	_ZL20rocblas_gemvn_kernelILi64ELi4ElPK16rocblas_bfloat16fKPfEviiT3_lPKT2_lT1_lS8_lS9_lS5_lPT4_lS9_li ; -- Begin function _ZL20rocblas_gemvn_kernelILi64ELi4ElPK16rocblas_bfloat16fKPfEviiT3_lPKT2_lT1_lS8_lS9_lS5_lPT4_lS9_li
	.p2align	8
	.type	_ZL20rocblas_gemvn_kernelILi64ELi4ElPK16rocblas_bfloat16fKPfEviiT3_lPKT2_lT1_lS8_lS9_lS5_lPT4_lS9_li,@function
_ZL20rocblas_gemvn_kernelILi64ELi4ElPK16rocblas_bfloat16fKPfEviiT3_lPKT2_lT1_lS8_lS9_lS5_lPT4_lS9_li: ; @_ZL20rocblas_gemvn_kernelILi64ELi4ElPK16rocblas_bfloat16fKPfEviiT3_lPKT2_lT1_lS8_lS9_lS5_lPT4_lS9_li
; %bb.0:
	s_load_b64 s[4:5], s[0:1], 0x9c
	s_waitcnt lgkmcnt(0)
	s_lshr_b32 s3, s4, 16
	s_and_b32 s4, s4, 0xffff
	s_and_b32 s5, s5, 0xffff
	s_mul_i32 s3, s3, s4
	s_delay_alu instid0(SALU_CYCLE_1) | instskip(NEXT) | instid1(SALU_CYCLE_1)
	s_mul_i32 s3, s3, s5
	s_cmpk_lg_i32 s3, 0x100
	s_cbranch_scc1 .LBB667_57
; %bb.1:
	s_load_b128 s[8:11], s[0:1], 0x0
	s_waitcnt lgkmcnt(0)
	s_load_b32 s11, s[0:1], 0x58
	s_mov_b32 s2, s15
	v_cmp_eq_f32_e64 s15, s10, 0
	s_waitcnt lgkmcnt(0)
	v_cmp_eq_f32_e64 s3, s11, 1.0
	s_delay_alu instid0(VALU_DEP_1) | instskip(NEXT) | instid1(SALU_CYCLE_1)
	s_and_b32 s3, s15, s3
	s_and_b32 vcc_lo, exec_lo, s3
	s_cbranch_vccnz .LBB667_57
; %bb.2:
	s_clause 0x1
	s_load_b128 s[4:7], s[0:1], 0x18
	s_load_b64 s[12:13], s[0:1], 0x28
	v_cmp_neq_f32_e64 s20, s10, 0
	s_delay_alu instid0(VALU_DEP_1)
	s_and_b32 vcc_lo, exec_lo, s20
	s_cbranch_vccnz .LBB667_4
; %bb.3:
	s_mov_b32 s3, 0
	s_mov_b64 s[16:17], 0
	s_cbranch_execz .LBB667_5
	s_branch .LBB667_6
.LBB667_4:
	s_mov_b32 s3, -1
                                        ; implicit-def: $sgpr16_sgpr17
.LBB667_5:
	s_mov_b32 s3, 0
	s_delay_alu instid0(SALU_CYCLE_1)
	s_lshl_b64 s[16:17], s[2:3], 3
	s_waitcnt lgkmcnt(0)
	s_add_u32 s4, s4, s16
	s_addc_u32 s5, s5, s17
	s_lshl_b64 s[6:7], s[6:7], 1
	s_load_b64 s[4:5], s[4:5], 0x0
	s_waitcnt lgkmcnt(0)
	s_add_u32 s16, s4, s6
	s_addc_u32 s17, s5, s7
.LBB667_6:
	s_waitcnt lgkmcnt(0)
	s_clause 0x1
	s_load_b128 s[4:7], s[0:1], 0x38
	s_load_b64 s[18:19], s[0:1], 0x48
	s_and_not1_b32 vcc_lo, exec_lo, s20
	s_cbranch_vccnz .LBB667_8
; %bb.7:
	s_lshl_b64 s[20:21], s[2:3], 3
	s_waitcnt lgkmcnt(0)
	s_add_u32 s4, s4, s20
	s_addc_u32 s5, s5, s21
	s_lshl_b64 s[6:7], s[6:7], 1
	s_load_b64 s[4:5], s[4:5], 0x0
	s_waitcnt lgkmcnt(0)
	s_add_u32 s20, s4, s6
	s_addc_u32 s21, s5, s7
	s_branch .LBB667_9
.LBB667_8:
	s_mov_b64 s[20:21], 0
.LBB667_9:
	s_load_b128 s[24:27], s[0:1], 0x68
	s_waitcnt lgkmcnt(0)
	s_load_b64 s[6:7], s[0:1], 0x78
	s_lshl_b64 s[2:3], s[2:3], 3
	v_and_b32_e32 v20, 0x3ff, v0
	v_bfe_u32 v21, v0, 10, 10
	s_delay_alu instid0(VALU_DEP_1)
	v_lshl_add_u32 v19, v21, 6, v20
	s_add_u32 s0, s24, s2
	s_addc_u32 s1, s25, s3
	s_lshl_b64 s[22:23], s[26:27], 2
	s_load_b64 s[2:3], s[0:1], 0x0
	v_cmp_gt_u32_e64 s0, 0x100, v19
	s_waitcnt lgkmcnt(0)
	s_add_u32 s5, s2, s22
	s_addc_u32 s26, s3, s23
	s_and_not1_b32 vcc_lo, exec_lo, s15
	s_cbranch_vccnz .LBB667_16
; %bb.10:
	s_mov_b32 s1, 0
	s_mov_b32 s27, 0
                                        ; implicit-def: $vgpr1
                                        ; implicit-def: $vgpr2_vgpr3
	s_and_saveexec_b32 s2, s0
	s_cbranch_execz .LBB667_17
; %bb.11:
	v_lshl_or_b32 v0, s14, 8, v19
	v_mov_b32_e32 v1, 0
	s_ashr_i32 s23, s8, 31
	s_mov_b32 s22, s8
	s_mov_b32 s3, 0
	s_mov_b32 s0, exec_lo
                                        ; implicit-def: $vgpr2_vgpr3
	v_cmpx_gt_i64_e64 s[22:23], v[0:1]
	s_cbranch_execz .LBB667_15
; %bb.12:
	v_mad_u64_u32 v[2:3], null, v0, s6, 0
	v_cmp_eq_f32_e64 s3, s11, 0
	s_delay_alu instid0(VALU_DEP_1) | instskip(NEXT) | instid1(VALU_DEP_2)
	s_and_b32 vcc_lo, exec_lo, s3
	v_mad_u64_u32 v[4:5], null, v0, s7, v[3:4]
	s_delay_alu instid0(VALU_DEP_1)
	v_mov_b32_e32 v3, v4
	s_cbranch_vccnz .LBB667_14
; %bb.13:
	s_delay_alu instid0(VALU_DEP_1) | instskip(NEXT) | instid1(VALU_DEP_1)
	v_lshlrev_b64 v[0:1], 2, v[2:3]
	v_add_co_u32 v0, vcc_lo, s5, v0
	s_delay_alu instid0(VALU_DEP_2)
	v_add_co_ci_u32_e32 v1, vcc_lo, s26, v1, vcc_lo
	global_load_b32 v0, v[0:1], off
	s_waitcnt vmcnt(0)
	v_mul_f32_e32 v1, s11, v0
.LBB667_14:
	s_mov_b32 s3, exec_lo
.LBB667_15:
	s_or_b32 exec_lo, exec_lo, s0
	s_delay_alu instid0(SALU_CYCLE_1) | instskip(SKIP_1) | instid1(SALU_CYCLE_1)
	s_and_b32 s27, s3, exec_lo
	s_or_b32 exec_lo, exec_lo, s2
	s_and_b32 vcc_lo, exec_lo, s1
	s_cbranch_vccnz .LBB667_18
	s_branch .LBB667_55
.LBB667_16:
	s_mov_b32 s27, 0
                                        ; implicit-def: $vgpr1
                                        ; implicit-def: $vgpr2_vgpr3
	s_cbranch_execnz .LBB667_18
	s_branch .LBB667_55
.LBB667_17:
	s_or_b32 exec_lo, exec_lo, s2
	s_delay_alu instid0(SALU_CYCLE_1)
	s_and_b32 vcc_lo, exec_lo, s1
	s_cbranch_vccz .LBB667_55
.LBB667_18:
	s_ashr_i32 s0, s9, 31
	s_lshl_b32 s28, s14, 8
	s_lshr_b32 s0, s0, 28
	v_dual_mov_b32 v23, 0 :: v_dual_lshlrev_b32 v26, 2, v21
	v_dual_mov_b32 v22, 0 :: v_dual_mov_b32 v25, 0
	v_add_nc_u32_e32 v0, s28, v20
	v_mov_b32_e32 v24, 0
	s_add_i32 s0, s9, s0
	s_mov_b32 s30, exec_lo
	s_and_b32 s29, s0, -16
	s_delay_alu instid0(SALU_CYCLE_1)
	v_cmpx_gt_i32_e64 s29, v26
	s_cbranch_execz .LBB667_30
; %bb.19:
	v_lshlrev_b32_e32 v29, 2, v21
	v_mad_u64_u32 v[5:6], null, s18, v21, 0
	v_add_nc_u32_e32 v2, 64, v0
	v_mad_u64_u32 v[7:8], null, s12, v21, 0
	s_delay_alu instid0(VALU_DEP_4) | instskip(SKIP_1) | instid1(VALU_DEP_4)
	v_or_b32_e32 v25, 3, v29
	v_add_nc_u32_e32 v9, 0x80, v0
	v_cmp_gt_i32_e64 s0, s8, v2
	v_ashrrev_i32_e32 v1, 31, v0
	v_cmp_gt_i32_e32 vcc_lo, s8, v0
	v_mad_u64_u32 v[3:4], null, s12, v25, 0
	v_mad_u64_u32 v[16:17], null, s18, v25, 0
	v_add_nc_u32_e32 v10, 0xc0, v0
	s_lshl_b64 s[14:15], s[12:13], 5
	s_lshl_b64 s[22:23], s[18:19], 5
	s_mov_b32 s31, 0
	s_delay_alu instid0(VALU_DEP_3)
	v_mov_b32_e32 v2, v4
	v_mov_b32_e32 v4, v6
	v_cmp_gt_i32_e64 s1, s8, v9
	v_cmp_gt_i32_e64 s2, s8, v10
	v_mov_b32_e32 v6, v8
	v_mad_u64_u32 v[9:10], null, s13, v25, v[2:3]
	v_or_b32_e32 v31, 2, v29
	v_mad_u64_u32 v[10:11], null, s19, v21, v[4:5]
	s_delay_alu instid0(VALU_DEP_4) | instskip(SKIP_1) | instid1(VALU_DEP_4)
	v_mad_u64_u32 v[11:12], null, s13, v21, v[6:7]
	v_mad_u64_u32 v[12:13], null, s18, v29, s[18:19]
	;; [unrolled: 1-line block ×3, first 2 shown]
	v_mov_b32_e32 v4, v9
	v_mov_b32_e32 v6, v10
	v_lshlrev_b64 v[1:2], 1, v[0:1]
	s_mov_b64 s[24:25], s[20:21]
	s_delay_alu instid0(VALU_DEP_3) | instskip(NEXT) | instid1(VALU_DEP_3)
	v_lshlrev_b64 v[9:10], 1, v[3:4]
	v_lshlrev_b64 v[3:4], 3, v[5:6]
	v_dual_mov_b32 v5, v15 :: v_dual_mov_b32 v6, v13
	s_delay_alu instid0(VALU_DEP_3) | instskip(NEXT) | instid1(VALU_DEP_2)
	v_add_co_u32 v27, s3, s16, v9
	v_mad_u64_u32 v[22:23], null, s13, v31, v[5:6]
	v_mov_b32_e32 v5, v17
	v_add_co_ci_u32_e64 v28, s3, s17, v10, s3
	v_mad_u64_u32 v[9:10], null, s12, v29, s[12:13]
	s_delay_alu instid0(VALU_DEP_3) | instskip(SKIP_2) | instid1(VALU_DEP_4)
	v_mad_u64_u32 v[23:24], null, s19, v25, v[5:6]
	v_mad_u64_u32 v[24:25], null, s18, v31, 0
	v_dual_mov_b32 v8, v11 :: v_dual_mov_b32 v15, v22
	v_mov_b32_e32 v5, v10
	s_delay_alu instid0(VALU_DEP_2) | instskip(NEXT) | instid1(VALU_DEP_2)
	v_lshlrev_b64 v[14:15], 1, v[14:15]
	v_mad_u64_u32 v[10:11], null, s13, v29, v[5:6]
	v_mov_b32_e32 v5, v25
	v_lshlrev_b64 v[7:8], 3, v[7:8]
	s_delay_alu instid0(VALU_DEP_3) | instskip(NEXT) | instid1(VALU_DEP_2)
	v_lshlrev_b64 v[9:10], 1, v[9:10]
	v_mad_u64_u32 v[17:18], null, s19, v29, v[6:7]
	v_add_co_u32 v29, s3, s16, v7
	s_delay_alu instid0(VALU_DEP_1) | instskip(NEXT) | instid1(VALU_DEP_3)
	v_add_co_ci_u32_e64 v30, s3, s17, v8, s3
	v_mov_b32_e32 v13, v17
	v_mov_b32_e32 v17, v23
	v_mad_u64_u32 v[22:23], null, s19, v31, v[5:6]
	v_add_co_u32 v31, s3, s16, v14
	s_delay_alu instid0(VALU_DEP_1) | instskip(SKIP_1) | instid1(VALU_DEP_4)
	v_add_co_ci_u32_e64 v32, s3, s17, v15, s3
	v_add_co_u32 v33, s3, s16, v9
	v_dual_mov_b32 v25, v22 :: v_dual_mov_b32 v22, 0
	v_lshlrev_b64 v[5:6], 1, v[12:13]
	v_lshlrev_b64 v[7:8], 1, v[16:17]
	v_add_co_ci_u32_e64 v34, s3, s17, v10, s3
	s_delay_alu instid0(VALU_DEP_4)
	v_lshlrev_b64 v[9:10], 1, v[24:25]
	v_dual_mov_b32 v23, 0 :: v_dual_mov_b32 v24, 0
	v_mov_b32_e32 v25, 0
	s_branch .LBB667_24
.LBB667_20:                             ;   in Loop: Header=BB667_24 Depth=1
	s_or_b32 exec_lo, exec_lo, s34
	s_waitcnt vmcnt(2) lgkmcnt(2)
	v_lshlrev_b32_e32 v12, 16, v49
	v_lshlrev_b32_e32 v11, 16, v50
	s_waitcnt vmcnt(1) lgkmcnt(1)
	s_delay_alu instid0(VALU_DEP_1) | instskip(NEXT) | instid1(VALU_DEP_1)
	v_dual_fmac_f32 v24, v42, v11 :: v_dual_lshlrev_b32 v11, 16, v48
	v_fmac_f32_e32 v24, v40, v12
	s_delay_alu instid0(VALU_DEP_1) | instskip(SKIP_2) | instid1(VALU_DEP_1)
	v_fmac_f32_e32 v24, v38, v11
	s_waitcnt vmcnt(0) lgkmcnt(0)
	v_lshlrev_b32_e32 v11, 16, v47
	v_fmac_f32_e32 v24, v37, v11
.LBB667_21:                             ;   in Loop: Header=BB667_24 Depth=1
	s_or_b32 exec_lo, exec_lo, s33
	s_waitcnt vmcnt(3) lgkmcnt(3)
	v_lshlrev_b32_e32 v11, 16, v46
	s_waitcnt vmcnt(2) lgkmcnt(2)
	s_delay_alu instid0(VALU_DEP_1) | instskip(SKIP_2) | instid1(VALU_DEP_2)
	v_dual_fmac_f32 v23, v42, v11 :: v_dual_lshlrev_b32 v12, 16, v45
	s_waitcnt vmcnt(1) lgkmcnt(1)
	v_lshlrev_b32_e32 v11, 16, v44
	v_fmac_f32_e32 v23, v40, v12
	s_delay_alu instid0(VALU_DEP_1) | instskip(SKIP_2) | instid1(VALU_DEP_1)
	v_fmac_f32_e32 v23, v38, v11
	s_waitcnt vmcnt(0) lgkmcnt(0)
	v_lshlrev_b32_e32 v11, 16, v43
	v_fmac_f32_e32 v23, v37, v11
.LBB667_22:                             ;   in Loop: Header=BB667_24 Depth=1
	s_or_b32 exec_lo, exec_lo, s3
	s_waitcnt vmcnt(2) lgkmcnt(2)
	v_lshlrev_b32_e32 v12, 16, v39
	v_lshlrev_b32_e32 v11, 16, v41
	s_waitcnt vmcnt(1) lgkmcnt(1)
	s_delay_alu instid0(VALU_DEP_1) | instskip(NEXT) | instid1(VALU_DEP_1)
	v_dual_fmac_f32 v22, v42, v11 :: v_dual_lshlrev_b32 v11, 16, v36
	v_fmac_f32_e32 v22, v40, v12
	s_delay_alu instid0(VALU_DEP_1) | instskip(SKIP_2) | instid1(VALU_DEP_1)
	v_fmac_f32_e32 v22, v38, v11
	s_waitcnt vmcnt(0) lgkmcnt(0)
	v_lshlrev_b32_e32 v11, 16, v35
	v_fmac_f32_e32 v22, v37, v11
.LBB667_23:                             ;   in Loop: Header=BB667_24 Depth=1
	s_or_b32 exec_lo, exec_lo, s4
	v_add_co_u32 v27, s3, v27, s14
	s_delay_alu instid0(VALU_DEP_1) | instskip(SKIP_4) | instid1(VALU_DEP_1)
	v_add_co_ci_u32_e64 v28, s3, s15, v28, s3
	v_add_co_u32 v29, s3, v29, s14
	v_add_nc_u32_e32 v26, 16, v26
	v_add_co_ci_u32_e64 v30, s3, s15, v30, s3
	v_add_co_u32 v31, s3, v31, s14
	v_add_co_ci_u32_e64 v32, s3, s15, v32, s3
	s_delay_alu instid0(VALU_DEP_4) | instskip(SKIP_1) | instid1(VALU_DEP_1)
	v_cmp_le_i32_e64 s3, s29, v26
	v_add_co_u32 v33, s4, v33, s14
	v_add_co_ci_u32_e64 v34, s4, s15, v34, s4
	s_add_u32 s24, s24, s22
	s_addc_u32 s25, s25, s23
	s_or_b32 s31, s3, s31
	s_delay_alu instid0(SALU_CYCLE_1)
	s_and_not1_b32 exec_lo, exec_lo, s31
	s_cbranch_execz .LBB667_29
.LBB667_24:                             ; =>This Inner Loop Header: Depth=1
	s_and_saveexec_b32 s4, vcc_lo
	s_cbranch_execz .LBB667_23
; %bb.25:                               ;   in Loop: Header=BB667_24 Depth=1
	v_add_co_u32 v11, s3, s24, v3
	s_delay_alu instid0(VALU_DEP_1) | instskip(SKIP_1) | instid1(VALU_DEP_1)
	v_add_co_ci_u32_e64 v12, s3, s25, v4, s3
	v_add_co_u32 v13, s3, s24, v5
	v_add_co_ci_u32_e64 v14, s3, s25, v6, s3
	v_add_co_u32 v15, s3, s24, v9
	s_delay_alu instid0(VALU_DEP_1) | instskip(SKIP_1) | instid1(VALU_DEP_1)
	v_add_co_ci_u32_e64 v16, s3, s25, v10, s3
	v_add_co_u32 v17, s3, s24, v7
	v_add_co_ci_u32_e64 v18, s3, s25, v8, s3
	s_clause 0x3
	flat_load_u16 v37, v[11:12]
	flat_load_u16 v38, v[13:14]
	;; [unrolled: 1-line block ×4, first 2 shown]
	v_add_co_u32 v11, s3, v29, v1
	s_delay_alu instid0(VALU_DEP_1) | instskip(SKIP_1) | instid1(VALU_DEP_1)
	v_add_co_ci_u32_e64 v12, s3, v30, v2, s3
	v_add_co_u32 v13, s3, v33, v1
	v_add_co_ci_u32_e64 v14, s3, v34, v2, s3
	v_add_co_u32 v15, s3, v31, v1
	s_delay_alu instid0(VALU_DEP_1) | instskip(SKIP_1) | instid1(VALU_DEP_1)
	v_add_co_ci_u32_e64 v16, s3, v32, v2, s3
	v_add_co_u32 v17, s3, v27, v1
	v_add_co_ci_u32_e64 v18, s3, v28, v2, s3
	flat_load_u16 v41, v[11:12]
	flat_load_u16 v39, v[13:14]
	;; [unrolled: 1-line block ×4, first 2 shown]
	s_waitcnt vmcnt(7) lgkmcnt(7)
	v_lshlrev_b32_e32 v42, 16, v37
	s_waitcnt vmcnt(6) lgkmcnt(6)
	v_lshlrev_b32_e32 v40, 16, v38
	;; [unrolled: 2-line block ×4, first 2 shown]
	s_and_saveexec_b32 s3, s0
	s_cbranch_execz .LBB667_22
; %bb.26:                               ;   in Loop: Header=BB667_24 Depth=1
	flat_load_u16 v46, v[11:12] offset:128
	flat_load_u16 v45, v[13:14] offset:128
	flat_load_u16 v44, v[15:16] offset:128
	flat_load_u16 v43, v[17:18] offset:128
	s_and_saveexec_b32 s33, s1
	s_cbranch_execz .LBB667_21
; %bb.27:                               ;   in Loop: Header=BB667_24 Depth=1
	flat_load_u16 v50, v[11:12] offset:256
	flat_load_u16 v49, v[13:14] offset:256
	flat_load_u16 v48, v[15:16] offset:256
	flat_load_u16 v47, v[17:18] offset:256
	;; [unrolled: 7-line block ×3, first 2 shown]
	s_waitcnt vmcnt(3) lgkmcnt(3)
	v_lshlrev_b32_e32 v11, 16, v11
	s_waitcnt vmcnt(2) lgkmcnt(2)
	s_delay_alu instid0(VALU_DEP_1) | instskip(SKIP_2) | instid1(VALU_DEP_2)
	v_dual_fmac_f32 v25, v42, v11 :: v_dual_lshlrev_b32 v12, 16, v12
	s_waitcnt vmcnt(1) lgkmcnt(1)
	v_lshlrev_b32_e32 v11, 16, v13
	v_fmac_f32_e32 v25, v40, v12
	s_delay_alu instid0(VALU_DEP_1) | instskip(SKIP_2) | instid1(VALU_DEP_1)
	v_fmac_f32_e32 v25, v38, v11
	s_waitcnt vmcnt(0) lgkmcnt(0)
	v_lshlrev_b32_e32 v11, 16, v14
	v_fmac_f32_e32 v25, v37, v11
	s_branch .LBB667_20
.LBB667_29:
	s_or_b32 exec_lo, exec_lo, s31
.LBB667_30:
	s_delay_alu instid0(SALU_CYCLE_1) | instskip(SKIP_1) | instid1(SALU_CYCLE_1)
	s_or_b32 exec_lo, exec_lo, s30
	s_sub_i32 s0, s9, s29
	s_cmp_lt_i32 s0, 1
	s_cbranch_scc1 .LBB667_48
; %bb.31:
	v_cmp_gt_i32_e32 vcc_lo, s9, v26
	v_dual_mov_b32 v9, 0 :: v_dual_mov_b32 v10, 0
	v_or_b32_e32 v2, 1, v26
	v_dual_mov_b32 v11, 0 :: v_dual_mov_b32 v12, 0
	s_and_saveexec_b32 s1, vcc_lo
	s_cbranch_execz .LBB667_39
; %bb.32:
	v_mad_u64_u32 v[3:4], null, v26, s18, 0
	v_mov_b32_e32 v11, 0
	v_mov_b32_e32 v9, 0
	s_mov_b32 s2, exec_lo
	s_delay_alu instid0(VALU_DEP_3) | instskip(NEXT) | instid1(VALU_DEP_1)
	v_dual_mov_b32 v10, 0 :: v_dual_mov_b32 v1, v4
	v_mad_u64_u32 v[4:5], null, v26, s19, v[1:2]
	s_delay_alu instid0(VALU_DEP_1) | instskip(NEXT) | instid1(VALU_DEP_1)
	v_lshlrev_b64 v[3:4], 1, v[3:4]
	v_add_co_u32 v3, s0, s20, v3
	s_delay_alu instid0(VALU_DEP_1)
	v_add_co_ci_u32_e64 v4, s0, s21, v4, s0
	flat_load_u16 v1, v[3:4]
	v_cmpx_gt_i32_e64 s9, v2
	s_cbranch_execz .LBB667_38
; %bb.33:
	v_mad_u64_u32 v[3:4], null, v2, s18, 0
	v_mov_b32_e32 v10, 0
	s_mov_b32 s3, exec_lo
	v_mov_b32_e32 v9, 0
	s_delay_alu instid0(VALU_DEP_3) | instskip(NEXT) | instid1(VALU_DEP_1)
	v_mad_u64_u32 v[5:6], null, v2, s19, v[4:5]
	v_mov_b32_e32 v4, v5
	s_delay_alu instid0(VALU_DEP_1) | instskip(NEXT) | instid1(VALU_DEP_1)
	v_lshlrev_b64 v[3:4], 1, v[3:4]
	v_add_co_u32 v3, s0, s20, v3
	s_delay_alu instid0(VALU_DEP_1) | instskip(SKIP_2) | instid1(VALU_DEP_1)
	v_add_co_ci_u32_e64 v4, s0, s21, v4, s0
	flat_load_u16 v3, v[3:4]
	v_or_b32_e32 v4, 2, v26
	v_cmpx_gt_i32_e64 s9, v4
	s_cbranch_execz .LBB667_37
; %bb.34:
	v_mad_u64_u32 v[5:6], null, v4, s18, 0
	s_mov_b32 s4, exec_lo
	v_mov_b32_e32 v9, 0
	s_delay_alu instid0(VALU_DEP_2) | instskip(NEXT) | instid1(VALU_DEP_1)
	v_mad_u64_u32 v[7:8], null, v4, s19, v[6:7]
	v_mov_b32_e32 v6, v7
	s_delay_alu instid0(VALU_DEP_1) | instskip(NEXT) | instid1(VALU_DEP_1)
	v_lshlrev_b64 v[4:5], 1, v[5:6]
	v_add_co_u32 v4, s0, s20, v4
	s_delay_alu instid0(VALU_DEP_1) | instskip(SKIP_2) | instid1(VALU_DEP_1)
	v_add_co_ci_u32_e64 v5, s0, s21, v5, s0
	flat_load_u16 v4, v[4:5]
	v_or_b32_e32 v5, 3, v26
	v_cmpx_gt_i32_e64 s9, v5
	s_cbranch_execz .LBB667_36
; %bb.35:
	v_mad_u64_u32 v[6:7], null, v5, s18, 0
	s_delay_alu instid0(VALU_DEP_1) | instskip(NEXT) | instid1(VALU_DEP_1)
	v_mad_u64_u32 v[8:9], null, v5, s19, v[7:8]
	v_mov_b32_e32 v7, v8
	s_delay_alu instid0(VALU_DEP_1) | instskip(NEXT) | instid1(VALU_DEP_1)
	v_lshlrev_b64 v[5:6], 1, v[6:7]
	v_add_co_u32 v5, s0, s20, v5
	s_delay_alu instid0(VALU_DEP_1)
	v_add_co_ci_u32_e64 v6, s0, s21, v6, s0
	flat_load_u16 v5, v[5:6]
	s_waitcnt vmcnt(0) lgkmcnt(0)
	v_lshlrev_b32_e32 v9, 16, v5
.LBB667_36:
	s_or_b32 exec_lo, exec_lo, s4
	s_waitcnt vmcnt(0) lgkmcnt(0)
	v_lshlrev_b32_e32 v10, 16, v4
.LBB667_37:
	s_or_b32 exec_lo, exec_lo, s3
	s_waitcnt vmcnt(0) lgkmcnt(0)
	v_lshlrev_b32_e32 v11, 16, v3
.LBB667_38:
	s_or_b32 exec_lo, exec_lo, s2
	s_waitcnt vmcnt(0) lgkmcnt(0)
	v_lshlrev_b32_e32 v12, 16, v1
.LBB667_39:
	s_or_b32 exec_lo, exec_lo, s1
	s_delay_alu instid0(SALU_CYCLE_1)
	s_mov_b32 s1, exec_lo
	v_cmpx_gt_i32_e64 s8, v0
	s_cbranch_execz .LBB667_47
; %bb.40:
	v_mad_u64_u32 v[3:4], null, v26, s12, 0
	v_mad_u64_u32 v[5:6], null, v2, s12, 0
	v_ashrrev_i32_e32 v1, 31, v0
	v_or_b32_e32 v28, 2, v26
	v_or_b32_e32 v29, 3, v26
	v_cndmask_b32_e32 v3, 0, v3, vcc_lo
	s_delay_alu instid0(VALU_DEP_4)
	v_lshlrev_b64 v[13:14], 1, v[0:1]
	v_mad_u64_u32 v[7:8], null, v26, s13, v[4:5]
	v_mov_b32_e32 v1, v6
	v_mad_u64_u32 v[15:16], null, v28, s12, 0
	v_mad_u64_u32 v[17:18], null, v29, s12, 0
	v_cmp_gt_i32_e64 s0, s9, v28
	v_cndmask_b32_e32 v4, 0, v7, vcc_lo
	v_mad_u64_u32 v[6:7], null, v2, s13, v[1:2]
	v_cmp_gt_i32_e32 vcc_lo, s9, v2
	v_mov_b32_e32 v1, v16
	v_dual_mov_b32 v7, v18 :: v_dual_cndmask_b32 v2, 0, v5
	v_lshlrev_b64 v[4:5], 1, v[3:4]
	v_cndmask_b32_e32 v3, 0, v6, vcc_lo
	s_delay_alu instid0(VALU_DEP_3) | instskip(NEXT) | instid1(VALU_DEP_3)
	v_mad_u64_u32 v[26:27], null, v28, s13, v[1:2]
	v_add_co_u32 v1, vcc_lo, s16, v4
	s_delay_alu instid0(VALU_DEP_4) | instskip(NEXT) | instid1(VALU_DEP_4)
	v_add_co_ci_u32_e32 v5, vcc_lo, s17, v5, vcc_lo
	v_lshlrev_b64 v[3:4], 1, v[2:3]
	s_delay_alu instid0(VALU_DEP_3) | instskip(NEXT) | instid1(VALU_DEP_3)
	v_add_co_u32 v1, vcc_lo, v1, v13
	v_add_co_ci_u32_e32 v2, vcc_lo, v5, v14, vcc_lo
	v_cndmask_b32_e64 v5, 0, v15, s0
	s_delay_alu instid0(VALU_DEP_4) | instskip(SKIP_3) | instid1(VALU_DEP_4)
	v_add_co_u32 v3, vcc_lo, s16, v3
	v_add_co_ci_u32_e32 v4, vcc_lo, s17, v4, vcc_lo
	v_mad_u64_u32 v[15:16], null, v29, s13, v[7:8]
	v_cndmask_b32_e64 v6, 0, v26, s0
	v_add_co_u32 v3, s0, v3, v13
	v_cmp_gt_i32_e32 vcc_lo, s9, v29
	v_add_co_ci_u32_e64 v4, s0, v4, v14, s0
	s_delay_alu instid0(VALU_DEP_4)
	v_lshlrev_b64 v[5:6], 1, v[5:6]
	s_mov_b32 s0, exec_lo
	v_cndmask_b32_e32 v8, 0, v15, vcc_lo
	s_clause 0x1
	flat_load_u16 v15, v[1:2]
	flat_load_u16 v16, v[3:4]
	s_waitcnt vmcnt(1) lgkmcnt(1)
	v_lshlrev_b32_e32 v15, 16, v15
	s_waitcnt vmcnt(0) lgkmcnt(0)
	v_lshlrev_b32_e32 v16, 16, v16
	s_delay_alu instid0(VALU_DEP_2) | instskip(SKIP_2) | instid1(VALU_DEP_3)
	v_dual_fmac_f32 v22, v12, v15 :: v_dual_cndmask_b32 v7, 0, v17
	v_add_co_u32 v5, vcc_lo, s16, v5
	v_add_co_ci_u32_e32 v6, vcc_lo, s17, v6, vcc_lo
	v_fmac_f32_e32 v22, v11, v16
	s_delay_alu instid0(VALU_DEP_4) | instskip(SKIP_1) | instid1(VALU_DEP_2)
	v_lshlrev_b64 v[7:8], 1, v[7:8]
	v_add_nc_u32_e32 v16, 64, v0
	v_add_co_u32 v17, vcc_lo, s16, v7
	s_delay_alu instid0(VALU_DEP_3) | instskip(SKIP_2) | instid1(VALU_DEP_4)
	v_add_co_ci_u32_e32 v18, vcc_lo, s17, v8, vcc_lo
	v_add_co_u32 v7, vcc_lo, v5, v13
	v_add_co_ci_u32_e32 v8, vcc_lo, v6, v14, vcc_lo
	v_add_co_u32 v5, vcc_lo, v17, v13
	s_delay_alu instid0(VALU_DEP_4)
	v_add_co_ci_u32_e32 v6, vcc_lo, v18, v14, vcc_lo
	s_clause 0x1
	flat_load_u16 v13, v[7:8]
	flat_load_u16 v14, v[5:6]
	s_waitcnt vmcnt(1) lgkmcnt(1)
	v_lshlrev_b32_e32 v15, 16, v13
	s_waitcnt vmcnt(0) lgkmcnt(0)
	s_delay_alu instid0(VALU_DEP_1)
	v_dual_fmac_f32 v22, v10, v15 :: v_dual_lshlrev_b32 v13, 16, v14
	v_cmpx_gt_i32_e64 s8, v16
	s_cbranch_execz .LBB667_46
; %bb.41:
	s_clause 0x3
	flat_load_u16 v14, v[1:2] offset:128
	flat_load_u16 v15, v[3:4] offset:128
	;; [unrolled: 1-line block ×4, first 2 shown]
	s_mov_b32 s2, exec_lo
	s_waitcnt vmcnt(2) lgkmcnt(2)
	v_lshlrev_b32_e32 v15, 16, v15
	v_lshlrev_b32_e32 v14, 16, v14
	s_waitcnt vmcnt(1) lgkmcnt(1)
	s_delay_alu instid0(VALU_DEP_1) | instskip(NEXT) | instid1(VALU_DEP_1)
	v_dual_fmac_f32 v23, v12, v14 :: v_dual_lshlrev_b32 v16, 16, v16
	v_fmac_f32_e32 v23, v11, v15
	v_add_nc_u32_e32 v15, 0x80, v0
	s_waitcnt vmcnt(0) lgkmcnt(0)
	s_delay_alu instid0(VALU_DEP_2) | instskip(NEXT) | instid1(VALU_DEP_2)
	v_dual_fmac_f32 v23, v10, v16 :: v_dual_lshlrev_b32 v14, 16, v17
	v_cmpx_gt_i32_e64 s8, v15
	s_cbranch_execz .LBB667_45
; %bb.42:
	s_clause 0x3
	flat_load_u16 v15, v[1:2] offset:256
	flat_load_u16 v16, v[3:4] offset:256
	;; [unrolled: 1-line block ×4, first 2 shown]
	s_mov_b32 s3, exec_lo
	s_waitcnt vmcnt(2) lgkmcnt(2)
	v_lshlrev_b32_e32 v16, 16, v16
	v_lshlrev_b32_e32 v15, 16, v15
	s_waitcnt vmcnt(1) lgkmcnt(1)
	s_delay_alu instid0(VALU_DEP_1) | instskip(NEXT) | instid1(VALU_DEP_1)
	v_dual_fmac_f32 v24, v12, v15 :: v_dual_lshlrev_b32 v15, 16, v17
	v_fmac_f32_e32 v24, v11, v16
	v_add_nc_u32_e32 v16, 0xc0, v0
	s_waitcnt vmcnt(0) lgkmcnt(0)
	v_lshlrev_b32_e32 v0, 16, v18
	s_delay_alu instid0(VALU_DEP_3) | instskip(NEXT) | instid1(VALU_DEP_3)
	v_fmac_f32_e32 v24, v10, v15
	v_cmpx_gt_i32_e64 s8, v16
	s_cbranch_execz .LBB667_44
; %bb.43:
	s_clause 0x3
	flat_load_u16 v1, v[1:2] offset:384
	flat_load_u16 v2, v[3:4] offset:384
	;; [unrolled: 1-line block ×4, first 2 shown]
	s_waitcnt vmcnt(3) lgkmcnt(3)
	v_lshlrev_b32_e32 v1, 16, v1
	s_waitcnt vmcnt(2) lgkmcnt(2)
	s_delay_alu instid0(VALU_DEP_1) | instskip(SKIP_2) | instid1(VALU_DEP_2)
	v_dual_fmac_f32 v25, v12, v1 :: v_dual_lshlrev_b32 v2, 16, v2
	s_waitcnt vmcnt(1) lgkmcnt(1)
	v_lshlrev_b32_e32 v1, 16, v3
	v_fmac_f32_e32 v25, v11, v2
	s_delay_alu instid0(VALU_DEP_1) | instskip(SKIP_2) | instid1(VALU_DEP_1)
	v_fmac_f32_e32 v25, v10, v1
	s_waitcnt vmcnt(0) lgkmcnt(0)
	v_lshlrev_b32_e32 v1, 16, v4
	v_fmac_f32_e32 v25, v9, v1
.LBB667_44:
	s_or_b32 exec_lo, exec_lo, s3
	s_delay_alu instid0(VALU_DEP_2)
	v_fmac_f32_e32 v24, v9, v0
.LBB667_45:
	s_or_b32 exec_lo, exec_lo, s2
	s_delay_alu instid0(VALU_DEP_2)
	v_fmac_f32_e32 v23, v9, v14
.LBB667_46:
	s_or_b32 exec_lo, exec_lo, s0
	s_delay_alu instid0(VALU_DEP_2)
	v_fmac_f32_e32 v22, v9, v13
.LBB667_47:
	s_or_b32 exec_lo, exec_lo, s1
.LBB667_48:
	v_lshlrev_b32_e32 v0, 8, v21
	s_mov_b32 s0, exec_lo
                                        ; implicit-def: $vgpr1
                                        ; implicit-def: $vgpr2_vgpr3
	s_delay_alu instid0(VALU_DEP_1)
	v_add_lshl_u32 v0, v0, v20, 2
	ds_store_2addr_stride64_b32 v0, v22, v23 offset1:1
	ds_store_2addr_stride64_b32 v0, v24, v25 offset0:2 offset1:3
	s_waitcnt lgkmcnt(0)
	s_barrier
	buffer_gl0_inv
	v_cmpx_gt_u32_e32 0x100, v19
	s_cbranch_execz .LBB667_54
; %bb.49:
	v_lshlrev_b32_e32 v5, 2, v19
	v_or_b32_e32 v4, s28, v19
	s_mov_b32 s2, s27
	s_mov_b32 s1, exec_lo
	ds_load_2addr_stride64_b32 v[0:1], v5 offset1:4
	ds_load_2addr_stride64_b32 v[2:3], v5 offset0:8 offset1:12
	s_waitcnt lgkmcnt(1)
	v_add_f32_e32 v0, v0, v1
                                        ; implicit-def: $vgpr1
	s_waitcnt lgkmcnt(0)
	s_delay_alu instid0(VALU_DEP_1) | instskip(NEXT) | instid1(VALU_DEP_1)
	v_add_f32_e32 v0, v2, v0
	v_add_f32_e32 v0, v3, v0
                                        ; implicit-def: $vgpr2_vgpr3
	ds_store_b32 v5, v0
	v_cmpx_gt_i32_e64 s8, v4
	s_cbranch_execz .LBB667_53
; %bb.50:
	v_ashrrev_i32_e32 v1, 31, v4
	v_mul_lo_u32 v5, v4, s7
	v_mad_u64_u32 v[2:3], null, v4, s6, 0
	v_cmp_eq_f32_e64 s2, s11, 0
	s_delay_alu instid0(VALU_DEP_4) | instskip(SKIP_1) | instid1(VALU_DEP_3)
	v_mul_lo_u32 v4, v1, s6
	v_mul_f32_e32 v1, s10, v0
	s_and_b32 vcc_lo, exec_lo, s2
	s_delay_alu instid0(VALU_DEP_2)
	v_add3_u32 v3, v3, v5, v4
	s_cbranch_vccnz .LBB667_52
; %bb.51:
	s_delay_alu instid0(VALU_DEP_1) | instskip(NEXT) | instid1(VALU_DEP_1)
	v_lshlrev_b64 v[4:5], 2, v[2:3]
	v_add_co_u32 v4, vcc_lo, s5, v4
	s_delay_alu instid0(VALU_DEP_2)
	v_add_co_ci_u32_e32 v5, vcc_lo, s26, v5, vcc_lo
	global_load_b32 v0, v[4:5], off
	s_waitcnt vmcnt(0)
	v_fmac_f32_e32 v1, s11, v0
.LBB667_52:
	s_or_b32 s2, s27, exec_lo
.LBB667_53:
	s_or_b32 exec_lo, exec_lo, s1
	s_delay_alu instid0(SALU_CYCLE_1) | instskip(SKIP_1) | instid1(SALU_CYCLE_1)
	s_and_not1_b32 s1, s27, exec_lo
	s_and_b32 s2, s2, exec_lo
	s_or_b32 s27, s1, s2
.LBB667_54:
	s_or_b32 exec_lo, exec_lo, s0
.LBB667_55:
	s_and_saveexec_b32 s0, s27
	s_cbranch_execz .LBB667_57
; %bb.56:
	v_lshlrev_b64 v[2:3], 2, v[2:3]
	s_delay_alu instid0(VALU_DEP_1) | instskip(NEXT) | instid1(VALU_DEP_2)
	v_add_co_u32 v2, vcc_lo, s5, v2
	v_add_co_ci_u32_e32 v3, vcc_lo, s26, v3, vcc_lo
	global_store_b32 v[2:3], v1, off
.LBB667_57:
	s_nop 0
	s_sendmsg sendmsg(MSG_DEALLOC_VGPRS)
	s_endpgm
	.section	.rodata,"a",@progbits
	.p2align	6, 0x0
	.amdhsa_kernel _ZL20rocblas_gemvn_kernelILi64ELi4ElPK16rocblas_bfloat16fKPfEviiT3_lPKT2_lT1_lS8_lS9_lS5_lPT4_lS9_li
		.amdhsa_group_segment_fixed_size 4096
		.amdhsa_private_segment_fixed_size 0
		.amdhsa_kernarg_size 400
		.amdhsa_user_sgpr_count 14
		.amdhsa_user_sgpr_dispatch_ptr 0
		.amdhsa_user_sgpr_queue_ptr 0
		.amdhsa_user_sgpr_kernarg_segment_ptr 1
		.amdhsa_user_sgpr_dispatch_id 0
		.amdhsa_user_sgpr_private_segment_size 0
		.amdhsa_wavefront_size32 1
		.amdhsa_uses_dynamic_stack 0
		.amdhsa_enable_private_segment 0
		.amdhsa_system_sgpr_workgroup_id_x 1
		.amdhsa_system_sgpr_workgroup_id_y 0
		.amdhsa_system_sgpr_workgroup_id_z 1
		.amdhsa_system_sgpr_workgroup_info 0
		.amdhsa_system_vgpr_workitem_id 1
		.amdhsa_next_free_vgpr 51
		.amdhsa_next_free_sgpr 35
		.amdhsa_reserve_vcc 1
		.amdhsa_float_round_mode_32 0
		.amdhsa_float_round_mode_16_64 0
		.amdhsa_float_denorm_mode_32 3
		.amdhsa_float_denorm_mode_16_64 3
		.amdhsa_dx10_clamp 1
		.amdhsa_ieee_mode 1
		.amdhsa_fp16_overflow 0
		.amdhsa_workgroup_processor_mode 1
		.amdhsa_memory_ordered 1
		.amdhsa_forward_progress 0
		.amdhsa_shared_vgpr_count 0
		.amdhsa_exception_fp_ieee_invalid_op 0
		.amdhsa_exception_fp_denorm_src 0
		.amdhsa_exception_fp_ieee_div_zero 0
		.amdhsa_exception_fp_ieee_overflow 0
		.amdhsa_exception_fp_ieee_underflow 0
		.amdhsa_exception_fp_ieee_inexact 0
		.amdhsa_exception_int_div_zero 0
	.end_amdhsa_kernel
	.section	.text._ZL20rocblas_gemvn_kernelILi64ELi4ElPK16rocblas_bfloat16fKPfEviiT3_lPKT2_lT1_lS8_lS9_lS5_lPT4_lS9_li,"axG",@progbits,_ZL20rocblas_gemvn_kernelILi64ELi4ElPK16rocblas_bfloat16fKPfEviiT3_lPKT2_lT1_lS8_lS9_lS5_lPT4_lS9_li,comdat
.Lfunc_end667:
	.size	_ZL20rocblas_gemvn_kernelILi64ELi4ElPK16rocblas_bfloat16fKPfEviiT3_lPKT2_lT1_lS8_lS9_lS5_lPT4_lS9_li, .Lfunc_end667-_ZL20rocblas_gemvn_kernelILi64ELi4ElPK16rocblas_bfloat16fKPfEviiT3_lPKT2_lT1_lS8_lS9_lS5_lPT4_lS9_li
                                        ; -- End function
	.section	.AMDGPU.csdata,"",@progbits
; Kernel info:
; codeLenInByte = 3424
; NumSgprs: 37
; NumVgprs: 51
; ScratchSize: 0
; MemoryBound: 0
; FloatMode: 240
; IeeeMode: 1
; LDSByteSize: 4096 bytes/workgroup (compile time only)
; SGPRBlocks: 4
; VGPRBlocks: 6
; NumSGPRsForWavesPerEU: 37
; NumVGPRsForWavesPerEU: 51
; Occupancy: 16
; WaveLimiterHint : 1
; COMPUTE_PGM_RSRC2:SCRATCH_EN: 0
; COMPUTE_PGM_RSRC2:USER_SGPR: 14
; COMPUTE_PGM_RSRC2:TRAP_HANDLER: 0
; COMPUTE_PGM_RSRC2:TGID_X_EN: 1
; COMPUTE_PGM_RSRC2:TGID_Y_EN: 0
; COMPUTE_PGM_RSRC2:TGID_Z_EN: 1
; COMPUTE_PGM_RSRC2:TIDIG_COMP_CNT: 1
	.section	.text._ZL20rocblas_gemvn_kernelILi32ELi16EiPK16rocblas_bfloat16PKfKPfEviiT3_lPKT2_lT1_lSA_lSB_lS7_lPT4_lSB_li,"axG",@progbits,_ZL20rocblas_gemvn_kernelILi32ELi16EiPK16rocblas_bfloat16PKfKPfEviiT3_lPKT2_lT1_lSA_lSB_lS7_lPT4_lSB_li,comdat
	.globl	_ZL20rocblas_gemvn_kernelILi32ELi16EiPK16rocblas_bfloat16PKfKPfEviiT3_lPKT2_lT1_lSA_lSB_lS7_lPT4_lSB_li ; -- Begin function _ZL20rocblas_gemvn_kernelILi32ELi16EiPK16rocblas_bfloat16PKfKPfEviiT3_lPKT2_lT1_lSA_lSB_lS7_lPT4_lSB_li
	.p2align	8
	.type	_ZL20rocblas_gemvn_kernelILi32ELi16EiPK16rocblas_bfloat16PKfKPfEviiT3_lPKT2_lT1_lSA_lSB_lS7_lPT4_lSB_li,@function
_ZL20rocblas_gemvn_kernelILi32ELi16EiPK16rocblas_bfloat16PKfKPfEviiT3_lPKT2_lT1_lSA_lSB_lS7_lPT4_lSB_li: ; @_ZL20rocblas_gemvn_kernelILi32ELi16EiPK16rocblas_bfloat16PKfKPfEviiT3_lPKT2_lT1_lSA_lSB_lS7_lPT4_lSB_li
; %bb.0:
	s_load_b64 s[4:5], s[0:1], 0x9c
	s_waitcnt lgkmcnt(0)
	s_lshr_b32 s3, s4, 16
	s_and_b32 s4, s4, 0xffff
	s_and_b32 s5, s5, 0xffff
	s_mul_i32 s3, s3, s4
	s_delay_alu instid0(SALU_CYCLE_1) | instskip(NEXT) | instid1(SALU_CYCLE_1)
	s_mul_i32 s3, s3, s5
	s_cmpk_lg_i32 s3, 0x200
	s_cbranch_scc1 .LBB668_54
; %bb.1:
	s_clause 0x1
	s_load_b256 s[16:23], s[0:1], 0x8
	s_load_b256 s[4:11], s[0:1], 0x58
	s_mov_b32 s2, s15
	s_waitcnt lgkmcnt(0)
	s_mul_i32 s3, s15, s19
	s_mul_hi_u32 s13, s15, s18
	s_mul_i32 s12, s15, s18
	s_add_i32 s13, s13, s3
	s_mul_i32 s3, s15, s7
	s_lshl_b64 s[12:13], s[12:13], 2
	s_mul_hi_u32 s7, s15, s6
	s_add_u32 s12, s16, s12
	s_addc_u32 s13, s17, s13
	s_add_i32 s7, s7, s3
	s_mul_i32 s6, s15, s6
	s_delay_alu instid0(SALU_CYCLE_1) | instskip(NEXT) | instid1(SALU_CYCLE_1)
	s_lshl_b64 s[6:7], s[6:7], 2
	s_add_u32 s4, s4, s6
	s_addc_u32 s5, s5, s7
	s_load_b32 s16, s[12:13], 0x0
	s_load_b32 s15, s[4:5], 0x0
	s_waitcnt lgkmcnt(0)
	v_cmp_eq_f32_e64 s18, s16, 0
	v_cmp_eq_f32_e64 s3, s15, 1.0
	s_delay_alu instid0(VALU_DEP_1) | instskip(NEXT) | instid1(SALU_CYCLE_1)
	s_and_b32 s3, s18, s3
	s_and_b32 vcc_lo, exec_lo, s3
	s_mov_b32 s3, 0
	s_cbranch_vccnz .LBB668_54
; %bb.2:
	v_cmp_neq_f32_e64 s4, s16, 0
	s_mov_b64 s[12:13], 0
	s_and_b32 vcc_lo, exec_lo, s18
	s_mov_b64 s[6:7], 0
	s_cbranch_vccnz .LBB668_4
; %bb.3:
	s_lshl_b64 s[6:7], s[2:3], 3
	s_delay_alu instid0(SALU_CYCLE_1)
	s_add_u32 s6, s20, s6
	s_addc_u32 s7, s21, s7
	s_lshl_b64 s[20:21], s[22:23], 1
	s_load_b64 s[6:7], s[6:7], 0x0
	s_waitcnt lgkmcnt(0)
	s_add_u32 s6, s6, s20
	s_addc_u32 s7, s7, s21
.LBB668_4:
	s_and_not1_b32 vcc_lo, exec_lo, s4
	s_cbranch_vccnz .LBB668_6
; %bb.5:
	s_load_b128 s[20:23], s[0:1], 0x38
	s_lshl_b64 s[4:5], s[2:3], 3
	s_waitcnt lgkmcnt(0)
	s_add_u32 s4, s20, s4
	s_addc_u32 s5, s21, s5
	s_lshl_b64 s[12:13], s[22:23], 1
	s_load_b64 s[4:5], s[4:5], 0x0
	s_waitcnt lgkmcnt(0)
	s_add_u32 s12, s4, s12
	s_addc_u32 s13, s5, s13
.LBB668_6:
	s_lshl_b64 s[2:3], s[2:3], 3
	v_and_b32_e32 v1, 0x3ff, v0
	s_add_u32 s2, s8, s2
	s_addc_u32 s3, s9, s3
	v_bfe_u32 v13, v0, 10, 10
	s_load_b64 s[20:21], s[2:3], 0x0
	s_clause 0x1
	s_load_b64 s[4:5], s[0:1], 0x0
	s_load_b32 s17, s[0:1], 0x78
	s_lshl_b64 s[10:11], s[10:11], 2
	v_lshl_add_u32 v0, v13, 5, v1
	s_delay_alu instid0(VALU_DEP_1)
	v_cmp_gt_u32_e64 s2, 0x80, v0
	s_waitcnt lgkmcnt(0)
	s_add_u32 s9, s20, s10
	s_addc_u32 s10, s21, s11
	s_and_not1_b32 vcc_lo, exec_lo, s18
	s_cbranch_vccnz .LBB668_13
; %bb.7:
	s_mov_b32 s3, 0
	s_mov_b32 s11, 0
                                        ; implicit-def: $vgpr3
                                        ; implicit-def: $vgpr4_vgpr5
	s_and_saveexec_b32 s8, s2
	s_cbranch_execz .LBB668_14
; %bb.8:
	v_lshl_or_b32 v2, s14, 7, v0
	v_mov_b32_e32 v3, 0
	s_ashr_i32 s19, s4, 31
	s_mov_b32 s18, s4
	s_mov_b32 s2, exec_lo
                                        ; implicit-def: $vgpr4_vgpr5
	s_delay_alu instid0(VALU_DEP_1)
	v_cmpx_gt_i64_e64 s[18:19], v[2:3]
	s_cbranch_execz .LBB668_12
; %bb.9:
	v_mad_u64_u32 v[4:5], null, s17, v2, 0
	s_ashr_i32 s11, s17, 31
	s_delay_alu instid0(VALU_DEP_1) | instid1(SALU_CYCLE_1)
	v_mad_u64_u32 v[6:7], null, s11, v2, v[5:6]
	v_cmp_eq_f32_e64 s11, s15, 0
	s_delay_alu instid0(VALU_DEP_1) | instskip(NEXT) | instid1(VALU_DEP_2)
	s_and_b32 vcc_lo, exec_lo, s11
	v_mov_b32_e32 v5, v6
	s_cbranch_vccnz .LBB668_11
; %bb.10:
	s_delay_alu instid0(VALU_DEP_1) | instskip(NEXT) | instid1(VALU_DEP_1)
	v_lshlrev_b64 v[2:3], 2, v[4:5]
	v_add_co_u32 v2, vcc_lo, s9, v2
	s_delay_alu instid0(VALU_DEP_2)
	v_add_co_ci_u32_e32 v3, vcc_lo, s10, v3, vcc_lo
	global_load_b32 v2, v[2:3], off
	s_waitcnt vmcnt(0)
	v_mul_f32_e32 v3, s15, v2
.LBB668_11:
	s_mov_b32 s11, exec_lo
.LBB668_12:
	s_or_b32 exec_lo, exec_lo, s2
	s_delay_alu instid0(SALU_CYCLE_1) | instskip(SKIP_1) | instid1(SALU_CYCLE_1)
	s_and_b32 s11, s11, exec_lo
	s_or_b32 exec_lo, exec_lo, s8
	s_and_b32 vcc_lo, exec_lo, s3
	s_cbranch_vccnz .LBB668_15
	s_branch .LBB668_52
.LBB668_13:
	s_mov_b32 s11, 0
                                        ; implicit-def: $vgpr3
                                        ; implicit-def: $vgpr4_vgpr5
	s_cbranch_execnz .LBB668_15
	s_branch .LBB668_52
.LBB668_14:
	s_or_b32 exec_lo, exec_lo, s8
	s_delay_alu instid0(SALU_CYCLE_1)
	s_and_b32 vcc_lo, exec_lo, s3
	s_cbranch_vccz .LBB668_52
.LBB668_15:
	s_clause 0x1
	s_load_b32 s18, s[0:1], 0x28
	s_load_b32 s8, s[0:1], 0x48
	s_ashr_i32 s0, s5, 31
	s_lshl_b32 s14, s14, 7
	s_lshr_b32 s0, s0, 26
	v_dual_mov_b32 v14, 0 :: v_dual_lshlrev_b32 v19, 2, v13
	v_dual_mov_b32 v15, 0 :: v_dual_add_nc_u32 v18, s14, v1
	v_dual_mov_b32 v16, 0 :: v_dual_mov_b32 v17, 0
	s_add_i32 s19, s5, s0
	s_mov_b32 s20, exec_lo
	s_and_not1_b32 s19, s19, 63
	s_delay_alu instid0(SALU_CYCLE_1)
	v_cmpx_gt_i32_e64 s19, v19
	s_cbranch_execz .LBB668_27
; %bb.16:
	s_waitcnt lgkmcnt(0)
	v_mul_lo_u32 v3, s18, v19
	v_dual_mov_b32 v15, 0 :: v_dual_add_nc_u32 v2, 32, v18
	v_add_nc_u32_e32 v6, 2, v19
	v_dual_mov_b32 v14, 0 :: v_dual_add_nc_u32 v5, 0x60, v18
	s_delay_alu instid0(VALU_DEP_3)
	v_cmp_gt_i32_e64 s0, s4, v2
	v_dual_mov_b32 v17, 0 :: v_dual_add_nc_u32 v4, 64, v18
	v_add3_u32 v20, v3, s18, v1
	v_mad_u64_u32 v[2:3], null, s18, v6, v[1:2]
	v_cmp_gt_i32_e64 s2, s4, v5
	v_mul_lo_u32 v5, v13, s18
	v_dual_mov_b32 v16, 0 :: v_dual_add_nc_u32 v7, 3, v19
	v_mul_lo_u32 v8, v13, s8
	v_cmp_gt_i32_e64 s1, s4, v4
	v_mul_lo_u32 v22, s8, v6
	s_delay_alu instid0(VALU_DEP_4)
	v_mad_u64_u32 v[3:4], null, s18, v7, v[1:2]
	v_lshl_add_u32 v21, v5, 2, v1
	v_mad_u64_u32 v[4:5], null, s8, v19, s[8:9]
	v_mul_lo_u32 v23, s8, v7
	v_cmp_gt_i32_e32 vcc_lo, s4, v18
	v_lshlrev_b32_e32 v24, 2, v8
	s_lshl_b32 s21, s18, 6
	s_lshl_b32 s23, s8, 6
	s_mov_b32 s22, 0
	s_mov_b32 s24, 0
	s_branch .LBB668_21
.LBB668_17:                             ;   in Loop: Header=BB668_21 Depth=1
	s_or_b32 exec_lo, exec_lo, s27
	s_waitcnt vmcnt(2) lgkmcnt(2)
	v_lshlrev_b32_e32 v6, 16, v39
	v_lshlrev_b32_e32 v5, 16, v40
	s_waitcnt vmcnt(1) lgkmcnt(1)
	s_delay_alu instid0(VALU_DEP_1) | instskip(NEXT) | instid1(VALU_DEP_1)
	v_dual_fmac_f32 v16, v32, v5 :: v_dual_lshlrev_b32 v5, 16, v38
	v_fmac_f32_e32 v16, v30, v6
	s_delay_alu instid0(VALU_DEP_1) | instskip(SKIP_2) | instid1(VALU_DEP_1)
	v_fmac_f32_e32 v16, v28, v5
	s_waitcnt vmcnt(0) lgkmcnt(0)
	v_lshlrev_b32_e32 v5, 16, v37
	v_fmac_f32_e32 v16, v27, v5
.LBB668_18:                             ;   in Loop: Header=BB668_21 Depth=1
	s_or_b32 exec_lo, exec_lo, s26
	s_waitcnt vmcnt(3) lgkmcnt(3)
	v_lshlrev_b32_e32 v5, 16, v36
	s_waitcnt vmcnt(2) lgkmcnt(2)
	s_delay_alu instid0(VALU_DEP_1) | instskip(SKIP_2) | instid1(VALU_DEP_2)
	v_dual_fmac_f32 v15, v32, v5 :: v_dual_lshlrev_b32 v6, 16, v35
	s_waitcnt vmcnt(1) lgkmcnt(1)
	v_lshlrev_b32_e32 v5, 16, v34
	v_fmac_f32_e32 v15, v30, v6
	s_delay_alu instid0(VALU_DEP_1) | instskip(SKIP_2) | instid1(VALU_DEP_1)
	v_fmac_f32_e32 v15, v28, v5
	s_waitcnt vmcnt(0) lgkmcnt(0)
	v_lshlrev_b32_e32 v5, 16, v33
	v_fmac_f32_e32 v15, v27, v5
.LBB668_19:                             ;   in Loop: Header=BB668_21 Depth=1
	s_or_b32 exec_lo, exec_lo, s3
	s_waitcnt vmcnt(2) lgkmcnt(2)
	v_lshlrev_b32_e32 v6, 16, v29
	v_lshlrev_b32_e32 v5, 16, v31
	s_waitcnt vmcnt(1) lgkmcnt(1)
	s_delay_alu instid0(VALU_DEP_1) | instskip(NEXT) | instid1(VALU_DEP_1)
	v_dual_fmac_f32 v14, v32, v5 :: v_dual_lshlrev_b32 v5, 16, v26
	v_fmac_f32_e32 v14, v30, v6
	s_delay_alu instid0(VALU_DEP_1) | instskip(SKIP_2) | instid1(VALU_DEP_1)
	v_fmac_f32_e32 v14, v28, v5
	s_waitcnt vmcnt(0) lgkmcnt(0)
	v_lshlrev_b32_e32 v5, 16, v25
	v_fmac_f32_e32 v14, v27, v5
.LBB668_20:                             ;   in Loop: Header=BB668_21 Depth=1
	s_or_b32 exec_lo, exec_lo, s25
	v_add_nc_u32_e32 v19, 64, v19
	v_add_nc_u32_e32 v20, s21, v20
	;; [unrolled: 1-line block ×5, first 2 shown]
	v_cmp_le_i32_e64 s3, s19, v19
	s_add_i32 s24, s24, s23
	s_delay_alu instid0(VALU_DEP_1) | instskip(NEXT) | instid1(SALU_CYCLE_1)
	s_or_b32 s22, s3, s22
	s_and_not1_b32 exec_lo, exec_lo, s22
	s_cbranch_execz .LBB668_26
.LBB668_21:                             ; =>This Inner Loop Header: Depth=1
	s_and_saveexec_b32 s25, vcc_lo
	s_cbranch_execz .LBB668_20
; %bb.22:                               ;   in Loop: Header=BB668_21 Depth=1
	v_add_nc_u32_e32 v5, s24, v24
	v_add_nc_u32_e32 v7, s24, v4
	;; [unrolled: 1-line block ×5, first 2 shown]
	v_ashrrev_i32_e32 v6, 31, v5
	v_ashrrev_i32_e32 v8, 31, v7
	;; [unrolled: 1-line block ×4, first 2 shown]
	v_add_nc_u32_e32 v27, s14, v20
	v_lshlrev_b64 v[5:6], 1, v[5:6]
	v_lshlrev_b64 v[7:8], 1, v[7:8]
	;; [unrolled: 1-line block ×4, first 2 shown]
	v_ashrrev_i32_e32 v26, 31, v25
	v_ashrrev_i32_e32 v28, 31, v27
	v_add_co_u32 v5, s3, s12, v5
	s_delay_alu instid0(VALU_DEP_1) | instskip(SKIP_1) | instid1(VALU_DEP_1)
	v_add_co_ci_u32_e64 v6, s3, s13, v6, s3
	v_add_co_u32 v7, s3, s12, v7
	v_add_co_ci_u32_e64 v8, s3, s13, v8, s3
	v_add_co_u32 v9, s3, s12, v9
	s_delay_alu instid0(VALU_DEP_1)
	v_add_co_ci_u32_e64 v10, s3, s13, v10, s3
	v_add_co_u32 v11, s3, s12, v11
	v_add_nc_u32_e32 v29, s14, v2
	v_add_co_ci_u32_e64 v12, s3, s13, v12, s3
	v_lshlrev_b64 v[25:26], 1, v[25:26]
	s_clause 0x3
	flat_load_u16 v32, v[5:6]
	flat_load_u16 v33, v[7:8]
	;; [unrolled: 1-line block ×4, first 2 shown]
	v_add_nc_u32_e32 v11, s14, v3
	v_lshlrev_b64 v[5:6], 1, v[27:28]
	v_ashrrev_i32_e32 v30, 31, v29
	v_add_co_u32 v7, s3, s6, v25
	s_delay_alu instid0(VALU_DEP_4) | instskip(SKIP_1) | instid1(VALU_DEP_4)
	v_ashrrev_i32_e32 v12, 31, v11
	v_add_co_ci_u32_e64 v8, s3, s7, v26, s3
	v_lshlrev_b64 v[25:26], 1, v[29:30]
	v_add_co_u32 v9, s3, s6, v5
	s_delay_alu instid0(VALU_DEP_1) | instskip(SKIP_1) | instid1(VALU_DEP_4)
	v_add_co_ci_u32_e64 v10, s3, s7, v6, s3
	v_lshlrev_b64 v[5:6], 1, v[11:12]
	v_add_co_u32 v11, s3, s6, v25
	s_delay_alu instid0(VALU_DEP_1) | instskip(NEXT) | instid1(VALU_DEP_3)
	v_add_co_ci_u32_e64 v12, s3, s7, v26, s3
	v_add_co_u32 v5, s3, s6, v5
	s_delay_alu instid0(VALU_DEP_1)
	v_add_co_ci_u32_e64 v6, s3, s7, v6, s3
	s_clause 0x3
	flat_load_u16 v31, v[7:8]
	flat_load_u16 v29, v[9:10]
	;; [unrolled: 1-line block ×4, first 2 shown]
	s_waitcnt vmcnt(7) lgkmcnt(7)
	v_lshlrev_b32_e32 v32, 16, v32
	s_waitcnt vmcnt(6) lgkmcnt(6)
	v_lshlrev_b32_e32 v30, 16, v33
	;; [unrolled: 2-line block ×4, first 2 shown]
	s_and_saveexec_b32 s3, s0
	s_cbranch_execz .LBB668_19
; %bb.23:                               ;   in Loop: Header=BB668_21 Depth=1
	s_clause 0x3
	flat_load_u16 v36, v[7:8] offset:64
	flat_load_u16 v35, v[9:10] offset:64
	flat_load_u16 v34, v[11:12] offset:64
	flat_load_u16 v33, v[5:6] offset:64
	s_and_saveexec_b32 s26, s1
	s_cbranch_execz .LBB668_18
; %bb.24:                               ;   in Loop: Header=BB668_21 Depth=1
	s_clause 0x3
	flat_load_u16 v40, v[7:8] offset:128
	flat_load_u16 v39, v[9:10] offset:128
	flat_load_u16 v38, v[11:12] offset:128
	flat_load_u16 v37, v[5:6] offset:128
	;; [unrolled: 8-line block ×3, first 2 shown]
	s_waitcnt vmcnt(0) lgkmcnt(0)
	v_lshlrev_b32_e32 v5, 16, v5
	v_lshlrev_b32_e32 v6, 16, v7
	;; [unrolled: 1-line block ×3, first 2 shown]
	s_delay_alu instid0(VALU_DEP_2) | instskip(NEXT) | instid1(VALU_DEP_1)
	v_dual_fmac_f32 v17, v32, v6 :: v_dual_lshlrev_b32 v6, 16, v9
	v_fmac_f32_e32 v17, v30, v7
	s_delay_alu instid0(VALU_DEP_1) | instskip(NEXT) | instid1(VALU_DEP_1)
	v_fmac_f32_e32 v17, v28, v6
	v_fmac_f32_e32 v17, v27, v5
	s_branch .LBB668_17
.LBB668_26:
	s_or_b32 exec_lo, exec_lo, s22
.LBB668_27:
	s_delay_alu instid0(SALU_CYCLE_1) | instskip(SKIP_1) | instid1(SALU_CYCLE_1)
	s_or_b32 exec_lo, exec_lo, s20
	s_sub_i32 s0, s5, s19
	s_cmp_lt_i32 s0, 1
	s_cbranch_scc1 .LBB668_45
; %bb.28:
	v_cmp_gt_i32_e32 vcc_lo, s5, v19
	v_dual_mov_b32 v10, 0 :: v_dual_mov_b32 v11, 0
	v_or_b32_e32 v2, 1, v19
	v_mov_b32_e32 v12, 0
	v_mov_b32_e32 v20, 0
	s_and_saveexec_b32 s1, vcc_lo
	s_cbranch_execz .LBB668_36
; %bb.29:
	s_waitcnt lgkmcnt(0)
	v_mul_lo_u32 v3, v19, s8
	v_dual_mov_b32 v12, 0 :: v_dual_mov_b32 v11, 0
	v_mov_b32_e32 v10, 0
	s_mov_b32 s2, exec_lo
	s_delay_alu instid0(VALU_DEP_3) | instskip(NEXT) | instid1(VALU_DEP_1)
	v_ashrrev_i32_e32 v4, 31, v3
	v_lshlrev_b64 v[3:4], 1, v[3:4]
	s_delay_alu instid0(VALU_DEP_1) | instskip(NEXT) | instid1(VALU_DEP_1)
	v_add_co_u32 v3, s0, s12, v3
	v_add_co_ci_u32_e64 v4, s0, s13, v4, s0
	flat_load_u16 v3, v[3:4]
	v_cmpx_gt_i32_e64 s5, v2
	s_cbranch_execz .LBB668_35
; %bb.30:
	v_mul_lo_u32 v4, v2, s8
	v_dual_mov_b32 v11, 0 :: v_dual_mov_b32 v10, 0
	s_mov_b32 s3, exec_lo
	s_delay_alu instid0(VALU_DEP_2) | instskip(NEXT) | instid1(VALU_DEP_1)
	v_ashrrev_i32_e32 v5, 31, v4
	v_lshlrev_b64 v[4:5], 1, v[4:5]
	s_delay_alu instid0(VALU_DEP_1) | instskip(NEXT) | instid1(VALU_DEP_1)
	v_add_co_u32 v4, s0, s12, v4
	v_add_co_ci_u32_e64 v5, s0, s13, v5, s0
	flat_load_u16 v4, v[4:5]
	v_or_b32_e32 v5, 2, v19
	s_delay_alu instid0(VALU_DEP_1)
	v_cmpx_gt_i32_e64 s5, v5
	s_cbranch_execz .LBB668_34
; %bb.31:
	v_mul_lo_u32 v5, v5, s8
	v_mov_b32_e32 v10, 0
	s_mov_b32 s19, exec_lo
	s_delay_alu instid0(VALU_DEP_2) | instskip(NEXT) | instid1(VALU_DEP_1)
	v_ashrrev_i32_e32 v6, 31, v5
	v_lshlrev_b64 v[5:6], 1, v[5:6]
	s_delay_alu instid0(VALU_DEP_1) | instskip(NEXT) | instid1(VALU_DEP_1)
	v_add_co_u32 v5, s0, s12, v5
	v_add_co_ci_u32_e64 v6, s0, s13, v6, s0
	flat_load_u16 v5, v[5:6]
	v_or_b32_e32 v6, 3, v19
	s_delay_alu instid0(VALU_DEP_1)
	v_cmpx_gt_i32_e64 s5, v6
	s_cbranch_execz .LBB668_33
; %bb.32:
	v_mul_lo_u32 v6, v6, s8
	s_delay_alu instid0(VALU_DEP_1) | instskip(NEXT) | instid1(VALU_DEP_1)
	v_ashrrev_i32_e32 v7, 31, v6
	v_lshlrev_b64 v[6:7], 1, v[6:7]
	s_delay_alu instid0(VALU_DEP_1) | instskip(NEXT) | instid1(VALU_DEP_1)
	v_add_co_u32 v6, s0, s12, v6
	v_add_co_ci_u32_e64 v7, s0, s13, v7, s0
	flat_load_u16 v6, v[6:7]
	s_waitcnt vmcnt(0) lgkmcnt(0)
	v_lshlrev_b32_e32 v10, 16, v6
.LBB668_33:
	s_or_b32 exec_lo, exec_lo, s19
	s_waitcnt vmcnt(0) lgkmcnt(0)
	v_lshlrev_b32_e32 v11, 16, v5
.LBB668_34:
	s_or_b32 exec_lo, exec_lo, s3
	s_waitcnt vmcnt(0) lgkmcnt(0)
	v_lshlrev_b32_e32 v12, 16, v4
.LBB668_35:
	s_or_b32 exec_lo, exec_lo, s2
	s_waitcnt vmcnt(0) lgkmcnt(0)
	v_lshlrev_b32_e32 v20, 16, v3
.LBB668_36:
	s_or_b32 exec_lo, exec_lo, s1
	s_delay_alu instid0(SALU_CYCLE_1)
	s_mov_b32 s1, exec_lo
	v_cmpx_gt_i32_e64 s4, v18
	s_cbranch_execz .LBB668_44
; %bb.37:
	s_waitcnt lgkmcnt(0)
	v_mul_lo_u32 v3, v19, s18
	v_mul_lo_u32 v4, v2, s18
	v_or_b32_e32 v5, 2, v19
	v_or_b32_e32 v6, 3, v19
	s_mov_b32 s0, exec_lo
	s_delay_alu instid0(VALU_DEP_2)
	v_mul_lo_u32 v7, v5, s18
	v_cndmask_b32_e32 v3, 0, v3, vcc_lo
	v_cmp_gt_i32_e32 vcc_lo, s5, v2
	v_mul_lo_u32 v8, v6, s18
	v_cndmask_b32_e32 v4, 0, v4, vcc_lo
	v_cmp_gt_i32_e32 vcc_lo, s5, v5
	v_add_nc_u32_e32 v2, v3, v18
	s_delay_alu instid0(VALU_DEP_3) | instskip(NEXT) | instid1(VALU_DEP_2)
	v_dual_cndmask_b32 v7, 0, v7 :: v_dual_add_nc_u32 v4, v4, v18
	v_ashrrev_i32_e32 v3, 31, v2
	v_cmp_gt_i32_e32 vcc_lo, s5, v6
	s_delay_alu instid0(VALU_DEP_3) | instskip(NEXT) | instid1(VALU_DEP_4)
	v_ashrrev_i32_e32 v5, 31, v4
	v_add_nc_u32_e32 v6, v7, v18
	s_delay_alu instid0(VALU_DEP_4) | instskip(SKIP_1) | instid1(VALU_DEP_4)
	v_lshlrev_b64 v[2:3], 1, v[2:3]
	v_cndmask_b32_e32 v8, 0, v8, vcc_lo
	v_lshlrev_b64 v[21:22], 1, v[4:5]
	s_delay_alu instid0(VALU_DEP_4) | instskip(NEXT) | instid1(VALU_DEP_4)
	v_ashrrev_i32_e32 v7, 31, v6
	v_add_co_u32 v4, vcc_lo, s6, v2
	v_add_co_ci_u32_e32 v5, vcc_lo, s7, v3, vcc_lo
	s_delay_alu instid0(VALU_DEP_4)
	v_add_co_u32 v2, vcc_lo, s6, v21
	v_add_co_ci_u32_e32 v3, vcc_lo, s7, v22, vcc_lo
	s_clause 0x1
	flat_load_u16 v19, v[4:5]
	flat_load_u16 v23, v[2:3]
	v_lshlrev_b64 v[6:7], 1, v[6:7]
	s_waitcnt vmcnt(1) lgkmcnt(1)
	v_lshlrev_b32_e32 v19, 16, v19
	v_add_nc_u32_e32 v8, v8, v18
	s_delay_alu instid0(VALU_DEP_1) | instskip(NEXT) | instid1(VALU_DEP_1)
	v_ashrrev_i32_e32 v9, 31, v8
	v_lshlrev_b64 v[21:22], 1, v[8:9]
	v_add_co_u32 v8, vcc_lo, s6, v6
	v_add_co_ci_u32_e32 v9, vcc_lo, s7, v7, vcc_lo
	s_delay_alu instid0(VALU_DEP_3) | instskip(NEXT) | instid1(VALU_DEP_4)
	v_add_co_u32 v6, vcc_lo, s6, v21
	v_add_co_ci_u32_e32 v7, vcc_lo, s7, v22, vcc_lo
	s_clause 0x1
	flat_load_u16 v21, v[8:9]
	flat_load_u16 v22, v[6:7]
	s_waitcnt vmcnt(1) lgkmcnt(1)
	v_dual_fmac_f32 v14, v20, v19 :: v_dual_lshlrev_b32 v21, 16, v21
	v_lshlrev_b32_e32 v23, 16, v23
	s_waitcnt vmcnt(0) lgkmcnt(0)
	s_delay_alu instid0(VALU_DEP_1) | instskip(NEXT) | instid1(VALU_DEP_1)
	v_dual_fmac_f32 v14, v12, v23 :: v_dual_lshlrev_b32 v19, 16, v22
	v_dual_fmac_f32 v14, v11, v21 :: v_dual_add_nc_u32 v23, 32, v18
	s_delay_alu instid0(VALU_DEP_1)
	v_cmpx_gt_i32_e64 s4, v23
	s_cbranch_execz .LBB668_43
; %bb.38:
	s_clause 0x3
	flat_load_u16 v21, v[4:5] offset:64
	flat_load_u16 v22, v[2:3] offset:64
	;; [unrolled: 1-line block ×4, first 2 shown]
	s_mov_b32 s2, exec_lo
	s_waitcnt vmcnt(3) lgkmcnt(3)
	v_lshlrev_b32_e32 v21, 16, v21
	s_waitcnt vmcnt(2) lgkmcnt(2)
	v_lshlrev_b32_e32 v22, 16, v22
	;; [unrolled: 2-line block ×3, first 2 shown]
	v_fmac_f32_e32 v15, v20, v21
	s_waitcnt vmcnt(0) lgkmcnt(0)
	v_lshlrev_b32_e32 v21, 16, v24
	s_delay_alu instid0(VALU_DEP_2) | instskip(NEXT) | instid1(VALU_DEP_1)
	v_fmac_f32_e32 v15, v12, v22
	v_dual_fmac_f32 v15, v11, v23 :: v_dual_add_nc_u32 v22, 64, v18
	s_delay_alu instid0(VALU_DEP_1)
	v_cmpx_gt_i32_e64 s4, v22
	s_cbranch_execz .LBB668_42
; %bb.39:
	s_clause 0x3
	flat_load_u16 v22, v[4:5] offset:128
	flat_load_u16 v23, v[2:3] offset:128
	;; [unrolled: 1-line block ×4, first 2 shown]
	s_mov_b32 s3, exec_lo
	s_waitcnt vmcnt(3) lgkmcnt(3)
	v_lshlrev_b32_e32 v22, 16, v22
	s_waitcnt vmcnt(2) lgkmcnt(2)
	s_delay_alu instid0(VALU_DEP_1) | instskip(SKIP_2) | instid1(VALU_DEP_2)
	v_dual_fmac_f32 v16, v20, v22 :: v_dual_lshlrev_b32 v23, 16, v23
	s_waitcnt vmcnt(1) lgkmcnt(1)
	v_lshlrev_b32_e32 v22, 16, v24
	v_dual_fmac_f32 v16, v12, v23 :: v_dual_add_nc_u32 v23, 0x60, v18
	s_waitcnt vmcnt(0) lgkmcnt(0)
	v_lshlrev_b32_e32 v18, 16, v25
	s_delay_alu instid0(VALU_DEP_2) | instskip(NEXT) | instid1(VALU_DEP_3)
	v_fmac_f32_e32 v16, v11, v22
	v_cmpx_gt_i32_e64 s4, v23
	s_cbranch_execz .LBB668_41
; %bb.40:
	s_clause 0x3
	flat_load_u16 v4, v[4:5] offset:192
	flat_load_u16 v2, v[2:3] offset:192
	;; [unrolled: 1-line block ×4, first 2 shown]
	s_waitcnt vmcnt(2) lgkmcnt(2)
	v_lshlrev_b32_e32 v2, 16, v2
	v_lshlrev_b32_e32 v4, 16, v4
	s_waitcnt vmcnt(1) lgkmcnt(1)
	v_lshlrev_b32_e32 v3, 16, v3
	s_delay_alu instid0(VALU_DEP_2) | instskip(SKIP_1) | instid1(VALU_DEP_1)
	v_fmac_f32_e32 v17, v20, v4
	s_waitcnt vmcnt(0) lgkmcnt(0)
	v_dual_fmac_f32 v17, v12, v2 :: v_dual_lshlrev_b32 v2, 16, v5
	s_delay_alu instid0(VALU_DEP_1) | instskip(NEXT) | instid1(VALU_DEP_1)
	v_fmac_f32_e32 v17, v11, v3
	v_fmac_f32_e32 v17, v10, v2
.LBB668_41:
	s_or_b32 exec_lo, exec_lo, s3
	s_delay_alu instid0(VALU_DEP_2)
	v_fmac_f32_e32 v16, v10, v18
.LBB668_42:
	s_or_b32 exec_lo, exec_lo, s2
	s_delay_alu instid0(VALU_DEP_2)
	v_fmac_f32_e32 v15, v10, v21
.LBB668_43:
	s_or_b32 exec_lo, exec_lo, s0
	s_delay_alu instid0(VALU_DEP_2)
	v_fmac_f32_e32 v14, v10, v19
.LBB668_44:
	s_or_b32 exec_lo, exec_lo, s1
.LBB668_45:
	v_lshlrev_b32_e32 v2, 7, v13
	s_mov_b32 s0, exec_lo
                                        ; implicit-def: $vgpr3
                                        ; implicit-def: $vgpr4_vgpr5
	s_delay_alu instid0(VALU_DEP_1)
	v_add_lshl_u32 v1, v2, v1, 2
	ds_store_2addr_b32 v1, v14, v15 offset1:32
	ds_store_2addr_b32 v1, v16, v17 offset0:64 offset1:96
	s_waitcnt lgkmcnt(0)
	s_barrier
	buffer_gl0_inv
	v_cmpx_gt_u32_e32 0x80, v0
	s_cbranch_execz .LBB668_51
; %bb.46:
	v_lshlrev_b32_e32 v7, 2, v0
	s_mov_b32 s2, s11
	s_mov_b32 s1, exec_lo
	ds_load_2addr_stride64_b32 v[1:2], v7 offset1:2
	ds_load_2addr_stride64_b32 v[3:4], v7 offset0:4 offset1:6
	ds_load_2addr_stride64_b32 v[5:6], v7 offset0:8 offset1:10
	s_waitcnt lgkmcnt(2)
	v_add_f32_e32 v8, v1, v2
	ds_load_2addr_stride64_b32 v[1:2], v7 offset0:12 offset1:14
	s_waitcnt lgkmcnt(2)
	v_add_f32_e32 v3, v3, v8
	s_delay_alu instid0(VALU_DEP_1) | instskip(SKIP_3) | instid1(VALU_DEP_1)
	v_add_f32_e32 v8, v4, v3
	ds_load_2addr_stride64_b32 v[3:4], v7 offset0:16 offset1:18
	s_waitcnt lgkmcnt(2)
	v_add_f32_e32 v5, v5, v8
	v_add_f32_e32 v8, v6, v5
	ds_load_2addr_stride64_b32 v[5:6], v7 offset0:20 offset1:22
	s_waitcnt lgkmcnt(2)
	v_add_f32_e32 v1, v1, v8
	s_delay_alu instid0(VALU_DEP_1) | instskip(SKIP_1) | instid1(VALU_DEP_1)
	v_add_f32_e32 v1, v2, v1
	s_waitcnt lgkmcnt(1)
	v_add_f32_e32 v3, v3, v1
	ds_load_2addr_stride64_b32 v[1:2], v7 offset0:24 offset1:26
	v_add_f32_e32 v3, v4, v3
	s_waitcnt lgkmcnt(1)
	s_delay_alu instid0(VALU_DEP_1) | instskip(SKIP_3) | instid1(VALU_DEP_1)
	v_add_f32_e32 v5, v5, v3
	ds_load_2addr_stride64_b32 v[3:4], v7 offset0:28 offset1:30
	v_add_f32_e32 v5, v6, v5
	s_waitcnt lgkmcnt(1)
	v_add_f32_e32 v1, v1, v5
	s_delay_alu instid0(VALU_DEP_1) | instskip(SKIP_1) | instid1(VALU_DEP_1)
	v_add_f32_e32 v1, v2, v1
	s_waitcnt lgkmcnt(0)
	v_add_f32_e32 v2, v3, v1
	v_or_b32_e32 v1, s14, v0
                                        ; implicit-def: $vgpr3
	s_delay_alu instid0(VALU_DEP_2)
	v_add_f32_e32 v0, v4, v2
                                        ; implicit-def: $vgpr4_vgpr5
	ds_store_b32 v7, v0
	v_cmpx_gt_i32_e64 s4, v1
	s_cbranch_execz .LBB668_50
; %bb.47:
	v_mul_lo_u32 v4, v1, s17
	v_cmp_eq_f32_e64 s2, s15, 0
	v_mul_f32_e32 v3, s16, v0
	s_delay_alu instid0(VALU_DEP_2) | instskip(NEXT) | instid1(VALU_DEP_3)
	s_and_b32 vcc_lo, exec_lo, s2
	v_ashrrev_i32_e32 v5, 31, v4
	s_cbranch_vccnz .LBB668_49
; %bb.48:
	s_delay_alu instid0(VALU_DEP_1) | instskip(NEXT) | instid1(VALU_DEP_1)
	v_lshlrev_b64 v[0:1], 2, v[4:5]
	v_add_co_u32 v0, vcc_lo, s9, v0
	s_delay_alu instid0(VALU_DEP_2)
	v_add_co_ci_u32_e32 v1, vcc_lo, s10, v1, vcc_lo
	global_load_b32 v0, v[0:1], off
	s_waitcnt vmcnt(0)
	v_fmac_f32_e32 v3, s15, v0
.LBB668_49:
	s_or_b32 s2, s11, exec_lo
.LBB668_50:
	s_or_b32 exec_lo, exec_lo, s1
	s_delay_alu instid0(SALU_CYCLE_1) | instskip(SKIP_1) | instid1(SALU_CYCLE_1)
	s_and_not1_b32 s1, s11, exec_lo
	s_and_b32 s2, s2, exec_lo
	s_or_b32 s11, s1, s2
.LBB668_51:
	s_or_b32 exec_lo, exec_lo, s0
.LBB668_52:
	s_and_saveexec_b32 s0, s11
	s_cbranch_execz .LBB668_54
; %bb.53:
	v_lshlrev_b64 v[0:1], 2, v[4:5]
	s_delay_alu instid0(VALU_DEP_1) | instskip(NEXT) | instid1(VALU_DEP_2)
	v_add_co_u32 v0, vcc_lo, s9, v0
	v_add_co_ci_u32_e32 v1, vcc_lo, s10, v1, vcc_lo
	global_store_b32 v[0:1], v3, off
.LBB668_54:
	s_nop 0
	s_sendmsg sendmsg(MSG_DEALLOC_VGPRS)
	s_endpgm
	.section	.rodata,"a",@progbits
	.p2align	6, 0x0
	.amdhsa_kernel _ZL20rocblas_gemvn_kernelILi32ELi16EiPK16rocblas_bfloat16PKfKPfEviiT3_lPKT2_lT1_lSA_lSB_lS7_lPT4_lSB_li
		.amdhsa_group_segment_fixed_size 8192
		.amdhsa_private_segment_fixed_size 0
		.amdhsa_kernarg_size 400
		.amdhsa_user_sgpr_count 14
		.amdhsa_user_sgpr_dispatch_ptr 0
		.amdhsa_user_sgpr_queue_ptr 0
		.amdhsa_user_sgpr_kernarg_segment_ptr 1
		.amdhsa_user_sgpr_dispatch_id 0
		.amdhsa_user_sgpr_private_segment_size 0
		.amdhsa_wavefront_size32 1
		.amdhsa_uses_dynamic_stack 0
		.amdhsa_enable_private_segment 0
		.amdhsa_system_sgpr_workgroup_id_x 1
		.amdhsa_system_sgpr_workgroup_id_y 0
		.amdhsa_system_sgpr_workgroup_id_z 1
		.amdhsa_system_sgpr_workgroup_info 0
		.amdhsa_system_vgpr_workitem_id 1
		.amdhsa_next_free_vgpr 41
		.amdhsa_next_free_sgpr 28
		.amdhsa_reserve_vcc 1
		.amdhsa_float_round_mode_32 0
		.amdhsa_float_round_mode_16_64 0
		.amdhsa_float_denorm_mode_32 3
		.amdhsa_float_denorm_mode_16_64 3
		.amdhsa_dx10_clamp 1
		.amdhsa_ieee_mode 1
		.amdhsa_fp16_overflow 0
		.amdhsa_workgroup_processor_mode 1
		.amdhsa_memory_ordered 1
		.amdhsa_forward_progress 0
		.amdhsa_shared_vgpr_count 0
		.amdhsa_exception_fp_ieee_invalid_op 0
		.amdhsa_exception_fp_denorm_src 0
		.amdhsa_exception_fp_ieee_div_zero 0
		.amdhsa_exception_fp_ieee_overflow 0
		.amdhsa_exception_fp_ieee_underflow 0
		.amdhsa_exception_fp_ieee_inexact 0
		.amdhsa_exception_int_div_zero 0
	.end_amdhsa_kernel
	.section	.text._ZL20rocblas_gemvn_kernelILi32ELi16EiPK16rocblas_bfloat16PKfKPfEviiT3_lPKT2_lT1_lSA_lSB_lS7_lPT4_lSB_li,"axG",@progbits,_ZL20rocblas_gemvn_kernelILi32ELi16EiPK16rocblas_bfloat16PKfKPfEviiT3_lPKT2_lT1_lSA_lSB_lS7_lPT4_lSB_li,comdat
.Lfunc_end668:
	.size	_ZL20rocblas_gemvn_kernelILi32ELi16EiPK16rocblas_bfloat16PKfKPfEviiT3_lPKT2_lT1_lSA_lSB_lS7_lPT4_lSB_li, .Lfunc_end668-_ZL20rocblas_gemvn_kernelILi32ELi16EiPK16rocblas_bfloat16PKfKPfEviiT3_lPKT2_lT1_lSA_lSB_lS7_lPT4_lSB_li
                                        ; -- End function
	.section	.AMDGPU.csdata,"",@progbits
; Kernel info:
; codeLenInByte = 3224
; NumSgprs: 30
; NumVgprs: 41
; ScratchSize: 0
; MemoryBound: 0
; FloatMode: 240
; IeeeMode: 1
; LDSByteSize: 8192 bytes/workgroup (compile time only)
; SGPRBlocks: 3
; VGPRBlocks: 5
; NumSGPRsForWavesPerEU: 30
; NumVGPRsForWavesPerEU: 41
; Occupancy: 16
; WaveLimiterHint : 1
; COMPUTE_PGM_RSRC2:SCRATCH_EN: 0
; COMPUTE_PGM_RSRC2:USER_SGPR: 14
; COMPUTE_PGM_RSRC2:TRAP_HANDLER: 0
; COMPUTE_PGM_RSRC2:TGID_X_EN: 1
; COMPUTE_PGM_RSRC2:TGID_Y_EN: 0
; COMPUTE_PGM_RSRC2:TGID_Z_EN: 1
; COMPUTE_PGM_RSRC2:TIDIG_COMP_CNT: 1
	.section	.text._ZL20rocblas_gemvn_kernelILi32ELi16ElPK16rocblas_bfloat16PKfKPfEviiT3_lPKT2_lT1_lSA_lSB_lS7_lPT4_lSB_li,"axG",@progbits,_ZL20rocblas_gemvn_kernelILi32ELi16ElPK16rocblas_bfloat16PKfKPfEviiT3_lPKT2_lT1_lSA_lSB_lS7_lPT4_lSB_li,comdat
	.globl	_ZL20rocblas_gemvn_kernelILi32ELi16ElPK16rocblas_bfloat16PKfKPfEviiT3_lPKT2_lT1_lSA_lSB_lS7_lPT4_lSB_li ; -- Begin function _ZL20rocblas_gemvn_kernelILi32ELi16ElPK16rocblas_bfloat16PKfKPfEviiT3_lPKT2_lT1_lSA_lSB_lS7_lPT4_lSB_li
	.p2align	8
	.type	_ZL20rocblas_gemvn_kernelILi32ELi16ElPK16rocblas_bfloat16PKfKPfEviiT3_lPKT2_lT1_lSA_lSB_lS7_lPT4_lSB_li,@function
_ZL20rocblas_gemvn_kernelILi32ELi16ElPK16rocblas_bfloat16PKfKPfEviiT3_lPKT2_lT1_lSA_lSB_lS7_lPT4_lSB_li: ; @_ZL20rocblas_gemvn_kernelILi32ELi16ElPK16rocblas_bfloat16PKfKPfEviiT3_lPKT2_lT1_lSA_lSB_lS7_lPT4_lSB_li
; %bb.0:
	s_load_b64 s[4:5], s[0:1], 0x9c
	s_waitcnt lgkmcnt(0)
	s_lshr_b32 s3, s4, 16
	s_and_b32 s4, s4, 0xffff
	s_and_b32 s5, s5, 0xffff
	s_mul_i32 s3, s3, s4
	s_delay_alu instid0(SALU_CYCLE_1) | instskip(NEXT) | instid1(SALU_CYCLE_1)
	s_mul_i32 s3, s3, s5
	s_cmpk_lg_i32 s3, 0x200
	s_cbranch_scc1 .LBB669_54
; %bb.1:
	s_clause 0x1
	s_load_b256 s[16:23], s[0:1], 0x8
	s_load_b256 s[4:11], s[0:1], 0x58
	s_mov_b32 s2, s15
	s_waitcnt lgkmcnt(0)
	s_mul_i32 s3, s15, s19
	s_mul_hi_u32 s13, s15, s18
	s_mul_i32 s12, s15, s18
	s_add_i32 s13, s13, s3
	s_mul_i32 s3, s15, s7
	s_lshl_b64 s[12:13], s[12:13], 2
	s_mul_hi_u32 s7, s15, s6
	s_add_u32 s12, s16, s12
	s_addc_u32 s13, s17, s13
	s_add_i32 s7, s7, s3
	s_mul_i32 s6, s15, s6
	s_delay_alu instid0(SALU_CYCLE_1) | instskip(NEXT) | instid1(SALU_CYCLE_1)
	s_lshl_b64 s[6:7], s[6:7], 2
	s_add_u32 s4, s4, s6
	s_addc_u32 s5, s5, s7
	s_load_b32 s27, s[12:13], 0x0
	s_load_b32 s26, s[4:5], 0x0
	s_waitcnt lgkmcnt(0)
	v_cmp_eq_f32_e64 s15, s27, 0
	v_cmp_eq_f32_e64 s3, s26, 1.0
	s_delay_alu instid0(VALU_DEP_1) | instskip(NEXT) | instid1(SALU_CYCLE_1)
	s_and_b32 s3, s15, s3
	s_and_b32 vcc_lo, exec_lo, s3
	s_mov_b32 s3, 0
	s_cbranch_vccnz .LBB669_54
; %bb.2:
	s_clause 0x1
	s_load_b64 s[16:17], s[0:1], 0x28
	s_load_b64 s[12:13], s[0:1], 0x78
	v_cmp_neq_f32_e64 s28, s27, 0
	s_mov_b64 s[24:25], 0
	s_and_b32 vcc_lo, exec_lo, s15
	s_mov_b64 s[18:19], 0
	s_cbranch_vccnz .LBB669_4
; %bb.3:
	s_lshl_b64 s[4:5], s[2:3], 3
	s_delay_alu instid0(SALU_CYCLE_1)
	s_add_u32 s4, s20, s4
	s_addc_u32 s5, s21, s5
	s_lshl_b64 s[6:7], s[22:23], 1
	s_load_b64 s[4:5], s[4:5], 0x0
	s_waitcnt lgkmcnt(0)
	s_add_u32 s18, s4, s6
	s_addc_u32 s19, s5, s7
.LBB669_4:
	s_clause 0x1
	s_load_b128 s[4:7], s[0:1], 0x38
	s_load_b64 s[20:21], s[0:1], 0x48
	s_and_not1_b32 vcc_lo, exec_lo, s28
	s_cbranch_vccnz .LBB669_6
; %bb.5:
	s_lshl_b64 s[22:23], s[2:3], 3
	s_waitcnt lgkmcnt(0)
	s_add_u32 s4, s4, s22
	s_addc_u32 s5, s5, s23
	s_lshl_b64 s[6:7], s[6:7], 1
	s_load_b64 s[4:5], s[4:5], 0x0
	s_waitcnt lgkmcnt(0)
	s_add_u32 s24, s4, s6
	s_addc_u32 s25, s5, s7
.LBB669_6:
	s_lshl_b64 s[2:3], s[2:3], 3
	v_and_b32_e32 v20, 0x3ff, v0
	s_add_u32 s2, s8, s2
	s_addc_u32 s3, s9, s3
	v_bfe_u32 v21, v0, 10, 10
	s_load_b64 s[2:3], s[2:3], 0x0
	s_waitcnt lgkmcnt(0)
	s_load_b64 s[6:7], s[0:1], 0x0
	s_lshl_b64 s[8:9], s[10:11], 2
	v_lshl_add_u32 v19, v21, 5, v20
	s_delay_alu instid0(VALU_DEP_1)
	v_cmp_gt_u32_e64 s0, 0x80, v19
	s_add_u32 s5, s2, s8
	s_addc_u32 s22, s3, s9
	s_and_not1_b32 vcc_lo, exec_lo, s15
	s_cbranch_vccnz .LBB669_13
; %bb.7:
	s_mov_b32 s1, 0
	s_mov_b32 s23, 0
                                        ; implicit-def: $vgpr1
                                        ; implicit-def: $vgpr2_vgpr3
	s_and_saveexec_b32 s2, s0
	s_cbranch_execz .LBB669_14
; %bb.8:
	v_lshl_or_b32 v0, s14, 7, v19
	v_mov_b32_e32 v1, 0
	s_waitcnt lgkmcnt(0)
	s_ashr_i32 s9, s6, 31
	s_mov_b32 s8, s6
	s_mov_b32 s3, 0
	s_mov_b32 s0, exec_lo
                                        ; implicit-def: $vgpr2_vgpr3
	v_cmpx_gt_i64_e64 s[8:9], v[0:1]
	s_cbranch_execz .LBB669_12
; %bb.9:
	v_mad_u64_u32 v[2:3], null, v0, s12, 0
	v_cmp_eq_f32_e64 s3, s26, 0
	s_delay_alu instid0(VALU_DEP_1) | instskip(NEXT) | instid1(VALU_DEP_2)
	s_and_b32 vcc_lo, exec_lo, s3
	v_mad_u64_u32 v[4:5], null, v0, s13, v[3:4]
	s_delay_alu instid0(VALU_DEP_1)
	v_mov_b32_e32 v3, v4
	s_cbranch_vccnz .LBB669_11
; %bb.10:
	s_delay_alu instid0(VALU_DEP_1) | instskip(NEXT) | instid1(VALU_DEP_1)
	v_lshlrev_b64 v[0:1], 2, v[2:3]
	v_add_co_u32 v0, vcc_lo, s5, v0
	s_delay_alu instid0(VALU_DEP_2)
	v_add_co_ci_u32_e32 v1, vcc_lo, s22, v1, vcc_lo
	global_load_b32 v0, v[0:1], off
	s_waitcnt vmcnt(0)
	v_mul_f32_e32 v1, s26, v0
.LBB669_11:
	s_mov_b32 s3, exec_lo
.LBB669_12:
	s_or_b32 exec_lo, exec_lo, s0
	s_delay_alu instid0(SALU_CYCLE_1) | instskip(SKIP_1) | instid1(SALU_CYCLE_1)
	s_and_b32 s23, s3, exec_lo
	s_or_b32 exec_lo, exec_lo, s2
	s_and_b32 vcc_lo, exec_lo, s1
	s_cbranch_vccnz .LBB669_15
	s_branch .LBB669_52
.LBB669_13:
	s_mov_b32 s23, 0
                                        ; implicit-def: $vgpr1
                                        ; implicit-def: $vgpr2_vgpr3
	s_cbranch_execnz .LBB669_15
	s_branch .LBB669_52
.LBB669_14:
	s_or_b32 exec_lo, exec_lo, s2
	s_delay_alu instid0(SALU_CYCLE_1)
	s_and_b32 vcc_lo, exec_lo, s1
	s_cbranch_vccz .LBB669_52
.LBB669_15:
	s_waitcnt lgkmcnt(0)
	s_ashr_i32 s0, s7, 31
	s_lshl_b32 s28, s14, 7
	s_lshr_b32 s0, s0, 26
	v_dual_mov_b32 v23, 0 :: v_dual_lshlrev_b32 v26, 2, v21
	v_dual_mov_b32 v22, 0 :: v_dual_mov_b32 v25, 0
	v_add_nc_u32_e32 v0, s28, v20
	v_mov_b32_e32 v24, 0
	s_add_i32 s29, s7, s0
	s_mov_b32 s30, exec_lo
	s_and_not1_b32 s29, s29, 63
	s_delay_alu instid0(SALU_CYCLE_1)
	v_cmpx_gt_i32_e64 s29, v26
	s_cbranch_execz .LBB669_27
; %bb.16:
	v_lshlrev_b32_e32 v29, 2, v21
	v_mad_u64_u32 v[5:6], null, s20, v21, 0
	v_add_nc_u32_e32 v2, 32, v0
	v_mad_u64_u32 v[7:8], null, s16, v21, 0
	s_delay_alu instid0(VALU_DEP_4) | instskip(SKIP_1) | instid1(VALU_DEP_4)
	v_or_b32_e32 v25, 3, v29
	v_add_nc_u32_e32 v9, 64, v0
	v_cmp_gt_i32_e64 s0, s6, v2
	v_ashrrev_i32_e32 v1, 31, v0
	v_cmp_gt_i32_e32 vcc_lo, s6, v0
	v_mad_u64_u32 v[3:4], null, s16, v25, 0
	v_mad_u64_u32 v[16:17], null, s20, v25, 0
	v_add_nc_u32_e32 v10, 0x60, v0
	s_lshl_b64 s[8:9], s[16:17], 7
	s_lshl_b64 s[10:11], s[20:21], 7
	s_mov_b32 s31, 0
	s_delay_alu instid0(VALU_DEP_3)
	v_mov_b32_e32 v2, v4
	v_mov_b32_e32 v4, v6
	v_cmp_gt_i32_e64 s1, s6, v9
	v_cmp_gt_i32_e64 s2, s6, v10
	v_mov_b32_e32 v6, v8
	v_mad_u64_u32 v[9:10], null, s17, v25, v[2:3]
	v_or_b32_e32 v31, 2, v29
	v_mad_u64_u32 v[10:11], null, s21, v21, v[4:5]
	s_delay_alu instid0(VALU_DEP_4) | instskip(SKIP_1) | instid1(VALU_DEP_4)
	v_mad_u64_u32 v[11:12], null, s17, v21, v[6:7]
	v_mad_u64_u32 v[12:13], null, s20, v29, s[20:21]
	;; [unrolled: 1-line block ×3, first 2 shown]
	v_mov_b32_e32 v4, v9
	v_mov_b32_e32 v6, v10
	v_lshlrev_b64 v[1:2], 1, v[0:1]
	s_mov_b64 s[14:15], s[24:25]
	s_delay_alu instid0(VALU_DEP_3) | instskip(NEXT) | instid1(VALU_DEP_3)
	v_lshlrev_b64 v[9:10], 1, v[3:4]
	v_lshlrev_b64 v[3:4], 3, v[5:6]
	v_dual_mov_b32 v5, v15 :: v_dual_mov_b32 v6, v13
	s_delay_alu instid0(VALU_DEP_3) | instskip(NEXT) | instid1(VALU_DEP_2)
	v_add_co_u32 v27, s3, s18, v9
	v_mad_u64_u32 v[22:23], null, s17, v31, v[5:6]
	v_mov_b32_e32 v5, v17
	v_add_co_ci_u32_e64 v28, s3, s19, v10, s3
	v_mad_u64_u32 v[9:10], null, s16, v29, s[16:17]
	s_delay_alu instid0(VALU_DEP_3) | instskip(SKIP_2) | instid1(VALU_DEP_4)
	v_mad_u64_u32 v[23:24], null, s21, v25, v[5:6]
	v_mad_u64_u32 v[24:25], null, s20, v31, 0
	v_dual_mov_b32 v8, v11 :: v_dual_mov_b32 v15, v22
	v_mov_b32_e32 v5, v10
	s_delay_alu instid0(VALU_DEP_2) | instskip(NEXT) | instid1(VALU_DEP_2)
	v_lshlrev_b64 v[14:15], 1, v[14:15]
	v_mad_u64_u32 v[10:11], null, s17, v29, v[5:6]
	v_mov_b32_e32 v5, v25
	v_lshlrev_b64 v[7:8], 3, v[7:8]
	s_delay_alu instid0(VALU_DEP_3) | instskip(NEXT) | instid1(VALU_DEP_2)
	v_lshlrev_b64 v[9:10], 1, v[9:10]
	v_mad_u64_u32 v[17:18], null, s21, v29, v[6:7]
	v_add_co_u32 v29, s3, s18, v7
	s_delay_alu instid0(VALU_DEP_1) | instskip(NEXT) | instid1(VALU_DEP_3)
	v_add_co_ci_u32_e64 v30, s3, s19, v8, s3
	v_mov_b32_e32 v13, v17
	v_mov_b32_e32 v17, v23
	v_mad_u64_u32 v[22:23], null, s21, v31, v[5:6]
	v_add_co_u32 v31, s3, s18, v14
	s_delay_alu instid0(VALU_DEP_1) | instskip(SKIP_1) | instid1(VALU_DEP_4)
	v_add_co_ci_u32_e64 v32, s3, s19, v15, s3
	v_add_co_u32 v33, s3, s18, v9
	v_dual_mov_b32 v25, v22 :: v_dual_mov_b32 v22, 0
	v_lshlrev_b64 v[5:6], 1, v[12:13]
	v_lshlrev_b64 v[7:8], 1, v[16:17]
	v_add_co_ci_u32_e64 v34, s3, s19, v10, s3
	s_delay_alu instid0(VALU_DEP_4)
	v_lshlrev_b64 v[9:10], 1, v[24:25]
	v_dual_mov_b32 v23, 0 :: v_dual_mov_b32 v24, 0
	v_mov_b32_e32 v25, 0
	s_branch .LBB669_21
.LBB669_17:                             ;   in Loop: Header=BB669_21 Depth=1
	s_or_b32 exec_lo, exec_lo, s34
	s_waitcnt vmcnt(2) lgkmcnt(2)
	v_lshlrev_b32_e32 v12, 16, v49
	v_lshlrev_b32_e32 v11, 16, v50
	s_waitcnt vmcnt(1) lgkmcnt(1)
	s_delay_alu instid0(VALU_DEP_1) | instskip(NEXT) | instid1(VALU_DEP_1)
	v_dual_fmac_f32 v24, v42, v11 :: v_dual_lshlrev_b32 v11, 16, v48
	v_fmac_f32_e32 v24, v40, v12
	s_delay_alu instid0(VALU_DEP_1) | instskip(SKIP_2) | instid1(VALU_DEP_1)
	v_fmac_f32_e32 v24, v38, v11
	s_waitcnt vmcnt(0) lgkmcnt(0)
	v_lshlrev_b32_e32 v11, 16, v47
	v_fmac_f32_e32 v24, v37, v11
.LBB669_18:                             ;   in Loop: Header=BB669_21 Depth=1
	s_or_b32 exec_lo, exec_lo, s33
	s_waitcnt vmcnt(3) lgkmcnt(3)
	v_lshlrev_b32_e32 v11, 16, v46
	s_waitcnt vmcnt(2) lgkmcnt(2)
	s_delay_alu instid0(VALU_DEP_1) | instskip(SKIP_2) | instid1(VALU_DEP_2)
	v_dual_fmac_f32 v23, v42, v11 :: v_dual_lshlrev_b32 v12, 16, v45
	s_waitcnt vmcnt(1) lgkmcnt(1)
	v_lshlrev_b32_e32 v11, 16, v44
	v_fmac_f32_e32 v23, v40, v12
	s_delay_alu instid0(VALU_DEP_1) | instskip(SKIP_2) | instid1(VALU_DEP_1)
	v_fmac_f32_e32 v23, v38, v11
	s_waitcnt vmcnt(0) lgkmcnt(0)
	v_lshlrev_b32_e32 v11, 16, v43
	v_fmac_f32_e32 v23, v37, v11
.LBB669_19:                             ;   in Loop: Header=BB669_21 Depth=1
	s_or_b32 exec_lo, exec_lo, s3
	s_waitcnt vmcnt(2) lgkmcnt(2)
	v_lshlrev_b32_e32 v12, 16, v39
	v_lshlrev_b32_e32 v11, 16, v41
	s_waitcnt vmcnt(1) lgkmcnt(1)
	s_delay_alu instid0(VALU_DEP_1) | instskip(NEXT) | instid1(VALU_DEP_1)
	v_dual_fmac_f32 v22, v42, v11 :: v_dual_lshlrev_b32 v11, 16, v36
	v_fmac_f32_e32 v22, v40, v12
	s_delay_alu instid0(VALU_DEP_1) | instskip(SKIP_2) | instid1(VALU_DEP_1)
	v_fmac_f32_e32 v22, v38, v11
	s_waitcnt vmcnt(0) lgkmcnt(0)
	v_lshlrev_b32_e32 v11, 16, v35
	v_fmac_f32_e32 v22, v37, v11
.LBB669_20:                             ;   in Loop: Header=BB669_21 Depth=1
	s_or_b32 exec_lo, exec_lo, s4
	v_add_co_u32 v27, s3, v27, s8
	s_delay_alu instid0(VALU_DEP_1) | instskip(SKIP_4) | instid1(VALU_DEP_1)
	v_add_co_ci_u32_e64 v28, s3, s9, v28, s3
	v_add_co_u32 v29, s3, v29, s8
	v_add_nc_u32_e32 v26, 64, v26
	v_add_co_ci_u32_e64 v30, s3, s9, v30, s3
	v_add_co_u32 v31, s3, v31, s8
	v_add_co_ci_u32_e64 v32, s3, s9, v32, s3
	s_delay_alu instid0(VALU_DEP_4) | instskip(SKIP_1) | instid1(VALU_DEP_1)
	v_cmp_le_i32_e64 s3, s29, v26
	v_add_co_u32 v33, s4, v33, s8
	v_add_co_ci_u32_e64 v34, s4, s9, v34, s4
	s_add_u32 s14, s14, s10
	s_addc_u32 s15, s15, s11
	s_or_b32 s31, s3, s31
	s_delay_alu instid0(SALU_CYCLE_1)
	s_and_not1_b32 exec_lo, exec_lo, s31
	s_cbranch_execz .LBB669_26
.LBB669_21:                             ; =>This Inner Loop Header: Depth=1
	s_and_saveexec_b32 s4, vcc_lo
	s_cbranch_execz .LBB669_20
; %bb.22:                               ;   in Loop: Header=BB669_21 Depth=1
	v_add_co_u32 v11, s3, s14, v3
	s_delay_alu instid0(VALU_DEP_1) | instskip(SKIP_1) | instid1(VALU_DEP_1)
	v_add_co_ci_u32_e64 v12, s3, s15, v4, s3
	v_add_co_u32 v13, s3, s14, v5
	v_add_co_ci_u32_e64 v14, s3, s15, v6, s3
	v_add_co_u32 v15, s3, s14, v9
	s_delay_alu instid0(VALU_DEP_1) | instskip(SKIP_1) | instid1(VALU_DEP_1)
	v_add_co_ci_u32_e64 v16, s3, s15, v10, s3
	v_add_co_u32 v17, s3, s14, v7
	v_add_co_ci_u32_e64 v18, s3, s15, v8, s3
	s_clause 0x3
	flat_load_u16 v37, v[11:12]
	flat_load_u16 v38, v[13:14]
	;; [unrolled: 1-line block ×4, first 2 shown]
	v_add_co_u32 v11, s3, v29, v1
	s_delay_alu instid0(VALU_DEP_1) | instskip(SKIP_1) | instid1(VALU_DEP_1)
	v_add_co_ci_u32_e64 v12, s3, v30, v2, s3
	v_add_co_u32 v13, s3, v33, v1
	v_add_co_ci_u32_e64 v14, s3, v34, v2, s3
	v_add_co_u32 v15, s3, v31, v1
	s_delay_alu instid0(VALU_DEP_1) | instskip(SKIP_1) | instid1(VALU_DEP_1)
	v_add_co_ci_u32_e64 v16, s3, v32, v2, s3
	v_add_co_u32 v17, s3, v27, v1
	v_add_co_ci_u32_e64 v18, s3, v28, v2, s3
	flat_load_u16 v41, v[11:12]
	flat_load_u16 v39, v[13:14]
	;; [unrolled: 1-line block ×4, first 2 shown]
	s_waitcnt vmcnt(7) lgkmcnt(7)
	v_lshlrev_b32_e32 v42, 16, v37
	s_waitcnt vmcnt(6) lgkmcnt(6)
	v_lshlrev_b32_e32 v40, 16, v38
	;; [unrolled: 2-line block ×4, first 2 shown]
	s_and_saveexec_b32 s3, s0
	s_cbranch_execz .LBB669_19
; %bb.23:                               ;   in Loop: Header=BB669_21 Depth=1
	flat_load_u16 v46, v[11:12] offset:64
	flat_load_u16 v45, v[13:14] offset:64
	flat_load_u16 v44, v[15:16] offset:64
	flat_load_u16 v43, v[17:18] offset:64
	s_and_saveexec_b32 s33, s1
	s_cbranch_execz .LBB669_18
; %bb.24:                               ;   in Loop: Header=BB669_21 Depth=1
	flat_load_u16 v50, v[11:12] offset:128
	flat_load_u16 v49, v[13:14] offset:128
	flat_load_u16 v48, v[15:16] offset:128
	flat_load_u16 v47, v[17:18] offset:128
	;; [unrolled: 7-line block ×3, first 2 shown]
	s_waitcnt vmcnt(3) lgkmcnt(3)
	v_lshlrev_b32_e32 v11, 16, v11
	s_waitcnt vmcnt(2) lgkmcnt(2)
	s_delay_alu instid0(VALU_DEP_1) | instskip(SKIP_2) | instid1(VALU_DEP_2)
	v_dual_fmac_f32 v25, v42, v11 :: v_dual_lshlrev_b32 v12, 16, v12
	s_waitcnt vmcnt(1) lgkmcnt(1)
	v_lshlrev_b32_e32 v11, 16, v13
	v_fmac_f32_e32 v25, v40, v12
	s_delay_alu instid0(VALU_DEP_1) | instskip(SKIP_2) | instid1(VALU_DEP_1)
	v_fmac_f32_e32 v25, v38, v11
	s_waitcnt vmcnt(0) lgkmcnt(0)
	v_lshlrev_b32_e32 v11, 16, v14
	v_fmac_f32_e32 v25, v37, v11
	s_branch .LBB669_17
.LBB669_26:
	s_or_b32 exec_lo, exec_lo, s31
.LBB669_27:
	s_delay_alu instid0(SALU_CYCLE_1) | instskip(SKIP_1) | instid1(SALU_CYCLE_1)
	s_or_b32 exec_lo, exec_lo, s30
	s_sub_i32 s0, s7, s29
	s_cmp_lt_i32 s0, 1
	s_cbranch_scc1 .LBB669_45
; %bb.28:
	v_cmp_gt_i32_e32 vcc_lo, s7, v26
	v_dual_mov_b32 v9, 0 :: v_dual_mov_b32 v10, 0
	v_or_b32_e32 v2, 1, v26
	v_dual_mov_b32 v11, 0 :: v_dual_mov_b32 v12, 0
	s_and_saveexec_b32 s1, vcc_lo
	s_cbranch_execz .LBB669_36
; %bb.29:
	v_mad_u64_u32 v[3:4], null, v26, s20, 0
	v_mov_b32_e32 v11, 0
	v_mov_b32_e32 v9, 0
	s_mov_b32 s2, exec_lo
	s_delay_alu instid0(VALU_DEP_3) | instskip(NEXT) | instid1(VALU_DEP_1)
	v_dual_mov_b32 v10, 0 :: v_dual_mov_b32 v1, v4
	v_mad_u64_u32 v[4:5], null, v26, s21, v[1:2]
	s_delay_alu instid0(VALU_DEP_1) | instskip(NEXT) | instid1(VALU_DEP_1)
	v_lshlrev_b64 v[3:4], 1, v[3:4]
	v_add_co_u32 v3, s0, s24, v3
	s_delay_alu instid0(VALU_DEP_1)
	v_add_co_ci_u32_e64 v4, s0, s25, v4, s0
	flat_load_u16 v1, v[3:4]
	v_cmpx_gt_i32_e64 s7, v2
	s_cbranch_execz .LBB669_35
; %bb.30:
	v_mad_u64_u32 v[3:4], null, v2, s20, 0
	v_mov_b32_e32 v10, 0
	s_mov_b32 s3, exec_lo
	v_mov_b32_e32 v9, 0
	s_delay_alu instid0(VALU_DEP_3) | instskip(NEXT) | instid1(VALU_DEP_1)
	v_mad_u64_u32 v[5:6], null, v2, s21, v[4:5]
	v_mov_b32_e32 v4, v5
	s_delay_alu instid0(VALU_DEP_1) | instskip(NEXT) | instid1(VALU_DEP_1)
	v_lshlrev_b64 v[3:4], 1, v[3:4]
	v_add_co_u32 v3, s0, s24, v3
	s_delay_alu instid0(VALU_DEP_1) | instskip(SKIP_2) | instid1(VALU_DEP_1)
	v_add_co_ci_u32_e64 v4, s0, s25, v4, s0
	flat_load_u16 v3, v[3:4]
	v_or_b32_e32 v4, 2, v26
	v_cmpx_gt_i32_e64 s7, v4
	s_cbranch_execz .LBB669_34
; %bb.31:
	v_mad_u64_u32 v[5:6], null, v4, s20, 0
	s_mov_b32 s4, exec_lo
	v_mov_b32_e32 v9, 0
	s_delay_alu instid0(VALU_DEP_2) | instskip(NEXT) | instid1(VALU_DEP_1)
	v_mad_u64_u32 v[7:8], null, v4, s21, v[6:7]
	v_mov_b32_e32 v6, v7
	s_delay_alu instid0(VALU_DEP_1) | instskip(NEXT) | instid1(VALU_DEP_1)
	v_lshlrev_b64 v[4:5], 1, v[5:6]
	v_add_co_u32 v4, s0, s24, v4
	s_delay_alu instid0(VALU_DEP_1) | instskip(SKIP_2) | instid1(VALU_DEP_1)
	v_add_co_ci_u32_e64 v5, s0, s25, v5, s0
	flat_load_u16 v4, v[4:5]
	v_or_b32_e32 v5, 3, v26
	v_cmpx_gt_i32_e64 s7, v5
	s_cbranch_execz .LBB669_33
; %bb.32:
	v_mad_u64_u32 v[6:7], null, v5, s20, 0
	s_delay_alu instid0(VALU_DEP_1) | instskip(NEXT) | instid1(VALU_DEP_1)
	v_mad_u64_u32 v[8:9], null, v5, s21, v[7:8]
	v_mov_b32_e32 v7, v8
	s_delay_alu instid0(VALU_DEP_1) | instskip(NEXT) | instid1(VALU_DEP_1)
	v_lshlrev_b64 v[5:6], 1, v[6:7]
	v_add_co_u32 v5, s0, s24, v5
	s_delay_alu instid0(VALU_DEP_1)
	v_add_co_ci_u32_e64 v6, s0, s25, v6, s0
	flat_load_u16 v5, v[5:6]
	s_waitcnt vmcnt(0) lgkmcnt(0)
	v_lshlrev_b32_e32 v9, 16, v5
.LBB669_33:
	s_or_b32 exec_lo, exec_lo, s4
	s_waitcnt vmcnt(0) lgkmcnt(0)
	v_lshlrev_b32_e32 v10, 16, v4
.LBB669_34:
	s_or_b32 exec_lo, exec_lo, s3
	s_waitcnt vmcnt(0) lgkmcnt(0)
	v_lshlrev_b32_e32 v11, 16, v3
.LBB669_35:
	s_or_b32 exec_lo, exec_lo, s2
	s_waitcnt vmcnt(0) lgkmcnt(0)
	v_lshlrev_b32_e32 v12, 16, v1
.LBB669_36:
	s_or_b32 exec_lo, exec_lo, s1
	s_delay_alu instid0(SALU_CYCLE_1)
	s_mov_b32 s1, exec_lo
	v_cmpx_gt_i32_e64 s6, v0
	s_cbranch_execz .LBB669_44
; %bb.37:
	v_mad_u64_u32 v[3:4], null, v26, s16, 0
	v_mad_u64_u32 v[5:6], null, v2, s16, 0
	v_ashrrev_i32_e32 v1, 31, v0
	v_or_b32_e32 v28, 2, v26
	v_or_b32_e32 v29, 3, v26
	v_cndmask_b32_e32 v3, 0, v3, vcc_lo
	s_delay_alu instid0(VALU_DEP_4)
	v_lshlrev_b64 v[13:14], 1, v[0:1]
	v_mad_u64_u32 v[7:8], null, v26, s17, v[4:5]
	v_mov_b32_e32 v1, v6
	v_mad_u64_u32 v[15:16], null, v28, s16, 0
	v_mad_u64_u32 v[17:18], null, v29, s16, 0
	v_cmp_gt_i32_e64 s0, s7, v28
	v_cndmask_b32_e32 v4, 0, v7, vcc_lo
	v_mad_u64_u32 v[6:7], null, v2, s17, v[1:2]
	v_cmp_gt_i32_e32 vcc_lo, s7, v2
	v_mov_b32_e32 v1, v16
	v_dual_mov_b32 v7, v18 :: v_dual_cndmask_b32 v2, 0, v5
	v_lshlrev_b64 v[4:5], 1, v[3:4]
	v_cndmask_b32_e32 v3, 0, v6, vcc_lo
	s_delay_alu instid0(VALU_DEP_3) | instskip(NEXT) | instid1(VALU_DEP_3)
	v_mad_u64_u32 v[26:27], null, v28, s17, v[1:2]
	v_add_co_u32 v1, vcc_lo, s18, v4
	s_delay_alu instid0(VALU_DEP_4) | instskip(NEXT) | instid1(VALU_DEP_4)
	v_add_co_ci_u32_e32 v5, vcc_lo, s19, v5, vcc_lo
	v_lshlrev_b64 v[3:4], 1, v[2:3]
	s_delay_alu instid0(VALU_DEP_3) | instskip(NEXT) | instid1(VALU_DEP_3)
	v_add_co_u32 v1, vcc_lo, v1, v13
	v_add_co_ci_u32_e32 v2, vcc_lo, v5, v14, vcc_lo
	v_cndmask_b32_e64 v5, 0, v15, s0
	s_delay_alu instid0(VALU_DEP_4) | instskip(SKIP_3) | instid1(VALU_DEP_4)
	v_add_co_u32 v3, vcc_lo, s18, v3
	v_add_co_ci_u32_e32 v4, vcc_lo, s19, v4, vcc_lo
	v_mad_u64_u32 v[15:16], null, v29, s17, v[7:8]
	v_cndmask_b32_e64 v6, 0, v26, s0
	v_add_co_u32 v3, s0, v3, v13
	v_cmp_gt_i32_e32 vcc_lo, s7, v29
	v_add_co_ci_u32_e64 v4, s0, v4, v14, s0
	s_delay_alu instid0(VALU_DEP_4)
	v_lshlrev_b64 v[5:6], 1, v[5:6]
	s_mov_b32 s0, exec_lo
	v_cndmask_b32_e32 v8, 0, v15, vcc_lo
	s_clause 0x1
	flat_load_u16 v15, v[1:2]
	flat_load_u16 v16, v[3:4]
	s_waitcnt vmcnt(1) lgkmcnt(1)
	v_lshlrev_b32_e32 v15, 16, v15
	s_waitcnt vmcnt(0) lgkmcnt(0)
	v_lshlrev_b32_e32 v16, 16, v16
	s_delay_alu instid0(VALU_DEP_2) | instskip(SKIP_2) | instid1(VALU_DEP_3)
	v_dual_fmac_f32 v22, v12, v15 :: v_dual_cndmask_b32 v7, 0, v17
	v_add_co_u32 v5, vcc_lo, s18, v5
	v_add_co_ci_u32_e32 v6, vcc_lo, s19, v6, vcc_lo
	v_fmac_f32_e32 v22, v11, v16
	s_delay_alu instid0(VALU_DEP_4) | instskip(SKIP_1) | instid1(VALU_DEP_2)
	v_lshlrev_b64 v[7:8], 1, v[7:8]
	v_add_nc_u32_e32 v16, 32, v0
	v_add_co_u32 v17, vcc_lo, s18, v7
	s_delay_alu instid0(VALU_DEP_3) | instskip(SKIP_2) | instid1(VALU_DEP_4)
	v_add_co_ci_u32_e32 v18, vcc_lo, s19, v8, vcc_lo
	v_add_co_u32 v7, vcc_lo, v5, v13
	v_add_co_ci_u32_e32 v8, vcc_lo, v6, v14, vcc_lo
	v_add_co_u32 v5, vcc_lo, v17, v13
	s_delay_alu instid0(VALU_DEP_4)
	v_add_co_ci_u32_e32 v6, vcc_lo, v18, v14, vcc_lo
	s_clause 0x1
	flat_load_u16 v13, v[7:8]
	flat_load_u16 v14, v[5:6]
	s_waitcnt vmcnt(1) lgkmcnt(1)
	v_lshlrev_b32_e32 v15, 16, v13
	s_waitcnt vmcnt(0) lgkmcnt(0)
	s_delay_alu instid0(VALU_DEP_1)
	v_dual_fmac_f32 v22, v10, v15 :: v_dual_lshlrev_b32 v13, 16, v14
	v_cmpx_gt_i32_e64 s6, v16
	s_cbranch_execz .LBB669_43
; %bb.38:
	s_clause 0x3
	flat_load_u16 v14, v[1:2] offset:64
	flat_load_u16 v15, v[3:4] offset:64
	;; [unrolled: 1-line block ×4, first 2 shown]
	s_mov_b32 s2, exec_lo
	s_waitcnt vmcnt(2) lgkmcnt(2)
	v_lshlrev_b32_e32 v15, 16, v15
	v_lshlrev_b32_e32 v14, 16, v14
	s_waitcnt vmcnt(1) lgkmcnt(1)
	s_delay_alu instid0(VALU_DEP_1) | instskip(NEXT) | instid1(VALU_DEP_1)
	v_dual_fmac_f32 v23, v12, v14 :: v_dual_lshlrev_b32 v16, 16, v16
	v_fmac_f32_e32 v23, v11, v15
	v_add_nc_u32_e32 v15, 64, v0
	s_waitcnt vmcnt(0) lgkmcnt(0)
	s_delay_alu instid0(VALU_DEP_2) | instskip(NEXT) | instid1(VALU_DEP_2)
	v_dual_fmac_f32 v23, v10, v16 :: v_dual_lshlrev_b32 v14, 16, v17
	v_cmpx_gt_i32_e64 s6, v15
	s_cbranch_execz .LBB669_42
; %bb.39:
	s_clause 0x3
	flat_load_u16 v15, v[1:2] offset:128
	flat_load_u16 v16, v[3:4] offset:128
	;; [unrolled: 1-line block ×4, first 2 shown]
	s_mov_b32 s3, exec_lo
	s_waitcnt vmcnt(2) lgkmcnt(2)
	v_lshlrev_b32_e32 v16, 16, v16
	v_lshlrev_b32_e32 v15, 16, v15
	s_waitcnt vmcnt(1) lgkmcnt(1)
	s_delay_alu instid0(VALU_DEP_1) | instskip(NEXT) | instid1(VALU_DEP_1)
	v_dual_fmac_f32 v24, v12, v15 :: v_dual_lshlrev_b32 v15, 16, v17
	v_fmac_f32_e32 v24, v11, v16
	v_add_nc_u32_e32 v16, 0x60, v0
	s_waitcnt vmcnt(0) lgkmcnt(0)
	v_lshlrev_b32_e32 v0, 16, v18
	s_delay_alu instid0(VALU_DEP_3) | instskip(NEXT) | instid1(VALU_DEP_3)
	v_fmac_f32_e32 v24, v10, v15
	v_cmpx_gt_i32_e64 s6, v16
	s_cbranch_execz .LBB669_41
; %bb.40:
	s_clause 0x3
	flat_load_u16 v1, v[1:2] offset:192
	flat_load_u16 v2, v[3:4] offset:192
	;; [unrolled: 1-line block ×4, first 2 shown]
	s_waitcnt vmcnt(3) lgkmcnt(3)
	v_lshlrev_b32_e32 v1, 16, v1
	s_waitcnt vmcnt(2) lgkmcnt(2)
	s_delay_alu instid0(VALU_DEP_1) | instskip(SKIP_2) | instid1(VALU_DEP_2)
	v_dual_fmac_f32 v25, v12, v1 :: v_dual_lshlrev_b32 v2, 16, v2
	s_waitcnt vmcnt(1) lgkmcnt(1)
	v_lshlrev_b32_e32 v1, 16, v3
	v_fmac_f32_e32 v25, v11, v2
	s_delay_alu instid0(VALU_DEP_1) | instskip(SKIP_2) | instid1(VALU_DEP_1)
	v_fmac_f32_e32 v25, v10, v1
	s_waitcnt vmcnt(0) lgkmcnt(0)
	v_lshlrev_b32_e32 v1, 16, v4
	v_fmac_f32_e32 v25, v9, v1
.LBB669_41:
	s_or_b32 exec_lo, exec_lo, s3
	s_delay_alu instid0(VALU_DEP_2)
	v_fmac_f32_e32 v24, v9, v0
.LBB669_42:
	s_or_b32 exec_lo, exec_lo, s2
	s_delay_alu instid0(VALU_DEP_2)
	v_fmac_f32_e32 v23, v9, v14
.LBB669_43:
	s_or_b32 exec_lo, exec_lo, s0
	s_delay_alu instid0(VALU_DEP_2)
	v_fmac_f32_e32 v22, v9, v13
.LBB669_44:
	s_or_b32 exec_lo, exec_lo, s1
.LBB669_45:
	v_lshlrev_b32_e32 v0, 7, v21
	s_mov_b32 s0, exec_lo
                                        ; implicit-def: $vgpr1
                                        ; implicit-def: $vgpr2_vgpr3
	s_delay_alu instid0(VALU_DEP_1)
	v_add_lshl_u32 v0, v0, v20, 2
	ds_store_2addr_b32 v0, v22, v23 offset1:32
	ds_store_2addr_b32 v0, v24, v25 offset0:64 offset1:96
	s_waitcnt lgkmcnt(0)
	s_barrier
	buffer_gl0_inv
	v_cmpx_gt_u32_e32 0x80, v19
	s_cbranch_execz .LBB669_51
; %bb.46:
	v_lshlrev_b32_e32 v6, 2, v19
	s_mov_b32 s2, s23
	s_mov_b32 s1, exec_lo
	ds_load_2addr_stride64_b32 v[0:1], v6 offset1:2
	ds_load_2addr_stride64_b32 v[2:3], v6 offset0:4 offset1:6
	ds_load_2addr_stride64_b32 v[4:5], v6 offset0:8 offset1:10
	s_waitcnt lgkmcnt(2)
	v_add_f32_e32 v7, v0, v1
	ds_load_2addr_stride64_b32 v[0:1], v6 offset0:12 offset1:14
	s_waitcnt lgkmcnt(2)
	v_add_f32_e32 v2, v2, v7
	s_delay_alu instid0(VALU_DEP_1) | instskip(SKIP_3) | instid1(VALU_DEP_1)
	v_add_f32_e32 v7, v3, v2
	ds_load_2addr_stride64_b32 v[2:3], v6 offset0:16 offset1:18
	s_waitcnt lgkmcnt(2)
	v_add_f32_e32 v4, v4, v7
	v_add_f32_e32 v7, v5, v4
	ds_load_2addr_stride64_b32 v[4:5], v6 offset0:20 offset1:22
	s_waitcnt lgkmcnt(2)
	v_add_f32_e32 v0, v0, v7
	s_delay_alu instid0(VALU_DEP_1) | instskip(SKIP_1) | instid1(VALU_DEP_1)
	v_add_f32_e32 v0, v1, v0
	s_waitcnt lgkmcnt(1)
	v_add_f32_e32 v2, v2, v0
	ds_load_2addr_stride64_b32 v[0:1], v6 offset0:24 offset1:26
	v_add_f32_e32 v2, v3, v2
	s_waitcnt lgkmcnt(1)
	s_delay_alu instid0(VALU_DEP_1) | instskip(SKIP_3) | instid1(VALU_DEP_1)
	v_add_f32_e32 v4, v4, v2
	ds_load_2addr_stride64_b32 v[2:3], v6 offset0:28 offset1:30
	v_add_f32_e32 v4, v5, v4
	s_waitcnt lgkmcnt(1)
	v_add_f32_e32 v0, v0, v4
	v_or_b32_e32 v4, s28, v19
	s_delay_alu instid0(VALU_DEP_2) | instskip(SKIP_1) | instid1(VALU_DEP_1)
	v_add_f32_e32 v0, v1, v0
                                        ; implicit-def: $vgpr1
	s_waitcnt lgkmcnt(0)
	v_add_f32_e32 v0, v2, v0
	s_delay_alu instid0(VALU_DEP_1)
	v_add_f32_e32 v0, v3, v0
                                        ; implicit-def: $vgpr2_vgpr3
	ds_store_b32 v6, v0
	v_cmpx_gt_i32_e64 s6, v4
	s_cbranch_execz .LBB669_50
; %bb.47:
	v_ashrrev_i32_e32 v1, 31, v4
	v_mul_lo_u32 v5, v4, s13
	v_mad_u64_u32 v[2:3], null, v4, s12, 0
	v_cmp_eq_f32_e64 s2, s26, 0
	s_delay_alu instid0(VALU_DEP_4) | instskip(SKIP_1) | instid1(VALU_DEP_3)
	v_mul_lo_u32 v4, v1, s12
	v_mul_f32_e32 v1, s27, v0
	s_and_b32 vcc_lo, exec_lo, s2
	s_delay_alu instid0(VALU_DEP_2)
	v_add3_u32 v3, v3, v5, v4
	s_cbranch_vccnz .LBB669_49
; %bb.48:
	s_delay_alu instid0(VALU_DEP_1) | instskip(NEXT) | instid1(VALU_DEP_1)
	v_lshlrev_b64 v[4:5], 2, v[2:3]
	v_add_co_u32 v4, vcc_lo, s5, v4
	s_delay_alu instid0(VALU_DEP_2)
	v_add_co_ci_u32_e32 v5, vcc_lo, s22, v5, vcc_lo
	global_load_b32 v0, v[4:5], off
	s_waitcnt vmcnt(0)
	v_fmac_f32_e32 v1, s26, v0
.LBB669_49:
	s_or_b32 s2, s23, exec_lo
.LBB669_50:
	s_or_b32 exec_lo, exec_lo, s1
	s_delay_alu instid0(SALU_CYCLE_1) | instskip(SKIP_1) | instid1(SALU_CYCLE_1)
	s_and_not1_b32 s1, s23, exec_lo
	s_and_b32 s2, s2, exec_lo
	s_or_b32 s23, s1, s2
.LBB669_51:
	s_or_b32 exec_lo, exec_lo, s0
.LBB669_52:
	s_and_saveexec_b32 s0, s23
	s_cbranch_execz .LBB669_54
; %bb.53:
	v_lshlrev_b64 v[2:3], 2, v[2:3]
	s_delay_alu instid0(VALU_DEP_1) | instskip(NEXT) | instid1(VALU_DEP_2)
	v_add_co_u32 v2, vcc_lo, s5, v2
	v_add_co_ci_u32_e32 v3, vcc_lo, s22, v3, vcc_lo
	global_store_b32 v[2:3], v1, off
.LBB669_54:
	s_nop 0
	s_sendmsg sendmsg(MSG_DEALLOC_VGPRS)
	s_endpgm
	.section	.rodata,"a",@progbits
	.p2align	6, 0x0
	.amdhsa_kernel _ZL20rocblas_gemvn_kernelILi32ELi16ElPK16rocblas_bfloat16PKfKPfEviiT3_lPKT2_lT1_lSA_lSB_lS7_lPT4_lSB_li
		.amdhsa_group_segment_fixed_size 8192
		.amdhsa_private_segment_fixed_size 0
		.amdhsa_kernarg_size 400
		.amdhsa_user_sgpr_count 14
		.amdhsa_user_sgpr_dispatch_ptr 0
		.amdhsa_user_sgpr_queue_ptr 0
		.amdhsa_user_sgpr_kernarg_segment_ptr 1
		.amdhsa_user_sgpr_dispatch_id 0
		.amdhsa_user_sgpr_private_segment_size 0
		.amdhsa_wavefront_size32 1
		.amdhsa_uses_dynamic_stack 0
		.amdhsa_enable_private_segment 0
		.amdhsa_system_sgpr_workgroup_id_x 1
		.amdhsa_system_sgpr_workgroup_id_y 0
		.amdhsa_system_sgpr_workgroup_id_z 1
		.amdhsa_system_sgpr_workgroup_info 0
		.amdhsa_system_vgpr_workitem_id 1
		.amdhsa_next_free_vgpr 51
		.amdhsa_next_free_sgpr 35
		.amdhsa_reserve_vcc 1
		.amdhsa_float_round_mode_32 0
		.amdhsa_float_round_mode_16_64 0
		.amdhsa_float_denorm_mode_32 3
		.amdhsa_float_denorm_mode_16_64 3
		.amdhsa_dx10_clamp 1
		.amdhsa_ieee_mode 1
		.amdhsa_fp16_overflow 0
		.amdhsa_workgroup_processor_mode 1
		.amdhsa_memory_ordered 1
		.amdhsa_forward_progress 0
		.amdhsa_shared_vgpr_count 0
		.amdhsa_exception_fp_ieee_invalid_op 0
		.amdhsa_exception_fp_denorm_src 0
		.amdhsa_exception_fp_ieee_div_zero 0
		.amdhsa_exception_fp_ieee_overflow 0
		.amdhsa_exception_fp_ieee_underflow 0
		.amdhsa_exception_fp_ieee_inexact 0
		.amdhsa_exception_int_div_zero 0
	.end_amdhsa_kernel
	.section	.text._ZL20rocblas_gemvn_kernelILi32ELi16ElPK16rocblas_bfloat16PKfKPfEviiT3_lPKT2_lT1_lSA_lSB_lS7_lPT4_lSB_li,"axG",@progbits,_ZL20rocblas_gemvn_kernelILi32ELi16ElPK16rocblas_bfloat16PKfKPfEviiT3_lPKT2_lT1_lSA_lSB_lS7_lPT4_lSB_li,comdat
.Lfunc_end669:
	.size	_ZL20rocblas_gemvn_kernelILi32ELi16ElPK16rocblas_bfloat16PKfKPfEviiT3_lPKT2_lT1_lSA_lSB_lS7_lPT4_lSB_li, .Lfunc_end669-_ZL20rocblas_gemvn_kernelILi32ELi16ElPK16rocblas_bfloat16PKfKPfEviiT3_lPKT2_lT1_lSA_lSB_lS7_lPT4_lSB_li
                                        ; -- End function
	.section	.AMDGPU.csdata,"",@progbits
; Kernel info:
; codeLenInByte = 3596
; NumSgprs: 37
; NumVgprs: 51
; ScratchSize: 0
; MemoryBound: 0
; FloatMode: 240
; IeeeMode: 1
; LDSByteSize: 8192 bytes/workgroup (compile time only)
; SGPRBlocks: 4
; VGPRBlocks: 6
; NumSGPRsForWavesPerEU: 37
; NumVGPRsForWavesPerEU: 51
; Occupancy: 16
; WaveLimiterHint : 1
; COMPUTE_PGM_RSRC2:SCRATCH_EN: 0
; COMPUTE_PGM_RSRC2:USER_SGPR: 14
; COMPUTE_PGM_RSRC2:TRAP_HANDLER: 0
; COMPUTE_PGM_RSRC2:TGID_X_EN: 1
; COMPUTE_PGM_RSRC2:TGID_Y_EN: 0
; COMPUTE_PGM_RSRC2:TGID_Z_EN: 1
; COMPUTE_PGM_RSRC2:TIDIG_COMP_CNT: 1
	.section	.text._ZL20rocblas_gemvn_kernelILi32ELi16EiPK16rocblas_bfloat16fKPfEviiT3_lPKT2_lT1_lS8_lS9_lS5_lPT4_lS9_li,"axG",@progbits,_ZL20rocblas_gemvn_kernelILi32ELi16EiPK16rocblas_bfloat16fKPfEviiT3_lPKT2_lT1_lS8_lS9_lS5_lPT4_lS9_li,comdat
	.globl	_ZL20rocblas_gemvn_kernelILi32ELi16EiPK16rocblas_bfloat16fKPfEviiT3_lPKT2_lT1_lS8_lS9_lS5_lPT4_lS9_li ; -- Begin function _ZL20rocblas_gemvn_kernelILi32ELi16EiPK16rocblas_bfloat16fKPfEviiT3_lPKT2_lT1_lS8_lS9_lS5_lPT4_lS9_li
	.p2align	8
	.type	_ZL20rocblas_gemvn_kernelILi32ELi16EiPK16rocblas_bfloat16fKPfEviiT3_lPKT2_lT1_lS8_lS9_lS5_lPT4_lS9_li,@function
_ZL20rocblas_gemvn_kernelILi32ELi16EiPK16rocblas_bfloat16fKPfEviiT3_lPKT2_lT1_lS8_lS9_lS5_lPT4_lS9_li: ; @_ZL20rocblas_gemvn_kernelILi32ELi16EiPK16rocblas_bfloat16fKPfEviiT3_lPKT2_lT1_lS8_lS9_lS5_lPT4_lS9_li
; %bb.0:
	s_load_b64 s[4:5], s[0:1], 0x9c
	s_waitcnt lgkmcnt(0)
	s_lshr_b32 s3, s4, 16
	s_and_b32 s4, s4, 0xffff
	s_and_b32 s5, s5, 0xffff
	s_mul_i32 s3, s3, s4
	s_delay_alu instid0(SALU_CYCLE_1) | instskip(NEXT) | instid1(SALU_CYCLE_1)
	s_mul_i32 s3, s3, s5
	s_cmpk_lg_i32 s3, 0x200
	s_cbranch_scc1 .LBB670_57
; %bb.1:
	s_load_b128 s[4:7], s[0:1], 0x0
	s_waitcnt lgkmcnt(0)
	s_load_b32 s7, s[0:1], 0x58
	v_cmp_eq_f32_e64 s12, s6, 0
	s_waitcnt lgkmcnt(0)
	v_cmp_eq_f32_e64 s3, s7, 1.0
	s_delay_alu instid0(VALU_DEP_1) | instskip(NEXT) | instid1(SALU_CYCLE_1)
	s_and_b32 s3, s12, s3
	s_and_b32 vcc_lo, exec_lo, s3
	s_cbranch_vccnz .LBB670_57
; %bb.2:
	v_cmp_neq_f32_e64 s10, s6, 0
	s_mov_b32 s2, s15
	s_delay_alu instid0(VALU_DEP_1)
	s_and_b32 vcc_lo, exec_lo, s10
	s_cbranch_vccnz .LBB670_4
; %bb.3:
	s_mov_b32 s3, 0
	s_mov_b64 s[8:9], 0
	s_cbranch_execz .LBB670_5
	s_branch .LBB670_6
.LBB670_4:
	s_mov_b32 s3, -1
                                        ; implicit-def: $sgpr8_sgpr9
.LBB670_5:
	s_load_b128 s[16:19], s[0:1], 0x18
	s_mov_b32 s3, 0
	s_delay_alu instid0(SALU_CYCLE_1)
	s_lshl_b64 s[8:9], s[2:3], 3
	s_waitcnt lgkmcnt(0)
	s_add_u32 s8, s16, s8
	s_addc_u32 s9, s17, s9
	s_lshl_b64 s[16:17], s[18:19], 1
	s_load_b64 s[8:9], s[8:9], 0x0
	s_waitcnt lgkmcnt(0)
	s_add_u32 s8, s8, s16
	s_addc_u32 s9, s9, s17
.LBB670_6:
	s_and_not1_b32 vcc_lo, exec_lo, s10
	s_cbranch_vccnz .LBB670_8
; %bb.7:
	s_load_b128 s[16:19], s[0:1], 0x38
	s_lshl_b64 s[10:11], s[2:3], 3
	s_waitcnt lgkmcnt(0)
	s_add_u32 s10, s16, s10
	s_addc_u32 s11, s17, s11
	s_lshl_b64 s[16:17], s[18:19], 1
	s_load_b64 s[10:11], s[10:11], 0x0
	s_waitcnt lgkmcnt(0)
	s_add_u32 s10, s10, s16
	s_addc_u32 s11, s11, s17
	s_branch .LBB670_9
.LBB670_8:
	s_mov_b64 s[10:11], 0
.LBB670_9:
	s_clause 0x1
	s_load_b128 s[20:23], s[0:1], 0x68
	s_load_b32 s16, s[0:1], 0x78
	s_lshl_b64 s[2:3], s[2:3], 3
	v_and_b32_e32 v1, 0x3ff, v0
	v_bfe_u32 v13, v0, 10, 10
	s_delay_alu instid0(VALU_DEP_1)
	v_lshl_add_u32 v0, v13, 5, v1
	s_waitcnt lgkmcnt(0)
	s_add_u32 s2, s20, s2
	s_addc_u32 s3, s21, s3
	s_lshl_b64 s[20:21], s[22:23], 2
	s_load_b64 s[18:19], s[2:3], 0x0
	v_cmp_gt_u32_e64 s2, 0x80, v0
	s_waitcnt lgkmcnt(0)
	s_add_u32 s13, s18, s20
	s_addc_u32 s15, s19, s21
	s_and_not1_b32 vcc_lo, exec_lo, s12
	s_cbranch_vccnz .LBB670_16
; %bb.10:
	s_mov_b32 s3, 0
	s_mov_b32 s17, 0
                                        ; implicit-def: $vgpr3
                                        ; implicit-def: $vgpr4_vgpr5
	s_and_saveexec_b32 s12, s2
	s_cbranch_execz .LBB670_17
; %bb.11:
	v_lshl_or_b32 v2, s14, 7, v0
	v_mov_b32_e32 v3, 0
	s_ashr_i32 s19, s4, 31
	s_mov_b32 s18, s4
	s_mov_b32 s2, exec_lo
                                        ; implicit-def: $vgpr4_vgpr5
	s_delay_alu instid0(VALU_DEP_1)
	v_cmpx_gt_i64_e64 s[18:19], v[2:3]
	s_cbranch_execz .LBB670_15
; %bb.12:
	v_mad_u64_u32 v[4:5], null, s16, v2, 0
	s_ashr_i32 s17, s16, 31
	s_delay_alu instid0(VALU_DEP_1) | instid1(SALU_CYCLE_1)
	v_mad_u64_u32 v[6:7], null, s17, v2, v[5:6]
	v_cmp_eq_f32_e64 s17, s7, 0
	s_delay_alu instid0(VALU_DEP_1) | instskip(NEXT) | instid1(VALU_DEP_2)
	s_and_b32 vcc_lo, exec_lo, s17
	v_mov_b32_e32 v5, v6
	s_cbranch_vccnz .LBB670_14
; %bb.13:
	s_delay_alu instid0(VALU_DEP_1) | instskip(NEXT) | instid1(VALU_DEP_1)
	v_lshlrev_b64 v[2:3], 2, v[4:5]
	v_add_co_u32 v2, vcc_lo, s13, v2
	s_delay_alu instid0(VALU_DEP_2)
	v_add_co_ci_u32_e32 v3, vcc_lo, s15, v3, vcc_lo
	global_load_b32 v2, v[2:3], off
	s_waitcnt vmcnt(0)
	v_mul_f32_e32 v3, s7, v2
.LBB670_14:
	s_mov_b32 s17, exec_lo
.LBB670_15:
	s_or_b32 exec_lo, exec_lo, s2
	s_delay_alu instid0(SALU_CYCLE_1) | instskip(SKIP_1) | instid1(SALU_CYCLE_1)
	s_and_b32 s17, s17, exec_lo
	s_or_b32 exec_lo, exec_lo, s12
	s_and_b32 vcc_lo, exec_lo, s3
	s_cbranch_vccnz .LBB670_18
	s_branch .LBB670_55
.LBB670_16:
	s_mov_b32 s17, 0
                                        ; implicit-def: $vgpr3
                                        ; implicit-def: $vgpr4_vgpr5
	s_cbranch_execnz .LBB670_18
	s_branch .LBB670_55
.LBB670_17:
	s_or_b32 exec_lo, exec_lo, s12
	s_delay_alu instid0(SALU_CYCLE_1)
	s_and_b32 vcc_lo, exec_lo, s3
	s_cbranch_vccz .LBB670_55
.LBB670_18:
	s_clause 0x1
	s_load_b32 s18, s[0:1], 0x28
	s_load_b32 s12, s[0:1], 0x48
	s_ashr_i32 s0, s5, 31
	s_lshl_b32 s14, s14, 7
	s_lshr_b32 s0, s0, 26
	v_dual_mov_b32 v14, 0 :: v_dual_lshlrev_b32 v19, 2, v13
	v_dual_mov_b32 v15, 0 :: v_dual_add_nc_u32 v18, s14, v1
	v_dual_mov_b32 v16, 0 :: v_dual_mov_b32 v17, 0
	s_add_i32 s19, s5, s0
	s_mov_b32 s20, exec_lo
	s_and_not1_b32 s19, s19, 63
	s_delay_alu instid0(SALU_CYCLE_1)
	v_cmpx_gt_i32_e64 s19, v19
	s_cbranch_execz .LBB670_30
; %bb.19:
	s_waitcnt lgkmcnt(0)
	v_mul_lo_u32 v3, s18, v19
	v_dual_mov_b32 v15, 0 :: v_dual_add_nc_u32 v2, 32, v18
	v_add_nc_u32_e32 v6, 2, v19
	v_dual_mov_b32 v14, 0 :: v_dual_add_nc_u32 v5, 0x60, v18
	s_delay_alu instid0(VALU_DEP_3)
	v_cmp_gt_i32_e64 s0, s4, v2
	v_dual_mov_b32 v17, 0 :: v_dual_add_nc_u32 v4, 64, v18
	v_add3_u32 v20, v3, s18, v1
	v_mad_u64_u32 v[2:3], null, s18, v6, v[1:2]
	v_cmp_gt_i32_e64 s2, s4, v5
	v_mul_lo_u32 v5, v13, s18
	v_dual_mov_b32 v16, 0 :: v_dual_add_nc_u32 v7, 3, v19
	v_mul_lo_u32 v8, v13, s12
	v_cmp_gt_i32_e64 s1, s4, v4
	v_mul_lo_u32 v22, s12, v6
	s_delay_alu instid0(VALU_DEP_4)
	v_mad_u64_u32 v[3:4], null, s18, v7, v[1:2]
	v_lshl_add_u32 v21, v5, 2, v1
	v_mad_u64_u32 v[4:5], null, s12, v19, s[12:13]
	v_mul_lo_u32 v23, s12, v7
	v_cmp_gt_i32_e32 vcc_lo, s4, v18
	v_lshlrev_b32_e32 v24, 2, v8
	s_lshl_b32 s21, s18, 6
	s_lshl_b32 s23, s12, 6
	s_mov_b32 s22, 0
	s_mov_b32 s24, 0
	s_branch .LBB670_24
.LBB670_20:                             ;   in Loop: Header=BB670_24 Depth=1
	s_or_b32 exec_lo, exec_lo, s27
	s_waitcnt vmcnt(2) lgkmcnt(2)
	v_lshlrev_b32_e32 v6, 16, v39
	v_lshlrev_b32_e32 v5, 16, v40
	s_waitcnt vmcnt(1) lgkmcnt(1)
	s_delay_alu instid0(VALU_DEP_1) | instskip(NEXT) | instid1(VALU_DEP_1)
	v_dual_fmac_f32 v16, v32, v5 :: v_dual_lshlrev_b32 v5, 16, v38
	v_fmac_f32_e32 v16, v30, v6
	s_delay_alu instid0(VALU_DEP_1) | instskip(SKIP_2) | instid1(VALU_DEP_1)
	v_fmac_f32_e32 v16, v28, v5
	s_waitcnt vmcnt(0) lgkmcnt(0)
	v_lshlrev_b32_e32 v5, 16, v37
	v_fmac_f32_e32 v16, v27, v5
.LBB670_21:                             ;   in Loop: Header=BB670_24 Depth=1
	s_or_b32 exec_lo, exec_lo, s26
	s_waitcnt vmcnt(3) lgkmcnt(3)
	v_lshlrev_b32_e32 v5, 16, v36
	s_waitcnt vmcnt(2) lgkmcnt(2)
	s_delay_alu instid0(VALU_DEP_1) | instskip(SKIP_2) | instid1(VALU_DEP_2)
	v_dual_fmac_f32 v15, v32, v5 :: v_dual_lshlrev_b32 v6, 16, v35
	s_waitcnt vmcnt(1) lgkmcnt(1)
	v_lshlrev_b32_e32 v5, 16, v34
	v_fmac_f32_e32 v15, v30, v6
	s_delay_alu instid0(VALU_DEP_1) | instskip(SKIP_2) | instid1(VALU_DEP_1)
	v_fmac_f32_e32 v15, v28, v5
	s_waitcnt vmcnt(0) lgkmcnt(0)
	v_lshlrev_b32_e32 v5, 16, v33
	v_fmac_f32_e32 v15, v27, v5
.LBB670_22:                             ;   in Loop: Header=BB670_24 Depth=1
	s_or_b32 exec_lo, exec_lo, s3
	s_waitcnt vmcnt(2) lgkmcnt(2)
	v_lshlrev_b32_e32 v6, 16, v29
	v_lshlrev_b32_e32 v5, 16, v31
	s_waitcnt vmcnt(1) lgkmcnt(1)
	s_delay_alu instid0(VALU_DEP_1) | instskip(NEXT) | instid1(VALU_DEP_1)
	v_dual_fmac_f32 v14, v32, v5 :: v_dual_lshlrev_b32 v5, 16, v26
	v_fmac_f32_e32 v14, v30, v6
	s_delay_alu instid0(VALU_DEP_1) | instskip(SKIP_2) | instid1(VALU_DEP_1)
	v_fmac_f32_e32 v14, v28, v5
	s_waitcnt vmcnt(0) lgkmcnt(0)
	v_lshlrev_b32_e32 v5, 16, v25
	v_fmac_f32_e32 v14, v27, v5
.LBB670_23:                             ;   in Loop: Header=BB670_24 Depth=1
	s_or_b32 exec_lo, exec_lo, s25
	v_add_nc_u32_e32 v19, 64, v19
	v_add_nc_u32_e32 v20, s21, v20
	;; [unrolled: 1-line block ×5, first 2 shown]
	v_cmp_le_i32_e64 s3, s19, v19
	s_add_i32 s24, s24, s23
	s_delay_alu instid0(VALU_DEP_1) | instskip(NEXT) | instid1(SALU_CYCLE_1)
	s_or_b32 s22, s3, s22
	s_and_not1_b32 exec_lo, exec_lo, s22
	s_cbranch_execz .LBB670_29
.LBB670_24:                             ; =>This Inner Loop Header: Depth=1
	s_and_saveexec_b32 s25, vcc_lo
	s_cbranch_execz .LBB670_23
; %bb.25:                               ;   in Loop: Header=BB670_24 Depth=1
	v_add_nc_u32_e32 v5, s24, v24
	v_add_nc_u32_e32 v7, s24, v4
	;; [unrolled: 1-line block ×5, first 2 shown]
	v_ashrrev_i32_e32 v6, 31, v5
	v_ashrrev_i32_e32 v8, 31, v7
	;; [unrolled: 1-line block ×4, first 2 shown]
	v_add_nc_u32_e32 v27, s14, v20
	v_lshlrev_b64 v[5:6], 1, v[5:6]
	v_lshlrev_b64 v[7:8], 1, v[7:8]
	;; [unrolled: 1-line block ×4, first 2 shown]
	v_ashrrev_i32_e32 v26, 31, v25
	v_ashrrev_i32_e32 v28, 31, v27
	v_add_co_u32 v5, s3, s10, v5
	s_delay_alu instid0(VALU_DEP_1) | instskip(SKIP_1) | instid1(VALU_DEP_1)
	v_add_co_ci_u32_e64 v6, s3, s11, v6, s3
	v_add_co_u32 v7, s3, s10, v7
	v_add_co_ci_u32_e64 v8, s3, s11, v8, s3
	v_add_co_u32 v9, s3, s10, v9
	s_delay_alu instid0(VALU_DEP_1)
	v_add_co_ci_u32_e64 v10, s3, s11, v10, s3
	v_add_co_u32 v11, s3, s10, v11
	v_add_nc_u32_e32 v29, s14, v2
	v_add_co_ci_u32_e64 v12, s3, s11, v12, s3
	v_lshlrev_b64 v[25:26], 1, v[25:26]
	s_clause 0x3
	flat_load_u16 v32, v[5:6]
	flat_load_u16 v33, v[7:8]
	;; [unrolled: 1-line block ×4, first 2 shown]
	v_add_nc_u32_e32 v11, s14, v3
	v_lshlrev_b64 v[5:6], 1, v[27:28]
	v_ashrrev_i32_e32 v30, 31, v29
	v_add_co_u32 v7, s3, s8, v25
	s_delay_alu instid0(VALU_DEP_4) | instskip(SKIP_1) | instid1(VALU_DEP_4)
	v_ashrrev_i32_e32 v12, 31, v11
	v_add_co_ci_u32_e64 v8, s3, s9, v26, s3
	v_lshlrev_b64 v[25:26], 1, v[29:30]
	v_add_co_u32 v9, s3, s8, v5
	s_delay_alu instid0(VALU_DEP_1) | instskip(SKIP_1) | instid1(VALU_DEP_4)
	v_add_co_ci_u32_e64 v10, s3, s9, v6, s3
	v_lshlrev_b64 v[5:6], 1, v[11:12]
	v_add_co_u32 v11, s3, s8, v25
	s_delay_alu instid0(VALU_DEP_1) | instskip(NEXT) | instid1(VALU_DEP_3)
	v_add_co_ci_u32_e64 v12, s3, s9, v26, s3
	v_add_co_u32 v5, s3, s8, v5
	s_delay_alu instid0(VALU_DEP_1)
	v_add_co_ci_u32_e64 v6, s3, s9, v6, s3
	s_clause 0x3
	flat_load_u16 v31, v[7:8]
	flat_load_u16 v29, v[9:10]
	;; [unrolled: 1-line block ×4, first 2 shown]
	s_waitcnt vmcnt(7) lgkmcnt(7)
	v_lshlrev_b32_e32 v32, 16, v32
	s_waitcnt vmcnt(6) lgkmcnt(6)
	v_lshlrev_b32_e32 v30, 16, v33
	;; [unrolled: 2-line block ×4, first 2 shown]
	s_and_saveexec_b32 s3, s0
	s_cbranch_execz .LBB670_22
; %bb.26:                               ;   in Loop: Header=BB670_24 Depth=1
	s_clause 0x3
	flat_load_u16 v36, v[7:8] offset:64
	flat_load_u16 v35, v[9:10] offset:64
	flat_load_u16 v34, v[11:12] offset:64
	flat_load_u16 v33, v[5:6] offset:64
	s_and_saveexec_b32 s26, s1
	s_cbranch_execz .LBB670_21
; %bb.27:                               ;   in Loop: Header=BB670_24 Depth=1
	s_clause 0x3
	flat_load_u16 v40, v[7:8] offset:128
	flat_load_u16 v39, v[9:10] offset:128
	flat_load_u16 v38, v[11:12] offset:128
	flat_load_u16 v37, v[5:6] offset:128
	;; [unrolled: 8-line block ×3, first 2 shown]
	s_waitcnt vmcnt(0) lgkmcnt(0)
	v_lshlrev_b32_e32 v5, 16, v5
	v_lshlrev_b32_e32 v6, 16, v7
	;; [unrolled: 1-line block ×3, first 2 shown]
	s_delay_alu instid0(VALU_DEP_2) | instskip(NEXT) | instid1(VALU_DEP_1)
	v_dual_fmac_f32 v17, v32, v6 :: v_dual_lshlrev_b32 v6, 16, v9
	v_fmac_f32_e32 v17, v30, v7
	s_delay_alu instid0(VALU_DEP_1) | instskip(NEXT) | instid1(VALU_DEP_1)
	v_fmac_f32_e32 v17, v28, v6
	v_fmac_f32_e32 v17, v27, v5
	s_branch .LBB670_20
.LBB670_29:
	s_or_b32 exec_lo, exec_lo, s22
.LBB670_30:
	s_delay_alu instid0(SALU_CYCLE_1) | instskip(SKIP_1) | instid1(SALU_CYCLE_1)
	s_or_b32 exec_lo, exec_lo, s20
	s_sub_i32 s0, s5, s19
	s_cmp_lt_i32 s0, 1
	s_cbranch_scc1 .LBB670_48
; %bb.31:
	v_cmp_gt_i32_e32 vcc_lo, s5, v19
	v_dual_mov_b32 v10, 0 :: v_dual_mov_b32 v11, 0
	v_or_b32_e32 v2, 1, v19
	v_mov_b32_e32 v12, 0
	v_mov_b32_e32 v20, 0
	s_and_saveexec_b32 s1, vcc_lo
	s_cbranch_execz .LBB670_39
; %bb.32:
	s_waitcnt lgkmcnt(0)
	v_mul_lo_u32 v3, v19, s12
	v_dual_mov_b32 v12, 0 :: v_dual_mov_b32 v11, 0
	v_mov_b32_e32 v10, 0
	s_mov_b32 s2, exec_lo
	s_delay_alu instid0(VALU_DEP_3) | instskip(NEXT) | instid1(VALU_DEP_1)
	v_ashrrev_i32_e32 v4, 31, v3
	v_lshlrev_b64 v[3:4], 1, v[3:4]
	s_delay_alu instid0(VALU_DEP_1) | instskip(NEXT) | instid1(VALU_DEP_1)
	v_add_co_u32 v3, s0, s10, v3
	v_add_co_ci_u32_e64 v4, s0, s11, v4, s0
	flat_load_u16 v3, v[3:4]
	v_cmpx_gt_i32_e64 s5, v2
	s_cbranch_execz .LBB670_38
; %bb.33:
	v_mul_lo_u32 v4, v2, s12
	v_dual_mov_b32 v11, 0 :: v_dual_mov_b32 v10, 0
	s_mov_b32 s3, exec_lo
	s_delay_alu instid0(VALU_DEP_2) | instskip(NEXT) | instid1(VALU_DEP_1)
	v_ashrrev_i32_e32 v5, 31, v4
	v_lshlrev_b64 v[4:5], 1, v[4:5]
	s_delay_alu instid0(VALU_DEP_1) | instskip(NEXT) | instid1(VALU_DEP_1)
	v_add_co_u32 v4, s0, s10, v4
	v_add_co_ci_u32_e64 v5, s0, s11, v5, s0
	flat_load_u16 v4, v[4:5]
	v_or_b32_e32 v5, 2, v19
	s_delay_alu instid0(VALU_DEP_1)
	v_cmpx_gt_i32_e64 s5, v5
	s_cbranch_execz .LBB670_37
; %bb.34:
	v_mul_lo_u32 v5, v5, s12
	v_mov_b32_e32 v10, 0
	s_mov_b32 s19, exec_lo
	s_delay_alu instid0(VALU_DEP_2) | instskip(NEXT) | instid1(VALU_DEP_1)
	v_ashrrev_i32_e32 v6, 31, v5
	v_lshlrev_b64 v[5:6], 1, v[5:6]
	s_delay_alu instid0(VALU_DEP_1) | instskip(NEXT) | instid1(VALU_DEP_1)
	v_add_co_u32 v5, s0, s10, v5
	v_add_co_ci_u32_e64 v6, s0, s11, v6, s0
	flat_load_u16 v5, v[5:6]
	v_or_b32_e32 v6, 3, v19
	s_delay_alu instid0(VALU_DEP_1)
	v_cmpx_gt_i32_e64 s5, v6
	s_cbranch_execz .LBB670_36
; %bb.35:
	v_mul_lo_u32 v6, v6, s12
	s_delay_alu instid0(VALU_DEP_1) | instskip(NEXT) | instid1(VALU_DEP_1)
	v_ashrrev_i32_e32 v7, 31, v6
	v_lshlrev_b64 v[6:7], 1, v[6:7]
	s_delay_alu instid0(VALU_DEP_1) | instskip(NEXT) | instid1(VALU_DEP_1)
	v_add_co_u32 v6, s0, s10, v6
	v_add_co_ci_u32_e64 v7, s0, s11, v7, s0
	flat_load_u16 v6, v[6:7]
	s_waitcnt vmcnt(0) lgkmcnt(0)
	v_lshlrev_b32_e32 v10, 16, v6
.LBB670_36:
	s_or_b32 exec_lo, exec_lo, s19
	s_waitcnt vmcnt(0) lgkmcnt(0)
	v_lshlrev_b32_e32 v11, 16, v5
.LBB670_37:
	s_or_b32 exec_lo, exec_lo, s3
	s_waitcnt vmcnt(0) lgkmcnt(0)
	v_lshlrev_b32_e32 v12, 16, v4
.LBB670_38:
	s_or_b32 exec_lo, exec_lo, s2
	s_waitcnt vmcnt(0) lgkmcnt(0)
	v_lshlrev_b32_e32 v20, 16, v3
.LBB670_39:
	s_or_b32 exec_lo, exec_lo, s1
	s_delay_alu instid0(SALU_CYCLE_1)
	s_mov_b32 s1, exec_lo
	v_cmpx_gt_i32_e64 s4, v18
	s_cbranch_execz .LBB670_47
; %bb.40:
	s_waitcnt lgkmcnt(0)
	v_mul_lo_u32 v3, v19, s18
	v_mul_lo_u32 v4, v2, s18
	v_or_b32_e32 v5, 2, v19
	v_or_b32_e32 v6, 3, v19
	s_mov_b32 s0, exec_lo
	s_delay_alu instid0(VALU_DEP_2)
	v_mul_lo_u32 v7, v5, s18
	v_cndmask_b32_e32 v3, 0, v3, vcc_lo
	v_cmp_gt_i32_e32 vcc_lo, s5, v2
	v_mul_lo_u32 v8, v6, s18
	v_cndmask_b32_e32 v4, 0, v4, vcc_lo
	v_cmp_gt_i32_e32 vcc_lo, s5, v5
	v_add_nc_u32_e32 v2, v3, v18
	s_delay_alu instid0(VALU_DEP_3) | instskip(NEXT) | instid1(VALU_DEP_2)
	v_dual_cndmask_b32 v7, 0, v7 :: v_dual_add_nc_u32 v4, v4, v18
	v_ashrrev_i32_e32 v3, 31, v2
	v_cmp_gt_i32_e32 vcc_lo, s5, v6
	s_delay_alu instid0(VALU_DEP_3) | instskip(NEXT) | instid1(VALU_DEP_4)
	v_ashrrev_i32_e32 v5, 31, v4
	v_add_nc_u32_e32 v6, v7, v18
	s_delay_alu instid0(VALU_DEP_4) | instskip(SKIP_1) | instid1(VALU_DEP_4)
	v_lshlrev_b64 v[2:3], 1, v[2:3]
	v_cndmask_b32_e32 v8, 0, v8, vcc_lo
	v_lshlrev_b64 v[21:22], 1, v[4:5]
	s_delay_alu instid0(VALU_DEP_4) | instskip(NEXT) | instid1(VALU_DEP_4)
	v_ashrrev_i32_e32 v7, 31, v6
	v_add_co_u32 v4, vcc_lo, s8, v2
	v_add_co_ci_u32_e32 v5, vcc_lo, s9, v3, vcc_lo
	s_delay_alu instid0(VALU_DEP_4)
	v_add_co_u32 v2, vcc_lo, s8, v21
	v_add_co_ci_u32_e32 v3, vcc_lo, s9, v22, vcc_lo
	s_clause 0x1
	flat_load_u16 v19, v[4:5]
	flat_load_u16 v23, v[2:3]
	v_lshlrev_b64 v[6:7], 1, v[6:7]
	s_waitcnt vmcnt(1) lgkmcnt(1)
	v_lshlrev_b32_e32 v19, 16, v19
	v_add_nc_u32_e32 v8, v8, v18
	s_delay_alu instid0(VALU_DEP_1) | instskip(NEXT) | instid1(VALU_DEP_1)
	v_ashrrev_i32_e32 v9, 31, v8
	v_lshlrev_b64 v[21:22], 1, v[8:9]
	v_add_co_u32 v8, vcc_lo, s8, v6
	v_add_co_ci_u32_e32 v9, vcc_lo, s9, v7, vcc_lo
	s_delay_alu instid0(VALU_DEP_3) | instskip(NEXT) | instid1(VALU_DEP_4)
	v_add_co_u32 v6, vcc_lo, s8, v21
	v_add_co_ci_u32_e32 v7, vcc_lo, s9, v22, vcc_lo
	s_clause 0x1
	flat_load_u16 v21, v[8:9]
	flat_load_u16 v22, v[6:7]
	s_waitcnt vmcnt(1) lgkmcnt(1)
	v_dual_fmac_f32 v14, v20, v19 :: v_dual_lshlrev_b32 v21, 16, v21
	v_lshlrev_b32_e32 v23, 16, v23
	s_waitcnt vmcnt(0) lgkmcnt(0)
	s_delay_alu instid0(VALU_DEP_1) | instskip(NEXT) | instid1(VALU_DEP_1)
	v_dual_fmac_f32 v14, v12, v23 :: v_dual_lshlrev_b32 v19, 16, v22
	v_dual_fmac_f32 v14, v11, v21 :: v_dual_add_nc_u32 v23, 32, v18
	s_delay_alu instid0(VALU_DEP_1)
	v_cmpx_gt_i32_e64 s4, v23
	s_cbranch_execz .LBB670_46
; %bb.41:
	s_clause 0x3
	flat_load_u16 v21, v[4:5] offset:64
	flat_load_u16 v22, v[2:3] offset:64
	;; [unrolled: 1-line block ×4, first 2 shown]
	s_mov_b32 s2, exec_lo
	s_waitcnt vmcnt(3) lgkmcnt(3)
	v_lshlrev_b32_e32 v21, 16, v21
	s_waitcnt vmcnt(2) lgkmcnt(2)
	v_lshlrev_b32_e32 v22, 16, v22
	;; [unrolled: 2-line block ×3, first 2 shown]
	v_fmac_f32_e32 v15, v20, v21
	s_waitcnt vmcnt(0) lgkmcnt(0)
	v_lshlrev_b32_e32 v21, 16, v24
	s_delay_alu instid0(VALU_DEP_2) | instskip(NEXT) | instid1(VALU_DEP_1)
	v_fmac_f32_e32 v15, v12, v22
	v_dual_fmac_f32 v15, v11, v23 :: v_dual_add_nc_u32 v22, 64, v18
	s_delay_alu instid0(VALU_DEP_1)
	v_cmpx_gt_i32_e64 s4, v22
	s_cbranch_execz .LBB670_45
; %bb.42:
	s_clause 0x3
	flat_load_u16 v22, v[4:5] offset:128
	flat_load_u16 v23, v[2:3] offset:128
	flat_load_u16 v24, v[8:9] offset:128
	flat_load_u16 v25, v[6:7] offset:128
	s_mov_b32 s3, exec_lo
	s_waitcnt vmcnt(3) lgkmcnt(3)
	v_lshlrev_b32_e32 v22, 16, v22
	s_waitcnt vmcnt(2) lgkmcnt(2)
	s_delay_alu instid0(VALU_DEP_1) | instskip(SKIP_2) | instid1(VALU_DEP_2)
	v_dual_fmac_f32 v16, v20, v22 :: v_dual_lshlrev_b32 v23, 16, v23
	s_waitcnt vmcnt(1) lgkmcnt(1)
	v_lshlrev_b32_e32 v22, 16, v24
	v_dual_fmac_f32 v16, v12, v23 :: v_dual_add_nc_u32 v23, 0x60, v18
	s_waitcnt vmcnt(0) lgkmcnt(0)
	v_lshlrev_b32_e32 v18, 16, v25
	s_delay_alu instid0(VALU_DEP_2) | instskip(NEXT) | instid1(VALU_DEP_3)
	v_fmac_f32_e32 v16, v11, v22
	v_cmpx_gt_i32_e64 s4, v23
	s_cbranch_execz .LBB670_44
; %bb.43:
	s_clause 0x3
	flat_load_u16 v4, v[4:5] offset:192
	flat_load_u16 v2, v[2:3] offset:192
	;; [unrolled: 1-line block ×4, first 2 shown]
	s_waitcnt vmcnt(2) lgkmcnt(2)
	v_lshlrev_b32_e32 v2, 16, v2
	v_lshlrev_b32_e32 v4, 16, v4
	s_waitcnt vmcnt(1) lgkmcnt(1)
	v_lshlrev_b32_e32 v3, 16, v3
	s_delay_alu instid0(VALU_DEP_2) | instskip(SKIP_1) | instid1(VALU_DEP_1)
	v_fmac_f32_e32 v17, v20, v4
	s_waitcnt vmcnt(0) lgkmcnt(0)
	v_dual_fmac_f32 v17, v12, v2 :: v_dual_lshlrev_b32 v2, 16, v5
	s_delay_alu instid0(VALU_DEP_1) | instskip(NEXT) | instid1(VALU_DEP_1)
	v_fmac_f32_e32 v17, v11, v3
	v_fmac_f32_e32 v17, v10, v2
.LBB670_44:
	s_or_b32 exec_lo, exec_lo, s3
	s_delay_alu instid0(VALU_DEP_2)
	v_fmac_f32_e32 v16, v10, v18
.LBB670_45:
	s_or_b32 exec_lo, exec_lo, s2
	s_delay_alu instid0(VALU_DEP_2)
	v_fmac_f32_e32 v15, v10, v21
.LBB670_46:
	s_or_b32 exec_lo, exec_lo, s0
	s_delay_alu instid0(VALU_DEP_2)
	v_fmac_f32_e32 v14, v10, v19
.LBB670_47:
	s_or_b32 exec_lo, exec_lo, s1
.LBB670_48:
	v_lshlrev_b32_e32 v2, 7, v13
	s_mov_b32 s0, exec_lo
                                        ; implicit-def: $vgpr3
                                        ; implicit-def: $vgpr4_vgpr5
	s_delay_alu instid0(VALU_DEP_1)
	v_add_lshl_u32 v1, v2, v1, 2
	ds_store_2addr_b32 v1, v14, v15 offset1:32
	ds_store_2addr_b32 v1, v16, v17 offset0:64 offset1:96
	s_waitcnt lgkmcnt(0)
	s_barrier
	buffer_gl0_inv
	v_cmpx_gt_u32_e32 0x80, v0
	s_cbranch_execz .LBB670_54
; %bb.49:
	v_lshlrev_b32_e32 v7, 2, v0
	s_mov_b32 s2, s17
	s_mov_b32 s1, exec_lo
	ds_load_2addr_stride64_b32 v[1:2], v7 offset1:2
	ds_load_2addr_stride64_b32 v[3:4], v7 offset0:4 offset1:6
	ds_load_2addr_stride64_b32 v[5:6], v7 offset0:8 offset1:10
	s_waitcnt lgkmcnt(2)
	v_add_f32_e32 v8, v1, v2
	ds_load_2addr_stride64_b32 v[1:2], v7 offset0:12 offset1:14
	s_waitcnt lgkmcnt(2)
	v_add_f32_e32 v3, v3, v8
	s_delay_alu instid0(VALU_DEP_1) | instskip(SKIP_3) | instid1(VALU_DEP_1)
	v_add_f32_e32 v8, v4, v3
	ds_load_2addr_stride64_b32 v[3:4], v7 offset0:16 offset1:18
	s_waitcnt lgkmcnt(2)
	v_add_f32_e32 v5, v5, v8
	v_add_f32_e32 v8, v6, v5
	ds_load_2addr_stride64_b32 v[5:6], v7 offset0:20 offset1:22
	s_waitcnt lgkmcnt(2)
	v_add_f32_e32 v1, v1, v8
	s_delay_alu instid0(VALU_DEP_1) | instskip(SKIP_1) | instid1(VALU_DEP_1)
	v_add_f32_e32 v1, v2, v1
	s_waitcnt lgkmcnt(1)
	v_add_f32_e32 v3, v3, v1
	ds_load_2addr_stride64_b32 v[1:2], v7 offset0:24 offset1:26
	v_add_f32_e32 v3, v4, v3
	s_waitcnt lgkmcnt(1)
	s_delay_alu instid0(VALU_DEP_1) | instskip(SKIP_3) | instid1(VALU_DEP_1)
	v_add_f32_e32 v5, v5, v3
	ds_load_2addr_stride64_b32 v[3:4], v7 offset0:28 offset1:30
	v_add_f32_e32 v5, v6, v5
	s_waitcnt lgkmcnt(1)
	v_add_f32_e32 v1, v1, v5
	s_delay_alu instid0(VALU_DEP_1) | instskip(SKIP_1) | instid1(VALU_DEP_1)
	v_add_f32_e32 v1, v2, v1
	s_waitcnt lgkmcnt(0)
	v_add_f32_e32 v2, v3, v1
	v_or_b32_e32 v1, s14, v0
                                        ; implicit-def: $vgpr3
	s_delay_alu instid0(VALU_DEP_2)
	v_add_f32_e32 v0, v4, v2
                                        ; implicit-def: $vgpr4_vgpr5
	ds_store_b32 v7, v0
	v_cmpx_gt_i32_e64 s4, v1
	s_cbranch_execz .LBB670_53
; %bb.50:
	v_mul_lo_u32 v4, v1, s16
	v_cmp_eq_f32_e64 s2, s7, 0
	v_mul_f32_e32 v3, s6, v0
	s_delay_alu instid0(VALU_DEP_2) | instskip(NEXT) | instid1(VALU_DEP_3)
	s_and_b32 vcc_lo, exec_lo, s2
	v_ashrrev_i32_e32 v5, 31, v4
	s_cbranch_vccnz .LBB670_52
; %bb.51:
	s_delay_alu instid0(VALU_DEP_1) | instskip(NEXT) | instid1(VALU_DEP_1)
	v_lshlrev_b64 v[0:1], 2, v[4:5]
	v_add_co_u32 v0, vcc_lo, s13, v0
	s_delay_alu instid0(VALU_DEP_2)
	v_add_co_ci_u32_e32 v1, vcc_lo, s15, v1, vcc_lo
	global_load_b32 v0, v[0:1], off
	s_waitcnt vmcnt(0)
	v_fmac_f32_e32 v3, s7, v0
.LBB670_52:
	s_or_b32 s2, s17, exec_lo
.LBB670_53:
	s_or_b32 exec_lo, exec_lo, s1
	s_delay_alu instid0(SALU_CYCLE_1) | instskip(SKIP_1) | instid1(SALU_CYCLE_1)
	s_and_not1_b32 s1, s17, exec_lo
	s_and_b32 s2, s2, exec_lo
	s_or_b32 s17, s1, s2
.LBB670_54:
	s_or_b32 exec_lo, exec_lo, s0
.LBB670_55:
	s_and_saveexec_b32 s0, s17
	s_cbranch_execz .LBB670_57
; %bb.56:
	v_lshlrev_b64 v[0:1], 2, v[4:5]
	s_delay_alu instid0(VALU_DEP_1) | instskip(NEXT) | instid1(VALU_DEP_2)
	v_add_co_u32 v0, vcc_lo, s13, v0
	v_add_co_ci_u32_e32 v1, vcc_lo, s15, v1, vcc_lo
	global_store_b32 v[0:1], v3, off
.LBB670_57:
	s_nop 0
	s_sendmsg sendmsg(MSG_DEALLOC_VGPRS)
	s_endpgm
	.section	.rodata,"a",@progbits
	.p2align	6, 0x0
	.amdhsa_kernel _ZL20rocblas_gemvn_kernelILi32ELi16EiPK16rocblas_bfloat16fKPfEviiT3_lPKT2_lT1_lS8_lS9_lS5_lPT4_lS9_li
		.amdhsa_group_segment_fixed_size 8192
		.amdhsa_private_segment_fixed_size 0
		.amdhsa_kernarg_size 400
		.amdhsa_user_sgpr_count 14
		.amdhsa_user_sgpr_dispatch_ptr 0
		.amdhsa_user_sgpr_queue_ptr 0
		.amdhsa_user_sgpr_kernarg_segment_ptr 1
		.amdhsa_user_sgpr_dispatch_id 0
		.amdhsa_user_sgpr_private_segment_size 0
		.amdhsa_wavefront_size32 1
		.amdhsa_uses_dynamic_stack 0
		.amdhsa_enable_private_segment 0
		.amdhsa_system_sgpr_workgroup_id_x 1
		.amdhsa_system_sgpr_workgroup_id_y 0
		.amdhsa_system_sgpr_workgroup_id_z 1
		.amdhsa_system_sgpr_workgroup_info 0
		.amdhsa_system_vgpr_workitem_id 1
		.amdhsa_next_free_vgpr 41
		.amdhsa_next_free_sgpr 28
		.amdhsa_reserve_vcc 1
		.amdhsa_float_round_mode_32 0
		.amdhsa_float_round_mode_16_64 0
		.amdhsa_float_denorm_mode_32 3
		.amdhsa_float_denorm_mode_16_64 3
		.amdhsa_dx10_clamp 1
		.amdhsa_ieee_mode 1
		.amdhsa_fp16_overflow 0
		.amdhsa_workgroup_processor_mode 1
		.amdhsa_memory_ordered 1
		.amdhsa_forward_progress 0
		.amdhsa_shared_vgpr_count 0
		.amdhsa_exception_fp_ieee_invalid_op 0
		.amdhsa_exception_fp_denorm_src 0
		.amdhsa_exception_fp_ieee_div_zero 0
		.amdhsa_exception_fp_ieee_overflow 0
		.amdhsa_exception_fp_ieee_underflow 0
		.amdhsa_exception_fp_ieee_inexact 0
		.amdhsa_exception_int_div_zero 0
	.end_amdhsa_kernel
	.section	.text._ZL20rocblas_gemvn_kernelILi32ELi16EiPK16rocblas_bfloat16fKPfEviiT3_lPKT2_lT1_lS8_lS9_lS5_lPT4_lS9_li,"axG",@progbits,_ZL20rocblas_gemvn_kernelILi32ELi16EiPK16rocblas_bfloat16fKPfEviiT3_lPKT2_lT1_lS8_lS9_lS5_lPT4_lS9_li,comdat
.Lfunc_end670:
	.size	_ZL20rocblas_gemvn_kernelILi32ELi16EiPK16rocblas_bfloat16fKPfEviiT3_lPKT2_lT1_lS8_lS9_lS5_lPT4_lS9_li, .Lfunc_end670-_ZL20rocblas_gemvn_kernelILi32ELi16EiPK16rocblas_bfloat16fKPfEviiT3_lPKT2_lT1_lS8_lS9_lS5_lPT4_lS9_li
                                        ; -- End function
	.section	.AMDGPU.csdata,"",@progbits
; Kernel info:
; codeLenInByte = 3184
; NumSgprs: 30
; NumVgprs: 41
; ScratchSize: 0
; MemoryBound: 0
; FloatMode: 240
; IeeeMode: 1
; LDSByteSize: 8192 bytes/workgroup (compile time only)
; SGPRBlocks: 3
; VGPRBlocks: 5
; NumSGPRsForWavesPerEU: 30
; NumVGPRsForWavesPerEU: 41
; Occupancy: 16
; WaveLimiterHint : 1
; COMPUTE_PGM_RSRC2:SCRATCH_EN: 0
; COMPUTE_PGM_RSRC2:USER_SGPR: 14
; COMPUTE_PGM_RSRC2:TRAP_HANDLER: 0
; COMPUTE_PGM_RSRC2:TGID_X_EN: 1
; COMPUTE_PGM_RSRC2:TGID_Y_EN: 0
; COMPUTE_PGM_RSRC2:TGID_Z_EN: 1
; COMPUTE_PGM_RSRC2:TIDIG_COMP_CNT: 1
	.section	.text._ZL20rocblas_gemvn_kernelILi32ELi16ElPK16rocblas_bfloat16fKPfEviiT3_lPKT2_lT1_lS8_lS9_lS5_lPT4_lS9_li,"axG",@progbits,_ZL20rocblas_gemvn_kernelILi32ELi16ElPK16rocblas_bfloat16fKPfEviiT3_lPKT2_lT1_lS8_lS9_lS5_lPT4_lS9_li,comdat
	.globl	_ZL20rocblas_gemvn_kernelILi32ELi16ElPK16rocblas_bfloat16fKPfEviiT3_lPKT2_lT1_lS8_lS9_lS5_lPT4_lS9_li ; -- Begin function _ZL20rocblas_gemvn_kernelILi32ELi16ElPK16rocblas_bfloat16fKPfEviiT3_lPKT2_lT1_lS8_lS9_lS5_lPT4_lS9_li
	.p2align	8
	.type	_ZL20rocblas_gemvn_kernelILi32ELi16ElPK16rocblas_bfloat16fKPfEviiT3_lPKT2_lT1_lS8_lS9_lS5_lPT4_lS9_li,@function
_ZL20rocblas_gemvn_kernelILi32ELi16ElPK16rocblas_bfloat16fKPfEviiT3_lPKT2_lT1_lS8_lS9_lS5_lPT4_lS9_li: ; @_ZL20rocblas_gemvn_kernelILi32ELi16ElPK16rocblas_bfloat16fKPfEviiT3_lPKT2_lT1_lS8_lS9_lS5_lPT4_lS9_li
; %bb.0:
	s_load_b64 s[4:5], s[0:1], 0x9c
	s_waitcnt lgkmcnt(0)
	s_lshr_b32 s3, s4, 16
	s_and_b32 s4, s4, 0xffff
	s_and_b32 s5, s5, 0xffff
	s_mul_i32 s3, s3, s4
	s_delay_alu instid0(SALU_CYCLE_1) | instskip(NEXT) | instid1(SALU_CYCLE_1)
	s_mul_i32 s3, s3, s5
	s_cmpk_lg_i32 s3, 0x200
	s_cbranch_scc1 .LBB671_57
; %bb.1:
	s_load_b128 s[8:11], s[0:1], 0x0
	s_waitcnt lgkmcnt(0)
	s_load_b32 s11, s[0:1], 0x58
	s_mov_b32 s2, s15
	v_cmp_eq_f32_e64 s15, s10, 0
	s_waitcnt lgkmcnt(0)
	v_cmp_eq_f32_e64 s3, s11, 1.0
	s_delay_alu instid0(VALU_DEP_1) | instskip(NEXT) | instid1(SALU_CYCLE_1)
	s_and_b32 s3, s15, s3
	s_and_b32 vcc_lo, exec_lo, s3
	s_cbranch_vccnz .LBB671_57
; %bb.2:
	s_clause 0x1
	s_load_b128 s[4:7], s[0:1], 0x18
	s_load_b64 s[12:13], s[0:1], 0x28
	v_cmp_neq_f32_e64 s20, s10, 0
	s_delay_alu instid0(VALU_DEP_1)
	s_and_b32 vcc_lo, exec_lo, s20
	s_cbranch_vccnz .LBB671_4
; %bb.3:
	s_mov_b32 s3, 0
	s_mov_b64 s[16:17], 0
	s_cbranch_execz .LBB671_5
	s_branch .LBB671_6
.LBB671_4:
	s_mov_b32 s3, -1
                                        ; implicit-def: $sgpr16_sgpr17
.LBB671_5:
	s_mov_b32 s3, 0
	s_delay_alu instid0(SALU_CYCLE_1)
	s_lshl_b64 s[16:17], s[2:3], 3
	s_waitcnt lgkmcnt(0)
	s_add_u32 s4, s4, s16
	s_addc_u32 s5, s5, s17
	s_lshl_b64 s[6:7], s[6:7], 1
	s_load_b64 s[4:5], s[4:5], 0x0
	s_waitcnt lgkmcnt(0)
	s_add_u32 s16, s4, s6
	s_addc_u32 s17, s5, s7
.LBB671_6:
	s_waitcnt lgkmcnt(0)
	s_clause 0x1
	s_load_b128 s[4:7], s[0:1], 0x38
	s_load_b64 s[18:19], s[0:1], 0x48
	s_and_not1_b32 vcc_lo, exec_lo, s20
	s_cbranch_vccnz .LBB671_8
; %bb.7:
	s_lshl_b64 s[20:21], s[2:3], 3
	s_waitcnt lgkmcnt(0)
	s_add_u32 s4, s4, s20
	s_addc_u32 s5, s5, s21
	s_lshl_b64 s[6:7], s[6:7], 1
	s_load_b64 s[4:5], s[4:5], 0x0
	s_waitcnt lgkmcnt(0)
	s_add_u32 s20, s4, s6
	s_addc_u32 s21, s5, s7
	s_branch .LBB671_9
.LBB671_8:
	s_mov_b64 s[20:21], 0
.LBB671_9:
	s_load_b128 s[24:27], s[0:1], 0x68
	s_waitcnt lgkmcnt(0)
	s_load_b64 s[6:7], s[0:1], 0x78
	s_lshl_b64 s[2:3], s[2:3], 3
	v_and_b32_e32 v20, 0x3ff, v0
	v_bfe_u32 v21, v0, 10, 10
	s_delay_alu instid0(VALU_DEP_1)
	v_lshl_add_u32 v19, v21, 5, v20
	s_add_u32 s0, s24, s2
	s_addc_u32 s1, s25, s3
	s_lshl_b64 s[22:23], s[26:27], 2
	s_load_b64 s[2:3], s[0:1], 0x0
	v_cmp_gt_u32_e64 s0, 0x80, v19
	s_waitcnt lgkmcnt(0)
	s_add_u32 s5, s2, s22
	s_addc_u32 s26, s3, s23
	s_and_not1_b32 vcc_lo, exec_lo, s15
	s_cbranch_vccnz .LBB671_16
; %bb.10:
	s_mov_b32 s1, 0
	s_mov_b32 s27, 0
                                        ; implicit-def: $vgpr1
                                        ; implicit-def: $vgpr2_vgpr3
	s_and_saveexec_b32 s2, s0
	s_cbranch_execz .LBB671_17
; %bb.11:
	v_lshl_or_b32 v0, s14, 7, v19
	v_mov_b32_e32 v1, 0
	s_ashr_i32 s23, s8, 31
	s_mov_b32 s22, s8
	s_mov_b32 s3, 0
	s_mov_b32 s0, exec_lo
                                        ; implicit-def: $vgpr2_vgpr3
	v_cmpx_gt_i64_e64 s[22:23], v[0:1]
	s_cbranch_execz .LBB671_15
; %bb.12:
	v_mad_u64_u32 v[2:3], null, v0, s6, 0
	v_cmp_eq_f32_e64 s3, s11, 0
	s_delay_alu instid0(VALU_DEP_1) | instskip(NEXT) | instid1(VALU_DEP_2)
	s_and_b32 vcc_lo, exec_lo, s3
	v_mad_u64_u32 v[4:5], null, v0, s7, v[3:4]
	s_delay_alu instid0(VALU_DEP_1)
	v_mov_b32_e32 v3, v4
	s_cbranch_vccnz .LBB671_14
; %bb.13:
	s_delay_alu instid0(VALU_DEP_1) | instskip(NEXT) | instid1(VALU_DEP_1)
	v_lshlrev_b64 v[0:1], 2, v[2:3]
	v_add_co_u32 v0, vcc_lo, s5, v0
	s_delay_alu instid0(VALU_DEP_2)
	v_add_co_ci_u32_e32 v1, vcc_lo, s26, v1, vcc_lo
	global_load_b32 v0, v[0:1], off
	s_waitcnt vmcnt(0)
	v_mul_f32_e32 v1, s11, v0
.LBB671_14:
	s_mov_b32 s3, exec_lo
.LBB671_15:
	s_or_b32 exec_lo, exec_lo, s0
	s_delay_alu instid0(SALU_CYCLE_1) | instskip(SKIP_1) | instid1(SALU_CYCLE_1)
	s_and_b32 s27, s3, exec_lo
	s_or_b32 exec_lo, exec_lo, s2
	s_and_b32 vcc_lo, exec_lo, s1
	s_cbranch_vccnz .LBB671_18
	s_branch .LBB671_55
.LBB671_16:
	s_mov_b32 s27, 0
                                        ; implicit-def: $vgpr1
                                        ; implicit-def: $vgpr2_vgpr3
	s_cbranch_execnz .LBB671_18
	s_branch .LBB671_55
.LBB671_17:
	s_or_b32 exec_lo, exec_lo, s2
	s_delay_alu instid0(SALU_CYCLE_1)
	s_and_b32 vcc_lo, exec_lo, s1
	s_cbranch_vccz .LBB671_55
.LBB671_18:
	s_ashr_i32 s0, s9, 31
	s_lshl_b32 s28, s14, 7
	s_lshr_b32 s0, s0, 26
	v_dual_mov_b32 v23, 0 :: v_dual_lshlrev_b32 v26, 2, v21
	v_dual_mov_b32 v22, 0 :: v_dual_mov_b32 v25, 0
	v_add_nc_u32_e32 v0, s28, v20
	v_mov_b32_e32 v24, 0
	s_add_i32 s29, s9, s0
	s_mov_b32 s30, exec_lo
	s_and_not1_b32 s29, s29, 63
	s_delay_alu instid0(SALU_CYCLE_1)
	v_cmpx_gt_i32_e64 s29, v26
	s_cbranch_execz .LBB671_30
; %bb.19:
	v_lshlrev_b32_e32 v29, 2, v21
	v_mad_u64_u32 v[5:6], null, s18, v21, 0
	v_add_nc_u32_e32 v2, 32, v0
	v_mad_u64_u32 v[7:8], null, s12, v21, 0
	s_delay_alu instid0(VALU_DEP_4) | instskip(SKIP_1) | instid1(VALU_DEP_4)
	v_or_b32_e32 v25, 3, v29
	v_add_nc_u32_e32 v9, 64, v0
	v_cmp_gt_i32_e64 s0, s8, v2
	v_ashrrev_i32_e32 v1, 31, v0
	v_cmp_gt_i32_e32 vcc_lo, s8, v0
	v_mad_u64_u32 v[3:4], null, s12, v25, 0
	v_mad_u64_u32 v[16:17], null, s18, v25, 0
	v_add_nc_u32_e32 v10, 0x60, v0
	s_lshl_b64 s[14:15], s[12:13], 7
	s_lshl_b64 s[22:23], s[18:19], 7
	s_mov_b32 s31, 0
	s_delay_alu instid0(VALU_DEP_3)
	v_mov_b32_e32 v2, v4
	v_mov_b32_e32 v4, v6
	v_cmp_gt_i32_e64 s1, s8, v9
	v_cmp_gt_i32_e64 s2, s8, v10
	v_mov_b32_e32 v6, v8
	v_mad_u64_u32 v[9:10], null, s13, v25, v[2:3]
	v_or_b32_e32 v31, 2, v29
	v_mad_u64_u32 v[10:11], null, s19, v21, v[4:5]
	s_delay_alu instid0(VALU_DEP_4) | instskip(SKIP_1) | instid1(VALU_DEP_4)
	v_mad_u64_u32 v[11:12], null, s13, v21, v[6:7]
	v_mad_u64_u32 v[12:13], null, s18, v29, s[18:19]
	;; [unrolled: 1-line block ×3, first 2 shown]
	v_mov_b32_e32 v4, v9
	v_mov_b32_e32 v6, v10
	v_lshlrev_b64 v[1:2], 1, v[0:1]
	s_mov_b64 s[24:25], s[20:21]
	s_delay_alu instid0(VALU_DEP_3) | instskip(NEXT) | instid1(VALU_DEP_3)
	v_lshlrev_b64 v[9:10], 1, v[3:4]
	v_lshlrev_b64 v[3:4], 3, v[5:6]
	v_dual_mov_b32 v5, v15 :: v_dual_mov_b32 v6, v13
	s_delay_alu instid0(VALU_DEP_3) | instskip(NEXT) | instid1(VALU_DEP_2)
	v_add_co_u32 v27, s3, s16, v9
	v_mad_u64_u32 v[22:23], null, s13, v31, v[5:6]
	v_mov_b32_e32 v5, v17
	v_add_co_ci_u32_e64 v28, s3, s17, v10, s3
	v_mad_u64_u32 v[9:10], null, s12, v29, s[12:13]
	s_delay_alu instid0(VALU_DEP_3) | instskip(SKIP_2) | instid1(VALU_DEP_4)
	v_mad_u64_u32 v[23:24], null, s19, v25, v[5:6]
	v_mad_u64_u32 v[24:25], null, s18, v31, 0
	v_dual_mov_b32 v8, v11 :: v_dual_mov_b32 v15, v22
	v_mov_b32_e32 v5, v10
	s_delay_alu instid0(VALU_DEP_2) | instskip(NEXT) | instid1(VALU_DEP_2)
	v_lshlrev_b64 v[14:15], 1, v[14:15]
	v_mad_u64_u32 v[10:11], null, s13, v29, v[5:6]
	v_mov_b32_e32 v5, v25
	v_lshlrev_b64 v[7:8], 3, v[7:8]
	s_delay_alu instid0(VALU_DEP_3) | instskip(NEXT) | instid1(VALU_DEP_2)
	v_lshlrev_b64 v[9:10], 1, v[9:10]
	v_mad_u64_u32 v[17:18], null, s19, v29, v[6:7]
	v_add_co_u32 v29, s3, s16, v7
	s_delay_alu instid0(VALU_DEP_1) | instskip(NEXT) | instid1(VALU_DEP_3)
	v_add_co_ci_u32_e64 v30, s3, s17, v8, s3
	v_mov_b32_e32 v13, v17
	v_mov_b32_e32 v17, v23
	v_mad_u64_u32 v[22:23], null, s19, v31, v[5:6]
	v_add_co_u32 v31, s3, s16, v14
	s_delay_alu instid0(VALU_DEP_1) | instskip(SKIP_1) | instid1(VALU_DEP_4)
	v_add_co_ci_u32_e64 v32, s3, s17, v15, s3
	v_add_co_u32 v33, s3, s16, v9
	v_dual_mov_b32 v25, v22 :: v_dual_mov_b32 v22, 0
	v_lshlrev_b64 v[5:6], 1, v[12:13]
	v_lshlrev_b64 v[7:8], 1, v[16:17]
	v_add_co_ci_u32_e64 v34, s3, s17, v10, s3
	s_delay_alu instid0(VALU_DEP_4)
	v_lshlrev_b64 v[9:10], 1, v[24:25]
	v_dual_mov_b32 v23, 0 :: v_dual_mov_b32 v24, 0
	v_mov_b32_e32 v25, 0
	s_branch .LBB671_24
.LBB671_20:                             ;   in Loop: Header=BB671_24 Depth=1
	s_or_b32 exec_lo, exec_lo, s34
	s_waitcnt vmcnt(2) lgkmcnt(2)
	v_lshlrev_b32_e32 v12, 16, v49
	v_lshlrev_b32_e32 v11, 16, v50
	s_waitcnt vmcnt(1) lgkmcnt(1)
	s_delay_alu instid0(VALU_DEP_1) | instskip(NEXT) | instid1(VALU_DEP_1)
	v_dual_fmac_f32 v24, v42, v11 :: v_dual_lshlrev_b32 v11, 16, v48
	v_fmac_f32_e32 v24, v40, v12
	s_delay_alu instid0(VALU_DEP_1) | instskip(SKIP_2) | instid1(VALU_DEP_1)
	v_fmac_f32_e32 v24, v38, v11
	s_waitcnt vmcnt(0) lgkmcnt(0)
	v_lshlrev_b32_e32 v11, 16, v47
	v_fmac_f32_e32 v24, v37, v11
.LBB671_21:                             ;   in Loop: Header=BB671_24 Depth=1
	s_or_b32 exec_lo, exec_lo, s33
	s_waitcnt vmcnt(3) lgkmcnt(3)
	v_lshlrev_b32_e32 v11, 16, v46
	s_waitcnt vmcnt(2) lgkmcnt(2)
	s_delay_alu instid0(VALU_DEP_1) | instskip(SKIP_2) | instid1(VALU_DEP_2)
	v_dual_fmac_f32 v23, v42, v11 :: v_dual_lshlrev_b32 v12, 16, v45
	s_waitcnt vmcnt(1) lgkmcnt(1)
	v_lshlrev_b32_e32 v11, 16, v44
	v_fmac_f32_e32 v23, v40, v12
	s_delay_alu instid0(VALU_DEP_1) | instskip(SKIP_2) | instid1(VALU_DEP_1)
	v_fmac_f32_e32 v23, v38, v11
	s_waitcnt vmcnt(0) lgkmcnt(0)
	v_lshlrev_b32_e32 v11, 16, v43
	v_fmac_f32_e32 v23, v37, v11
.LBB671_22:                             ;   in Loop: Header=BB671_24 Depth=1
	s_or_b32 exec_lo, exec_lo, s3
	s_waitcnt vmcnt(2) lgkmcnt(2)
	v_lshlrev_b32_e32 v12, 16, v39
	v_lshlrev_b32_e32 v11, 16, v41
	s_waitcnt vmcnt(1) lgkmcnt(1)
	s_delay_alu instid0(VALU_DEP_1) | instskip(NEXT) | instid1(VALU_DEP_1)
	v_dual_fmac_f32 v22, v42, v11 :: v_dual_lshlrev_b32 v11, 16, v36
	v_fmac_f32_e32 v22, v40, v12
	s_delay_alu instid0(VALU_DEP_1) | instskip(SKIP_2) | instid1(VALU_DEP_1)
	v_fmac_f32_e32 v22, v38, v11
	s_waitcnt vmcnt(0) lgkmcnt(0)
	v_lshlrev_b32_e32 v11, 16, v35
	v_fmac_f32_e32 v22, v37, v11
.LBB671_23:                             ;   in Loop: Header=BB671_24 Depth=1
	s_or_b32 exec_lo, exec_lo, s4
	v_add_co_u32 v27, s3, v27, s14
	s_delay_alu instid0(VALU_DEP_1) | instskip(SKIP_4) | instid1(VALU_DEP_1)
	v_add_co_ci_u32_e64 v28, s3, s15, v28, s3
	v_add_co_u32 v29, s3, v29, s14
	v_add_nc_u32_e32 v26, 64, v26
	v_add_co_ci_u32_e64 v30, s3, s15, v30, s3
	v_add_co_u32 v31, s3, v31, s14
	v_add_co_ci_u32_e64 v32, s3, s15, v32, s3
	s_delay_alu instid0(VALU_DEP_4) | instskip(SKIP_1) | instid1(VALU_DEP_1)
	v_cmp_le_i32_e64 s3, s29, v26
	v_add_co_u32 v33, s4, v33, s14
	v_add_co_ci_u32_e64 v34, s4, s15, v34, s4
	s_add_u32 s24, s24, s22
	s_addc_u32 s25, s25, s23
	s_or_b32 s31, s3, s31
	s_delay_alu instid0(SALU_CYCLE_1)
	s_and_not1_b32 exec_lo, exec_lo, s31
	s_cbranch_execz .LBB671_29
.LBB671_24:                             ; =>This Inner Loop Header: Depth=1
	s_and_saveexec_b32 s4, vcc_lo
	s_cbranch_execz .LBB671_23
; %bb.25:                               ;   in Loop: Header=BB671_24 Depth=1
	v_add_co_u32 v11, s3, s24, v3
	s_delay_alu instid0(VALU_DEP_1) | instskip(SKIP_1) | instid1(VALU_DEP_1)
	v_add_co_ci_u32_e64 v12, s3, s25, v4, s3
	v_add_co_u32 v13, s3, s24, v5
	v_add_co_ci_u32_e64 v14, s3, s25, v6, s3
	v_add_co_u32 v15, s3, s24, v9
	s_delay_alu instid0(VALU_DEP_1) | instskip(SKIP_1) | instid1(VALU_DEP_1)
	v_add_co_ci_u32_e64 v16, s3, s25, v10, s3
	v_add_co_u32 v17, s3, s24, v7
	v_add_co_ci_u32_e64 v18, s3, s25, v8, s3
	s_clause 0x3
	flat_load_u16 v37, v[11:12]
	flat_load_u16 v38, v[13:14]
	;; [unrolled: 1-line block ×4, first 2 shown]
	v_add_co_u32 v11, s3, v29, v1
	s_delay_alu instid0(VALU_DEP_1) | instskip(SKIP_1) | instid1(VALU_DEP_1)
	v_add_co_ci_u32_e64 v12, s3, v30, v2, s3
	v_add_co_u32 v13, s3, v33, v1
	v_add_co_ci_u32_e64 v14, s3, v34, v2, s3
	v_add_co_u32 v15, s3, v31, v1
	s_delay_alu instid0(VALU_DEP_1) | instskip(SKIP_1) | instid1(VALU_DEP_1)
	v_add_co_ci_u32_e64 v16, s3, v32, v2, s3
	v_add_co_u32 v17, s3, v27, v1
	v_add_co_ci_u32_e64 v18, s3, v28, v2, s3
	flat_load_u16 v41, v[11:12]
	flat_load_u16 v39, v[13:14]
	;; [unrolled: 1-line block ×4, first 2 shown]
	s_waitcnt vmcnt(7) lgkmcnt(7)
	v_lshlrev_b32_e32 v42, 16, v37
	s_waitcnt vmcnt(6) lgkmcnt(6)
	v_lshlrev_b32_e32 v40, 16, v38
	s_waitcnt vmcnt(5) lgkmcnt(5)
	v_lshlrev_b32_e32 v38, 16, v43
	s_waitcnt vmcnt(4) lgkmcnt(4)
	v_lshlrev_b32_e32 v37, 16, v44
	s_and_saveexec_b32 s3, s0
	s_cbranch_execz .LBB671_22
; %bb.26:                               ;   in Loop: Header=BB671_24 Depth=1
	flat_load_u16 v46, v[11:12] offset:64
	flat_load_u16 v45, v[13:14] offset:64
	flat_load_u16 v44, v[15:16] offset:64
	flat_load_u16 v43, v[17:18] offset:64
	s_and_saveexec_b32 s33, s1
	s_cbranch_execz .LBB671_21
; %bb.27:                               ;   in Loop: Header=BB671_24 Depth=1
	flat_load_u16 v50, v[11:12] offset:128
	flat_load_u16 v49, v[13:14] offset:128
	flat_load_u16 v48, v[15:16] offset:128
	flat_load_u16 v47, v[17:18] offset:128
	;; [unrolled: 7-line block ×3, first 2 shown]
	s_waitcnt vmcnt(3) lgkmcnt(3)
	v_lshlrev_b32_e32 v11, 16, v11
	s_waitcnt vmcnt(2) lgkmcnt(2)
	s_delay_alu instid0(VALU_DEP_1) | instskip(SKIP_2) | instid1(VALU_DEP_2)
	v_dual_fmac_f32 v25, v42, v11 :: v_dual_lshlrev_b32 v12, 16, v12
	s_waitcnt vmcnt(1) lgkmcnt(1)
	v_lshlrev_b32_e32 v11, 16, v13
	v_fmac_f32_e32 v25, v40, v12
	s_delay_alu instid0(VALU_DEP_1) | instskip(SKIP_2) | instid1(VALU_DEP_1)
	v_fmac_f32_e32 v25, v38, v11
	s_waitcnt vmcnt(0) lgkmcnt(0)
	v_lshlrev_b32_e32 v11, 16, v14
	v_fmac_f32_e32 v25, v37, v11
	s_branch .LBB671_20
.LBB671_29:
	s_or_b32 exec_lo, exec_lo, s31
.LBB671_30:
	s_delay_alu instid0(SALU_CYCLE_1) | instskip(SKIP_1) | instid1(SALU_CYCLE_1)
	s_or_b32 exec_lo, exec_lo, s30
	s_sub_i32 s0, s9, s29
	s_cmp_lt_i32 s0, 1
	s_cbranch_scc1 .LBB671_48
; %bb.31:
	v_cmp_gt_i32_e32 vcc_lo, s9, v26
	v_dual_mov_b32 v9, 0 :: v_dual_mov_b32 v10, 0
	v_or_b32_e32 v2, 1, v26
	v_dual_mov_b32 v11, 0 :: v_dual_mov_b32 v12, 0
	s_and_saveexec_b32 s1, vcc_lo
	s_cbranch_execz .LBB671_39
; %bb.32:
	v_mad_u64_u32 v[3:4], null, v26, s18, 0
	v_mov_b32_e32 v11, 0
	v_mov_b32_e32 v9, 0
	s_mov_b32 s2, exec_lo
	s_delay_alu instid0(VALU_DEP_3) | instskip(NEXT) | instid1(VALU_DEP_1)
	v_dual_mov_b32 v10, 0 :: v_dual_mov_b32 v1, v4
	v_mad_u64_u32 v[4:5], null, v26, s19, v[1:2]
	s_delay_alu instid0(VALU_DEP_1) | instskip(NEXT) | instid1(VALU_DEP_1)
	v_lshlrev_b64 v[3:4], 1, v[3:4]
	v_add_co_u32 v3, s0, s20, v3
	s_delay_alu instid0(VALU_DEP_1)
	v_add_co_ci_u32_e64 v4, s0, s21, v4, s0
	flat_load_u16 v1, v[3:4]
	v_cmpx_gt_i32_e64 s9, v2
	s_cbranch_execz .LBB671_38
; %bb.33:
	v_mad_u64_u32 v[3:4], null, v2, s18, 0
	v_mov_b32_e32 v10, 0
	s_mov_b32 s3, exec_lo
	v_mov_b32_e32 v9, 0
	s_delay_alu instid0(VALU_DEP_3) | instskip(NEXT) | instid1(VALU_DEP_1)
	v_mad_u64_u32 v[5:6], null, v2, s19, v[4:5]
	v_mov_b32_e32 v4, v5
	s_delay_alu instid0(VALU_DEP_1) | instskip(NEXT) | instid1(VALU_DEP_1)
	v_lshlrev_b64 v[3:4], 1, v[3:4]
	v_add_co_u32 v3, s0, s20, v3
	s_delay_alu instid0(VALU_DEP_1) | instskip(SKIP_2) | instid1(VALU_DEP_1)
	v_add_co_ci_u32_e64 v4, s0, s21, v4, s0
	flat_load_u16 v3, v[3:4]
	v_or_b32_e32 v4, 2, v26
	v_cmpx_gt_i32_e64 s9, v4
	s_cbranch_execz .LBB671_37
; %bb.34:
	v_mad_u64_u32 v[5:6], null, v4, s18, 0
	s_mov_b32 s4, exec_lo
	v_mov_b32_e32 v9, 0
	s_delay_alu instid0(VALU_DEP_2) | instskip(NEXT) | instid1(VALU_DEP_1)
	v_mad_u64_u32 v[7:8], null, v4, s19, v[6:7]
	v_mov_b32_e32 v6, v7
	s_delay_alu instid0(VALU_DEP_1) | instskip(NEXT) | instid1(VALU_DEP_1)
	v_lshlrev_b64 v[4:5], 1, v[5:6]
	v_add_co_u32 v4, s0, s20, v4
	s_delay_alu instid0(VALU_DEP_1) | instskip(SKIP_2) | instid1(VALU_DEP_1)
	v_add_co_ci_u32_e64 v5, s0, s21, v5, s0
	flat_load_u16 v4, v[4:5]
	v_or_b32_e32 v5, 3, v26
	v_cmpx_gt_i32_e64 s9, v5
	s_cbranch_execz .LBB671_36
; %bb.35:
	v_mad_u64_u32 v[6:7], null, v5, s18, 0
	s_delay_alu instid0(VALU_DEP_1) | instskip(NEXT) | instid1(VALU_DEP_1)
	v_mad_u64_u32 v[8:9], null, v5, s19, v[7:8]
	v_mov_b32_e32 v7, v8
	s_delay_alu instid0(VALU_DEP_1) | instskip(NEXT) | instid1(VALU_DEP_1)
	v_lshlrev_b64 v[5:6], 1, v[6:7]
	v_add_co_u32 v5, s0, s20, v5
	s_delay_alu instid0(VALU_DEP_1)
	v_add_co_ci_u32_e64 v6, s0, s21, v6, s0
	flat_load_u16 v5, v[5:6]
	s_waitcnt vmcnt(0) lgkmcnt(0)
	v_lshlrev_b32_e32 v9, 16, v5
.LBB671_36:
	s_or_b32 exec_lo, exec_lo, s4
	s_waitcnt vmcnt(0) lgkmcnt(0)
	v_lshlrev_b32_e32 v10, 16, v4
.LBB671_37:
	s_or_b32 exec_lo, exec_lo, s3
	s_waitcnt vmcnt(0) lgkmcnt(0)
	v_lshlrev_b32_e32 v11, 16, v3
.LBB671_38:
	s_or_b32 exec_lo, exec_lo, s2
	s_waitcnt vmcnt(0) lgkmcnt(0)
	v_lshlrev_b32_e32 v12, 16, v1
.LBB671_39:
	s_or_b32 exec_lo, exec_lo, s1
	s_delay_alu instid0(SALU_CYCLE_1)
	s_mov_b32 s1, exec_lo
	v_cmpx_gt_i32_e64 s8, v0
	s_cbranch_execz .LBB671_47
; %bb.40:
	v_mad_u64_u32 v[3:4], null, v26, s12, 0
	v_mad_u64_u32 v[5:6], null, v2, s12, 0
	v_ashrrev_i32_e32 v1, 31, v0
	v_or_b32_e32 v28, 2, v26
	v_or_b32_e32 v29, 3, v26
	v_cndmask_b32_e32 v3, 0, v3, vcc_lo
	s_delay_alu instid0(VALU_DEP_4)
	v_lshlrev_b64 v[13:14], 1, v[0:1]
	v_mad_u64_u32 v[7:8], null, v26, s13, v[4:5]
	v_mov_b32_e32 v1, v6
	v_mad_u64_u32 v[15:16], null, v28, s12, 0
	v_mad_u64_u32 v[17:18], null, v29, s12, 0
	v_cmp_gt_i32_e64 s0, s9, v28
	v_cndmask_b32_e32 v4, 0, v7, vcc_lo
	v_mad_u64_u32 v[6:7], null, v2, s13, v[1:2]
	v_cmp_gt_i32_e32 vcc_lo, s9, v2
	v_mov_b32_e32 v1, v16
	v_dual_mov_b32 v7, v18 :: v_dual_cndmask_b32 v2, 0, v5
	v_lshlrev_b64 v[4:5], 1, v[3:4]
	v_cndmask_b32_e32 v3, 0, v6, vcc_lo
	s_delay_alu instid0(VALU_DEP_3) | instskip(NEXT) | instid1(VALU_DEP_3)
	v_mad_u64_u32 v[26:27], null, v28, s13, v[1:2]
	v_add_co_u32 v1, vcc_lo, s16, v4
	s_delay_alu instid0(VALU_DEP_4) | instskip(NEXT) | instid1(VALU_DEP_4)
	v_add_co_ci_u32_e32 v5, vcc_lo, s17, v5, vcc_lo
	v_lshlrev_b64 v[3:4], 1, v[2:3]
	s_delay_alu instid0(VALU_DEP_3) | instskip(NEXT) | instid1(VALU_DEP_3)
	v_add_co_u32 v1, vcc_lo, v1, v13
	v_add_co_ci_u32_e32 v2, vcc_lo, v5, v14, vcc_lo
	v_cndmask_b32_e64 v5, 0, v15, s0
	s_delay_alu instid0(VALU_DEP_4) | instskip(SKIP_3) | instid1(VALU_DEP_4)
	v_add_co_u32 v3, vcc_lo, s16, v3
	v_add_co_ci_u32_e32 v4, vcc_lo, s17, v4, vcc_lo
	v_mad_u64_u32 v[15:16], null, v29, s13, v[7:8]
	v_cndmask_b32_e64 v6, 0, v26, s0
	v_add_co_u32 v3, s0, v3, v13
	v_cmp_gt_i32_e32 vcc_lo, s9, v29
	v_add_co_ci_u32_e64 v4, s0, v4, v14, s0
	s_delay_alu instid0(VALU_DEP_4)
	v_lshlrev_b64 v[5:6], 1, v[5:6]
	s_mov_b32 s0, exec_lo
	v_cndmask_b32_e32 v8, 0, v15, vcc_lo
	s_clause 0x1
	flat_load_u16 v15, v[1:2]
	flat_load_u16 v16, v[3:4]
	s_waitcnt vmcnt(1) lgkmcnt(1)
	v_lshlrev_b32_e32 v15, 16, v15
	s_waitcnt vmcnt(0) lgkmcnt(0)
	v_lshlrev_b32_e32 v16, 16, v16
	s_delay_alu instid0(VALU_DEP_2) | instskip(SKIP_2) | instid1(VALU_DEP_3)
	v_dual_fmac_f32 v22, v12, v15 :: v_dual_cndmask_b32 v7, 0, v17
	v_add_co_u32 v5, vcc_lo, s16, v5
	v_add_co_ci_u32_e32 v6, vcc_lo, s17, v6, vcc_lo
	v_fmac_f32_e32 v22, v11, v16
	s_delay_alu instid0(VALU_DEP_4) | instskip(SKIP_1) | instid1(VALU_DEP_2)
	v_lshlrev_b64 v[7:8], 1, v[7:8]
	v_add_nc_u32_e32 v16, 32, v0
	v_add_co_u32 v17, vcc_lo, s16, v7
	s_delay_alu instid0(VALU_DEP_3) | instskip(SKIP_2) | instid1(VALU_DEP_4)
	v_add_co_ci_u32_e32 v18, vcc_lo, s17, v8, vcc_lo
	v_add_co_u32 v7, vcc_lo, v5, v13
	v_add_co_ci_u32_e32 v8, vcc_lo, v6, v14, vcc_lo
	v_add_co_u32 v5, vcc_lo, v17, v13
	s_delay_alu instid0(VALU_DEP_4)
	v_add_co_ci_u32_e32 v6, vcc_lo, v18, v14, vcc_lo
	s_clause 0x1
	flat_load_u16 v13, v[7:8]
	flat_load_u16 v14, v[5:6]
	s_waitcnt vmcnt(1) lgkmcnt(1)
	v_lshlrev_b32_e32 v15, 16, v13
	s_waitcnt vmcnt(0) lgkmcnt(0)
	s_delay_alu instid0(VALU_DEP_1)
	v_dual_fmac_f32 v22, v10, v15 :: v_dual_lshlrev_b32 v13, 16, v14
	v_cmpx_gt_i32_e64 s8, v16
	s_cbranch_execz .LBB671_46
; %bb.41:
	s_clause 0x3
	flat_load_u16 v14, v[1:2] offset:64
	flat_load_u16 v15, v[3:4] offset:64
	;; [unrolled: 1-line block ×4, first 2 shown]
	s_mov_b32 s2, exec_lo
	s_waitcnt vmcnt(2) lgkmcnt(2)
	v_lshlrev_b32_e32 v15, 16, v15
	v_lshlrev_b32_e32 v14, 16, v14
	s_waitcnt vmcnt(1) lgkmcnt(1)
	s_delay_alu instid0(VALU_DEP_1) | instskip(NEXT) | instid1(VALU_DEP_1)
	v_dual_fmac_f32 v23, v12, v14 :: v_dual_lshlrev_b32 v16, 16, v16
	v_fmac_f32_e32 v23, v11, v15
	v_add_nc_u32_e32 v15, 64, v0
	s_waitcnt vmcnt(0) lgkmcnt(0)
	s_delay_alu instid0(VALU_DEP_2) | instskip(NEXT) | instid1(VALU_DEP_2)
	v_dual_fmac_f32 v23, v10, v16 :: v_dual_lshlrev_b32 v14, 16, v17
	v_cmpx_gt_i32_e64 s8, v15
	s_cbranch_execz .LBB671_45
; %bb.42:
	s_clause 0x3
	flat_load_u16 v15, v[1:2] offset:128
	flat_load_u16 v16, v[3:4] offset:128
	;; [unrolled: 1-line block ×4, first 2 shown]
	s_mov_b32 s3, exec_lo
	s_waitcnt vmcnt(2) lgkmcnt(2)
	v_lshlrev_b32_e32 v16, 16, v16
	v_lshlrev_b32_e32 v15, 16, v15
	s_waitcnt vmcnt(1) lgkmcnt(1)
	s_delay_alu instid0(VALU_DEP_1) | instskip(NEXT) | instid1(VALU_DEP_1)
	v_dual_fmac_f32 v24, v12, v15 :: v_dual_lshlrev_b32 v15, 16, v17
	v_fmac_f32_e32 v24, v11, v16
	v_add_nc_u32_e32 v16, 0x60, v0
	s_waitcnt vmcnt(0) lgkmcnt(0)
	v_lshlrev_b32_e32 v0, 16, v18
	s_delay_alu instid0(VALU_DEP_3) | instskip(NEXT) | instid1(VALU_DEP_3)
	v_fmac_f32_e32 v24, v10, v15
	v_cmpx_gt_i32_e64 s8, v16
	s_cbranch_execz .LBB671_44
; %bb.43:
	s_clause 0x3
	flat_load_u16 v1, v[1:2] offset:192
	flat_load_u16 v2, v[3:4] offset:192
	;; [unrolled: 1-line block ×4, first 2 shown]
	s_waitcnt vmcnt(3) lgkmcnt(3)
	v_lshlrev_b32_e32 v1, 16, v1
	s_waitcnt vmcnt(2) lgkmcnt(2)
	s_delay_alu instid0(VALU_DEP_1) | instskip(SKIP_2) | instid1(VALU_DEP_2)
	v_dual_fmac_f32 v25, v12, v1 :: v_dual_lshlrev_b32 v2, 16, v2
	s_waitcnt vmcnt(1) lgkmcnt(1)
	v_lshlrev_b32_e32 v1, 16, v3
	v_fmac_f32_e32 v25, v11, v2
	s_delay_alu instid0(VALU_DEP_1) | instskip(SKIP_2) | instid1(VALU_DEP_1)
	v_fmac_f32_e32 v25, v10, v1
	s_waitcnt vmcnt(0) lgkmcnt(0)
	v_lshlrev_b32_e32 v1, 16, v4
	v_fmac_f32_e32 v25, v9, v1
.LBB671_44:
	s_or_b32 exec_lo, exec_lo, s3
	s_delay_alu instid0(VALU_DEP_2)
	v_fmac_f32_e32 v24, v9, v0
.LBB671_45:
	s_or_b32 exec_lo, exec_lo, s2
	s_delay_alu instid0(VALU_DEP_2)
	v_fmac_f32_e32 v23, v9, v14
.LBB671_46:
	s_or_b32 exec_lo, exec_lo, s0
	s_delay_alu instid0(VALU_DEP_2)
	v_fmac_f32_e32 v22, v9, v13
.LBB671_47:
	s_or_b32 exec_lo, exec_lo, s1
.LBB671_48:
	v_lshlrev_b32_e32 v0, 7, v21
	s_mov_b32 s0, exec_lo
                                        ; implicit-def: $vgpr1
                                        ; implicit-def: $vgpr2_vgpr3
	s_delay_alu instid0(VALU_DEP_1)
	v_add_lshl_u32 v0, v0, v20, 2
	ds_store_2addr_b32 v0, v22, v23 offset1:32
	ds_store_2addr_b32 v0, v24, v25 offset0:64 offset1:96
	s_waitcnt lgkmcnt(0)
	s_barrier
	buffer_gl0_inv
	v_cmpx_gt_u32_e32 0x80, v19
	s_cbranch_execz .LBB671_54
; %bb.49:
	v_lshlrev_b32_e32 v6, 2, v19
	s_mov_b32 s2, s27
	s_mov_b32 s1, exec_lo
	ds_load_2addr_stride64_b32 v[0:1], v6 offset1:2
	ds_load_2addr_stride64_b32 v[2:3], v6 offset0:4 offset1:6
	ds_load_2addr_stride64_b32 v[4:5], v6 offset0:8 offset1:10
	s_waitcnt lgkmcnt(2)
	v_add_f32_e32 v7, v0, v1
	ds_load_2addr_stride64_b32 v[0:1], v6 offset0:12 offset1:14
	s_waitcnt lgkmcnt(2)
	v_add_f32_e32 v2, v2, v7
	s_delay_alu instid0(VALU_DEP_1) | instskip(SKIP_3) | instid1(VALU_DEP_1)
	v_add_f32_e32 v7, v3, v2
	ds_load_2addr_stride64_b32 v[2:3], v6 offset0:16 offset1:18
	s_waitcnt lgkmcnt(2)
	v_add_f32_e32 v4, v4, v7
	v_add_f32_e32 v7, v5, v4
	ds_load_2addr_stride64_b32 v[4:5], v6 offset0:20 offset1:22
	s_waitcnt lgkmcnt(2)
	v_add_f32_e32 v0, v0, v7
	s_delay_alu instid0(VALU_DEP_1) | instskip(SKIP_1) | instid1(VALU_DEP_1)
	v_add_f32_e32 v0, v1, v0
	s_waitcnt lgkmcnt(1)
	v_add_f32_e32 v2, v2, v0
	ds_load_2addr_stride64_b32 v[0:1], v6 offset0:24 offset1:26
	v_add_f32_e32 v2, v3, v2
	s_waitcnt lgkmcnt(1)
	s_delay_alu instid0(VALU_DEP_1) | instskip(SKIP_3) | instid1(VALU_DEP_1)
	v_add_f32_e32 v4, v4, v2
	ds_load_2addr_stride64_b32 v[2:3], v6 offset0:28 offset1:30
	v_add_f32_e32 v4, v5, v4
	s_waitcnt lgkmcnt(1)
	v_add_f32_e32 v0, v0, v4
	v_or_b32_e32 v4, s28, v19
	s_delay_alu instid0(VALU_DEP_2) | instskip(SKIP_1) | instid1(VALU_DEP_1)
	v_add_f32_e32 v0, v1, v0
                                        ; implicit-def: $vgpr1
	s_waitcnt lgkmcnt(0)
	v_add_f32_e32 v0, v2, v0
	s_delay_alu instid0(VALU_DEP_1)
	v_add_f32_e32 v0, v3, v0
                                        ; implicit-def: $vgpr2_vgpr3
	ds_store_b32 v6, v0
	v_cmpx_gt_i32_e64 s8, v4
	s_cbranch_execz .LBB671_53
; %bb.50:
	v_ashrrev_i32_e32 v1, 31, v4
	v_mul_lo_u32 v5, v4, s7
	v_mad_u64_u32 v[2:3], null, v4, s6, 0
	v_cmp_eq_f32_e64 s2, s11, 0
	s_delay_alu instid0(VALU_DEP_4) | instskip(SKIP_1) | instid1(VALU_DEP_3)
	v_mul_lo_u32 v4, v1, s6
	v_mul_f32_e32 v1, s10, v0
	s_and_b32 vcc_lo, exec_lo, s2
	s_delay_alu instid0(VALU_DEP_2)
	v_add3_u32 v3, v3, v5, v4
	s_cbranch_vccnz .LBB671_52
; %bb.51:
	s_delay_alu instid0(VALU_DEP_1) | instskip(NEXT) | instid1(VALU_DEP_1)
	v_lshlrev_b64 v[4:5], 2, v[2:3]
	v_add_co_u32 v4, vcc_lo, s5, v4
	s_delay_alu instid0(VALU_DEP_2)
	v_add_co_ci_u32_e32 v5, vcc_lo, s26, v5, vcc_lo
	global_load_b32 v0, v[4:5], off
	s_waitcnt vmcnt(0)
	v_fmac_f32_e32 v1, s11, v0
.LBB671_52:
	s_or_b32 s2, s27, exec_lo
.LBB671_53:
	s_or_b32 exec_lo, exec_lo, s1
	s_delay_alu instid0(SALU_CYCLE_1) | instskip(SKIP_1) | instid1(SALU_CYCLE_1)
	s_and_not1_b32 s1, s27, exec_lo
	s_and_b32 s2, s2, exec_lo
	s_or_b32 s27, s1, s2
.LBB671_54:
	s_or_b32 exec_lo, exec_lo, s0
.LBB671_55:
	s_and_saveexec_b32 s0, s27
	s_cbranch_execz .LBB671_57
; %bb.56:
	v_lshlrev_b64 v[2:3], 2, v[2:3]
	s_delay_alu instid0(VALU_DEP_1) | instskip(NEXT) | instid1(VALU_DEP_2)
	v_add_co_u32 v2, vcc_lo, s5, v2
	v_add_co_ci_u32_e32 v3, vcc_lo, s26, v3, vcc_lo
	global_store_b32 v[2:3], v1, off
.LBB671_57:
	s_nop 0
	s_sendmsg sendmsg(MSG_DEALLOC_VGPRS)
	s_endpgm
	.section	.rodata,"a",@progbits
	.p2align	6, 0x0
	.amdhsa_kernel _ZL20rocblas_gemvn_kernelILi32ELi16ElPK16rocblas_bfloat16fKPfEviiT3_lPKT2_lT1_lS8_lS9_lS5_lPT4_lS9_li
		.amdhsa_group_segment_fixed_size 8192
		.amdhsa_private_segment_fixed_size 0
		.amdhsa_kernarg_size 400
		.amdhsa_user_sgpr_count 14
		.amdhsa_user_sgpr_dispatch_ptr 0
		.amdhsa_user_sgpr_queue_ptr 0
		.amdhsa_user_sgpr_kernarg_segment_ptr 1
		.amdhsa_user_sgpr_dispatch_id 0
		.amdhsa_user_sgpr_private_segment_size 0
		.amdhsa_wavefront_size32 1
		.amdhsa_uses_dynamic_stack 0
		.amdhsa_enable_private_segment 0
		.amdhsa_system_sgpr_workgroup_id_x 1
		.amdhsa_system_sgpr_workgroup_id_y 0
		.amdhsa_system_sgpr_workgroup_id_z 1
		.amdhsa_system_sgpr_workgroup_info 0
		.amdhsa_system_vgpr_workitem_id 1
		.amdhsa_next_free_vgpr 51
		.amdhsa_next_free_sgpr 35
		.amdhsa_reserve_vcc 1
		.amdhsa_float_round_mode_32 0
		.amdhsa_float_round_mode_16_64 0
		.amdhsa_float_denorm_mode_32 3
		.amdhsa_float_denorm_mode_16_64 3
		.amdhsa_dx10_clamp 1
		.amdhsa_ieee_mode 1
		.amdhsa_fp16_overflow 0
		.amdhsa_workgroup_processor_mode 1
		.amdhsa_memory_ordered 1
		.amdhsa_forward_progress 0
		.amdhsa_shared_vgpr_count 0
		.amdhsa_exception_fp_ieee_invalid_op 0
		.amdhsa_exception_fp_denorm_src 0
		.amdhsa_exception_fp_ieee_div_zero 0
		.amdhsa_exception_fp_ieee_overflow 0
		.amdhsa_exception_fp_ieee_underflow 0
		.amdhsa_exception_fp_ieee_inexact 0
		.amdhsa_exception_int_div_zero 0
	.end_amdhsa_kernel
	.section	.text._ZL20rocblas_gemvn_kernelILi32ELi16ElPK16rocblas_bfloat16fKPfEviiT3_lPKT2_lT1_lS8_lS9_lS5_lPT4_lS9_li,"axG",@progbits,_ZL20rocblas_gemvn_kernelILi32ELi16ElPK16rocblas_bfloat16fKPfEviiT3_lPKT2_lT1_lS8_lS9_lS5_lPT4_lS9_li,comdat
.Lfunc_end671:
	.size	_ZL20rocblas_gemvn_kernelILi32ELi16ElPK16rocblas_bfloat16fKPfEviiT3_lPKT2_lT1_lS8_lS9_lS5_lPT4_lS9_li, .Lfunc_end671-_ZL20rocblas_gemvn_kernelILi32ELi16ElPK16rocblas_bfloat16fKPfEviiT3_lPKT2_lT1_lS8_lS9_lS5_lPT4_lS9_li
                                        ; -- End function
	.section	.AMDGPU.csdata,"",@progbits
; Kernel info:
; codeLenInByte = 3552
; NumSgprs: 37
; NumVgprs: 51
; ScratchSize: 0
; MemoryBound: 0
; FloatMode: 240
; IeeeMode: 1
; LDSByteSize: 8192 bytes/workgroup (compile time only)
; SGPRBlocks: 4
; VGPRBlocks: 6
; NumSGPRsForWavesPerEU: 37
; NumVGPRsForWavesPerEU: 51
; Occupancy: 16
; WaveLimiterHint : 1
; COMPUTE_PGM_RSRC2:SCRATCH_EN: 0
; COMPUTE_PGM_RSRC2:USER_SGPR: 14
; COMPUTE_PGM_RSRC2:TRAP_HANDLER: 0
; COMPUTE_PGM_RSRC2:TGID_X_EN: 1
; COMPUTE_PGM_RSRC2:TGID_Y_EN: 0
; COMPUTE_PGM_RSRC2:TGID_Z_EN: 1
; COMPUTE_PGM_RSRC2:TIDIG_COMP_CNT: 1
	.section	.text._ZL20rocblas_gemvn_kernelILi64ELi16EiPK16rocblas_bfloat16PKfKPfEviiT3_lPKT2_lT1_lSA_lSB_lS7_lPT4_lSB_li,"axG",@progbits,_ZL20rocblas_gemvn_kernelILi64ELi16EiPK16rocblas_bfloat16PKfKPfEviiT3_lPKT2_lT1_lSA_lSB_lS7_lPT4_lSB_li,comdat
	.globl	_ZL20rocblas_gemvn_kernelILi64ELi16EiPK16rocblas_bfloat16PKfKPfEviiT3_lPKT2_lT1_lSA_lSB_lS7_lPT4_lSB_li ; -- Begin function _ZL20rocblas_gemvn_kernelILi64ELi16EiPK16rocblas_bfloat16PKfKPfEviiT3_lPKT2_lT1_lSA_lSB_lS7_lPT4_lSB_li
	.p2align	8
	.type	_ZL20rocblas_gemvn_kernelILi64ELi16EiPK16rocblas_bfloat16PKfKPfEviiT3_lPKT2_lT1_lSA_lSB_lS7_lPT4_lSB_li,@function
_ZL20rocblas_gemvn_kernelILi64ELi16EiPK16rocblas_bfloat16PKfKPfEviiT3_lPKT2_lT1_lSA_lSB_lS7_lPT4_lSB_li: ; @_ZL20rocblas_gemvn_kernelILi64ELi16EiPK16rocblas_bfloat16PKfKPfEviiT3_lPKT2_lT1_lSA_lSB_lS7_lPT4_lSB_li
; %bb.0:
	s_load_b64 s[4:5], s[0:1], 0x9c
	s_waitcnt lgkmcnt(0)
	s_lshr_b32 s3, s4, 16
	s_and_b32 s4, s4, 0xffff
	s_and_b32 s5, s5, 0xffff
	s_mul_i32 s3, s3, s4
	s_delay_alu instid0(SALU_CYCLE_1) | instskip(NEXT) | instid1(SALU_CYCLE_1)
	s_mul_i32 s3, s3, s5
	s_cmpk_lg_i32 s3, 0x400
	s_cbranch_scc1 .LBB672_54
; %bb.1:
	s_clause 0x1
	s_load_b256 s[16:23], s[0:1], 0x8
	s_load_b256 s[4:11], s[0:1], 0x58
	s_mov_b32 s2, s15
	s_waitcnt lgkmcnt(0)
	s_mul_i32 s3, s15, s19
	s_mul_hi_u32 s13, s15, s18
	s_mul_i32 s12, s15, s18
	s_add_i32 s13, s13, s3
	s_mul_i32 s3, s15, s7
	s_lshl_b64 s[12:13], s[12:13], 2
	s_mul_hi_u32 s7, s15, s6
	s_add_u32 s12, s16, s12
	s_addc_u32 s13, s17, s13
	s_add_i32 s7, s7, s3
	s_mul_i32 s6, s15, s6
	s_delay_alu instid0(SALU_CYCLE_1) | instskip(NEXT) | instid1(SALU_CYCLE_1)
	s_lshl_b64 s[6:7], s[6:7], 2
	s_add_u32 s4, s4, s6
	s_addc_u32 s5, s5, s7
	s_load_b32 s16, s[12:13], 0x0
	s_load_b32 s15, s[4:5], 0x0
	s_waitcnt lgkmcnt(0)
	v_cmp_eq_f32_e64 s18, s16, 0
	v_cmp_eq_f32_e64 s3, s15, 1.0
	s_delay_alu instid0(VALU_DEP_1) | instskip(NEXT) | instid1(SALU_CYCLE_1)
	s_and_b32 s3, s18, s3
	s_and_b32 vcc_lo, exec_lo, s3
	s_mov_b32 s3, 0
	s_cbranch_vccnz .LBB672_54
; %bb.2:
	v_cmp_neq_f32_e64 s4, s16, 0
	s_mov_b64 s[12:13], 0
	s_and_b32 vcc_lo, exec_lo, s18
	s_mov_b64 s[6:7], 0
	s_cbranch_vccnz .LBB672_4
; %bb.3:
	s_lshl_b64 s[6:7], s[2:3], 3
	s_delay_alu instid0(SALU_CYCLE_1)
	s_add_u32 s6, s20, s6
	s_addc_u32 s7, s21, s7
	s_lshl_b64 s[20:21], s[22:23], 1
	s_load_b64 s[6:7], s[6:7], 0x0
	s_waitcnt lgkmcnt(0)
	s_add_u32 s6, s6, s20
	s_addc_u32 s7, s7, s21
.LBB672_4:
	s_and_not1_b32 vcc_lo, exec_lo, s4
	s_cbranch_vccnz .LBB672_6
; %bb.5:
	s_load_b128 s[20:23], s[0:1], 0x38
	s_lshl_b64 s[4:5], s[2:3], 3
	s_waitcnt lgkmcnt(0)
	s_add_u32 s4, s20, s4
	s_addc_u32 s5, s21, s5
	s_lshl_b64 s[12:13], s[22:23], 1
	s_load_b64 s[4:5], s[4:5], 0x0
	s_waitcnt lgkmcnt(0)
	s_add_u32 s12, s4, s12
	s_addc_u32 s13, s5, s13
.LBB672_6:
	s_lshl_b64 s[2:3], s[2:3], 3
	v_and_b32_e32 v1, 0x3ff, v0
	s_add_u32 s2, s8, s2
	s_addc_u32 s3, s9, s3
	v_bfe_u32 v13, v0, 10, 10
	s_load_b64 s[20:21], s[2:3], 0x0
	s_clause 0x1
	s_load_b64 s[4:5], s[0:1], 0x0
	s_load_b32 s17, s[0:1], 0x78
	s_lshl_b64 s[10:11], s[10:11], 2
	v_lshl_add_u32 v0, v13, 6, v1
	s_delay_alu instid0(VALU_DEP_1)
	v_cmp_gt_u32_e64 s2, 0x100, v0
	s_waitcnt lgkmcnt(0)
	s_add_u32 s9, s20, s10
	s_addc_u32 s10, s21, s11
	s_and_not1_b32 vcc_lo, exec_lo, s18
	s_cbranch_vccnz .LBB672_13
; %bb.7:
	s_mov_b32 s3, 0
	s_mov_b32 s11, 0
                                        ; implicit-def: $vgpr3
                                        ; implicit-def: $vgpr4_vgpr5
	s_and_saveexec_b32 s8, s2
	s_cbranch_execz .LBB672_14
; %bb.8:
	v_lshl_or_b32 v2, s14, 8, v0
	v_mov_b32_e32 v3, 0
	s_ashr_i32 s19, s4, 31
	s_mov_b32 s18, s4
	s_mov_b32 s2, exec_lo
                                        ; implicit-def: $vgpr4_vgpr5
	s_delay_alu instid0(VALU_DEP_1)
	v_cmpx_gt_i64_e64 s[18:19], v[2:3]
	s_cbranch_execz .LBB672_12
; %bb.9:
	v_mad_u64_u32 v[4:5], null, s17, v2, 0
	s_ashr_i32 s11, s17, 31
	s_delay_alu instid0(VALU_DEP_1) | instid1(SALU_CYCLE_1)
	v_mad_u64_u32 v[6:7], null, s11, v2, v[5:6]
	v_cmp_eq_f32_e64 s11, s15, 0
	s_delay_alu instid0(VALU_DEP_1) | instskip(NEXT) | instid1(VALU_DEP_2)
	s_and_b32 vcc_lo, exec_lo, s11
	v_mov_b32_e32 v5, v6
	s_cbranch_vccnz .LBB672_11
; %bb.10:
	s_delay_alu instid0(VALU_DEP_1) | instskip(NEXT) | instid1(VALU_DEP_1)
	v_lshlrev_b64 v[2:3], 2, v[4:5]
	v_add_co_u32 v2, vcc_lo, s9, v2
	s_delay_alu instid0(VALU_DEP_2)
	v_add_co_ci_u32_e32 v3, vcc_lo, s10, v3, vcc_lo
	global_load_b32 v2, v[2:3], off
	s_waitcnt vmcnt(0)
	v_mul_f32_e32 v3, s15, v2
.LBB672_11:
	s_mov_b32 s11, exec_lo
.LBB672_12:
	s_or_b32 exec_lo, exec_lo, s2
	s_delay_alu instid0(SALU_CYCLE_1) | instskip(SKIP_1) | instid1(SALU_CYCLE_1)
	s_and_b32 s11, s11, exec_lo
	s_or_b32 exec_lo, exec_lo, s8
	s_and_b32 vcc_lo, exec_lo, s3
	s_cbranch_vccnz .LBB672_15
	s_branch .LBB672_52
.LBB672_13:
	s_mov_b32 s11, 0
                                        ; implicit-def: $vgpr3
                                        ; implicit-def: $vgpr4_vgpr5
	s_cbranch_execnz .LBB672_15
	s_branch .LBB672_52
.LBB672_14:
	s_or_b32 exec_lo, exec_lo, s8
	s_delay_alu instid0(SALU_CYCLE_1)
	s_and_b32 vcc_lo, exec_lo, s3
	s_cbranch_vccz .LBB672_52
.LBB672_15:
	s_clause 0x1
	s_load_b32 s18, s[0:1], 0x28
	s_load_b32 s8, s[0:1], 0x48
	s_ashr_i32 s0, s5, 31
	s_lshl_b32 s14, s14, 8
	s_lshr_b32 s0, s0, 26
	v_dual_mov_b32 v14, 0 :: v_dual_lshlrev_b32 v19, 2, v13
	v_dual_mov_b32 v15, 0 :: v_dual_add_nc_u32 v18, s14, v1
	v_dual_mov_b32 v16, 0 :: v_dual_mov_b32 v17, 0
	s_add_i32 s19, s5, s0
	s_mov_b32 s20, exec_lo
	s_and_not1_b32 s19, s19, 63
	s_delay_alu instid0(SALU_CYCLE_1)
	v_cmpx_gt_i32_e64 s19, v19
	s_cbranch_execz .LBB672_27
; %bb.16:
	s_waitcnt lgkmcnt(0)
	v_mul_lo_u32 v3, s18, v19
	v_dual_mov_b32 v15, 0 :: v_dual_add_nc_u32 v2, 64, v18
	v_add_nc_u32_e32 v6, 2, v19
	v_dual_mov_b32 v14, 0 :: v_dual_add_nc_u32 v5, 0xc0, v18
	s_delay_alu instid0(VALU_DEP_3)
	v_cmp_gt_i32_e64 s0, s4, v2
	v_dual_mov_b32 v17, 0 :: v_dual_add_nc_u32 v4, 0x80, v18
	v_add3_u32 v20, v3, s18, v1
	v_mad_u64_u32 v[2:3], null, s18, v6, v[1:2]
	v_cmp_gt_i32_e64 s2, s4, v5
	v_mul_lo_u32 v5, v13, s18
	v_dual_mov_b32 v16, 0 :: v_dual_add_nc_u32 v7, 3, v19
	v_mul_lo_u32 v8, v13, s8
	v_cmp_gt_i32_e64 s1, s4, v4
	v_mul_lo_u32 v22, s8, v6
	s_delay_alu instid0(VALU_DEP_4)
	v_mad_u64_u32 v[3:4], null, s18, v7, v[1:2]
	v_lshl_add_u32 v21, v5, 2, v1
	v_mad_u64_u32 v[4:5], null, s8, v19, s[8:9]
	v_mul_lo_u32 v23, s8, v7
	v_cmp_gt_i32_e32 vcc_lo, s4, v18
	v_lshlrev_b32_e32 v24, 2, v8
	s_lshl_b32 s21, s18, 6
	s_lshl_b32 s23, s8, 6
	s_mov_b32 s22, 0
	s_mov_b32 s24, 0
	s_branch .LBB672_21
.LBB672_17:                             ;   in Loop: Header=BB672_21 Depth=1
	s_or_b32 exec_lo, exec_lo, s27
	s_waitcnt vmcnt(2) lgkmcnt(2)
	v_lshlrev_b32_e32 v6, 16, v39
	v_lshlrev_b32_e32 v5, 16, v40
	s_waitcnt vmcnt(1) lgkmcnt(1)
	s_delay_alu instid0(VALU_DEP_1) | instskip(NEXT) | instid1(VALU_DEP_1)
	v_dual_fmac_f32 v16, v32, v5 :: v_dual_lshlrev_b32 v5, 16, v38
	v_fmac_f32_e32 v16, v30, v6
	s_delay_alu instid0(VALU_DEP_1) | instskip(SKIP_2) | instid1(VALU_DEP_1)
	v_fmac_f32_e32 v16, v28, v5
	s_waitcnt vmcnt(0) lgkmcnt(0)
	v_lshlrev_b32_e32 v5, 16, v37
	v_fmac_f32_e32 v16, v27, v5
.LBB672_18:                             ;   in Loop: Header=BB672_21 Depth=1
	s_or_b32 exec_lo, exec_lo, s26
	s_waitcnt vmcnt(3) lgkmcnt(3)
	v_lshlrev_b32_e32 v5, 16, v36
	s_waitcnt vmcnt(2) lgkmcnt(2)
	s_delay_alu instid0(VALU_DEP_1) | instskip(SKIP_2) | instid1(VALU_DEP_2)
	v_dual_fmac_f32 v15, v32, v5 :: v_dual_lshlrev_b32 v6, 16, v35
	s_waitcnt vmcnt(1) lgkmcnt(1)
	v_lshlrev_b32_e32 v5, 16, v34
	v_fmac_f32_e32 v15, v30, v6
	s_delay_alu instid0(VALU_DEP_1) | instskip(SKIP_2) | instid1(VALU_DEP_1)
	v_fmac_f32_e32 v15, v28, v5
	s_waitcnt vmcnt(0) lgkmcnt(0)
	v_lshlrev_b32_e32 v5, 16, v33
	v_fmac_f32_e32 v15, v27, v5
.LBB672_19:                             ;   in Loop: Header=BB672_21 Depth=1
	s_or_b32 exec_lo, exec_lo, s3
	s_waitcnt vmcnt(2) lgkmcnt(2)
	v_lshlrev_b32_e32 v6, 16, v29
	v_lshlrev_b32_e32 v5, 16, v31
	s_waitcnt vmcnt(1) lgkmcnt(1)
	s_delay_alu instid0(VALU_DEP_1) | instskip(NEXT) | instid1(VALU_DEP_1)
	v_dual_fmac_f32 v14, v32, v5 :: v_dual_lshlrev_b32 v5, 16, v26
	v_fmac_f32_e32 v14, v30, v6
	s_delay_alu instid0(VALU_DEP_1) | instskip(SKIP_2) | instid1(VALU_DEP_1)
	v_fmac_f32_e32 v14, v28, v5
	s_waitcnt vmcnt(0) lgkmcnt(0)
	v_lshlrev_b32_e32 v5, 16, v25
	v_fmac_f32_e32 v14, v27, v5
.LBB672_20:                             ;   in Loop: Header=BB672_21 Depth=1
	s_or_b32 exec_lo, exec_lo, s25
	v_add_nc_u32_e32 v19, 64, v19
	v_add_nc_u32_e32 v20, s21, v20
	;; [unrolled: 1-line block ×5, first 2 shown]
	v_cmp_le_i32_e64 s3, s19, v19
	s_add_i32 s24, s24, s23
	s_delay_alu instid0(VALU_DEP_1) | instskip(NEXT) | instid1(SALU_CYCLE_1)
	s_or_b32 s22, s3, s22
	s_and_not1_b32 exec_lo, exec_lo, s22
	s_cbranch_execz .LBB672_26
.LBB672_21:                             ; =>This Inner Loop Header: Depth=1
	s_and_saveexec_b32 s25, vcc_lo
	s_cbranch_execz .LBB672_20
; %bb.22:                               ;   in Loop: Header=BB672_21 Depth=1
	v_add_nc_u32_e32 v5, s24, v24
	v_add_nc_u32_e32 v7, s24, v4
	v_add_nc_u32_e32 v9, s24, v22
	v_add_nc_u32_e32 v11, s24, v23
	v_add_nc_u32_e32 v25, s14, v21
	v_ashrrev_i32_e32 v6, 31, v5
	v_ashrrev_i32_e32 v8, 31, v7
	;; [unrolled: 1-line block ×4, first 2 shown]
	v_add_nc_u32_e32 v27, s14, v20
	v_lshlrev_b64 v[5:6], 1, v[5:6]
	v_lshlrev_b64 v[7:8], 1, v[7:8]
	;; [unrolled: 1-line block ×4, first 2 shown]
	v_ashrrev_i32_e32 v26, 31, v25
	v_ashrrev_i32_e32 v28, 31, v27
	v_add_co_u32 v5, s3, s12, v5
	s_delay_alu instid0(VALU_DEP_1) | instskip(SKIP_1) | instid1(VALU_DEP_1)
	v_add_co_ci_u32_e64 v6, s3, s13, v6, s3
	v_add_co_u32 v7, s3, s12, v7
	v_add_co_ci_u32_e64 v8, s3, s13, v8, s3
	v_add_co_u32 v9, s3, s12, v9
	s_delay_alu instid0(VALU_DEP_1)
	v_add_co_ci_u32_e64 v10, s3, s13, v10, s3
	v_add_co_u32 v11, s3, s12, v11
	v_add_nc_u32_e32 v29, s14, v2
	v_add_co_ci_u32_e64 v12, s3, s13, v12, s3
	v_lshlrev_b64 v[25:26], 1, v[25:26]
	s_clause 0x3
	flat_load_u16 v32, v[5:6]
	flat_load_u16 v33, v[7:8]
	;; [unrolled: 1-line block ×4, first 2 shown]
	v_add_nc_u32_e32 v11, s14, v3
	v_lshlrev_b64 v[5:6], 1, v[27:28]
	v_ashrrev_i32_e32 v30, 31, v29
	v_add_co_u32 v7, s3, s6, v25
	s_delay_alu instid0(VALU_DEP_4) | instskip(SKIP_1) | instid1(VALU_DEP_4)
	v_ashrrev_i32_e32 v12, 31, v11
	v_add_co_ci_u32_e64 v8, s3, s7, v26, s3
	v_lshlrev_b64 v[25:26], 1, v[29:30]
	v_add_co_u32 v9, s3, s6, v5
	s_delay_alu instid0(VALU_DEP_1) | instskip(SKIP_1) | instid1(VALU_DEP_4)
	v_add_co_ci_u32_e64 v10, s3, s7, v6, s3
	v_lshlrev_b64 v[5:6], 1, v[11:12]
	v_add_co_u32 v11, s3, s6, v25
	s_delay_alu instid0(VALU_DEP_1) | instskip(NEXT) | instid1(VALU_DEP_3)
	v_add_co_ci_u32_e64 v12, s3, s7, v26, s3
	v_add_co_u32 v5, s3, s6, v5
	s_delay_alu instid0(VALU_DEP_1)
	v_add_co_ci_u32_e64 v6, s3, s7, v6, s3
	s_clause 0x3
	flat_load_u16 v31, v[7:8]
	flat_load_u16 v29, v[9:10]
	;; [unrolled: 1-line block ×4, first 2 shown]
	s_waitcnt vmcnt(7) lgkmcnt(7)
	v_lshlrev_b32_e32 v32, 16, v32
	s_waitcnt vmcnt(6) lgkmcnt(6)
	v_lshlrev_b32_e32 v30, 16, v33
	;; [unrolled: 2-line block ×4, first 2 shown]
	s_and_saveexec_b32 s3, s0
	s_cbranch_execz .LBB672_19
; %bb.23:                               ;   in Loop: Header=BB672_21 Depth=1
	s_clause 0x3
	flat_load_u16 v36, v[7:8] offset:128
	flat_load_u16 v35, v[9:10] offset:128
	flat_load_u16 v34, v[11:12] offset:128
	flat_load_u16 v33, v[5:6] offset:128
	s_and_saveexec_b32 s26, s1
	s_cbranch_execz .LBB672_18
; %bb.24:                               ;   in Loop: Header=BB672_21 Depth=1
	s_clause 0x3
	flat_load_u16 v40, v[7:8] offset:256
	flat_load_u16 v39, v[9:10] offset:256
	flat_load_u16 v38, v[11:12] offset:256
	flat_load_u16 v37, v[5:6] offset:256
	;; [unrolled: 8-line block ×3, first 2 shown]
	s_waitcnt vmcnt(0) lgkmcnt(0)
	v_lshlrev_b32_e32 v5, 16, v5
	v_lshlrev_b32_e32 v6, 16, v7
	;; [unrolled: 1-line block ×3, first 2 shown]
	s_delay_alu instid0(VALU_DEP_2) | instskip(NEXT) | instid1(VALU_DEP_1)
	v_dual_fmac_f32 v17, v32, v6 :: v_dual_lshlrev_b32 v6, 16, v9
	v_fmac_f32_e32 v17, v30, v7
	s_delay_alu instid0(VALU_DEP_1) | instskip(NEXT) | instid1(VALU_DEP_1)
	v_fmac_f32_e32 v17, v28, v6
	v_fmac_f32_e32 v17, v27, v5
	s_branch .LBB672_17
.LBB672_26:
	s_or_b32 exec_lo, exec_lo, s22
.LBB672_27:
	s_delay_alu instid0(SALU_CYCLE_1) | instskip(SKIP_1) | instid1(SALU_CYCLE_1)
	s_or_b32 exec_lo, exec_lo, s20
	s_sub_i32 s0, s5, s19
	s_cmp_lt_i32 s0, 1
	s_cbranch_scc1 .LBB672_45
; %bb.28:
	v_cmp_gt_i32_e32 vcc_lo, s5, v19
	v_dual_mov_b32 v10, 0 :: v_dual_mov_b32 v11, 0
	v_or_b32_e32 v2, 1, v19
	v_mov_b32_e32 v12, 0
	v_mov_b32_e32 v20, 0
	s_and_saveexec_b32 s1, vcc_lo
	s_cbranch_execz .LBB672_36
; %bb.29:
	s_waitcnt lgkmcnt(0)
	v_mul_lo_u32 v3, v19, s8
	v_dual_mov_b32 v12, 0 :: v_dual_mov_b32 v11, 0
	v_mov_b32_e32 v10, 0
	s_mov_b32 s2, exec_lo
	s_delay_alu instid0(VALU_DEP_3) | instskip(NEXT) | instid1(VALU_DEP_1)
	v_ashrrev_i32_e32 v4, 31, v3
	v_lshlrev_b64 v[3:4], 1, v[3:4]
	s_delay_alu instid0(VALU_DEP_1) | instskip(NEXT) | instid1(VALU_DEP_1)
	v_add_co_u32 v3, s0, s12, v3
	v_add_co_ci_u32_e64 v4, s0, s13, v4, s0
	flat_load_u16 v3, v[3:4]
	v_cmpx_gt_i32_e64 s5, v2
	s_cbranch_execz .LBB672_35
; %bb.30:
	v_mul_lo_u32 v4, v2, s8
	v_dual_mov_b32 v11, 0 :: v_dual_mov_b32 v10, 0
	s_mov_b32 s3, exec_lo
	s_delay_alu instid0(VALU_DEP_2) | instskip(NEXT) | instid1(VALU_DEP_1)
	v_ashrrev_i32_e32 v5, 31, v4
	v_lshlrev_b64 v[4:5], 1, v[4:5]
	s_delay_alu instid0(VALU_DEP_1) | instskip(NEXT) | instid1(VALU_DEP_1)
	v_add_co_u32 v4, s0, s12, v4
	v_add_co_ci_u32_e64 v5, s0, s13, v5, s0
	flat_load_u16 v4, v[4:5]
	v_or_b32_e32 v5, 2, v19
	s_delay_alu instid0(VALU_DEP_1)
	v_cmpx_gt_i32_e64 s5, v5
	s_cbranch_execz .LBB672_34
; %bb.31:
	v_mul_lo_u32 v5, v5, s8
	v_mov_b32_e32 v10, 0
	s_mov_b32 s19, exec_lo
	s_delay_alu instid0(VALU_DEP_2) | instskip(NEXT) | instid1(VALU_DEP_1)
	v_ashrrev_i32_e32 v6, 31, v5
	v_lshlrev_b64 v[5:6], 1, v[5:6]
	s_delay_alu instid0(VALU_DEP_1) | instskip(NEXT) | instid1(VALU_DEP_1)
	v_add_co_u32 v5, s0, s12, v5
	v_add_co_ci_u32_e64 v6, s0, s13, v6, s0
	flat_load_u16 v5, v[5:6]
	v_or_b32_e32 v6, 3, v19
	s_delay_alu instid0(VALU_DEP_1)
	v_cmpx_gt_i32_e64 s5, v6
	s_cbranch_execz .LBB672_33
; %bb.32:
	v_mul_lo_u32 v6, v6, s8
	s_delay_alu instid0(VALU_DEP_1) | instskip(NEXT) | instid1(VALU_DEP_1)
	v_ashrrev_i32_e32 v7, 31, v6
	v_lshlrev_b64 v[6:7], 1, v[6:7]
	s_delay_alu instid0(VALU_DEP_1) | instskip(NEXT) | instid1(VALU_DEP_1)
	v_add_co_u32 v6, s0, s12, v6
	v_add_co_ci_u32_e64 v7, s0, s13, v7, s0
	flat_load_u16 v6, v[6:7]
	s_waitcnt vmcnt(0) lgkmcnt(0)
	v_lshlrev_b32_e32 v10, 16, v6
.LBB672_33:
	s_or_b32 exec_lo, exec_lo, s19
	s_waitcnt vmcnt(0) lgkmcnt(0)
	v_lshlrev_b32_e32 v11, 16, v5
.LBB672_34:
	s_or_b32 exec_lo, exec_lo, s3
	s_waitcnt vmcnt(0) lgkmcnt(0)
	v_lshlrev_b32_e32 v12, 16, v4
.LBB672_35:
	s_or_b32 exec_lo, exec_lo, s2
	s_waitcnt vmcnt(0) lgkmcnt(0)
	v_lshlrev_b32_e32 v20, 16, v3
.LBB672_36:
	s_or_b32 exec_lo, exec_lo, s1
	s_delay_alu instid0(SALU_CYCLE_1)
	s_mov_b32 s1, exec_lo
	v_cmpx_gt_i32_e64 s4, v18
	s_cbranch_execz .LBB672_44
; %bb.37:
	s_waitcnt lgkmcnt(0)
	v_mul_lo_u32 v3, v19, s18
	v_mul_lo_u32 v4, v2, s18
	v_or_b32_e32 v5, 2, v19
	v_or_b32_e32 v6, 3, v19
	s_mov_b32 s0, exec_lo
	s_delay_alu instid0(VALU_DEP_2)
	v_mul_lo_u32 v7, v5, s18
	v_cndmask_b32_e32 v3, 0, v3, vcc_lo
	v_cmp_gt_i32_e32 vcc_lo, s5, v2
	v_mul_lo_u32 v8, v6, s18
	v_cndmask_b32_e32 v4, 0, v4, vcc_lo
	v_cmp_gt_i32_e32 vcc_lo, s5, v5
	v_add_nc_u32_e32 v2, v3, v18
	s_delay_alu instid0(VALU_DEP_3) | instskip(NEXT) | instid1(VALU_DEP_2)
	v_dual_cndmask_b32 v7, 0, v7 :: v_dual_add_nc_u32 v4, v4, v18
	v_ashrrev_i32_e32 v3, 31, v2
	v_cmp_gt_i32_e32 vcc_lo, s5, v6
	s_delay_alu instid0(VALU_DEP_3) | instskip(NEXT) | instid1(VALU_DEP_4)
	v_ashrrev_i32_e32 v5, 31, v4
	v_add_nc_u32_e32 v6, v7, v18
	s_delay_alu instid0(VALU_DEP_4) | instskip(SKIP_1) | instid1(VALU_DEP_4)
	v_lshlrev_b64 v[2:3], 1, v[2:3]
	v_cndmask_b32_e32 v8, 0, v8, vcc_lo
	v_lshlrev_b64 v[21:22], 1, v[4:5]
	s_delay_alu instid0(VALU_DEP_4) | instskip(NEXT) | instid1(VALU_DEP_4)
	v_ashrrev_i32_e32 v7, 31, v6
	v_add_co_u32 v4, vcc_lo, s6, v2
	v_add_co_ci_u32_e32 v5, vcc_lo, s7, v3, vcc_lo
	s_delay_alu instid0(VALU_DEP_4)
	v_add_co_u32 v2, vcc_lo, s6, v21
	v_add_co_ci_u32_e32 v3, vcc_lo, s7, v22, vcc_lo
	s_clause 0x1
	flat_load_u16 v19, v[4:5]
	flat_load_u16 v23, v[2:3]
	v_lshlrev_b64 v[6:7], 1, v[6:7]
	s_waitcnt vmcnt(1) lgkmcnt(1)
	v_lshlrev_b32_e32 v19, 16, v19
	v_add_nc_u32_e32 v8, v8, v18
	s_delay_alu instid0(VALU_DEP_1) | instskip(NEXT) | instid1(VALU_DEP_1)
	v_ashrrev_i32_e32 v9, 31, v8
	v_lshlrev_b64 v[21:22], 1, v[8:9]
	v_add_co_u32 v8, vcc_lo, s6, v6
	v_add_co_ci_u32_e32 v9, vcc_lo, s7, v7, vcc_lo
	s_delay_alu instid0(VALU_DEP_3) | instskip(NEXT) | instid1(VALU_DEP_4)
	v_add_co_u32 v6, vcc_lo, s6, v21
	v_add_co_ci_u32_e32 v7, vcc_lo, s7, v22, vcc_lo
	s_clause 0x1
	flat_load_u16 v21, v[8:9]
	flat_load_u16 v22, v[6:7]
	s_waitcnt vmcnt(1) lgkmcnt(1)
	v_dual_fmac_f32 v14, v20, v19 :: v_dual_lshlrev_b32 v21, 16, v21
	v_lshlrev_b32_e32 v23, 16, v23
	s_waitcnt vmcnt(0) lgkmcnt(0)
	s_delay_alu instid0(VALU_DEP_1) | instskip(NEXT) | instid1(VALU_DEP_1)
	v_dual_fmac_f32 v14, v12, v23 :: v_dual_lshlrev_b32 v19, 16, v22
	v_dual_fmac_f32 v14, v11, v21 :: v_dual_add_nc_u32 v23, 64, v18
	s_delay_alu instid0(VALU_DEP_1)
	v_cmpx_gt_i32_e64 s4, v23
	s_cbranch_execz .LBB672_43
; %bb.38:
	s_clause 0x3
	flat_load_u16 v21, v[4:5] offset:128
	flat_load_u16 v22, v[2:3] offset:128
	;; [unrolled: 1-line block ×4, first 2 shown]
	s_mov_b32 s2, exec_lo
	s_waitcnt vmcnt(3) lgkmcnt(3)
	v_lshlrev_b32_e32 v21, 16, v21
	s_waitcnt vmcnt(2) lgkmcnt(2)
	v_lshlrev_b32_e32 v22, 16, v22
	s_waitcnt vmcnt(1) lgkmcnt(1)
	v_lshlrev_b32_e32 v23, 16, v23
	v_fmac_f32_e32 v15, v20, v21
	s_waitcnt vmcnt(0) lgkmcnt(0)
	v_lshlrev_b32_e32 v21, 16, v24
	s_delay_alu instid0(VALU_DEP_2) | instskip(NEXT) | instid1(VALU_DEP_1)
	v_fmac_f32_e32 v15, v12, v22
	v_dual_fmac_f32 v15, v11, v23 :: v_dual_add_nc_u32 v22, 0x80, v18
	s_delay_alu instid0(VALU_DEP_1)
	v_cmpx_gt_i32_e64 s4, v22
	s_cbranch_execz .LBB672_42
; %bb.39:
	s_clause 0x3
	flat_load_u16 v22, v[4:5] offset:256
	flat_load_u16 v23, v[2:3] offset:256
	;; [unrolled: 1-line block ×4, first 2 shown]
	s_mov_b32 s3, exec_lo
	s_waitcnt vmcnt(3) lgkmcnt(3)
	v_lshlrev_b32_e32 v22, 16, v22
	s_waitcnt vmcnt(2) lgkmcnt(2)
	s_delay_alu instid0(VALU_DEP_1) | instskip(SKIP_2) | instid1(VALU_DEP_2)
	v_dual_fmac_f32 v16, v20, v22 :: v_dual_lshlrev_b32 v23, 16, v23
	s_waitcnt vmcnt(1) lgkmcnt(1)
	v_lshlrev_b32_e32 v22, 16, v24
	v_dual_fmac_f32 v16, v12, v23 :: v_dual_add_nc_u32 v23, 0xc0, v18
	s_waitcnt vmcnt(0) lgkmcnt(0)
	v_lshlrev_b32_e32 v18, 16, v25
	s_delay_alu instid0(VALU_DEP_2) | instskip(NEXT) | instid1(VALU_DEP_3)
	v_fmac_f32_e32 v16, v11, v22
	v_cmpx_gt_i32_e64 s4, v23
	s_cbranch_execz .LBB672_41
; %bb.40:
	s_clause 0x3
	flat_load_u16 v4, v[4:5] offset:384
	flat_load_u16 v2, v[2:3] offset:384
	;; [unrolled: 1-line block ×4, first 2 shown]
	s_waitcnt vmcnt(2) lgkmcnt(2)
	v_lshlrev_b32_e32 v2, 16, v2
	v_lshlrev_b32_e32 v4, 16, v4
	s_waitcnt vmcnt(1) lgkmcnt(1)
	v_lshlrev_b32_e32 v3, 16, v3
	s_delay_alu instid0(VALU_DEP_2) | instskip(SKIP_1) | instid1(VALU_DEP_1)
	v_fmac_f32_e32 v17, v20, v4
	s_waitcnt vmcnt(0) lgkmcnt(0)
	v_dual_fmac_f32 v17, v12, v2 :: v_dual_lshlrev_b32 v2, 16, v5
	s_delay_alu instid0(VALU_DEP_1) | instskip(NEXT) | instid1(VALU_DEP_1)
	v_fmac_f32_e32 v17, v11, v3
	v_fmac_f32_e32 v17, v10, v2
.LBB672_41:
	s_or_b32 exec_lo, exec_lo, s3
	s_delay_alu instid0(VALU_DEP_2)
	v_fmac_f32_e32 v16, v10, v18
.LBB672_42:
	s_or_b32 exec_lo, exec_lo, s2
	s_delay_alu instid0(VALU_DEP_2)
	v_fmac_f32_e32 v15, v10, v21
.LBB672_43:
	s_or_b32 exec_lo, exec_lo, s0
	s_delay_alu instid0(VALU_DEP_2)
	v_fmac_f32_e32 v14, v10, v19
.LBB672_44:
	s_or_b32 exec_lo, exec_lo, s1
.LBB672_45:
	v_lshlrev_b32_e32 v2, 8, v13
	s_mov_b32 s0, exec_lo
                                        ; implicit-def: $vgpr3
                                        ; implicit-def: $vgpr4_vgpr5
	s_delay_alu instid0(VALU_DEP_1)
	v_add_lshl_u32 v1, v2, v1, 2
	ds_store_2addr_stride64_b32 v1, v14, v15 offset1:1
	ds_store_2addr_stride64_b32 v1, v16, v17 offset0:2 offset1:3
	s_waitcnt lgkmcnt(0)
	s_barrier
	buffer_gl0_inv
	v_cmpx_gt_u32_e32 0x100, v0
	s_cbranch_execz .LBB672_51
; %bb.46:
	v_lshlrev_b32_e32 v7, 2, v0
	s_mov_b32 s2, s11
	s_mov_b32 s1, exec_lo
	ds_load_2addr_stride64_b32 v[1:2], v7 offset1:4
	ds_load_2addr_stride64_b32 v[3:4], v7 offset0:8 offset1:12
	ds_load_2addr_stride64_b32 v[5:6], v7 offset0:16 offset1:20
	s_waitcnt lgkmcnt(2)
	v_add_f32_e32 v8, v1, v2
	ds_load_2addr_stride64_b32 v[1:2], v7 offset0:24 offset1:28
	s_waitcnt lgkmcnt(2)
	v_add_f32_e32 v3, v3, v8
	s_delay_alu instid0(VALU_DEP_1) | instskip(SKIP_3) | instid1(VALU_DEP_1)
	v_add_f32_e32 v8, v4, v3
	ds_load_2addr_stride64_b32 v[3:4], v7 offset0:32 offset1:36
	s_waitcnt lgkmcnt(2)
	v_add_f32_e32 v5, v5, v8
	v_add_f32_e32 v8, v6, v5
	ds_load_2addr_stride64_b32 v[5:6], v7 offset0:40 offset1:44
	s_waitcnt lgkmcnt(2)
	v_add_f32_e32 v1, v1, v8
	s_delay_alu instid0(VALU_DEP_1) | instskip(SKIP_1) | instid1(VALU_DEP_1)
	v_add_f32_e32 v1, v2, v1
	s_waitcnt lgkmcnt(1)
	v_add_f32_e32 v3, v3, v1
	ds_load_2addr_stride64_b32 v[1:2], v7 offset0:48 offset1:52
	v_add_f32_e32 v3, v4, v3
	s_waitcnt lgkmcnt(1)
	s_delay_alu instid0(VALU_DEP_1) | instskip(SKIP_3) | instid1(VALU_DEP_1)
	v_add_f32_e32 v5, v5, v3
	ds_load_2addr_stride64_b32 v[3:4], v7 offset0:56 offset1:60
	v_add_f32_e32 v5, v6, v5
	s_waitcnt lgkmcnt(1)
	v_add_f32_e32 v1, v1, v5
	s_delay_alu instid0(VALU_DEP_1) | instskip(SKIP_1) | instid1(VALU_DEP_1)
	v_add_f32_e32 v1, v2, v1
	s_waitcnt lgkmcnt(0)
	v_add_f32_e32 v2, v3, v1
	v_or_b32_e32 v1, s14, v0
                                        ; implicit-def: $vgpr3
	s_delay_alu instid0(VALU_DEP_2)
	v_add_f32_e32 v0, v4, v2
                                        ; implicit-def: $vgpr4_vgpr5
	ds_store_b32 v7, v0
	v_cmpx_gt_i32_e64 s4, v1
	s_cbranch_execz .LBB672_50
; %bb.47:
	v_mul_lo_u32 v4, v1, s17
	v_cmp_eq_f32_e64 s2, s15, 0
	v_mul_f32_e32 v3, s16, v0
	s_delay_alu instid0(VALU_DEP_2) | instskip(NEXT) | instid1(VALU_DEP_3)
	s_and_b32 vcc_lo, exec_lo, s2
	v_ashrrev_i32_e32 v5, 31, v4
	s_cbranch_vccnz .LBB672_49
; %bb.48:
	s_delay_alu instid0(VALU_DEP_1) | instskip(NEXT) | instid1(VALU_DEP_1)
	v_lshlrev_b64 v[0:1], 2, v[4:5]
	v_add_co_u32 v0, vcc_lo, s9, v0
	s_delay_alu instid0(VALU_DEP_2)
	v_add_co_ci_u32_e32 v1, vcc_lo, s10, v1, vcc_lo
	global_load_b32 v0, v[0:1], off
	s_waitcnt vmcnt(0)
	v_fmac_f32_e32 v3, s15, v0
.LBB672_49:
	s_or_b32 s2, s11, exec_lo
.LBB672_50:
	s_or_b32 exec_lo, exec_lo, s1
	s_delay_alu instid0(SALU_CYCLE_1) | instskip(SKIP_1) | instid1(SALU_CYCLE_1)
	s_and_not1_b32 s1, s11, exec_lo
	s_and_b32 s2, s2, exec_lo
	s_or_b32 s11, s1, s2
.LBB672_51:
	s_or_b32 exec_lo, exec_lo, s0
.LBB672_52:
	s_and_saveexec_b32 s0, s11
	s_cbranch_execz .LBB672_54
; %bb.53:
	v_lshlrev_b64 v[0:1], 2, v[4:5]
	s_delay_alu instid0(VALU_DEP_1) | instskip(NEXT) | instid1(VALU_DEP_2)
	v_add_co_u32 v0, vcc_lo, s9, v0
	v_add_co_ci_u32_e32 v1, vcc_lo, s10, v1, vcc_lo
	global_store_b32 v[0:1], v3, off
.LBB672_54:
	s_nop 0
	s_sendmsg sendmsg(MSG_DEALLOC_VGPRS)
	s_endpgm
	.section	.rodata,"a",@progbits
	.p2align	6, 0x0
	.amdhsa_kernel _ZL20rocblas_gemvn_kernelILi64ELi16EiPK16rocblas_bfloat16PKfKPfEviiT3_lPKT2_lT1_lSA_lSB_lS7_lPT4_lSB_li
		.amdhsa_group_segment_fixed_size 16384
		.amdhsa_private_segment_fixed_size 0
		.amdhsa_kernarg_size 400
		.amdhsa_user_sgpr_count 14
		.amdhsa_user_sgpr_dispatch_ptr 0
		.amdhsa_user_sgpr_queue_ptr 0
		.amdhsa_user_sgpr_kernarg_segment_ptr 1
		.amdhsa_user_sgpr_dispatch_id 0
		.amdhsa_user_sgpr_private_segment_size 0
		.amdhsa_wavefront_size32 1
		.amdhsa_uses_dynamic_stack 0
		.amdhsa_enable_private_segment 0
		.amdhsa_system_sgpr_workgroup_id_x 1
		.amdhsa_system_sgpr_workgroup_id_y 0
		.amdhsa_system_sgpr_workgroup_id_z 1
		.amdhsa_system_sgpr_workgroup_info 0
		.amdhsa_system_vgpr_workitem_id 1
		.amdhsa_next_free_vgpr 41
		.amdhsa_next_free_sgpr 28
		.amdhsa_reserve_vcc 1
		.amdhsa_float_round_mode_32 0
		.amdhsa_float_round_mode_16_64 0
		.amdhsa_float_denorm_mode_32 3
		.amdhsa_float_denorm_mode_16_64 3
		.amdhsa_dx10_clamp 1
		.amdhsa_ieee_mode 1
		.amdhsa_fp16_overflow 0
		.amdhsa_workgroup_processor_mode 1
		.amdhsa_memory_ordered 1
		.amdhsa_forward_progress 0
		.amdhsa_shared_vgpr_count 0
		.amdhsa_exception_fp_ieee_invalid_op 0
		.amdhsa_exception_fp_denorm_src 0
		.amdhsa_exception_fp_ieee_div_zero 0
		.amdhsa_exception_fp_ieee_overflow 0
		.amdhsa_exception_fp_ieee_underflow 0
		.amdhsa_exception_fp_ieee_inexact 0
		.amdhsa_exception_int_div_zero 0
	.end_amdhsa_kernel
	.section	.text._ZL20rocblas_gemvn_kernelILi64ELi16EiPK16rocblas_bfloat16PKfKPfEviiT3_lPKT2_lT1_lSA_lSB_lS7_lPT4_lSB_li,"axG",@progbits,_ZL20rocblas_gemvn_kernelILi64ELi16EiPK16rocblas_bfloat16PKfKPfEviiT3_lPKT2_lT1_lSA_lSB_lS7_lPT4_lSB_li,comdat
.Lfunc_end672:
	.size	_ZL20rocblas_gemvn_kernelILi64ELi16EiPK16rocblas_bfloat16PKfKPfEviiT3_lPKT2_lT1_lSA_lSB_lS7_lPT4_lSB_li, .Lfunc_end672-_ZL20rocblas_gemvn_kernelILi64ELi16EiPK16rocblas_bfloat16PKfKPfEviiT3_lPKT2_lT1_lSA_lSB_lS7_lPT4_lSB_li
                                        ; -- End function
	.section	.AMDGPU.csdata,"",@progbits
; Kernel info:
; codeLenInByte = 3232
; NumSgprs: 30
; NumVgprs: 41
; ScratchSize: 0
; MemoryBound: 0
; FloatMode: 240
; IeeeMode: 1
; LDSByteSize: 16384 bytes/workgroup (compile time only)
; SGPRBlocks: 3
; VGPRBlocks: 5
; NumSGPRsForWavesPerEU: 30
; NumVGPRsForWavesPerEU: 41
; Occupancy: 16
; WaveLimiterHint : 1
; COMPUTE_PGM_RSRC2:SCRATCH_EN: 0
; COMPUTE_PGM_RSRC2:USER_SGPR: 14
; COMPUTE_PGM_RSRC2:TRAP_HANDLER: 0
; COMPUTE_PGM_RSRC2:TGID_X_EN: 1
; COMPUTE_PGM_RSRC2:TGID_Y_EN: 0
; COMPUTE_PGM_RSRC2:TGID_Z_EN: 1
; COMPUTE_PGM_RSRC2:TIDIG_COMP_CNT: 1
	.section	.text._ZL20rocblas_gemvn_kernelILi64ELi16ElPK16rocblas_bfloat16PKfKPfEviiT3_lPKT2_lT1_lSA_lSB_lS7_lPT4_lSB_li,"axG",@progbits,_ZL20rocblas_gemvn_kernelILi64ELi16ElPK16rocblas_bfloat16PKfKPfEviiT3_lPKT2_lT1_lSA_lSB_lS7_lPT4_lSB_li,comdat
	.globl	_ZL20rocblas_gemvn_kernelILi64ELi16ElPK16rocblas_bfloat16PKfKPfEviiT3_lPKT2_lT1_lSA_lSB_lS7_lPT4_lSB_li ; -- Begin function _ZL20rocblas_gemvn_kernelILi64ELi16ElPK16rocblas_bfloat16PKfKPfEviiT3_lPKT2_lT1_lSA_lSB_lS7_lPT4_lSB_li
	.p2align	8
	.type	_ZL20rocblas_gemvn_kernelILi64ELi16ElPK16rocblas_bfloat16PKfKPfEviiT3_lPKT2_lT1_lSA_lSB_lS7_lPT4_lSB_li,@function
_ZL20rocblas_gemvn_kernelILi64ELi16ElPK16rocblas_bfloat16PKfKPfEviiT3_lPKT2_lT1_lSA_lSB_lS7_lPT4_lSB_li: ; @_ZL20rocblas_gemvn_kernelILi64ELi16ElPK16rocblas_bfloat16PKfKPfEviiT3_lPKT2_lT1_lSA_lSB_lS7_lPT4_lSB_li
; %bb.0:
	s_load_b64 s[4:5], s[0:1], 0x9c
	s_waitcnt lgkmcnt(0)
	s_lshr_b32 s3, s4, 16
	s_and_b32 s4, s4, 0xffff
	s_and_b32 s5, s5, 0xffff
	s_mul_i32 s3, s3, s4
	s_delay_alu instid0(SALU_CYCLE_1) | instskip(NEXT) | instid1(SALU_CYCLE_1)
	s_mul_i32 s3, s3, s5
	s_cmpk_lg_i32 s3, 0x400
	s_cbranch_scc1 .LBB673_54
; %bb.1:
	s_clause 0x1
	s_load_b256 s[16:23], s[0:1], 0x8
	s_load_b256 s[4:11], s[0:1], 0x58
	s_mov_b32 s2, s15
	s_waitcnt lgkmcnt(0)
	s_mul_i32 s3, s15, s19
	s_mul_hi_u32 s13, s15, s18
	s_mul_i32 s12, s15, s18
	s_add_i32 s13, s13, s3
	s_mul_i32 s3, s15, s7
	s_lshl_b64 s[12:13], s[12:13], 2
	s_mul_hi_u32 s7, s15, s6
	s_add_u32 s12, s16, s12
	s_addc_u32 s13, s17, s13
	s_add_i32 s7, s7, s3
	s_mul_i32 s6, s15, s6
	s_delay_alu instid0(SALU_CYCLE_1) | instskip(NEXT) | instid1(SALU_CYCLE_1)
	s_lshl_b64 s[6:7], s[6:7], 2
	s_add_u32 s4, s4, s6
	s_addc_u32 s5, s5, s7
	s_load_b32 s27, s[12:13], 0x0
	s_load_b32 s26, s[4:5], 0x0
	s_waitcnt lgkmcnt(0)
	v_cmp_eq_f32_e64 s15, s27, 0
	v_cmp_eq_f32_e64 s3, s26, 1.0
	s_delay_alu instid0(VALU_DEP_1) | instskip(NEXT) | instid1(SALU_CYCLE_1)
	s_and_b32 s3, s15, s3
	s_and_b32 vcc_lo, exec_lo, s3
	s_mov_b32 s3, 0
	s_cbranch_vccnz .LBB673_54
; %bb.2:
	s_clause 0x1
	s_load_b64 s[16:17], s[0:1], 0x28
	s_load_b64 s[12:13], s[0:1], 0x78
	v_cmp_neq_f32_e64 s28, s27, 0
	s_mov_b64 s[24:25], 0
	s_and_b32 vcc_lo, exec_lo, s15
	s_mov_b64 s[18:19], 0
	s_cbranch_vccnz .LBB673_4
; %bb.3:
	s_lshl_b64 s[4:5], s[2:3], 3
	s_delay_alu instid0(SALU_CYCLE_1)
	s_add_u32 s4, s20, s4
	s_addc_u32 s5, s21, s5
	s_lshl_b64 s[6:7], s[22:23], 1
	s_load_b64 s[4:5], s[4:5], 0x0
	s_waitcnt lgkmcnt(0)
	s_add_u32 s18, s4, s6
	s_addc_u32 s19, s5, s7
.LBB673_4:
	s_clause 0x1
	s_load_b128 s[4:7], s[0:1], 0x38
	s_load_b64 s[20:21], s[0:1], 0x48
	s_and_not1_b32 vcc_lo, exec_lo, s28
	s_cbranch_vccnz .LBB673_6
; %bb.5:
	s_lshl_b64 s[22:23], s[2:3], 3
	s_waitcnt lgkmcnt(0)
	s_add_u32 s4, s4, s22
	s_addc_u32 s5, s5, s23
	s_lshl_b64 s[6:7], s[6:7], 1
	s_load_b64 s[4:5], s[4:5], 0x0
	s_waitcnt lgkmcnt(0)
	s_add_u32 s24, s4, s6
	s_addc_u32 s25, s5, s7
.LBB673_6:
	s_lshl_b64 s[2:3], s[2:3], 3
	v_and_b32_e32 v20, 0x3ff, v0
	s_add_u32 s2, s8, s2
	s_addc_u32 s3, s9, s3
	v_bfe_u32 v21, v0, 10, 10
	s_load_b64 s[2:3], s[2:3], 0x0
	s_waitcnt lgkmcnt(0)
	s_load_b64 s[6:7], s[0:1], 0x0
	s_lshl_b64 s[8:9], s[10:11], 2
	v_lshl_add_u32 v19, v21, 6, v20
	s_delay_alu instid0(VALU_DEP_1)
	v_cmp_gt_u32_e64 s0, 0x100, v19
	s_add_u32 s5, s2, s8
	s_addc_u32 s22, s3, s9
	s_and_not1_b32 vcc_lo, exec_lo, s15
	s_cbranch_vccnz .LBB673_13
; %bb.7:
	s_mov_b32 s1, 0
	s_mov_b32 s23, 0
                                        ; implicit-def: $vgpr1
                                        ; implicit-def: $vgpr2_vgpr3
	s_and_saveexec_b32 s2, s0
	s_cbranch_execz .LBB673_14
; %bb.8:
	v_lshl_or_b32 v0, s14, 8, v19
	v_mov_b32_e32 v1, 0
	s_waitcnt lgkmcnt(0)
	s_ashr_i32 s9, s6, 31
	s_mov_b32 s8, s6
	s_mov_b32 s3, 0
	s_mov_b32 s0, exec_lo
                                        ; implicit-def: $vgpr2_vgpr3
	v_cmpx_gt_i64_e64 s[8:9], v[0:1]
	s_cbranch_execz .LBB673_12
; %bb.9:
	v_mad_u64_u32 v[2:3], null, v0, s12, 0
	v_cmp_eq_f32_e64 s3, s26, 0
	s_delay_alu instid0(VALU_DEP_1) | instskip(NEXT) | instid1(VALU_DEP_2)
	s_and_b32 vcc_lo, exec_lo, s3
	v_mad_u64_u32 v[4:5], null, v0, s13, v[3:4]
	s_delay_alu instid0(VALU_DEP_1)
	v_mov_b32_e32 v3, v4
	s_cbranch_vccnz .LBB673_11
; %bb.10:
	s_delay_alu instid0(VALU_DEP_1) | instskip(NEXT) | instid1(VALU_DEP_1)
	v_lshlrev_b64 v[0:1], 2, v[2:3]
	v_add_co_u32 v0, vcc_lo, s5, v0
	s_delay_alu instid0(VALU_DEP_2)
	v_add_co_ci_u32_e32 v1, vcc_lo, s22, v1, vcc_lo
	global_load_b32 v0, v[0:1], off
	s_waitcnt vmcnt(0)
	v_mul_f32_e32 v1, s26, v0
.LBB673_11:
	s_mov_b32 s3, exec_lo
.LBB673_12:
	s_or_b32 exec_lo, exec_lo, s0
	s_delay_alu instid0(SALU_CYCLE_1) | instskip(SKIP_1) | instid1(SALU_CYCLE_1)
	s_and_b32 s23, s3, exec_lo
	s_or_b32 exec_lo, exec_lo, s2
	s_and_b32 vcc_lo, exec_lo, s1
	s_cbranch_vccnz .LBB673_15
	s_branch .LBB673_52
.LBB673_13:
	s_mov_b32 s23, 0
                                        ; implicit-def: $vgpr1
                                        ; implicit-def: $vgpr2_vgpr3
	s_cbranch_execnz .LBB673_15
	s_branch .LBB673_52
.LBB673_14:
	s_or_b32 exec_lo, exec_lo, s2
	s_delay_alu instid0(SALU_CYCLE_1)
	s_and_b32 vcc_lo, exec_lo, s1
	s_cbranch_vccz .LBB673_52
.LBB673_15:
	s_waitcnt lgkmcnt(0)
	s_ashr_i32 s0, s7, 31
	s_lshl_b32 s28, s14, 8
	s_lshr_b32 s0, s0, 26
	v_dual_mov_b32 v23, 0 :: v_dual_lshlrev_b32 v26, 2, v21
	v_dual_mov_b32 v22, 0 :: v_dual_mov_b32 v25, 0
	v_add_nc_u32_e32 v0, s28, v20
	v_mov_b32_e32 v24, 0
	s_add_i32 s29, s7, s0
	s_mov_b32 s30, exec_lo
	s_and_not1_b32 s29, s29, 63
	s_delay_alu instid0(SALU_CYCLE_1)
	v_cmpx_gt_i32_e64 s29, v26
	s_cbranch_execz .LBB673_27
; %bb.16:
	v_lshlrev_b32_e32 v29, 2, v21
	v_mad_u64_u32 v[5:6], null, s20, v21, 0
	v_add_nc_u32_e32 v2, 64, v0
	v_mad_u64_u32 v[7:8], null, s16, v21, 0
	s_delay_alu instid0(VALU_DEP_4) | instskip(SKIP_1) | instid1(VALU_DEP_4)
	v_or_b32_e32 v25, 3, v29
	v_add_nc_u32_e32 v9, 0x80, v0
	v_cmp_gt_i32_e64 s0, s6, v2
	v_ashrrev_i32_e32 v1, 31, v0
	v_cmp_gt_i32_e32 vcc_lo, s6, v0
	v_mad_u64_u32 v[3:4], null, s16, v25, 0
	v_mad_u64_u32 v[16:17], null, s20, v25, 0
	v_add_nc_u32_e32 v10, 0xc0, v0
	s_lshl_b64 s[8:9], s[16:17], 7
	s_lshl_b64 s[10:11], s[20:21], 7
	s_mov_b32 s31, 0
	s_delay_alu instid0(VALU_DEP_3)
	v_mov_b32_e32 v2, v4
	v_mov_b32_e32 v4, v6
	v_cmp_gt_i32_e64 s1, s6, v9
	v_cmp_gt_i32_e64 s2, s6, v10
	v_mov_b32_e32 v6, v8
	v_mad_u64_u32 v[9:10], null, s17, v25, v[2:3]
	v_or_b32_e32 v31, 2, v29
	v_mad_u64_u32 v[10:11], null, s21, v21, v[4:5]
	s_delay_alu instid0(VALU_DEP_4) | instskip(SKIP_1) | instid1(VALU_DEP_4)
	v_mad_u64_u32 v[11:12], null, s17, v21, v[6:7]
	v_mad_u64_u32 v[12:13], null, s20, v29, s[20:21]
	;; [unrolled: 1-line block ×3, first 2 shown]
	v_mov_b32_e32 v4, v9
	v_mov_b32_e32 v6, v10
	v_lshlrev_b64 v[1:2], 1, v[0:1]
	s_mov_b64 s[14:15], s[24:25]
	s_delay_alu instid0(VALU_DEP_3) | instskip(NEXT) | instid1(VALU_DEP_3)
	v_lshlrev_b64 v[9:10], 1, v[3:4]
	v_lshlrev_b64 v[3:4], 3, v[5:6]
	v_dual_mov_b32 v5, v15 :: v_dual_mov_b32 v6, v13
	s_delay_alu instid0(VALU_DEP_3) | instskip(NEXT) | instid1(VALU_DEP_2)
	v_add_co_u32 v27, s3, s18, v9
	v_mad_u64_u32 v[22:23], null, s17, v31, v[5:6]
	v_mov_b32_e32 v5, v17
	v_add_co_ci_u32_e64 v28, s3, s19, v10, s3
	v_mad_u64_u32 v[9:10], null, s16, v29, s[16:17]
	s_delay_alu instid0(VALU_DEP_3) | instskip(SKIP_2) | instid1(VALU_DEP_4)
	v_mad_u64_u32 v[23:24], null, s21, v25, v[5:6]
	v_mad_u64_u32 v[24:25], null, s20, v31, 0
	v_dual_mov_b32 v8, v11 :: v_dual_mov_b32 v15, v22
	v_mov_b32_e32 v5, v10
	s_delay_alu instid0(VALU_DEP_2) | instskip(NEXT) | instid1(VALU_DEP_2)
	v_lshlrev_b64 v[14:15], 1, v[14:15]
	v_mad_u64_u32 v[10:11], null, s17, v29, v[5:6]
	v_mov_b32_e32 v5, v25
	v_lshlrev_b64 v[7:8], 3, v[7:8]
	s_delay_alu instid0(VALU_DEP_3) | instskip(NEXT) | instid1(VALU_DEP_2)
	v_lshlrev_b64 v[9:10], 1, v[9:10]
	v_mad_u64_u32 v[17:18], null, s21, v29, v[6:7]
	v_add_co_u32 v29, s3, s18, v7
	s_delay_alu instid0(VALU_DEP_1) | instskip(NEXT) | instid1(VALU_DEP_3)
	v_add_co_ci_u32_e64 v30, s3, s19, v8, s3
	v_mov_b32_e32 v13, v17
	v_mov_b32_e32 v17, v23
	v_mad_u64_u32 v[22:23], null, s21, v31, v[5:6]
	v_add_co_u32 v31, s3, s18, v14
	s_delay_alu instid0(VALU_DEP_1) | instskip(SKIP_1) | instid1(VALU_DEP_4)
	v_add_co_ci_u32_e64 v32, s3, s19, v15, s3
	v_add_co_u32 v33, s3, s18, v9
	v_dual_mov_b32 v25, v22 :: v_dual_mov_b32 v22, 0
	v_lshlrev_b64 v[5:6], 1, v[12:13]
	v_lshlrev_b64 v[7:8], 1, v[16:17]
	v_add_co_ci_u32_e64 v34, s3, s19, v10, s3
	s_delay_alu instid0(VALU_DEP_4)
	v_lshlrev_b64 v[9:10], 1, v[24:25]
	v_dual_mov_b32 v23, 0 :: v_dual_mov_b32 v24, 0
	v_mov_b32_e32 v25, 0
	s_branch .LBB673_21
.LBB673_17:                             ;   in Loop: Header=BB673_21 Depth=1
	s_or_b32 exec_lo, exec_lo, s34
	s_waitcnt vmcnt(2) lgkmcnt(2)
	v_lshlrev_b32_e32 v12, 16, v49
	v_lshlrev_b32_e32 v11, 16, v50
	s_waitcnt vmcnt(1) lgkmcnt(1)
	s_delay_alu instid0(VALU_DEP_1) | instskip(NEXT) | instid1(VALU_DEP_1)
	v_dual_fmac_f32 v24, v42, v11 :: v_dual_lshlrev_b32 v11, 16, v48
	v_fmac_f32_e32 v24, v40, v12
	s_delay_alu instid0(VALU_DEP_1) | instskip(SKIP_2) | instid1(VALU_DEP_1)
	v_fmac_f32_e32 v24, v38, v11
	s_waitcnt vmcnt(0) lgkmcnt(0)
	v_lshlrev_b32_e32 v11, 16, v47
	v_fmac_f32_e32 v24, v37, v11
.LBB673_18:                             ;   in Loop: Header=BB673_21 Depth=1
	s_or_b32 exec_lo, exec_lo, s33
	s_waitcnt vmcnt(3) lgkmcnt(3)
	v_lshlrev_b32_e32 v11, 16, v46
	s_waitcnt vmcnt(2) lgkmcnt(2)
	s_delay_alu instid0(VALU_DEP_1) | instskip(SKIP_2) | instid1(VALU_DEP_2)
	v_dual_fmac_f32 v23, v42, v11 :: v_dual_lshlrev_b32 v12, 16, v45
	s_waitcnt vmcnt(1) lgkmcnt(1)
	v_lshlrev_b32_e32 v11, 16, v44
	v_fmac_f32_e32 v23, v40, v12
	s_delay_alu instid0(VALU_DEP_1) | instskip(SKIP_2) | instid1(VALU_DEP_1)
	v_fmac_f32_e32 v23, v38, v11
	s_waitcnt vmcnt(0) lgkmcnt(0)
	v_lshlrev_b32_e32 v11, 16, v43
	v_fmac_f32_e32 v23, v37, v11
.LBB673_19:                             ;   in Loop: Header=BB673_21 Depth=1
	s_or_b32 exec_lo, exec_lo, s3
	s_waitcnt vmcnt(2) lgkmcnt(2)
	v_lshlrev_b32_e32 v12, 16, v39
	v_lshlrev_b32_e32 v11, 16, v41
	s_waitcnt vmcnt(1) lgkmcnt(1)
	s_delay_alu instid0(VALU_DEP_1) | instskip(NEXT) | instid1(VALU_DEP_1)
	v_dual_fmac_f32 v22, v42, v11 :: v_dual_lshlrev_b32 v11, 16, v36
	v_fmac_f32_e32 v22, v40, v12
	s_delay_alu instid0(VALU_DEP_1) | instskip(SKIP_2) | instid1(VALU_DEP_1)
	v_fmac_f32_e32 v22, v38, v11
	s_waitcnt vmcnt(0) lgkmcnt(0)
	v_lshlrev_b32_e32 v11, 16, v35
	v_fmac_f32_e32 v22, v37, v11
.LBB673_20:                             ;   in Loop: Header=BB673_21 Depth=1
	s_or_b32 exec_lo, exec_lo, s4
	v_add_co_u32 v27, s3, v27, s8
	s_delay_alu instid0(VALU_DEP_1) | instskip(SKIP_4) | instid1(VALU_DEP_1)
	v_add_co_ci_u32_e64 v28, s3, s9, v28, s3
	v_add_co_u32 v29, s3, v29, s8
	v_add_nc_u32_e32 v26, 64, v26
	v_add_co_ci_u32_e64 v30, s3, s9, v30, s3
	v_add_co_u32 v31, s3, v31, s8
	v_add_co_ci_u32_e64 v32, s3, s9, v32, s3
	s_delay_alu instid0(VALU_DEP_4) | instskip(SKIP_1) | instid1(VALU_DEP_1)
	v_cmp_le_i32_e64 s3, s29, v26
	v_add_co_u32 v33, s4, v33, s8
	v_add_co_ci_u32_e64 v34, s4, s9, v34, s4
	s_add_u32 s14, s14, s10
	s_addc_u32 s15, s15, s11
	s_or_b32 s31, s3, s31
	s_delay_alu instid0(SALU_CYCLE_1)
	s_and_not1_b32 exec_lo, exec_lo, s31
	s_cbranch_execz .LBB673_26
.LBB673_21:                             ; =>This Inner Loop Header: Depth=1
	s_and_saveexec_b32 s4, vcc_lo
	s_cbranch_execz .LBB673_20
; %bb.22:                               ;   in Loop: Header=BB673_21 Depth=1
	v_add_co_u32 v11, s3, s14, v3
	s_delay_alu instid0(VALU_DEP_1) | instskip(SKIP_1) | instid1(VALU_DEP_1)
	v_add_co_ci_u32_e64 v12, s3, s15, v4, s3
	v_add_co_u32 v13, s3, s14, v5
	v_add_co_ci_u32_e64 v14, s3, s15, v6, s3
	v_add_co_u32 v15, s3, s14, v9
	s_delay_alu instid0(VALU_DEP_1) | instskip(SKIP_1) | instid1(VALU_DEP_1)
	v_add_co_ci_u32_e64 v16, s3, s15, v10, s3
	v_add_co_u32 v17, s3, s14, v7
	v_add_co_ci_u32_e64 v18, s3, s15, v8, s3
	s_clause 0x3
	flat_load_u16 v37, v[11:12]
	flat_load_u16 v38, v[13:14]
	;; [unrolled: 1-line block ×4, first 2 shown]
	v_add_co_u32 v11, s3, v29, v1
	s_delay_alu instid0(VALU_DEP_1) | instskip(SKIP_1) | instid1(VALU_DEP_1)
	v_add_co_ci_u32_e64 v12, s3, v30, v2, s3
	v_add_co_u32 v13, s3, v33, v1
	v_add_co_ci_u32_e64 v14, s3, v34, v2, s3
	v_add_co_u32 v15, s3, v31, v1
	s_delay_alu instid0(VALU_DEP_1) | instskip(SKIP_1) | instid1(VALU_DEP_1)
	v_add_co_ci_u32_e64 v16, s3, v32, v2, s3
	v_add_co_u32 v17, s3, v27, v1
	v_add_co_ci_u32_e64 v18, s3, v28, v2, s3
	flat_load_u16 v41, v[11:12]
	flat_load_u16 v39, v[13:14]
	;; [unrolled: 1-line block ×4, first 2 shown]
	s_waitcnt vmcnt(7) lgkmcnt(7)
	v_lshlrev_b32_e32 v42, 16, v37
	s_waitcnt vmcnt(6) lgkmcnt(6)
	v_lshlrev_b32_e32 v40, 16, v38
	;; [unrolled: 2-line block ×4, first 2 shown]
	s_and_saveexec_b32 s3, s0
	s_cbranch_execz .LBB673_19
; %bb.23:                               ;   in Loop: Header=BB673_21 Depth=1
	flat_load_u16 v46, v[11:12] offset:128
	flat_load_u16 v45, v[13:14] offset:128
	flat_load_u16 v44, v[15:16] offset:128
	flat_load_u16 v43, v[17:18] offset:128
	s_and_saveexec_b32 s33, s1
	s_cbranch_execz .LBB673_18
; %bb.24:                               ;   in Loop: Header=BB673_21 Depth=1
	flat_load_u16 v50, v[11:12] offset:256
	flat_load_u16 v49, v[13:14] offset:256
	flat_load_u16 v48, v[15:16] offset:256
	flat_load_u16 v47, v[17:18] offset:256
	s_and_saveexec_b32 s34, s2
	s_cbranch_execz .LBB673_17
; %bb.25:                               ;   in Loop: Header=BB673_21 Depth=1
	flat_load_u16 v11, v[11:12] offset:384
	flat_load_u16 v12, v[13:14] offset:384
	flat_load_u16 v13, v[15:16] offset:384
	flat_load_u16 v14, v[17:18] offset:384
	s_waitcnt vmcnt(3) lgkmcnt(3)
	v_lshlrev_b32_e32 v11, 16, v11
	s_waitcnt vmcnt(2) lgkmcnt(2)
	s_delay_alu instid0(VALU_DEP_1) | instskip(SKIP_2) | instid1(VALU_DEP_2)
	v_dual_fmac_f32 v25, v42, v11 :: v_dual_lshlrev_b32 v12, 16, v12
	s_waitcnt vmcnt(1) lgkmcnt(1)
	v_lshlrev_b32_e32 v11, 16, v13
	v_fmac_f32_e32 v25, v40, v12
	s_delay_alu instid0(VALU_DEP_1) | instskip(SKIP_2) | instid1(VALU_DEP_1)
	v_fmac_f32_e32 v25, v38, v11
	s_waitcnt vmcnt(0) lgkmcnt(0)
	v_lshlrev_b32_e32 v11, 16, v14
	v_fmac_f32_e32 v25, v37, v11
	s_branch .LBB673_17
.LBB673_26:
	s_or_b32 exec_lo, exec_lo, s31
.LBB673_27:
	s_delay_alu instid0(SALU_CYCLE_1) | instskip(SKIP_1) | instid1(SALU_CYCLE_1)
	s_or_b32 exec_lo, exec_lo, s30
	s_sub_i32 s0, s7, s29
	s_cmp_lt_i32 s0, 1
	s_cbranch_scc1 .LBB673_45
; %bb.28:
	v_cmp_gt_i32_e32 vcc_lo, s7, v26
	v_dual_mov_b32 v9, 0 :: v_dual_mov_b32 v10, 0
	v_or_b32_e32 v2, 1, v26
	v_dual_mov_b32 v11, 0 :: v_dual_mov_b32 v12, 0
	s_and_saveexec_b32 s1, vcc_lo
	s_cbranch_execz .LBB673_36
; %bb.29:
	v_mad_u64_u32 v[3:4], null, v26, s20, 0
	v_mov_b32_e32 v11, 0
	v_mov_b32_e32 v9, 0
	s_mov_b32 s2, exec_lo
	s_delay_alu instid0(VALU_DEP_3) | instskip(NEXT) | instid1(VALU_DEP_1)
	v_dual_mov_b32 v10, 0 :: v_dual_mov_b32 v1, v4
	v_mad_u64_u32 v[4:5], null, v26, s21, v[1:2]
	s_delay_alu instid0(VALU_DEP_1) | instskip(NEXT) | instid1(VALU_DEP_1)
	v_lshlrev_b64 v[3:4], 1, v[3:4]
	v_add_co_u32 v3, s0, s24, v3
	s_delay_alu instid0(VALU_DEP_1)
	v_add_co_ci_u32_e64 v4, s0, s25, v4, s0
	flat_load_u16 v1, v[3:4]
	v_cmpx_gt_i32_e64 s7, v2
	s_cbranch_execz .LBB673_35
; %bb.30:
	v_mad_u64_u32 v[3:4], null, v2, s20, 0
	v_mov_b32_e32 v10, 0
	s_mov_b32 s3, exec_lo
	v_mov_b32_e32 v9, 0
	s_delay_alu instid0(VALU_DEP_3) | instskip(NEXT) | instid1(VALU_DEP_1)
	v_mad_u64_u32 v[5:6], null, v2, s21, v[4:5]
	v_mov_b32_e32 v4, v5
	s_delay_alu instid0(VALU_DEP_1) | instskip(NEXT) | instid1(VALU_DEP_1)
	v_lshlrev_b64 v[3:4], 1, v[3:4]
	v_add_co_u32 v3, s0, s24, v3
	s_delay_alu instid0(VALU_DEP_1) | instskip(SKIP_2) | instid1(VALU_DEP_1)
	v_add_co_ci_u32_e64 v4, s0, s25, v4, s0
	flat_load_u16 v3, v[3:4]
	v_or_b32_e32 v4, 2, v26
	v_cmpx_gt_i32_e64 s7, v4
	s_cbranch_execz .LBB673_34
; %bb.31:
	v_mad_u64_u32 v[5:6], null, v4, s20, 0
	s_mov_b32 s4, exec_lo
	v_mov_b32_e32 v9, 0
	s_delay_alu instid0(VALU_DEP_2) | instskip(NEXT) | instid1(VALU_DEP_1)
	v_mad_u64_u32 v[7:8], null, v4, s21, v[6:7]
	v_mov_b32_e32 v6, v7
	s_delay_alu instid0(VALU_DEP_1) | instskip(NEXT) | instid1(VALU_DEP_1)
	v_lshlrev_b64 v[4:5], 1, v[5:6]
	v_add_co_u32 v4, s0, s24, v4
	s_delay_alu instid0(VALU_DEP_1) | instskip(SKIP_2) | instid1(VALU_DEP_1)
	v_add_co_ci_u32_e64 v5, s0, s25, v5, s0
	flat_load_u16 v4, v[4:5]
	v_or_b32_e32 v5, 3, v26
	v_cmpx_gt_i32_e64 s7, v5
	s_cbranch_execz .LBB673_33
; %bb.32:
	v_mad_u64_u32 v[6:7], null, v5, s20, 0
	s_delay_alu instid0(VALU_DEP_1) | instskip(NEXT) | instid1(VALU_DEP_1)
	v_mad_u64_u32 v[8:9], null, v5, s21, v[7:8]
	v_mov_b32_e32 v7, v8
	s_delay_alu instid0(VALU_DEP_1) | instskip(NEXT) | instid1(VALU_DEP_1)
	v_lshlrev_b64 v[5:6], 1, v[6:7]
	v_add_co_u32 v5, s0, s24, v5
	s_delay_alu instid0(VALU_DEP_1)
	v_add_co_ci_u32_e64 v6, s0, s25, v6, s0
	flat_load_u16 v5, v[5:6]
	s_waitcnt vmcnt(0) lgkmcnt(0)
	v_lshlrev_b32_e32 v9, 16, v5
.LBB673_33:
	s_or_b32 exec_lo, exec_lo, s4
	s_waitcnt vmcnt(0) lgkmcnt(0)
	v_lshlrev_b32_e32 v10, 16, v4
.LBB673_34:
	s_or_b32 exec_lo, exec_lo, s3
	s_waitcnt vmcnt(0) lgkmcnt(0)
	v_lshlrev_b32_e32 v11, 16, v3
.LBB673_35:
	s_or_b32 exec_lo, exec_lo, s2
	s_waitcnt vmcnt(0) lgkmcnt(0)
	v_lshlrev_b32_e32 v12, 16, v1
.LBB673_36:
	s_or_b32 exec_lo, exec_lo, s1
	s_delay_alu instid0(SALU_CYCLE_1)
	s_mov_b32 s1, exec_lo
	v_cmpx_gt_i32_e64 s6, v0
	s_cbranch_execz .LBB673_44
; %bb.37:
	v_mad_u64_u32 v[3:4], null, v26, s16, 0
	v_mad_u64_u32 v[5:6], null, v2, s16, 0
	v_ashrrev_i32_e32 v1, 31, v0
	v_or_b32_e32 v28, 2, v26
	v_or_b32_e32 v29, 3, v26
	v_cndmask_b32_e32 v3, 0, v3, vcc_lo
	s_delay_alu instid0(VALU_DEP_4)
	v_lshlrev_b64 v[13:14], 1, v[0:1]
	v_mad_u64_u32 v[7:8], null, v26, s17, v[4:5]
	v_mov_b32_e32 v1, v6
	v_mad_u64_u32 v[15:16], null, v28, s16, 0
	v_mad_u64_u32 v[17:18], null, v29, s16, 0
	v_cmp_gt_i32_e64 s0, s7, v28
	v_cndmask_b32_e32 v4, 0, v7, vcc_lo
	v_mad_u64_u32 v[6:7], null, v2, s17, v[1:2]
	v_cmp_gt_i32_e32 vcc_lo, s7, v2
	v_mov_b32_e32 v1, v16
	v_dual_mov_b32 v7, v18 :: v_dual_cndmask_b32 v2, 0, v5
	v_lshlrev_b64 v[4:5], 1, v[3:4]
	v_cndmask_b32_e32 v3, 0, v6, vcc_lo
	s_delay_alu instid0(VALU_DEP_3) | instskip(NEXT) | instid1(VALU_DEP_3)
	v_mad_u64_u32 v[26:27], null, v28, s17, v[1:2]
	v_add_co_u32 v1, vcc_lo, s18, v4
	s_delay_alu instid0(VALU_DEP_4) | instskip(NEXT) | instid1(VALU_DEP_4)
	v_add_co_ci_u32_e32 v5, vcc_lo, s19, v5, vcc_lo
	v_lshlrev_b64 v[3:4], 1, v[2:3]
	s_delay_alu instid0(VALU_DEP_3) | instskip(NEXT) | instid1(VALU_DEP_3)
	v_add_co_u32 v1, vcc_lo, v1, v13
	v_add_co_ci_u32_e32 v2, vcc_lo, v5, v14, vcc_lo
	v_cndmask_b32_e64 v5, 0, v15, s0
	s_delay_alu instid0(VALU_DEP_4) | instskip(SKIP_3) | instid1(VALU_DEP_4)
	v_add_co_u32 v3, vcc_lo, s18, v3
	v_add_co_ci_u32_e32 v4, vcc_lo, s19, v4, vcc_lo
	v_mad_u64_u32 v[15:16], null, v29, s17, v[7:8]
	v_cndmask_b32_e64 v6, 0, v26, s0
	v_add_co_u32 v3, s0, v3, v13
	v_cmp_gt_i32_e32 vcc_lo, s7, v29
	v_add_co_ci_u32_e64 v4, s0, v4, v14, s0
	s_delay_alu instid0(VALU_DEP_4)
	v_lshlrev_b64 v[5:6], 1, v[5:6]
	s_mov_b32 s0, exec_lo
	v_cndmask_b32_e32 v8, 0, v15, vcc_lo
	s_clause 0x1
	flat_load_u16 v15, v[1:2]
	flat_load_u16 v16, v[3:4]
	s_waitcnt vmcnt(1) lgkmcnt(1)
	v_lshlrev_b32_e32 v15, 16, v15
	s_waitcnt vmcnt(0) lgkmcnt(0)
	v_lshlrev_b32_e32 v16, 16, v16
	s_delay_alu instid0(VALU_DEP_2) | instskip(SKIP_2) | instid1(VALU_DEP_3)
	v_dual_fmac_f32 v22, v12, v15 :: v_dual_cndmask_b32 v7, 0, v17
	v_add_co_u32 v5, vcc_lo, s18, v5
	v_add_co_ci_u32_e32 v6, vcc_lo, s19, v6, vcc_lo
	v_fmac_f32_e32 v22, v11, v16
	s_delay_alu instid0(VALU_DEP_4) | instskip(SKIP_1) | instid1(VALU_DEP_2)
	v_lshlrev_b64 v[7:8], 1, v[7:8]
	v_add_nc_u32_e32 v16, 64, v0
	v_add_co_u32 v17, vcc_lo, s18, v7
	s_delay_alu instid0(VALU_DEP_3) | instskip(SKIP_2) | instid1(VALU_DEP_4)
	v_add_co_ci_u32_e32 v18, vcc_lo, s19, v8, vcc_lo
	v_add_co_u32 v7, vcc_lo, v5, v13
	v_add_co_ci_u32_e32 v8, vcc_lo, v6, v14, vcc_lo
	v_add_co_u32 v5, vcc_lo, v17, v13
	s_delay_alu instid0(VALU_DEP_4)
	v_add_co_ci_u32_e32 v6, vcc_lo, v18, v14, vcc_lo
	s_clause 0x1
	flat_load_u16 v13, v[7:8]
	flat_load_u16 v14, v[5:6]
	s_waitcnt vmcnt(1) lgkmcnt(1)
	v_lshlrev_b32_e32 v15, 16, v13
	s_waitcnt vmcnt(0) lgkmcnt(0)
	s_delay_alu instid0(VALU_DEP_1)
	v_dual_fmac_f32 v22, v10, v15 :: v_dual_lshlrev_b32 v13, 16, v14
	v_cmpx_gt_i32_e64 s6, v16
	s_cbranch_execz .LBB673_43
; %bb.38:
	s_clause 0x3
	flat_load_u16 v14, v[1:2] offset:128
	flat_load_u16 v15, v[3:4] offset:128
	;; [unrolled: 1-line block ×4, first 2 shown]
	s_mov_b32 s2, exec_lo
	s_waitcnt vmcnt(2) lgkmcnt(2)
	v_lshlrev_b32_e32 v15, 16, v15
	v_lshlrev_b32_e32 v14, 16, v14
	s_waitcnt vmcnt(1) lgkmcnt(1)
	s_delay_alu instid0(VALU_DEP_1) | instskip(NEXT) | instid1(VALU_DEP_1)
	v_dual_fmac_f32 v23, v12, v14 :: v_dual_lshlrev_b32 v16, 16, v16
	v_fmac_f32_e32 v23, v11, v15
	v_add_nc_u32_e32 v15, 0x80, v0
	s_waitcnt vmcnt(0) lgkmcnt(0)
	s_delay_alu instid0(VALU_DEP_2) | instskip(NEXT) | instid1(VALU_DEP_2)
	v_dual_fmac_f32 v23, v10, v16 :: v_dual_lshlrev_b32 v14, 16, v17
	v_cmpx_gt_i32_e64 s6, v15
	s_cbranch_execz .LBB673_42
; %bb.39:
	s_clause 0x3
	flat_load_u16 v15, v[1:2] offset:256
	flat_load_u16 v16, v[3:4] offset:256
	flat_load_u16 v17, v[7:8] offset:256
	flat_load_u16 v18, v[5:6] offset:256
	s_mov_b32 s3, exec_lo
	s_waitcnt vmcnt(2) lgkmcnt(2)
	v_lshlrev_b32_e32 v16, 16, v16
	v_lshlrev_b32_e32 v15, 16, v15
	s_waitcnt vmcnt(1) lgkmcnt(1)
	s_delay_alu instid0(VALU_DEP_1) | instskip(NEXT) | instid1(VALU_DEP_1)
	v_dual_fmac_f32 v24, v12, v15 :: v_dual_lshlrev_b32 v15, 16, v17
	v_fmac_f32_e32 v24, v11, v16
	v_add_nc_u32_e32 v16, 0xc0, v0
	s_waitcnt vmcnt(0) lgkmcnt(0)
	v_lshlrev_b32_e32 v0, 16, v18
	s_delay_alu instid0(VALU_DEP_3) | instskip(NEXT) | instid1(VALU_DEP_3)
	v_fmac_f32_e32 v24, v10, v15
	v_cmpx_gt_i32_e64 s6, v16
	s_cbranch_execz .LBB673_41
; %bb.40:
	s_clause 0x3
	flat_load_u16 v1, v[1:2] offset:384
	flat_load_u16 v2, v[3:4] offset:384
	;; [unrolled: 1-line block ×4, first 2 shown]
	s_waitcnt vmcnt(3) lgkmcnt(3)
	v_lshlrev_b32_e32 v1, 16, v1
	s_waitcnt vmcnt(2) lgkmcnt(2)
	s_delay_alu instid0(VALU_DEP_1) | instskip(SKIP_2) | instid1(VALU_DEP_2)
	v_dual_fmac_f32 v25, v12, v1 :: v_dual_lshlrev_b32 v2, 16, v2
	s_waitcnt vmcnt(1) lgkmcnt(1)
	v_lshlrev_b32_e32 v1, 16, v3
	v_fmac_f32_e32 v25, v11, v2
	s_delay_alu instid0(VALU_DEP_1) | instskip(SKIP_2) | instid1(VALU_DEP_1)
	v_fmac_f32_e32 v25, v10, v1
	s_waitcnt vmcnt(0) lgkmcnt(0)
	v_lshlrev_b32_e32 v1, 16, v4
	v_fmac_f32_e32 v25, v9, v1
.LBB673_41:
	s_or_b32 exec_lo, exec_lo, s3
	s_delay_alu instid0(VALU_DEP_2)
	v_fmac_f32_e32 v24, v9, v0
.LBB673_42:
	s_or_b32 exec_lo, exec_lo, s2
	s_delay_alu instid0(VALU_DEP_2)
	v_fmac_f32_e32 v23, v9, v14
.LBB673_43:
	s_or_b32 exec_lo, exec_lo, s0
	s_delay_alu instid0(VALU_DEP_2)
	v_fmac_f32_e32 v22, v9, v13
.LBB673_44:
	s_or_b32 exec_lo, exec_lo, s1
.LBB673_45:
	v_lshlrev_b32_e32 v0, 8, v21
	s_mov_b32 s0, exec_lo
                                        ; implicit-def: $vgpr1
                                        ; implicit-def: $vgpr2_vgpr3
	s_delay_alu instid0(VALU_DEP_1)
	v_add_lshl_u32 v0, v0, v20, 2
	ds_store_2addr_stride64_b32 v0, v22, v23 offset1:1
	ds_store_2addr_stride64_b32 v0, v24, v25 offset0:2 offset1:3
	s_waitcnt lgkmcnt(0)
	s_barrier
	buffer_gl0_inv
	v_cmpx_gt_u32_e32 0x100, v19
	s_cbranch_execz .LBB673_51
; %bb.46:
	v_lshlrev_b32_e32 v6, 2, v19
	s_mov_b32 s2, s23
	s_mov_b32 s1, exec_lo
	ds_load_2addr_stride64_b32 v[0:1], v6 offset1:4
	ds_load_2addr_stride64_b32 v[2:3], v6 offset0:8 offset1:12
	ds_load_2addr_stride64_b32 v[4:5], v6 offset0:16 offset1:20
	s_waitcnt lgkmcnt(2)
	v_add_f32_e32 v7, v0, v1
	ds_load_2addr_stride64_b32 v[0:1], v6 offset0:24 offset1:28
	s_waitcnt lgkmcnt(2)
	v_add_f32_e32 v2, v2, v7
	s_delay_alu instid0(VALU_DEP_1) | instskip(SKIP_3) | instid1(VALU_DEP_1)
	v_add_f32_e32 v7, v3, v2
	ds_load_2addr_stride64_b32 v[2:3], v6 offset0:32 offset1:36
	s_waitcnt lgkmcnt(2)
	v_add_f32_e32 v4, v4, v7
	v_add_f32_e32 v7, v5, v4
	ds_load_2addr_stride64_b32 v[4:5], v6 offset0:40 offset1:44
	s_waitcnt lgkmcnt(2)
	v_add_f32_e32 v0, v0, v7
	s_delay_alu instid0(VALU_DEP_1) | instskip(SKIP_1) | instid1(VALU_DEP_1)
	v_add_f32_e32 v0, v1, v0
	s_waitcnt lgkmcnt(1)
	v_add_f32_e32 v2, v2, v0
	ds_load_2addr_stride64_b32 v[0:1], v6 offset0:48 offset1:52
	v_add_f32_e32 v2, v3, v2
	s_waitcnt lgkmcnt(1)
	s_delay_alu instid0(VALU_DEP_1) | instskip(SKIP_3) | instid1(VALU_DEP_1)
	v_add_f32_e32 v4, v4, v2
	ds_load_2addr_stride64_b32 v[2:3], v6 offset0:56 offset1:60
	v_add_f32_e32 v4, v5, v4
	s_waitcnt lgkmcnt(1)
	v_add_f32_e32 v0, v0, v4
	v_or_b32_e32 v4, s28, v19
	s_delay_alu instid0(VALU_DEP_2) | instskip(SKIP_1) | instid1(VALU_DEP_1)
	v_add_f32_e32 v0, v1, v0
                                        ; implicit-def: $vgpr1
	s_waitcnt lgkmcnt(0)
	v_add_f32_e32 v0, v2, v0
	s_delay_alu instid0(VALU_DEP_1)
	v_add_f32_e32 v0, v3, v0
                                        ; implicit-def: $vgpr2_vgpr3
	ds_store_b32 v6, v0
	v_cmpx_gt_i32_e64 s6, v4
	s_cbranch_execz .LBB673_50
; %bb.47:
	v_ashrrev_i32_e32 v1, 31, v4
	v_mul_lo_u32 v5, v4, s13
	v_mad_u64_u32 v[2:3], null, v4, s12, 0
	v_cmp_eq_f32_e64 s2, s26, 0
	s_delay_alu instid0(VALU_DEP_4) | instskip(SKIP_1) | instid1(VALU_DEP_3)
	v_mul_lo_u32 v4, v1, s12
	v_mul_f32_e32 v1, s27, v0
	s_and_b32 vcc_lo, exec_lo, s2
	s_delay_alu instid0(VALU_DEP_2)
	v_add3_u32 v3, v3, v5, v4
	s_cbranch_vccnz .LBB673_49
; %bb.48:
	s_delay_alu instid0(VALU_DEP_1) | instskip(NEXT) | instid1(VALU_DEP_1)
	v_lshlrev_b64 v[4:5], 2, v[2:3]
	v_add_co_u32 v4, vcc_lo, s5, v4
	s_delay_alu instid0(VALU_DEP_2)
	v_add_co_ci_u32_e32 v5, vcc_lo, s22, v5, vcc_lo
	global_load_b32 v0, v[4:5], off
	s_waitcnt vmcnt(0)
	v_fmac_f32_e32 v1, s26, v0
.LBB673_49:
	s_or_b32 s2, s23, exec_lo
.LBB673_50:
	s_or_b32 exec_lo, exec_lo, s1
	s_delay_alu instid0(SALU_CYCLE_1) | instskip(SKIP_1) | instid1(SALU_CYCLE_1)
	s_and_not1_b32 s1, s23, exec_lo
	s_and_b32 s2, s2, exec_lo
	s_or_b32 s23, s1, s2
.LBB673_51:
	s_or_b32 exec_lo, exec_lo, s0
.LBB673_52:
	s_and_saveexec_b32 s0, s23
	s_cbranch_execz .LBB673_54
; %bb.53:
	v_lshlrev_b64 v[2:3], 2, v[2:3]
	s_delay_alu instid0(VALU_DEP_1) | instskip(NEXT) | instid1(VALU_DEP_2)
	v_add_co_u32 v2, vcc_lo, s5, v2
	v_add_co_ci_u32_e32 v3, vcc_lo, s22, v3, vcc_lo
	global_store_b32 v[2:3], v1, off
.LBB673_54:
	s_nop 0
	s_sendmsg sendmsg(MSG_DEALLOC_VGPRS)
	s_endpgm
	.section	.rodata,"a",@progbits
	.p2align	6, 0x0
	.amdhsa_kernel _ZL20rocblas_gemvn_kernelILi64ELi16ElPK16rocblas_bfloat16PKfKPfEviiT3_lPKT2_lT1_lSA_lSB_lS7_lPT4_lSB_li
		.amdhsa_group_segment_fixed_size 16384
		.amdhsa_private_segment_fixed_size 0
		.amdhsa_kernarg_size 400
		.amdhsa_user_sgpr_count 14
		.amdhsa_user_sgpr_dispatch_ptr 0
		.amdhsa_user_sgpr_queue_ptr 0
		.amdhsa_user_sgpr_kernarg_segment_ptr 1
		.amdhsa_user_sgpr_dispatch_id 0
		.amdhsa_user_sgpr_private_segment_size 0
		.amdhsa_wavefront_size32 1
		.amdhsa_uses_dynamic_stack 0
		.amdhsa_enable_private_segment 0
		.amdhsa_system_sgpr_workgroup_id_x 1
		.amdhsa_system_sgpr_workgroup_id_y 0
		.amdhsa_system_sgpr_workgroup_id_z 1
		.amdhsa_system_sgpr_workgroup_info 0
		.amdhsa_system_vgpr_workitem_id 1
		.amdhsa_next_free_vgpr 51
		.amdhsa_next_free_sgpr 35
		.amdhsa_reserve_vcc 1
		.amdhsa_float_round_mode_32 0
		.amdhsa_float_round_mode_16_64 0
		.amdhsa_float_denorm_mode_32 3
		.amdhsa_float_denorm_mode_16_64 3
		.amdhsa_dx10_clamp 1
		.amdhsa_ieee_mode 1
		.amdhsa_fp16_overflow 0
		.amdhsa_workgroup_processor_mode 1
		.amdhsa_memory_ordered 1
		.amdhsa_forward_progress 0
		.amdhsa_shared_vgpr_count 0
		.amdhsa_exception_fp_ieee_invalid_op 0
		.amdhsa_exception_fp_denorm_src 0
		.amdhsa_exception_fp_ieee_div_zero 0
		.amdhsa_exception_fp_ieee_overflow 0
		.amdhsa_exception_fp_ieee_underflow 0
		.amdhsa_exception_fp_ieee_inexact 0
		.amdhsa_exception_int_div_zero 0
	.end_amdhsa_kernel
	.section	.text._ZL20rocblas_gemvn_kernelILi64ELi16ElPK16rocblas_bfloat16PKfKPfEviiT3_lPKT2_lT1_lSA_lSB_lS7_lPT4_lSB_li,"axG",@progbits,_ZL20rocblas_gemvn_kernelILi64ELi16ElPK16rocblas_bfloat16PKfKPfEviiT3_lPKT2_lT1_lSA_lSB_lS7_lPT4_lSB_li,comdat
.Lfunc_end673:
	.size	_ZL20rocblas_gemvn_kernelILi64ELi16ElPK16rocblas_bfloat16PKfKPfEviiT3_lPKT2_lT1_lSA_lSB_lS7_lPT4_lSB_li, .Lfunc_end673-_ZL20rocblas_gemvn_kernelILi64ELi16ElPK16rocblas_bfloat16PKfKPfEviiT3_lPKT2_lT1_lSA_lSB_lS7_lPT4_lSB_li
                                        ; -- End function
	.section	.AMDGPU.csdata,"",@progbits
; Kernel info:
; codeLenInByte = 3604
; NumSgprs: 37
; NumVgprs: 51
; ScratchSize: 0
; MemoryBound: 0
; FloatMode: 240
; IeeeMode: 1
; LDSByteSize: 16384 bytes/workgroup (compile time only)
; SGPRBlocks: 4
; VGPRBlocks: 6
; NumSGPRsForWavesPerEU: 37
; NumVGPRsForWavesPerEU: 51
; Occupancy: 16
; WaveLimiterHint : 1
; COMPUTE_PGM_RSRC2:SCRATCH_EN: 0
; COMPUTE_PGM_RSRC2:USER_SGPR: 14
; COMPUTE_PGM_RSRC2:TRAP_HANDLER: 0
; COMPUTE_PGM_RSRC2:TGID_X_EN: 1
; COMPUTE_PGM_RSRC2:TGID_Y_EN: 0
; COMPUTE_PGM_RSRC2:TGID_Z_EN: 1
; COMPUTE_PGM_RSRC2:TIDIG_COMP_CNT: 1
	.section	.text._ZL20rocblas_gemvn_kernelILi64ELi16EiPK16rocblas_bfloat16fKPfEviiT3_lPKT2_lT1_lS8_lS9_lS5_lPT4_lS9_li,"axG",@progbits,_ZL20rocblas_gemvn_kernelILi64ELi16EiPK16rocblas_bfloat16fKPfEviiT3_lPKT2_lT1_lS8_lS9_lS5_lPT4_lS9_li,comdat
	.globl	_ZL20rocblas_gemvn_kernelILi64ELi16EiPK16rocblas_bfloat16fKPfEviiT3_lPKT2_lT1_lS8_lS9_lS5_lPT4_lS9_li ; -- Begin function _ZL20rocblas_gemvn_kernelILi64ELi16EiPK16rocblas_bfloat16fKPfEviiT3_lPKT2_lT1_lS8_lS9_lS5_lPT4_lS9_li
	.p2align	8
	.type	_ZL20rocblas_gemvn_kernelILi64ELi16EiPK16rocblas_bfloat16fKPfEviiT3_lPKT2_lT1_lS8_lS9_lS5_lPT4_lS9_li,@function
_ZL20rocblas_gemvn_kernelILi64ELi16EiPK16rocblas_bfloat16fKPfEviiT3_lPKT2_lT1_lS8_lS9_lS5_lPT4_lS9_li: ; @_ZL20rocblas_gemvn_kernelILi64ELi16EiPK16rocblas_bfloat16fKPfEviiT3_lPKT2_lT1_lS8_lS9_lS5_lPT4_lS9_li
; %bb.0:
	s_load_b64 s[4:5], s[0:1], 0x9c
	s_waitcnt lgkmcnt(0)
	s_lshr_b32 s3, s4, 16
	s_and_b32 s4, s4, 0xffff
	s_and_b32 s5, s5, 0xffff
	s_mul_i32 s3, s3, s4
	s_delay_alu instid0(SALU_CYCLE_1) | instskip(NEXT) | instid1(SALU_CYCLE_1)
	s_mul_i32 s3, s3, s5
	s_cmpk_lg_i32 s3, 0x400
	s_cbranch_scc1 .LBB674_57
; %bb.1:
	s_load_b128 s[4:7], s[0:1], 0x0
	s_waitcnt lgkmcnt(0)
	s_load_b32 s7, s[0:1], 0x58
	v_cmp_eq_f32_e64 s12, s6, 0
	s_waitcnt lgkmcnt(0)
	v_cmp_eq_f32_e64 s3, s7, 1.0
	s_delay_alu instid0(VALU_DEP_1) | instskip(NEXT) | instid1(SALU_CYCLE_1)
	s_and_b32 s3, s12, s3
	s_and_b32 vcc_lo, exec_lo, s3
	s_cbranch_vccnz .LBB674_57
; %bb.2:
	v_cmp_neq_f32_e64 s10, s6, 0
	s_mov_b32 s2, s15
	s_delay_alu instid0(VALU_DEP_1)
	s_and_b32 vcc_lo, exec_lo, s10
	s_cbranch_vccnz .LBB674_4
; %bb.3:
	s_mov_b32 s3, 0
	s_mov_b64 s[8:9], 0
	s_cbranch_execz .LBB674_5
	s_branch .LBB674_6
.LBB674_4:
	s_mov_b32 s3, -1
                                        ; implicit-def: $sgpr8_sgpr9
.LBB674_5:
	s_load_b128 s[16:19], s[0:1], 0x18
	s_mov_b32 s3, 0
	s_delay_alu instid0(SALU_CYCLE_1)
	s_lshl_b64 s[8:9], s[2:3], 3
	s_waitcnt lgkmcnt(0)
	s_add_u32 s8, s16, s8
	s_addc_u32 s9, s17, s9
	s_lshl_b64 s[16:17], s[18:19], 1
	s_load_b64 s[8:9], s[8:9], 0x0
	s_waitcnt lgkmcnt(0)
	s_add_u32 s8, s8, s16
	s_addc_u32 s9, s9, s17
.LBB674_6:
	s_and_not1_b32 vcc_lo, exec_lo, s10
	s_cbranch_vccnz .LBB674_8
; %bb.7:
	s_load_b128 s[16:19], s[0:1], 0x38
	s_lshl_b64 s[10:11], s[2:3], 3
	s_waitcnt lgkmcnt(0)
	s_add_u32 s10, s16, s10
	s_addc_u32 s11, s17, s11
	s_lshl_b64 s[16:17], s[18:19], 1
	s_load_b64 s[10:11], s[10:11], 0x0
	s_waitcnt lgkmcnt(0)
	s_add_u32 s10, s10, s16
	s_addc_u32 s11, s11, s17
	s_branch .LBB674_9
.LBB674_8:
	s_mov_b64 s[10:11], 0
.LBB674_9:
	s_clause 0x1
	s_load_b128 s[20:23], s[0:1], 0x68
	s_load_b32 s16, s[0:1], 0x78
	s_lshl_b64 s[2:3], s[2:3], 3
	v_and_b32_e32 v1, 0x3ff, v0
	v_bfe_u32 v13, v0, 10, 10
	s_delay_alu instid0(VALU_DEP_1)
	v_lshl_add_u32 v0, v13, 6, v1
	s_waitcnt lgkmcnt(0)
	s_add_u32 s2, s20, s2
	s_addc_u32 s3, s21, s3
	s_lshl_b64 s[20:21], s[22:23], 2
	s_load_b64 s[18:19], s[2:3], 0x0
	v_cmp_gt_u32_e64 s2, 0x100, v0
	s_waitcnt lgkmcnt(0)
	s_add_u32 s13, s18, s20
	s_addc_u32 s15, s19, s21
	s_and_not1_b32 vcc_lo, exec_lo, s12
	s_cbranch_vccnz .LBB674_16
; %bb.10:
	s_mov_b32 s3, 0
	s_mov_b32 s17, 0
                                        ; implicit-def: $vgpr3
                                        ; implicit-def: $vgpr4_vgpr5
	s_and_saveexec_b32 s12, s2
	s_cbranch_execz .LBB674_17
; %bb.11:
	v_lshl_or_b32 v2, s14, 8, v0
	v_mov_b32_e32 v3, 0
	s_ashr_i32 s19, s4, 31
	s_mov_b32 s18, s4
	s_mov_b32 s2, exec_lo
                                        ; implicit-def: $vgpr4_vgpr5
	s_delay_alu instid0(VALU_DEP_1)
	v_cmpx_gt_i64_e64 s[18:19], v[2:3]
	s_cbranch_execz .LBB674_15
; %bb.12:
	v_mad_u64_u32 v[4:5], null, s16, v2, 0
	s_ashr_i32 s17, s16, 31
	s_delay_alu instid0(VALU_DEP_1) | instid1(SALU_CYCLE_1)
	v_mad_u64_u32 v[6:7], null, s17, v2, v[5:6]
	v_cmp_eq_f32_e64 s17, s7, 0
	s_delay_alu instid0(VALU_DEP_1) | instskip(NEXT) | instid1(VALU_DEP_2)
	s_and_b32 vcc_lo, exec_lo, s17
	v_mov_b32_e32 v5, v6
	s_cbranch_vccnz .LBB674_14
; %bb.13:
	s_delay_alu instid0(VALU_DEP_1) | instskip(NEXT) | instid1(VALU_DEP_1)
	v_lshlrev_b64 v[2:3], 2, v[4:5]
	v_add_co_u32 v2, vcc_lo, s13, v2
	s_delay_alu instid0(VALU_DEP_2)
	v_add_co_ci_u32_e32 v3, vcc_lo, s15, v3, vcc_lo
	global_load_b32 v2, v[2:3], off
	s_waitcnt vmcnt(0)
	v_mul_f32_e32 v3, s7, v2
.LBB674_14:
	s_mov_b32 s17, exec_lo
.LBB674_15:
	s_or_b32 exec_lo, exec_lo, s2
	s_delay_alu instid0(SALU_CYCLE_1) | instskip(SKIP_1) | instid1(SALU_CYCLE_1)
	s_and_b32 s17, s17, exec_lo
	s_or_b32 exec_lo, exec_lo, s12
	s_and_b32 vcc_lo, exec_lo, s3
	s_cbranch_vccnz .LBB674_18
	s_branch .LBB674_55
.LBB674_16:
	s_mov_b32 s17, 0
                                        ; implicit-def: $vgpr3
                                        ; implicit-def: $vgpr4_vgpr5
	s_cbranch_execnz .LBB674_18
	s_branch .LBB674_55
.LBB674_17:
	s_or_b32 exec_lo, exec_lo, s12
	s_delay_alu instid0(SALU_CYCLE_1)
	s_and_b32 vcc_lo, exec_lo, s3
	s_cbranch_vccz .LBB674_55
.LBB674_18:
	s_clause 0x1
	s_load_b32 s18, s[0:1], 0x28
	s_load_b32 s12, s[0:1], 0x48
	s_ashr_i32 s0, s5, 31
	s_lshl_b32 s14, s14, 8
	s_lshr_b32 s0, s0, 26
	v_dual_mov_b32 v14, 0 :: v_dual_lshlrev_b32 v19, 2, v13
	v_dual_mov_b32 v15, 0 :: v_dual_add_nc_u32 v18, s14, v1
	v_dual_mov_b32 v16, 0 :: v_dual_mov_b32 v17, 0
	s_add_i32 s19, s5, s0
	s_mov_b32 s20, exec_lo
	s_and_not1_b32 s19, s19, 63
	s_delay_alu instid0(SALU_CYCLE_1)
	v_cmpx_gt_i32_e64 s19, v19
	s_cbranch_execz .LBB674_30
; %bb.19:
	s_waitcnt lgkmcnt(0)
	v_mul_lo_u32 v3, s18, v19
	v_dual_mov_b32 v15, 0 :: v_dual_add_nc_u32 v2, 64, v18
	v_add_nc_u32_e32 v6, 2, v19
	v_dual_mov_b32 v14, 0 :: v_dual_add_nc_u32 v5, 0xc0, v18
	s_delay_alu instid0(VALU_DEP_3)
	v_cmp_gt_i32_e64 s0, s4, v2
	v_dual_mov_b32 v17, 0 :: v_dual_add_nc_u32 v4, 0x80, v18
	v_add3_u32 v20, v3, s18, v1
	v_mad_u64_u32 v[2:3], null, s18, v6, v[1:2]
	v_cmp_gt_i32_e64 s2, s4, v5
	v_mul_lo_u32 v5, v13, s18
	v_dual_mov_b32 v16, 0 :: v_dual_add_nc_u32 v7, 3, v19
	v_mul_lo_u32 v8, v13, s12
	v_cmp_gt_i32_e64 s1, s4, v4
	v_mul_lo_u32 v22, s12, v6
	s_delay_alu instid0(VALU_DEP_4)
	v_mad_u64_u32 v[3:4], null, s18, v7, v[1:2]
	v_lshl_add_u32 v21, v5, 2, v1
	v_mad_u64_u32 v[4:5], null, s12, v19, s[12:13]
	v_mul_lo_u32 v23, s12, v7
	v_cmp_gt_i32_e32 vcc_lo, s4, v18
	v_lshlrev_b32_e32 v24, 2, v8
	s_lshl_b32 s21, s18, 6
	s_lshl_b32 s23, s12, 6
	s_mov_b32 s22, 0
	s_mov_b32 s24, 0
	s_branch .LBB674_24
.LBB674_20:                             ;   in Loop: Header=BB674_24 Depth=1
	s_or_b32 exec_lo, exec_lo, s27
	s_waitcnt vmcnt(2) lgkmcnt(2)
	v_lshlrev_b32_e32 v6, 16, v39
	v_lshlrev_b32_e32 v5, 16, v40
	s_waitcnt vmcnt(1) lgkmcnt(1)
	s_delay_alu instid0(VALU_DEP_1) | instskip(NEXT) | instid1(VALU_DEP_1)
	v_dual_fmac_f32 v16, v32, v5 :: v_dual_lshlrev_b32 v5, 16, v38
	v_fmac_f32_e32 v16, v30, v6
	s_delay_alu instid0(VALU_DEP_1) | instskip(SKIP_2) | instid1(VALU_DEP_1)
	v_fmac_f32_e32 v16, v28, v5
	s_waitcnt vmcnt(0) lgkmcnt(0)
	v_lshlrev_b32_e32 v5, 16, v37
	v_fmac_f32_e32 v16, v27, v5
.LBB674_21:                             ;   in Loop: Header=BB674_24 Depth=1
	s_or_b32 exec_lo, exec_lo, s26
	s_waitcnt vmcnt(3) lgkmcnt(3)
	v_lshlrev_b32_e32 v5, 16, v36
	s_waitcnt vmcnt(2) lgkmcnt(2)
	s_delay_alu instid0(VALU_DEP_1) | instskip(SKIP_2) | instid1(VALU_DEP_2)
	v_dual_fmac_f32 v15, v32, v5 :: v_dual_lshlrev_b32 v6, 16, v35
	s_waitcnt vmcnt(1) lgkmcnt(1)
	v_lshlrev_b32_e32 v5, 16, v34
	v_fmac_f32_e32 v15, v30, v6
	s_delay_alu instid0(VALU_DEP_1) | instskip(SKIP_2) | instid1(VALU_DEP_1)
	v_fmac_f32_e32 v15, v28, v5
	s_waitcnt vmcnt(0) lgkmcnt(0)
	v_lshlrev_b32_e32 v5, 16, v33
	v_fmac_f32_e32 v15, v27, v5
.LBB674_22:                             ;   in Loop: Header=BB674_24 Depth=1
	s_or_b32 exec_lo, exec_lo, s3
	s_waitcnt vmcnt(2) lgkmcnt(2)
	v_lshlrev_b32_e32 v6, 16, v29
	v_lshlrev_b32_e32 v5, 16, v31
	s_waitcnt vmcnt(1) lgkmcnt(1)
	s_delay_alu instid0(VALU_DEP_1) | instskip(NEXT) | instid1(VALU_DEP_1)
	v_dual_fmac_f32 v14, v32, v5 :: v_dual_lshlrev_b32 v5, 16, v26
	v_fmac_f32_e32 v14, v30, v6
	s_delay_alu instid0(VALU_DEP_1) | instskip(SKIP_2) | instid1(VALU_DEP_1)
	v_fmac_f32_e32 v14, v28, v5
	s_waitcnt vmcnt(0) lgkmcnt(0)
	v_lshlrev_b32_e32 v5, 16, v25
	v_fmac_f32_e32 v14, v27, v5
.LBB674_23:                             ;   in Loop: Header=BB674_24 Depth=1
	s_or_b32 exec_lo, exec_lo, s25
	v_add_nc_u32_e32 v19, 64, v19
	v_add_nc_u32_e32 v20, s21, v20
	;; [unrolled: 1-line block ×5, first 2 shown]
	v_cmp_le_i32_e64 s3, s19, v19
	s_add_i32 s24, s24, s23
	s_delay_alu instid0(VALU_DEP_1) | instskip(NEXT) | instid1(SALU_CYCLE_1)
	s_or_b32 s22, s3, s22
	s_and_not1_b32 exec_lo, exec_lo, s22
	s_cbranch_execz .LBB674_29
.LBB674_24:                             ; =>This Inner Loop Header: Depth=1
	s_and_saveexec_b32 s25, vcc_lo
	s_cbranch_execz .LBB674_23
; %bb.25:                               ;   in Loop: Header=BB674_24 Depth=1
	v_add_nc_u32_e32 v5, s24, v24
	v_add_nc_u32_e32 v7, s24, v4
	;; [unrolled: 1-line block ×5, first 2 shown]
	v_ashrrev_i32_e32 v6, 31, v5
	v_ashrrev_i32_e32 v8, 31, v7
	v_ashrrev_i32_e32 v10, 31, v9
	v_ashrrev_i32_e32 v12, 31, v11
	v_add_nc_u32_e32 v27, s14, v20
	v_lshlrev_b64 v[5:6], 1, v[5:6]
	v_lshlrev_b64 v[7:8], 1, v[7:8]
	v_lshlrev_b64 v[9:10], 1, v[9:10]
	v_lshlrev_b64 v[11:12], 1, v[11:12]
	v_ashrrev_i32_e32 v26, 31, v25
	v_ashrrev_i32_e32 v28, 31, v27
	v_add_co_u32 v5, s3, s10, v5
	s_delay_alu instid0(VALU_DEP_1) | instskip(SKIP_1) | instid1(VALU_DEP_1)
	v_add_co_ci_u32_e64 v6, s3, s11, v6, s3
	v_add_co_u32 v7, s3, s10, v7
	v_add_co_ci_u32_e64 v8, s3, s11, v8, s3
	v_add_co_u32 v9, s3, s10, v9
	s_delay_alu instid0(VALU_DEP_1)
	v_add_co_ci_u32_e64 v10, s3, s11, v10, s3
	v_add_co_u32 v11, s3, s10, v11
	v_add_nc_u32_e32 v29, s14, v2
	v_add_co_ci_u32_e64 v12, s3, s11, v12, s3
	v_lshlrev_b64 v[25:26], 1, v[25:26]
	s_clause 0x3
	flat_load_u16 v32, v[5:6]
	flat_load_u16 v33, v[7:8]
	;; [unrolled: 1-line block ×4, first 2 shown]
	v_add_nc_u32_e32 v11, s14, v3
	v_lshlrev_b64 v[5:6], 1, v[27:28]
	v_ashrrev_i32_e32 v30, 31, v29
	v_add_co_u32 v7, s3, s8, v25
	s_delay_alu instid0(VALU_DEP_4) | instskip(SKIP_1) | instid1(VALU_DEP_4)
	v_ashrrev_i32_e32 v12, 31, v11
	v_add_co_ci_u32_e64 v8, s3, s9, v26, s3
	v_lshlrev_b64 v[25:26], 1, v[29:30]
	v_add_co_u32 v9, s3, s8, v5
	s_delay_alu instid0(VALU_DEP_1) | instskip(SKIP_1) | instid1(VALU_DEP_4)
	v_add_co_ci_u32_e64 v10, s3, s9, v6, s3
	v_lshlrev_b64 v[5:6], 1, v[11:12]
	v_add_co_u32 v11, s3, s8, v25
	s_delay_alu instid0(VALU_DEP_1) | instskip(NEXT) | instid1(VALU_DEP_3)
	v_add_co_ci_u32_e64 v12, s3, s9, v26, s3
	v_add_co_u32 v5, s3, s8, v5
	s_delay_alu instid0(VALU_DEP_1)
	v_add_co_ci_u32_e64 v6, s3, s9, v6, s3
	s_clause 0x3
	flat_load_u16 v31, v[7:8]
	flat_load_u16 v29, v[9:10]
	;; [unrolled: 1-line block ×4, first 2 shown]
	s_waitcnt vmcnt(7) lgkmcnt(7)
	v_lshlrev_b32_e32 v32, 16, v32
	s_waitcnt vmcnt(6) lgkmcnt(6)
	v_lshlrev_b32_e32 v30, 16, v33
	;; [unrolled: 2-line block ×4, first 2 shown]
	s_and_saveexec_b32 s3, s0
	s_cbranch_execz .LBB674_22
; %bb.26:                               ;   in Loop: Header=BB674_24 Depth=1
	s_clause 0x3
	flat_load_u16 v36, v[7:8] offset:128
	flat_load_u16 v35, v[9:10] offset:128
	flat_load_u16 v34, v[11:12] offset:128
	flat_load_u16 v33, v[5:6] offset:128
	s_and_saveexec_b32 s26, s1
	s_cbranch_execz .LBB674_21
; %bb.27:                               ;   in Loop: Header=BB674_24 Depth=1
	s_clause 0x3
	flat_load_u16 v40, v[7:8] offset:256
	flat_load_u16 v39, v[9:10] offset:256
	flat_load_u16 v38, v[11:12] offset:256
	flat_load_u16 v37, v[5:6] offset:256
	s_and_saveexec_b32 s27, s2
	s_cbranch_execz .LBB674_20
; %bb.28:                               ;   in Loop: Header=BB674_24 Depth=1
	s_clause 0x3
	flat_load_u16 v7, v[7:8] offset:384
	flat_load_u16 v8, v[9:10] offset:384
	flat_load_u16 v9, v[11:12] offset:384
	flat_load_u16 v5, v[5:6] offset:384
	s_waitcnt vmcnt(0) lgkmcnt(0)
	v_lshlrev_b32_e32 v5, 16, v5
	v_lshlrev_b32_e32 v6, 16, v7
	;; [unrolled: 1-line block ×3, first 2 shown]
	s_delay_alu instid0(VALU_DEP_2) | instskip(NEXT) | instid1(VALU_DEP_1)
	v_dual_fmac_f32 v17, v32, v6 :: v_dual_lshlrev_b32 v6, 16, v9
	v_fmac_f32_e32 v17, v30, v7
	s_delay_alu instid0(VALU_DEP_1) | instskip(NEXT) | instid1(VALU_DEP_1)
	v_fmac_f32_e32 v17, v28, v6
	v_fmac_f32_e32 v17, v27, v5
	s_branch .LBB674_20
.LBB674_29:
	s_or_b32 exec_lo, exec_lo, s22
.LBB674_30:
	s_delay_alu instid0(SALU_CYCLE_1) | instskip(SKIP_1) | instid1(SALU_CYCLE_1)
	s_or_b32 exec_lo, exec_lo, s20
	s_sub_i32 s0, s5, s19
	s_cmp_lt_i32 s0, 1
	s_cbranch_scc1 .LBB674_48
; %bb.31:
	v_cmp_gt_i32_e32 vcc_lo, s5, v19
	v_dual_mov_b32 v10, 0 :: v_dual_mov_b32 v11, 0
	v_or_b32_e32 v2, 1, v19
	v_mov_b32_e32 v12, 0
	v_mov_b32_e32 v20, 0
	s_and_saveexec_b32 s1, vcc_lo
	s_cbranch_execz .LBB674_39
; %bb.32:
	s_waitcnt lgkmcnt(0)
	v_mul_lo_u32 v3, v19, s12
	v_dual_mov_b32 v12, 0 :: v_dual_mov_b32 v11, 0
	v_mov_b32_e32 v10, 0
	s_mov_b32 s2, exec_lo
	s_delay_alu instid0(VALU_DEP_3) | instskip(NEXT) | instid1(VALU_DEP_1)
	v_ashrrev_i32_e32 v4, 31, v3
	v_lshlrev_b64 v[3:4], 1, v[3:4]
	s_delay_alu instid0(VALU_DEP_1) | instskip(NEXT) | instid1(VALU_DEP_1)
	v_add_co_u32 v3, s0, s10, v3
	v_add_co_ci_u32_e64 v4, s0, s11, v4, s0
	flat_load_u16 v3, v[3:4]
	v_cmpx_gt_i32_e64 s5, v2
	s_cbranch_execz .LBB674_38
; %bb.33:
	v_mul_lo_u32 v4, v2, s12
	v_dual_mov_b32 v11, 0 :: v_dual_mov_b32 v10, 0
	s_mov_b32 s3, exec_lo
	s_delay_alu instid0(VALU_DEP_2) | instskip(NEXT) | instid1(VALU_DEP_1)
	v_ashrrev_i32_e32 v5, 31, v4
	v_lshlrev_b64 v[4:5], 1, v[4:5]
	s_delay_alu instid0(VALU_DEP_1) | instskip(NEXT) | instid1(VALU_DEP_1)
	v_add_co_u32 v4, s0, s10, v4
	v_add_co_ci_u32_e64 v5, s0, s11, v5, s0
	flat_load_u16 v4, v[4:5]
	v_or_b32_e32 v5, 2, v19
	s_delay_alu instid0(VALU_DEP_1)
	v_cmpx_gt_i32_e64 s5, v5
	s_cbranch_execz .LBB674_37
; %bb.34:
	v_mul_lo_u32 v5, v5, s12
	v_mov_b32_e32 v10, 0
	s_mov_b32 s19, exec_lo
	s_delay_alu instid0(VALU_DEP_2) | instskip(NEXT) | instid1(VALU_DEP_1)
	v_ashrrev_i32_e32 v6, 31, v5
	v_lshlrev_b64 v[5:6], 1, v[5:6]
	s_delay_alu instid0(VALU_DEP_1) | instskip(NEXT) | instid1(VALU_DEP_1)
	v_add_co_u32 v5, s0, s10, v5
	v_add_co_ci_u32_e64 v6, s0, s11, v6, s0
	flat_load_u16 v5, v[5:6]
	v_or_b32_e32 v6, 3, v19
	s_delay_alu instid0(VALU_DEP_1)
	v_cmpx_gt_i32_e64 s5, v6
	s_cbranch_execz .LBB674_36
; %bb.35:
	v_mul_lo_u32 v6, v6, s12
	s_delay_alu instid0(VALU_DEP_1) | instskip(NEXT) | instid1(VALU_DEP_1)
	v_ashrrev_i32_e32 v7, 31, v6
	v_lshlrev_b64 v[6:7], 1, v[6:7]
	s_delay_alu instid0(VALU_DEP_1) | instskip(NEXT) | instid1(VALU_DEP_1)
	v_add_co_u32 v6, s0, s10, v6
	v_add_co_ci_u32_e64 v7, s0, s11, v7, s0
	flat_load_u16 v6, v[6:7]
	s_waitcnt vmcnt(0) lgkmcnt(0)
	v_lshlrev_b32_e32 v10, 16, v6
.LBB674_36:
	s_or_b32 exec_lo, exec_lo, s19
	s_waitcnt vmcnt(0) lgkmcnt(0)
	v_lshlrev_b32_e32 v11, 16, v5
.LBB674_37:
	s_or_b32 exec_lo, exec_lo, s3
	s_waitcnt vmcnt(0) lgkmcnt(0)
	v_lshlrev_b32_e32 v12, 16, v4
.LBB674_38:
	s_or_b32 exec_lo, exec_lo, s2
	s_waitcnt vmcnt(0) lgkmcnt(0)
	v_lshlrev_b32_e32 v20, 16, v3
.LBB674_39:
	s_or_b32 exec_lo, exec_lo, s1
	s_delay_alu instid0(SALU_CYCLE_1)
	s_mov_b32 s1, exec_lo
	v_cmpx_gt_i32_e64 s4, v18
	s_cbranch_execz .LBB674_47
; %bb.40:
	s_waitcnt lgkmcnt(0)
	v_mul_lo_u32 v3, v19, s18
	v_mul_lo_u32 v4, v2, s18
	v_or_b32_e32 v5, 2, v19
	v_or_b32_e32 v6, 3, v19
	s_mov_b32 s0, exec_lo
	s_delay_alu instid0(VALU_DEP_2)
	v_mul_lo_u32 v7, v5, s18
	v_cndmask_b32_e32 v3, 0, v3, vcc_lo
	v_cmp_gt_i32_e32 vcc_lo, s5, v2
	v_mul_lo_u32 v8, v6, s18
	v_cndmask_b32_e32 v4, 0, v4, vcc_lo
	v_cmp_gt_i32_e32 vcc_lo, s5, v5
	v_add_nc_u32_e32 v2, v3, v18
	s_delay_alu instid0(VALU_DEP_3) | instskip(NEXT) | instid1(VALU_DEP_2)
	v_dual_cndmask_b32 v7, 0, v7 :: v_dual_add_nc_u32 v4, v4, v18
	v_ashrrev_i32_e32 v3, 31, v2
	v_cmp_gt_i32_e32 vcc_lo, s5, v6
	s_delay_alu instid0(VALU_DEP_3) | instskip(NEXT) | instid1(VALU_DEP_4)
	v_ashrrev_i32_e32 v5, 31, v4
	v_add_nc_u32_e32 v6, v7, v18
	s_delay_alu instid0(VALU_DEP_4) | instskip(SKIP_1) | instid1(VALU_DEP_4)
	v_lshlrev_b64 v[2:3], 1, v[2:3]
	v_cndmask_b32_e32 v8, 0, v8, vcc_lo
	v_lshlrev_b64 v[21:22], 1, v[4:5]
	s_delay_alu instid0(VALU_DEP_4) | instskip(NEXT) | instid1(VALU_DEP_4)
	v_ashrrev_i32_e32 v7, 31, v6
	v_add_co_u32 v4, vcc_lo, s8, v2
	v_add_co_ci_u32_e32 v5, vcc_lo, s9, v3, vcc_lo
	s_delay_alu instid0(VALU_DEP_4)
	v_add_co_u32 v2, vcc_lo, s8, v21
	v_add_co_ci_u32_e32 v3, vcc_lo, s9, v22, vcc_lo
	s_clause 0x1
	flat_load_u16 v19, v[4:5]
	flat_load_u16 v23, v[2:3]
	v_lshlrev_b64 v[6:7], 1, v[6:7]
	s_waitcnt vmcnt(1) lgkmcnt(1)
	v_lshlrev_b32_e32 v19, 16, v19
	v_add_nc_u32_e32 v8, v8, v18
	s_delay_alu instid0(VALU_DEP_1) | instskip(NEXT) | instid1(VALU_DEP_1)
	v_ashrrev_i32_e32 v9, 31, v8
	v_lshlrev_b64 v[21:22], 1, v[8:9]
	v_add_co_u32 v8, vcc_lo, s8, v6
	v_add_co_ci_u32_e32 v9, vcc_lo, s9, v7, vcc_lo
	s_delay_alu instid0(VALU_DEP_3) | instskip(NEXT) | instid1(VALU_DEP_4)
	v_add_co_u32 v6, vcc_lo, s8, v21
	v_add_co_ci_u32_e32 v7, vcc_lo, s9, v22, vcc_lo
	s_clause 0x1
	flat_load_u16 v21, v[8:9]
	flat_load_u16 v22, v[6:7]
	s_waitcnt vmcnt(1) lgkmcnt(1)
	v_dual_fmac_f32 v14, v20, v19 :: v_dual_lshlrev_b32 v21, 16, v21
	v_lshlrev_b32_e32 v23, 16, v23
	s_waitcnt vmcnt(0) lgkmcnt(0)
	s_delay_alu instid0(VALU_DEP_1) | instskip(NEXT) | instid1(VALU_DEP_1)
	v_dual_fmac_f32 v14, v12, v23 :: v_dual_lshlrev_b32 v19, 16, v22
	v_dual_fmac_f32 v14, v11, v21 :: v_dual_add_nc_u32 v23, 64, v18
	s_delay_alu instid0(VALU_DEP_1)
	v_cmpx_gt_i32_e64 s4, v23
	s_cbranch_execz .LBB674_46
; %bb.41:
	s_clause 0x3
	flat_load_u16 v21, v[4:5] offset:128
	flat_load_u16 v22, v[2:3] offset:128
	;; [unrolled: 1-line block ×4, first 2 shown]
	s_mov_b32 s2, exec_lo
	s_waitcnt vmcnt(3) lgkmcnt(3)
	v_lshlrev_b32_e32 v21, 16, v21
	s_waitcnt vmcnt(2) lgkmcnt(2)
	v_lshlrev_b32_e32 v22, 16, v22
	;; [unrolled: 2-line block ×3, first 2 shown]
	v_fmac_f32_e32 v15, v20, v21
	s_waitcnt vmcnt(0) lgkmcnt(0)
	v_lshlrev_b32_e32 v21, 16, v24
	s_delay_alu instid0(VALU_DEP_2) | instskip(NEXT) | instid1(VALU_DEP_1)
	v_fmac_f32_e32 v15, v12, v22
	v_dual_fmac_f32 v15, v11, v23 :: v_dual_add_nc_u32 v22, 0x80, v18
	s_delay_alu instid0(VALU_DEP_1)
	v_cmpx_gt_i32_e64 s4, v22
	s_cbranch_execz .LBB674_45
; %bb.42:
	s_clause 0x3
	flat_load_u16 v22, v[4:5] offset:256
	flat_load_u16 v23, v[2:3] offset:256
	;; [unrolled: 1-line block ×4, first 2 shown]
	s_mov_b32 s3, exec_lo
	s_waitcnt vmcnt(3) lgkmcnt(3)
	v_lshlrev_b32_e32 v22, 16, v22
	s_waitcnt vmcnt(2) lgkmcnt(2)
	s_delay_alu instid0(VALU_DEP_1) | instskip(SKIP_2) | instid1(VALU_DEP_2)
	v_dual_fmac_f32 v16, v20, v22 :: v_dual_lshlrev_b32 v23, 16, v23
	s_waitcnt vmcnt(1) lgkmcnt(1)
	v_lshlrev_b32_e32 v22, 16, v24
	v_dual_fmac_f32 v16, v12, v23 :: v_dual_add_nc_u32 v23, 0xc0, v18
	s_waitcnt vmcnt(0) lgkmcnt(0)
	v_lshlrev_b32_e32 v18, 16, v25
	s_delay_alu instid0(VALU_DEP_2) | instskip(NEXT) | instid1(VALU_DEP_3)
	v_fmac_f32_e32 v16, v11, v22
	v_cmpx_gt_i32_e64 s4, v23
	s_cbranch_execz .LBB674_44
; %bb.43:
	s_clause 0x3
	flat_load_u16 v4, v[4:5] offset:384
	flat_load_u16 v2, v[2:3] offset:384
	flat_load_u16 v3, v[8:9] offset:384
	flat_load_u16 v5, v[6:7] offset:384
	s_waitcnt vmcnt(2) lgkmcnt(2)
	v_lshlrev_b32_e32 v2, 16, v2
	v_lshlrev_b32_e32 v4, 16, v4
	s_waitcnt vmcnt(1) lgkmcnt(1)
	v_lshlrev_b32_e32 v3, 16, v3
	s_delay_alu instid0(VALU_DEP_2) | instskip(SKIP_1) | instid1(VALU_DEP_1)
	v_fmac_f32_e32 v17, v20, v4
	s_waitcnt vmcnt(0) lgkmcnt(0)
	v_dual_fmac_f32 v17, v12, v2 :: v_dual_lshlrev_b32 v2, 16, v5
	s_delay_alu instid0(VALU_DEP_1) | instskip(NEXT) | instid1(VALU_DEP_1)
	v_fmac_f32_e32 v17, v11, v3
	v_fmac_f32_e32 v17, v10, v2
.LBB674_44:
	s_or_b32 exec_lo, exec_lo, s3
	s_delay_alu instid0(VALU_DEP_2)
	v_fmac_f32_e32 v16, v10, v18
.LBB674_45:
	s_or_b32 exec_lo, exec_lo, s2
	s_delay_alu instid0(VALU_DEP_2)
	v_fmac_f32_e32 v15, v10, v21
.LBB674_46:
	s_or_b32 exec_lo, exec_lo, s0
	s_delay_alu instid0(VALU_DEP_2)
	v_fmac_f32_e32 v14, v10, v19
.LBB674_47:
	s_or_b32 exec_lo, exec_lo, s1
.LBB674_48:
	v_lshlrev_b32_e32 v2, 8, v13
	s_mov_b32 s0, exec_lo
                                        ; implicit-def: $vgpr3
                                        ; implicit-def: $vgpr4_vgpr5
	s_delay_alu instid0(VALU_DEP_1)
	v_add_lshl_u32 v1, v2, v1, 2
	ds_store_2addr_stride64_b32 v1, v14, v15 offset1:1
	ds_store_2addr_stride64_b32 v1, v16, v17 offset0:2 offset1:3
	s_waitcnt lgkmcnt(0)
	s_barrier
	buffer_gl0_inv
	v_cmpx_gt_u32_e32 0x100, v0
	s_cbranch_execz .LBB674_54
; %bb.49:
	v_lshlrev_b32_e32 v7, 2, v0
	s_mov_b32 s2, s17
	s_mov_b32 s1, exec_lo
	ds_load_2addr_stride64_b32 v[1:2], v7 offset1:4
	ds_load_2addr_stride64_b32 v[3:4], v7 offset0:8 offset1:12
	ds_load_2addr_stride64_b32 v[5:6], v7 offset0:16 offset1:20
	s_waitcnt lgkmcnt(2)
	v_add_f32_e32 v8, v1, v2
	ds_load_2addr_stride64_b32 v[1:2], v7 offset0:24 offset1:28
	s_waitcnt lgkmcnt(2)
	v_add_f32_e32 v3, v3, v8
	s_delay_alu instid0(VALU_DEP_1) | instskip(SKIP_3) | instid1(VALU_DEP_1)
	v_add_f32_e32 v8, v4, v3
	ds_load_2addr_stride64_b32 v[3:4], v7 offset0:32 offset1:36
	s_waitcnt lgkmcnt(2)
	v_add_f32_e32 v5, v5, v8
	v_add_f32_e32 v8, v6, v5
	ds_load_2addr_stride64_b32 v[5:6], v7 offset0:40 offset1:44
	s_waitcnt lgkmcnt(2)
	v_add_f32_e32 v1, v1, v8
	s_delay_alu instid0(VALU_DEP_1) | instskip(SKIP_1) | instid1(VALU_DEP_1)
	v_add_f32_e32 v1, v2, v1
	s_waitcnt lgkmcnt(1)
	v_add_f32_e32 v3, v3, v1
	ds_load_2addr_stride64_b32 v[1:2], v7 offset0:48 offset1:52
	v_add_f32_e32 v3, v4, v3
	s_waitcnt lgkmcnt(1)
	s_delay_alu instid0(VALU_DEP_1) | instskip(SKIP_3) | instid1(VALU_DEP_1)
	v_add_f32_e32 v5, v5, v3
	ds_load_2addr_stride64_b32 v[3:4], v7 offset0:56 offset1:60
	v_add_f32_e32 v5, v6, v5
	s_waitcnt lgkmcnt(1)
	v_add_f32_e32 v1, v1, v5
	s_delay_alu instid0(VALU_DEP_1) | instskip(SKIP_1) | instid1(VALU_DEP_1)
	v_add_f32_e32 v1, v2, v1
	s_waitcnt lgkmcnt(0)
	v_add_f32_e32 v2, v3, v1
	v_or_b32_e32 v1, s14, v0
                                        ; implicit-def: $vgpr3
	s_delay_alu instid0(VALU_DEP_2)
	v_add_f32_e32 v0, v4, v2
                                        ; implicit-def: $vgpr4_vgpr5
	ds_store_b32 v7, v0
	v_cmpx_gt_i32_e64 s4, v1
	s_cbranch_execz .LBB674_53
; %bb.50:
	v_mul_lo_u32 v4, v1, s16
	v_cmp_eq_f32_e64 s2, s7, 0
	v_mul_f32_e32 v3, s6, v0
	s_delay_alu instid0(VALU_DEP_2) | instskip(NEXT) | instid1(VALU_DEP_3)
	s_and_b32 vcc_lo, exec_lo, s2
	v_ashrrev_i32_e32 v5, 31, v4
	s_cbranch_vccnz .LBB674_52
; %bb.51:
	s_delay_alu instid0(VALU_DEP_1) | instskip(NEXT) | instid1(VALU_DEP_1)
	v_lshlrev_b64 v[0:1], 2, v[4:5]
	v_add_co_u32 v0, vcc_lo, s13, v0
	s_delay_alu instid0(VALU_DEP_2)
	v_add_co_ci_u32_e32 v1, vcc_lo, s15, v1, vcc_lo
	global_load_b32 v0, v[0:1], off
	s_waitcnt vmcnt(0)
	v_fmac_f32_e32 v3, s7, v0
.LBB674_52:
	s_or_b32 s2, s17, exec_lo
.LBB674_53:
	s_or_b32 exec_lo, exec_lo, s1
	s_delay_alu instid0(SALU_CYCLE_1) | instskip(SKIP_1) | instid1(SALU_CYCLE_1)
	s_and_not1_b32 s1, s17, exec_lo
	s_and_b32 s2, s2, exec_lo
	s_or_b32 s17, s1, s2
.LBB674_54:
	s_or_b32 exec_lo, exec_lo, s0
.LBB674_55:
	s_and_saveexec_b32 s0, s17
	s_cbranch_execz .LBB674_57
; %bb.56:
	v_lshlrev_b64 v[0:1], 2, v[4:5]
	s_delay_alu instid0(VALU_DEP_1) | instskip(NEXT) | instid1(VALU_DEP_2)
	v_add_co_u32 v0, vcc_lo, s13, v0
	v_add_co_ci_u32_e32 v1, vcc_lo, s15, v1, vcc_lo
	global_store_b32 v[0:1], v3, off
.LBB674_57:
	s_nop 0
	s_sendmsg sendmsg(MSG_DEALLOC_VGPRS)
	s_endpgm
	.section	.rodata,"a",@progbits
	.p2align	6, 0x0
	.amdhsa_kernel _ZL20rocblas_gemvn_kernelILi64ELi16EiPK16rocblas_bfloat16fKPfEviiT3_lPKT2_lT1_lS8_lS9_lS5_lPT4_lS9_li
		.amdhsa_group_segment_fixed_size 16384
		.amdhsa_private_segment_fixed_size 0
		.amdhsa_kernarg_size 400
		.amdhsa_user_sgpr_count 14
		.amdhsa_user_sgpr_dispatch_ptr 0
		.amdhsa_user_sgpr_queue_ptr 0
		.amdhsa_user_sgpr_kernarg_segment_ptr 1
		.amdhsa_user_sgpr_dispatch_id 0
		.amdhsa_user_sgpr_private_segment_size 0
		.amdhsa_wavefront_size32 1
		.amdhsa_uses_dynamic_stack 0
		.amdhsa_enable_private_segment 0
		.amdhsa_system_sgpr_workgroup_id_x 1
		.amdhsa_system_sgpr_workgroup_id_y 0
		.amdhsa_system_sgpr_workgroup_id_z 1
		.amdhsa_system_sgpr_workgroup_info 0
		.amdhsa_system_vgpr_workitem_id 1
		.amdhsa_next_free_vgpr 41
		.amdhsa_next_free_sgpr 28
		.amdhsa_reserve_vcc 1
		.amdhsa_float_round_mode_32 0
		.amdhsa_float_round_mode_16_64 0
		.amdhsa_float_denorm_mode_32 3
		.amdhsa_float_denorm_mode_16_64 3
		.amdhsa_dx10_clamp 1
		.amdhsa_ieee_mode 1
		.amdhsa_fp16_overflow 0
		.amdhsa_workgroup_processor_mode 1
		.amdhsa_memory_ordered 1
		.amdhsa_forward_progress 0
		.amdhsa_shared_vgpr_count 0
		.amdhsa_exception_fp_ieee_invalid_op 0
		.amdhsa_exception_fp_denorm_src 0
		.amdhsa_exception_fp_ieee_div_zero 0
		.amdhsa_exception_fp_ieee_overflow 0
		.amdhsa_exception_fp_ieee_underflow 0
		.amdhsa_exception_fp_ieee_inexact 0
		.amdhsa_exception_int_div_zero 0
	.end_amdhsa_kernel
	.section	.text._ZL20rocblas_gemvn_kernelILi64ELi16EiPK16rocblas_bfloat16fKPfEviiT3_lPKT2_lT1_lS8_lS9_lS5_lPT4_lS9_li,"axG",@progbits,_ZL20rocblas_gemvn_kernelILi64ELi16EiPK16rocblas_bfloat16fKPfEviiT3_lPKT2_lT1_lS8_lS9_lS5_lPT4_lS9_li,comdat
.Lfunc_end674:
	.size	_ZL20rocblas_gemvn_kernelILi64ELi16EiPK16rocblas_bfloat16fKPfEviiT3_lPKT2_lT1_lS8_lS9_lS5_lPT4_lS9_li, .Lfunc_end674-_ZL20rocblas_gemvn_kernelILi64ELi16EiPK16rocblas_bfloat16fKPfEviiT3_lPKT2_lT1_lS8_lS9_lS5_lPT4_lS9_li
                                        ; -- End function
	.section	.AMDGPU.csdata,"",@progbits
; Kernel info:
; codeLenInByte = 3192
; NumSgprs: 30
; NumVgprs: 41
; ScratchSize: 0
; MemoryBound: 0
; FloatMode: 240
; IeeeMode: 1
; LDSByteSize: 16384 bytes/workgroup (compile time only)
; SGPRBlocks: 3
; VGPRBlocks: 5
; NumSGPRsForWavesPerEU: 30
; NumVGPRsForWavesPerEU: 41
; Occupancy: 16
; WaveLimiterHint : 1
; COMPUTE_PGM_RSRC2:SCRATCH_EN: 0
; COMPUTE_PGM_RSRC2:USER_SGPR: 14
; COMPUTE_PGM_RSRC2:TRAP_HANDLER: 0
; COMPUTE_PGM_RSRC2:TGID_X_EN: 1
; COMPUTE_PGM_RSRC2:TGID_Y_EN: 0
; COMPUTE_PGM_RSRC2:TGID_Z_EN: 1
; COMPUTE_PGM_RSRC2:TIDIG_COMP_CNT: 1
	.section	.text._ZL20rocblas_gemvn_kernelILi64ELi16ElPK16rocblas_bfloat16fKPfEviiT3_lPKT2_lT1_lS8_lS9_lS5_lPT4_lS9_li,"axG",@progbits,_ZL20rocblas_gemvn_kernelILi64ELi16ElPK16rocblas_bfloat16fKPfEviiT3_lPKT2_lT1_lS8_lS9_lS5_lPT4_lS9_li,comdat
	.globl	_ZL20rocblas_gemvn_kernelILi64ELi16ElPK16rocblas_bfloat16fKPfEviiT3_lPKT2_lT1_lS8_lS9_lS5_lPT4_lS9_li ; -- Begin function _ZL20rocblas_gemvn_kernelILi64ELi16ElPK16rocblas_bfloat16fKPfEviiT3_lPKT2_lT1_lS8_lS9_lS5_lPT4_lS9_li
	.p2align	8
	.type	_ZL20rocblas_gemvn_kernelILi64ELi16ElPK16rocblas_bfloat16fKPfEviiT3_lPKT2_lT1_lS8_lS9_lS5_lPT4_lS9_li,@function
_ZL20rocblas_gemvn_kernelILi64ELi16ElPK16rocblas_bfloat16fKPfEviiT3_lPKT2_lT1_lS8_lS9_lS5_lPT4_lS9_li: ; @_ZL20rocblas_gemvn_kernelILi64ELi16ElPK16rocblas_bfloat16fKPfEviiT3_lPKT2_lT1_lS8_lS9_lS5_lPT4_lS9_li
; %bb.0:
	s_load_b64 s[4:5], s[0:1], 0x9c
	s_waitcnt lgkmcnt(0)
	s_lshr_b32 s3, s4, 16
	s_and_b32 s4, s4, 0xffff
	s_and_b32 s5, s5, 0xffff
	s_mul_i32 s3, s3, s4
	s_delay_alu instid0(SALU_CYCLE_1) | instskip(NEXT) | instid1(SALU_CYCLE_1)
	s_mul_i32 s3, s3, s5
	s_cmpk_lg_i32 s3, 0x400
	s_cbranch_scc1 .LBB675_57
; %bb.1:
	s_load_b128 s[8:11], s[0:1], 0x0
	s_waitcnt lgkmcnt(0)
	s_load_b32 s11, s[0:1], 0x58
	s_mov_b32 s2, s15
	v_cmp_eq_f32_e64 s15, s10, 0
	s_waitcnt lgkmcnt(0)
	v_cmp_eq_f32_e64 s3, s11, 1.0
	s_delay_alu instid0(VALU_DEP_1) | instskip(NEXT) | instid1(SALU_CYCLE_1)
	s_and_b32 s3, s15, s3
	s_and_b32 vcc_lo, exec_lo, s3
	s_cbranch_vccnz .LBB675_57
; %bb.2:
	s_clause 0x1
	s_load_b128 s[4:7], s[0:1], 0x18
	s_load_b64 s[12:13], s[0:1], 0x28
	v_cmp_neq_f32_e64 s20, s10, 0
	s_delay_alu instid0(VALU_DEP_1)
	s_and_b32 vcc_lo, exec_lo, s20
	s_cbranch_vccnz .LBB675_4
; %bb.3:
	s_mov_b32 s3, 0
	s_mov_b64 s[16:17], 0
	s_cbranch_execz .LBB675_5
	s_branch .LBB675_6
.LBB675_4:
	s_mov_b32 s3, -1
                                        ; implicit-def: $sgpr16_sgpr17
.LBB675_5:
	s_mov_b32 s3, 0
	s_delay_alu instid0(SALU_CYCLE_1)
	s_lshl_b64 s[16:17], s[2:3], 3
	s_waitcnt lgkmcnt(0)
	s_add_u32 s4, s4, s16
	s_addc_u32 s5, s5, s17
	s_lshl_b64 s[6:7], s[6:7], 1
	s_load_b64 s[4:5], s[4:5], 0x0
	s_waitcnt lgkmcnt(0)
	s_add_u32 s16, s4, s6
	s_addc_u32 s17, s5, s7
.LBB675_6:
	s_waitcnt lgkmcnt(0)
	s_clause 0x1
	s_load_b128 s[4:7], s[0:1], 0x38
	s_load_b64 s[18:19], s[0:1], 0x48
	s_and_not1_b32 vcc_lo, exec_lo, s20
	s_cbranch_vccnz .LBB675_8
; %bb.7:
	s_lshl_b64 s[20:21], s[2:3], 3
	s_waitcnt lgkmcnt(0)
	s_add_u32 s4, s4, s20
	s_addc_u32 s5, s5, s21
	s_lshl_b64 s[6:7], s[6:7], 1
	s_load_b64 s[4:5], s[4:5], 0x0
	s_waitcnt lgkmcnt(0)
	s_add_u32 s20, s4, s6
	s_addc_u32 s21, s5, s7
	s_branch .LBB675_9
.LBB675_8:
	s_mov_b64 s[20:21], 0
.LBB675_9:
	s_load_b128 s[24:27], s[0:1], 0x68
	s_waitcnt lgkmcnt(0)
	s_load_b64 s[6:7], s[0:1], 0x78
	s_lshl_b64 s[2:3], s[2:3], 3
	v_and_b32_e32 v20, 0x3ff, v0
	v_bfe_u32 v21, v0, 10, 10
	s_delay_alu instid0(VALU_DEP_1)
	v_lshl_add_u32 v19, v21, 6, v20
	s_add_u32 s0, s24, s2
	s_addc_u32 s1, s25, s3
	s_lshl_b64 s[22:23], s[26:27], 2
	s_load_b64 s[2:3], s[0:1], 0x0
	v_cmp_gt_u32_e64 s0, 0x100, v19
	s_waitcnt lgkmcnt(0)
	s_add_u32 s5, s2, s22
	s_addc_u32 s26, s3, s23
	s_and_not1_b32 vcc_lo, exec_lo, s15
	s_cbranch_vccnz .LBB675_16
; %bb.10:
	s_mov_b32 s1, 0
	s_mov_b32 s27, 0
                                        ; implicit-def: $vgpr1
                                        ; implicit-def: $vgpr2_vgpr3
	s_and_saveexec_b32 s2, s0
	s_cbranch_execz .LBB675_17
; %bb.11:
	v_lshl_or_b32 v0, s14, 8, v19
	v_mov_b32_e32 v1, 0
	s_ashr_i32 s23, s8, 31
	s_mov_b32 s22, s8
	s_mov_b32 s3, 0
	s_mov_b32 s0, exec_lo
                                        ; implicit-def: $vgpr2_vgpr3
	v_cmpx_gt_i64_e64 s[22:23], v[0:1]
	s_cbranch_execz .LBB675_15
; %bb.12:
	v_mad_u64_u32 v[2:3], null, v0, s6, 0
	v_cmp_eq_f32_e64 s3, s11, 0
	s_delay_alu instid0(VALU_DEP_1) | instskip(NEXT) | instid1(VALU_DEP_2)
	s_and_b32 vcc_lo, exec_lo, s3
	v_mad_u64_u32 v[4:5], null, v0, s7, v[3:4]
	s_delay_alu instid0(VALU_DEP_1)
	v_mov_b32_e32 v3, v4
	s_cbranch_vccnz .LBB675_14
; %bb.13:
	s_delay_alu instid0(VALU_DEP_1) | instskip(NEXT) | instid1(VALU_DEP_1)
	v_lshlrev_b64 v[0:1], 2, v[2:3]
	v_add_co_u32 v0, vcc_lo, s5, v0
	s_delay_alu instid0(VALU_DEP_2)
	v_add_co_ci_u32_e32 v1, vcc_lo, s26, v1, vcc_lo
	global_load_b32 v0, v[0:1], off
	s_waitcnt vmcnt(0)
	v_mul_f32_e32 v1, s11, v0
.LBB675_14:
	s_mov_b32 s3, exec_lo
.LBB675_15:
	s_or_b32 exec_lo, exec_lo, s0
	s_delay_alu instid0(SALU_CYCLE_1) | instskip(SKIP_1) | instid1(SALU_CYCLE_1)
	s_and_b32 s27, s3, exec_lo
	s_or_b32 exec_lo, exec_lo, s2
	s_and_b32 vcc_lo, exec_lo, s1
	s_cbranch_vccnz .LBB675_18
	s_branch .LBB675_55
.LBB675_16:
	s_mov_b32 s27, 0
                                        ; implicit-def: $vgpr1
                                        ; implicit-def: $vgpr2_vgpr3
	s_cbranch_execnz .LBB675_18
	s_branch .LBB675_55
.LBB675_17:
	s_or_b32 exec_lo, exec_lo, s2
	s_delay_alu instid0(SALU_CYCLE_1)
	s_and_b32 vcc_lo, exec_lo, s1
	s_cbranch_vccz .LBB675_55
.LBB675_18:
	s_ashr_i32 s0, s9, 31
	s_lshl_b32 s28, s14, 8
	s_lshr_b32 s0, s0, 26
	v_dual_mov_b32 v23, 0 :: v_dual_lshlrev_b32 v26, 2, v21
	v_dual_mov_b32 v22, 0 :: v_dual_mov_b32 v25, 0
	v_add_nc_u32_e32 v0, s28, v20
	v_mov_b32_e32 v24, 0
	s_add_i32 s29, s9, s0
	s_mov_b32 s30, exec_lo
	s_and_not1_b32 s29, s29, 63
	s_delay_alu instid0(SALU_CYCLE_1)
	v_cmpx_gt_i32_e64 s29, v26
	s_cbranch_execz .LBB675_30
; %bb.19:
	v_lshlrev_b32_e32 v29, 2, v21
	v_mad_u64_u32 v[5:6], null, s18, v21, 0
	v_add_nc_u32_e32 v2, 64, v0
	v_mad_u64_u32 v[7:8], null, s12, v21, 0
	s_delay_alu instid0(VALU_DEP_4) | instskip(SKIP_1) | instid1(VALU_DEP_4)
	v_or_b32_e32 v25, 3, v29
	v_add_nc_u32_e32 v9, 0x80, v0
	v_cmp_gt_i32_e64 s0, s8, v2
	v_ashrrev_i32_e32 v1, 31, v0
	v_cmp_gt_i32_e32 vcc_lo, s8, v0
	v_mad_u64_u32 v[3:4], null, s12, v25, 0
	v_mad_u64_u32 v[16:17], null, s18, v25, 0
	v_add_nc_u32_e32 v10, 0xc0, v0
	s_lshl_b64 s[14:15], s[12:13], 7
	s_lshl_b64 s[22:23], s[18:19], 7
	s_mov_b32 s31, 0
	s_delay_alu instid0(VALU_DEP_3)
	v_mov_b32_e32 v2, v4
	v_mov_b32_e32 v4, v6
	v_cmp_gt_i32_e64 s1, s8, v9
	v_cmp_gt_i32_e64 s2, s8, v10
	v_mov_b32_e32 v6, v8
	v_mad_u64_u32 v[9:10], null, s13, v25, v[2:3]
	v_or_b32_e32 v31, 2, v29
	v_mad_u64_u32 v[10:11], null, s19, v21, v[4:5]
	s_delay_alu instid0(VALU_DEP_4) | instskip(SKIP_1) | instid1(VALU_DEP_4)
	v_mad_u64_u32 v[11:12], null, s13, v21, v[6:7]
	v_mad_u64_u32 v[12:13], null, s18, v29, s[18:19]
	;; [unrolled: 1-line block ×3, first 2 shown]
	v_mov_b32_e32 v4, v9
	v_mov_b32_e32 v6, v10
	v_lshlrev_b64 v[1:2], 1, v[0:1]
	s_mov_b64 s[24:25], s[20:21]
	s_delay_alu instid0(VALU_DEP_3) | instskip(NEXT) | instid1(VALU_DEP_3)
	v_lshlrev_b64 v[9:10], 1, v[3:4]
	v_lshlrev_b64 v[3:4], 3, v[5:6]
	v_dual_mov_b32 v5, v15 :: v_dual_mov_b32 v6, v13
	s_delay_alu instid0(VALU_DEP_3) | instskip(NEXT) | instid1(VALU_DEP_2)
	v_add_co_u32 v27, s3, s16, v9
	v_mad_u64_u32 v[22:23], null, s13, v31, v[5:6]
	v_mov_b32_e32 v5, v17
	v_add_co_ci_u32_e64 v28, s3, s17, v10, s3
	v_mad_u64_u32 v[9:10], null, s12, v29, s[12:13]
	s_delay_alu instid0(VALU_DEP_3) | instskip(SKIP_2) | instid1(VALU_DEP_4)
	v_mad_u64_u32 v[23:24], null, s19, v25, v[5:6]
	v_mad_u64_u32 v[24:25], null, s18, v31, 0
	v_dual_mov_b32 v8, v11 :: v_dual_mov_b32 v15, v22
	v_mov_b32_e32 v5, v10
	s_delay_alu instid0(VALU_DEP_2) | instskip(NEXT) | instid1(VALU_DEP_2)
	v_lshlrev_b64 v[14:15], 1, v[14:15]
	v_mad_u64_u32 v[10:11], null, s13, v29, v[5:6]
	v_mov_b32_e32 v5, v25
	v_lshlrev_b64 v[7:8], 3, v[7:8]
	s_delay_alu instid0(VALU_DEP_3) | instskip(NEXT) | instid1(VALU_DEP_2)
	v_lshlrev_b64 v[9:10], 1, v[9:10]
	v_mad_u64_u32 v[17:18], null, s19, v29, v[6:7]
	v_add_co_u32 v29, s3, s16, v7
	s_delay_alu instid0(VALU_DEP_1) | instskip(NEXT) | instid1(VALU_DEP_3)
	v_add_co_ci_u32_e64 v30, s3, s17, v8, s3
	v_mov_b32_e32 v13, v17
	v_mov_b32_e32 v17, v23
	v_mad_u64_u32 v[22:23], null, s19, v31, v[5:6]
	v_add_co_u32 v31, s3, s16, v14
	s_delay_alu instid0(VALU_DEP_1) | instskip(SKIP_1) | instid1(VALU_DEP_4)
	v_add_co_ci_u32_e64 v32, s3, s17, v15, s3
	v_add_co_u32 v33, s3, s16, v9
	v_dual_mov_b32 v25, v22 :: v_dual_mov_b32 v22, 0
	v_lshlrev_b64 v[5:6], 1, v[12:13]
	v_lshlrev_b64 v[7:8], 1, v[16:17]
	v_add_co_ci_u32_e64 v34, s3, s17, v10, s3
	s_delay_alu instid0(VALU_DEP_4)
	v_lshlrev_b64 v[9:10], 1, v[24:25]
	v_dual_mov_b32 v23, 0 :: v_dual_mov_b32 v24, 0
	v_mov_b32_e32 v25, 0
	s_branch .LBB675_24
.LBB675_20:                             ;   in Loop: Header=BB675_24 Depth=1
	s_or_b32 exec_lo, exec_lo, s34
	s_waitcnt vmcnt(2) lgkmcnt(2)
	v_lshlrev_b32_e32 v12, 16, v49
	v_lshlrev_b32_e32 v11, 16, v50
	s_waitcnt vmcnt(1) lgkmcnt(1)
	s_delay_alu instid0(VALU_DEP_1) | instskip(NEXT) | instid1(VALU_DEP_1)
	v_dual_fmac_f32 v24, v42, v11 :: v_dual_lshlrev_b32 v11, 16, v48
	v_fmac_f32_e32 v24, v40, v12
	s_delay_alu instid0(VALU_DEP_1) | instskip(SKIP_2) | instid1(VALU_DEP_1)
	v_fmac_f32_e32 v24, v38, v11
	s_waitcnt vmcnt(0) lgkmcnt(0)
	v_lshlrev_b32_e32 v11, 16, v47
	v_fmac_f32_e32 v24, v37, v11
.LBB675_21:                             ;   in Loop: Header=BB675_24 Depth=1
	s_or_b32 exec_lo, exec_lo, s33
	s_waitcnt vmcnt(3) lgkmcnt(3)
	v_lshlrev_b32_e32 v11, 16, v46
	s_waitcnt vmcnt(2) lgkmcnt(2)
	s_delay_alu instid0(VALU_DEP_1) | instskip(SKIP_2) | instid1(VALU_DEP_2)
	v_dual_fmac_f32 v23, v42, v11 :: v_dual_lshlrev_b32 v12, 16, v45
	s_waitcnt vmcnt(1) lgkmcnt(1)
	v_lshlrev_b32_e32 v11, 16, v44
	v_fmac_f32_e32 v23, v40, v12
	s_delay_alu instid0(VALU_DEP_1) | instskip(SKIP_2) | instid1(VALU_DEP_1)
	v_fmac_f32_e32 v23, v38, v11
	s_waitcnt vmcnt(0) lgkmcnt(0)
	v_lshlrev_b32_e32 v11, 16, v43
	v_fmac_f32_e32 v23, v37, v11
.LBB675_22:                             ;   in Loop: Header=BB675_24 Depth=1
	s_or_b32 exec_lo, exec_lo, s3
	s_waitcnt vmcnt(2) lgkmcnt(2)
	v_lshlrev_b32_e32 v12, 16, v39
	v_lshlrev_b32_e32 v11, 16, v41
	s_waitcnt vmcnt(1) lgkmcnt(1)
	s_delay_alu instid0(VALU_DEP_1) | instskip(NEXT) | instid1(VALU_DEP_1)
	v_dual_fmac_f32 v22, v42, v11 :: v_dual_lshlrev_b32 v11, 16, v36
	v_fmac_f32_e32 v22, v40, v12
	s_delay_alu instid0(VALU_DEP_1) | instskip(SKIP_2) | instid1(VALU_DEP_1)
	v_fmac_f32_e32 v22, v38, v11
	s_waitcnt vmcnt(0) lgkmcnt(0)
	v_lshlrev_b32_e32 v11, 16, v35
	v_fmac_f32_e32 v22, v37, v11
.LBB675_23:                             ;   in Loop: Header=BB675_24 Depth=1
	s_or_b32 exec_lo, exec_lo, s4
	v_add_co_u32 v27, s3, v27, s14
	s_delay_alu instid0(VALU_DEP_1) | instskip(SKIP_4) | instid1(VALU_DEP_1)
	v_add_co_ci_u32_e64 v28, s3, s15, v28, s3
	v_add_co_u32 v29, s3, v29, s14
	v_add_nc_u32_e32 v26, 64, v26
	v_add_co_ci_u32_e64 v30, s3, s15, v30, s3
	v_add_co_u32 v31, s3, v31, s14
	v_add_co_ci_u32_e64 v32, s3, s15, v32, s3
	s_delay_alu instid0(VALU_DEP_4) | instskip(SKIP_1) | instid1(VALU_DEP_1)
	v_cmp_le_i32_e64 s3, s29, v26
	v_add_co_u32 v33, s4, v33, s14
	v_add_co_ci_u32_e64 v34, s4, s15, v34, s4
	s_add_u32 s24, s24, s22
	s_addc_u32 s25, s25, s23
	s_or_b32 s31, s3, s31
	s_delay_alu instid0(SALU_CYCLE_1)
	s_and_not1_b32 exec_lo, exec_lo, s31
	s_cbranch_execz .LBB675_29
.LBB675_24:                             ; =>This Inner Loop Header: Depth=1
	s_and_saveexec_b32 s4, vcc_lo
	s_cbranch_execz .LBB675_23
; %bb.25:                               ;   in Loop: Header=BB675_24 Depth=1
	v_add_co_u32 v11, s3, s24, v3
	s_delay_alu instid0(VALU_DEP_1) | instskip(SKIP_1) | instid1(VALU_DEP_1)
	v_add_co_ci_u32_e64 v12, s3, s25, v4, s3
	v_add_co_u32 v13, s3, s24, v5
	v_add_co_ci_u32_e64 v14, s3, s25, v6, s3
	v_add_co_u32 v15, s3, s24, v9
	s_delay_alu instid0(VALU_DEP_1) | instskip(SKIP_1) | instid1(VALU_DEP_1)
	v_add_co_ci_u32_e64 v16, s3, s25, v10, s3
	v_add_co_u32 v17, s3, s24, v7
	v_add_co_ci_u32_e64 v18, s3, s25, v8, s3
	s_clause 0x3
	flat_load_u16 v37, v[11:12]
	flat_load_u16 v38, v[13:14]
	;; [unrolled: 1-line block ×4, first 2 shown]
	v_add_co_u32 v11, s3, v29, v1
	s_delay_alu instid0(VALU_DEP_1) | instskip(SKIP_1) | instid1(VALU_DEP_1)
	v_add_co_ci_u32_e64 v12, s3, v30, v2, s3
	v_add_co_u32 v13, s3, v33, v1
	v_add_co_ci_u32_e64 v14, s3, v34, v2, s3
	v_add_co_u32 v15, s3, v31, v1
	s_delay_alu instid0(VALU_DEP_1) | instskip(SKIP_1) | instid1(VALU_DEP_1)
	v_add_co_ci_u32_e64 v16, s3, v32, v2, s3
	v_add_co_u32 v17, s3, v27, v1
	v_add_co_ci_u32_e64 v18, s3, v28, v2, s3
	flat_load_u16 v41, v[11:12]
	flat_load_u16 v39, v[13:14]
	;; [unrolled: 1-line block ×4, first 2 shown]
	s_waitcnt vmcnt(7) lgkmcnt(7)
	v_lshlrev_b32_e32 v42, 16, v37
	s_waitcnt vmcnt(6) lgkmcnt(6)
	v_lshlrev_b32_e32 v40, 16, v38
	;; [unrolled: 2-line block ×4, first 2 shown]
	s_and_saveexec_b32 s3, s0
	s_cbranch_execz .LBB675_22
; %bb.26:                               ;   in Loop: Header=BB675_24 Depth=1
	flat_load_u16 v46, v[11:12] offset:128
	flat_load_u16 v45, v[13:14] offset:128
	flat_load_u16 v44, v[15:16] offset:128
	flat_load_u16 v43, v[17:18] offset:128
	s_and_saveexec_b32 s33, s1
	s_cbranch_execz .LBB675_21
; %bb.27:                               ;   in Loop: Header=BB675_24 Depth=1
	flat_load_u16 v50, v[11:12] offset:256
	flat_load_u16 v49, v[13:14] offset:256
	flat_load_u16 v48, v[15:16] offset:256
	flat_load_u16 v47, v[17:18] offset:256
	;; [unrolled: 7-line block ×3, first 2 shown]
	s_waitcnt vmcnt(3) lgkmcnt(3)
	v_lshlrev_b32_e32 v11, 16, v11
	s_waitcnt vmcnt(2) lgkmcnt(2)
	s_delay_alu instid0(VALU_DEP_1) | instskip(SKIP_2) | instid1(VALU_DEP_2)
	v_dual_fmac_f32 v25, v42, v11 :: v_dual_lshlrev_b32 v12, 16, v12
	s_waitcnt vmcnt(1) lgkmcnt(1)
	v_lshlrev_b32_e32 v11, 16, v13
	v_fmac_f32_e32 v25, v40, v12
	s_delay_alu instid0(VALU_DEP_1) | instskip(SKIP_2) | instid1(VALU_DEP_1)
	v_fmac_f32_e32 v25, v38, v11
	s_waitcnt vmcnt(0) lgkmcnt(0)
	v_lshlrev_b32_e32 v11, 16, v14
	v_fmac_f32_e32 v25, v37, v11
	s_branch .LBB675_20
.LBB675_29:
	s_or_b32 exec_lo, exec_lo, s31
.LBB675_30:
	s_delay_alu instid0(SALU_CYCLE_1) | instskip(SKIP_1) | instid1(SALU_CYCLE_1)
	s_or_b32 exec_lo, exec_lo, s30
	s_sub_i32 s0, s9, s29
	s_cmp_lt_i32 s0, 1
	s_cbranch_scc1 .LBB675_48
; %bb.31:
	v_cmp_gt_i32_e32 vcc_lo, s9, v26
	v_dual_mov_b32 v9, 0 :: v_dual_mov_b32 v10, 0
	v_or_b32_e32 v2, 1, v26
	v_dual_mov_b32 v11, 0 :: v_dual_mov_b32 v12, 0
	s_and_saveexec_b32 s1, vcc_lo
	s_cbranch_execz .LBB675_39
; %bb.32:
	v_mad_u64_u32 v[3:4], null, v26, s18, 0
	v_mov_b32_e32 v11, 0
	v_mov_b32_e32 v9, 0
	s_mov_b32 s2, exec_lo
	s_delay_alu instid0(VALU_DEP_3) | instskip(NEXT) | instid1(VALU_DEP_1)
	v_dual_mov_b32 v10, 0 :: v_dual_mov_b32 v1, v4
	v_mad_u64_u32 v[4:5], null, v26, s19, v[1:2]
	s_delay_alu instid0(VALU_DEP_1) | instskip(NEXT) | instid1(VALU_DEP_1)
	v_lshlrev_b64 v[3:4], 1, v[3:4]
	v_add_co_u32 v3, s0, s20, v3
	s_delay_alu instid0(VALU_DEP_1)
	v_add_co_ci_u32_e64 v4, s0, s21, v4, s0
	flat_load_u16 v1, v[3:4]
	v_cmpx_gt_i32_e64 s9, v2
	s_cbranch_execz .LBB675_38
; %bb.33:
	v_mad_u64_u32 v[3:4], null, v2, s18, 0
	v_mov_b32_e32 v10, 0
	s_mov_b32 s3, exec_lo
	v_mov_b32_e32 v9, 0
	s_delay_alu instid0(VALU_DEP_3) | instskip(NEXT) | instid1(VALU_DEP_1)
	v_mad_u64_u32 v[5:6], null, v2, s19, v[4:5]
	v_mov_b32_e32 v4, v5
	s_delay_alu instid0(VALU_DEP_1) | instskip(NEXT) | instid1(VALU_DEP_1)
	v_lshlrev_b64 v[3:4], 1, v[3:4]
	v_add_co_u32 v3, s0, s20, v3
	s_delay_alu instid0(VALU_DEP_1) | instskip(SKIP_2) | instid1(VALU_DEP_1)
	v_add_co_ci_u32_e64 v4, s0, s21, v4, s0
	flat_load_u16 v3, v[3:4]
	v_or_b32_e32 v4, 2, v26
	v_cmpx_gt_i32_e64 s9, v4
	s_cbranch_execz .LBB675_37
; %bb.34:
	v_mad_u64_u32 v[5:6], null, v4, s18, 0
	s_mov_b32 s4, exec_lo
	v_mov_b32_e32 v9, 0
	s_delay_alu instid0(VALU_DEP_2) | instskip(NEXT) | instid1(VALU_DEP_1)
	v_mad_u64_u32 v[7:8], null, v4, s19, v[6:7]
	v_mov_b32_e32 v6, v7
	s_delay_alu instid0(VALU_DEP_1) | instskip(NEXT) | instid1(VALU_DEP_1)
	v_lshlrev_b64 v[4:5], 1, v[5:6]
	v_add_co_u32 v4, s0, s20, v4
	s_delay_alu instid0(VALU_DEP_1) | instskip(SKIP_2) | instid1(VALU_DEP_1)
	v_add_co_ci_u32_e64 v5, s0, s21, v5, s0
	flat_load_u16 v4, v[4:5]
	v_or_b32_e32 v5, 3, v26
	v_cmpx_gt_i32_e64 s9, v5
	s_cbranch_execz .LBB675_36
; %bb.35:
	v_mad_u64_u32 v[6:7], null, v5, s18, 0
	s_delay_alu instid0(VALU_DEP_1) | instskip(NEXT) | instid1(VALU_DEP_1)
	v_mad_u64_u32 v[8:9], null, v5, s19, v[7:8]
	v_mov_b32_e32 v7, v8
	s_delay_alu instid0(VALU_DEP_1) | instskip(NEXT) | instid1(VALU_DEP_1)
	v_lshlrev_b64 v[5:6], 1, v[6:7]
	v_add_co_u32 v5, s0, s20, v5
	s_delay_alu instid0(VALU_DEP_1)
	v_add_co_ci_u32_e64 v6, s0, s21, v6, s0
	flat_load_u16 v5, v[5:6]
	s_waitcnt vmcnt(0) lgkmcnt(0)
	v_lshlrev_b32_e32 v9, 16, v5
.LBB675_36:
	s_or_b32 exec_lo, exec_lo, s4
	s_waitcnt vmcnt(0) lgkmcnt(0)
	v_lshlrev_b32_e32 v10, 16, v4
.LBB675_37:
	s_or_b32 exec_lo, exec_lo, s3
	s_waitcnt vmcnt(0) lgkmcnt(0)
	v_lshlrev_b32_e32 v11, 16, v3
.LBB675_38:
	s_or_b32 exec_lo, exec_lo, s2
	s_waitcnt vmcnt(0) lgkmcnt(0)
	v_lshlrev_b32_e32 v12, 16, v1
.LBB675_39:
	s_or_b32 exec_lo, exec_lo, s1
	s_delay_alu instid0(SALU_CYCLE_1)
	s_mov_b32 s1, exec_lo
	v_cmpx_gt_i32_e64 s8, v0
	s_cbranch_execz .LBB675_47
; %bb.40:
	v_mad_u64_u32 v[3:4], null, v26, s12, 0
	v_mad_u64_u32 v[5:6], null, v2, s12, 0
	v_ashrrev_i32_e32 v1, 31, v0
	v_or_b32_e32 v28, 2, v26
	v_or_b32_e32 v29, 3, v26
	v_cndmask_b32_e32 v3, 0, v3, vcc_lo
	s_delay_alu instid0(VALU_DEP_4)
	v_lshlrev_b64 v[13:14], 1, v[0:1]
	v_mad_u64_u32 v[7:8], null, v26, s13, v[4:5]
	v_mov_b32_e32 v1, v6
	v_mad_u64_u32 v[15:16], null, v28, s12, 0
	v_mad_u64_u32 v[17:18], null, v29, s12, 0
	v_cmp_gt_i32_e64 s0, s9, v28
	v_cndmask_b32_e32 v4, 0, v7, vcc_lo
	v_mad_u64_u32 v[6:7], null, v2, s13, v[1:2]
	v_cmp_gt_i32_e32 vcc_lo, s9, v2
	v_mov_b32_e32 v1, v16
	v_dual_mov_b32 v7, v18 :: v_dual_cndmask_b32 v2, 0, v5
	v_lshlrev_b64 v[4:5], 1, v[3:4]
	v_cndmask_b32_e32 v3, 0, v6, vcc_lo
	s_delay_alu instid0(VALU_DEP_3) | instskip(NEXT) | instid1(VALU_DEP_3)
	v_mad_u64_u32 v[26:27], null, v28, s13, v[1:2]
	v_add_co_u32 v1, vcc_lo, s16, v4
	s_delay_alu instid0(VALU_DEP_4) | instskip(NEXT) | instid1(VALU_DEP_4)
	v_add_co_ci_u32_e32 v5, vcc_lo, s17, v5, vcc_lo
	v_lshlrev_b64 v[3:4], 1, v[2:3]
	s_delay_alu instid0(VALU_DEP_3) | instskip(NEXT) | instid1(VALU_DEP_3)
	v_add_co_u32 v1, vcc_lo, v1, v13
	v_add_co_ci_u32_e32 v2, vcc_lo, v5, v14, vcc_lo
	v_cndmask_b32_e64 v5, 0, v15, s0
	s_delay_alu instid0(VALU_DEP_4) | instskip(SKIP_3) | instid1(VALU_DEP_4)
	v_add_co_u32 v3, vcc_lo, s16, v3
	v_add_co_ci_u32_e32 v4, vcc_lo, s17, v4, vcc_lo
	v_mad_u64_u32 v[15:16], null, v29, s13, v[7:8]
	v_cndmask_b32_e64 v6, 0, v26, s0
	v_add_co_u32 v3, s0, v3, v13
	v_cmp_gt_i32_e32 vcc_lo, s9, v29
	v_add_co_ci_u32_e64 v4, s0, v4, v14, s0
	s_delay_alu instid0(VALU_DEP_4)
	v_lshlrev_b64 v[5:6], 1, v[5:6]
	s_mov_b32 s0, exec_lo
	v_cndmask_b32_e32 v8, 0, v15, vcc_lo
	s_clause 0x1
	flat_load_u16 v15, v[1:2]
	flat_load_u16 v16, v[3:4]
	s_waitcnt vmcnt(1) lgkmcnt(1)
	v_lshlrev_b32_e32 v15, 16, v15
	s_waitcnt vmcnt(0) lgkmcnt(0)
	v_lshlrev_b32_e32 v16, 16, v16
	s_delay_alu instid0(VALU_DEP_2) | instskip(SKIP_2) | instid1(VALU_DEP_3)
	v_dual_fmac_f32 v22, v12, v15 :: v_dual_cndmask_b32 v7, 0, v17
	v_add_co_u32 v5, vcc_lo, s16, v5
	v_add_co_ci_u32_e32 v6, vcc_lo, s17, v6, vcc_lo
	v_fmac_f32_e32 v22, v11, v16
	s_delay_alu instid0(VALU_DEP_4) | instskip(SKIP_1) | instid1(VALU_DEP_2)
	v_lshlrev_b64 v[7:8], 1, v[7:8]
	v_add_nc_u32_e32 v16, 64, v0
	v_add_co_u32 v17, vcc_lo, s16, v7
	s_delay_alu instid0(VALU_DEP_3) | instskip(SKIP_2) | instid1(VALU_DEP_4)
	v_add_co_ci_u32_e32 v18, vcc_lo, s17, v8, vcc_lo
	v_add_co_u32 v7, vcc_lo, v5, v13
	v_add_co_ci_u32_e32 v8, vcc_lo, v6, v14, vcc_lo
	v_add_co_u32 v5, vcc_lo, v17, v13
	s_delay_alu instid0(VALU_DEP_4)
	v_add_co_ci_u32_e32 v6, vcc_lo, v18, v14, vcc_lo
	s_clause 0x1
	flat_load_u16 v13, v[7:8]
	flat_load_u16 v14, v[5:6]
	s_waitcnt vmcnt(1) lgkmcnt(1)
	v_lshlrev_b32_e32 v15, 16, v13
	s_waitcnt vmcnt(0) lgkmcnt(0)
	s_delay_alu instid0(VALU_DEP_1)
	v_dual_fmac_f32 v22, v10, v15 :: v_dual_lshlrev_b32 v13, 16, v14
	v_cmpx_gt_i32_e64 s8, v16
	s_cbranch_execz .LBB675_46
; %bb.41:
	s_clause 0x3
	flat_load_u16 v14, v[1:2] offset:128
	flat_load_u16 v15, v[3:4] offset:128
	;; [unrolled: 1-line block ×4, first 2 shown]
	s_mov_b32 s2, exec_lo
	s_waitcnt vmcnt(2) lgkmcnt(2)
	v_lshlrev_b32_e32 v15, 16, v15
	v_lshlrev_b32_e32 v14, 16, v14
	s_waitcnt vmcnt(1) lgkmcnt(1)
	s_delay_alu instid0(VALU_DEP_1) | instskip(NEXT) | instid1(VALU_DEP_1)
	v_dual_fmac_f32 v23, v12, v14 :: v_dual_lshlrev_b32 v16, 16, v16
	v_fmac_f32_e32 v23, v11, v15
	v_add_nc_u32_e32 v15, 0x80, v0
	s_waitcnt vmcnt(0) lgkmcnt(0)
	s_delay_alu instid0(VALU_DEP_2) | instskip(NEXT) | instid1(VALU_DEP_2)
	v_dual_fmac_f32 v23, v10, v16 :: v_dual_lshlrev_b32 v14, 16, v17
	v_cmpx_gt_i32_e64 s8, v15
	s_cbranch_execz .LBB675_45
; %bb.42:
	s_clause 0x3
	flat_load_u16 v15, v[1:2] offset:256
	flat_load_u16 v16, v[3:4] offset:256
	;; [unrolled: 1-line block ×4, first 2 shown]
	s_mov_b32 s3, exec_lo
	s_waitcnt vmcnt(2) lgkmcnt(2)
	v_lshlrev_b32_e32 v16, 16, v16
	v_lshlrev_b32_e32 v15, 16, v15
	s_waitcnt vmcnt(1) lgkmcnt(1)
	s_delay_alu instid0(VALU_DEP_1) | instskip(NEXT) | instid1(VALU_DEP_1)
	v_dual_fmac_f32 v24, v12, v15 :: v_dual_lshlrev_b32 v15, 16, v17
	v_fmac_f32_e32 v24, v11, v16
	v_add_nc_u32_e32 v16, 0xc0, v0
	s_waitcnt vmcnt(0) lgkmcnt(0)
	v_lshlrev_b32_e32 v0, 16, v18
	s_delay_alu instid0(VALU_DEP_3) | instskip(NEXT) | instid1(VALU_DEP_3)
	v_fmac_f32_e32 v24, v10, v15
	v_cmpx_gt_i32_e64 s8, v16
	s_cbranch_execz .LBB675_44
; %bb.43:
	s_clause 0x3
	flat_load_u16 v1, v[1:2] offset:384
	flat_load_u16 v2, v[3:4] offset:384
	;; [unrolled: 1-line block ×4, first 2 shown]
	s_waitcnt vmcnt(3) lgkmcnt(3)
	v_lshlrev_b32_e32 v1, 16, v1
	s_waitcnt vmcnt(2) lgkmcnt(2)
	s_delay_alu instid0(VALU_DEP_1) | instskip(SKIP_2) | instid1(VALU_DEP_2)
	v_dual_fmac_f32 v25, v12, v1 :: v_dual_lshlrev_b32 v2, 16, v2
	s_waitcnt vmcnt(1) lgkmcnt(1)
	v_lshlrev_b32_e32 v1, 16, v3
	v_fmac_f32_e32 v25, v11, v2
	s_delay_alu instid0(VALU_DEP_1) | instskip(SKIP_2) | instid1(VALU_DEP_1)
	v_fmac_f32_e32 v25, v10, v1
	s_waitcnt vmcnt(0) lgkmcnt(0)
	v_lshlrev_b32_e32 v1, 16, v4
	v_fmac_f32_e32 v25, v9, v1
.LBB675_44:
	s_or_b32 exec_lo, exec_lo, s3
	s_delay_alu instid0(VALU_DEP_2)
	v_fmac_f32_e32 v24, v9, v0
.LBB675_45:
	s_or_b32 exec_lo, exec_lo, s2
	s_delay_alu instid0(VALU_DEP_2)
	v_fmac_f32_e32 v23, v9, v14
.LBB675_46:
	s_or_b32 exec_lo, exec_lo, s0
	s_delay_alu instid0(VALU_DEP_2)
	v_fmac_f32_e32 v22, v9, v13
.LBB675_47:
	s_or_b32 exec_lo, exec_lo, s1
.LBB675_48:
	v_lshlrev_b32_e32 v0, 8, v21
	s_mov_b32 s0, exec_lo
                                        ; implicit-def: $vgpr1
                                        ; implicit-def: $vgpr2_vgpr3
	s_delay_alu instid0(VALU_DEP_1)
	v_add_lshl_u32 v0, v0, v20, 2
	ds_store_2addr_stride64_b32 v0, v22, v23 offset1:1
	ds_store_2addr_stride64_b32 v0, v24, v25 offset0:2 offset1:3
	s_waitcnt lgkmcnt(0)
	s_barrier
	buffer_gl0_inv
	v_cmpx_gt_u32_e32 0x100, v19
	s_cbranch_execz .LBB675_54
; %bb.49:
	v_lshlrev_b32_e32 v6, 2, v19
	s_mov_b32 s2, s27
	s_mov_b32 s1, exec_lo
	ds_load_2addr_stride64_b32 v[0:1], v6 offset1:4
	ds_load_2addr_stride64_b32 v[2:3], v6 offset0:8 offset1:12
	ds_load_2addr_stride64_b32 v[4:5], v6 offset0:16 offset1:20
	s_waitcnt lgkmcnt(2)
	v_add_f32_e32 v7, v0, v1
	ds_load_2addr_stride64_b32 v[0:1], v6 offset0:24 offset1:28
	s_waitcnt lgkmcnt(2)
	v_add_f32_e32 v2, v2, v7
	s_delay_alu instid0(VALU_DEP_1) | instskip(SKIP_3) | instid1(VALU_DEP_1)
	v_add_f32_e32 v7, v3, v2
	ds_load_2addr_stride64_b32 v[2:3], v6 offset0:32 offset1:36
	s_waitcnt lgkmcnt(2)
	v_add_f32_e32 v4, v4, v7
	v_add_f32_e32 v7, v5, v4
	ds_load_2addr_stride64_b32 v[4:5], v6 offset0:40 offset1:44
	s_waitcnt lgkmcnt(2)
	v_add_f32_e32 v0, v0, v7
	s_delay_alu instid0(VALU_DEP_1) | instskip(SKIP_1) | instid1(VALU_DEP_1)
	v_add_f32_e32 v0, v1, v0
	s_waitcnt lgkmcnt(1)
	v_add_f32_e32 v2, v2, v0
	ds_load_2addr_stride64_b32 v[0:1], v6 offset0:48 offset1:52
	v_add_f32_e32 v2, v3, v2
	s_waitcnt lgkmcnt(1)
	s_delay_alu instid0(VALU_DEP_1) | instskip(SKIP_3) | instid1(VALU_DEP_1)
	v_add_f32_e32 v4, v4, v2
	ds_load_2addr_stride64_b32 v[2:3], v6 offset0:56 offset1:60
	v_add_f32_e32 v4, v5, v4
	s_waitcnt lgkmcnt(1)
	v_add_f32_e32 v0, v0, v4
	v_or_b32_e32 v4, s28, v19
	s_delay_alu instid0(VALU_DEP_2) | instskip(SKIP_1) | instid1(VALU_DEP_1)
	v_add_f32_e32 v0, v1, v0
                                        ; implicit-def: $vgpr1
	s_waitcnt lgkmcnt(0)
	v_add_f32_e32 v0, v2, v0
	s_delay_alu instid0(VALU_DEP_1)
	v_add_f32_e32 v0, v3, v0
                                        ; implicit-def: $vgpr2_vgpr3
	ds_store_b32 v6, v0
	v_cmpx_gt_i32_e64 s8, v4
	s_cbranch_execz .LBB675_53
; %bb.50:
	v_ashrrev_i32_e32 v1, 31, v4
	v_mul_lo_u32 v5, v4, s7
	v_mad_u64_u32 v[2:3], null, v4, s6, 0
	v_cmp_eq_f32_e64 s2, s11, 0
	s_delay_alu instid0(VALU_DEP_4) | instskip(SKIP_1) | instid1(VALU_DEP_3)
	v_mul_lo_u32 v4, v1, s6
	v_mul_f32_e32 v1, s10, v0
	s_and_b32 vcc_lo, exec_lo, s2
	s_delay_alu instid0(VALU_DEP_2)
	v_add3_u32 v3, v3, v5, v4
	s_cbranch_vccnz .LBB675_52
; %bb.51:
	s_delay_alu instid0(VALU_DEP_1) | instskip(NEXT) | instid1(VALU_DEP_1)
	v_lshlrev_b64 v[4:5], 2, v[2:3]
	v_add_co_u32 v4, vcc_lo, s5, v4
	s_delay_alu instid0(VALU_DEP_2)
	v_add_co_ci_u32_e32 v5, vcc_lo, s26, v5, vcc_lo
	global_load_b32 v0, v[4:5], off
	s_waitcnt vmcnt(0)
	v_fmac_f32_e32 v1, s11, v0
.LBB675_52:
	s_or_b32 s2, s27, exec_lo
.LBB675_53:
	s_or_b32 exec_lo, exec_lo, s1
	s_delay_alu instid0(SALU_CYCLE_1) | instskip(SKIP_1) | instid1(SALU_CYCLE_1)
	s_and_not1_b32 s1, s27, exec_lo
	s_and_b32 s2, s2, exec_lo
	s_or_b32 s27, s1, s2
.LBB675_54:
	s_or_b32 exec_lo, exec_lo, s0
.LBB675_55:
	s_and_saveexec_b32 s0, s27
	s_cbranch_execz .LBB675_57
; %bb.56:
	v_lshlrev_b64 v[2:3], 2, v[2:3]
	s_delay_alu instid0(VALU_DEP_1) | instskip(NEXT) | instid1(VALU_DEP_2)
	v_add_co_u32 v2, vcc_lo, s5, v2
	v_add_co_ci_u32_e32 v3, vcc_lo, s26, v3, vcc_lo
	global_store_b32 v[2:3], v1, off
.LBB675_57:
	s_nop 0
	s_sendmsg sendmsg(MSG_DEALLOC_VGPRS)
	s_endpgm
	.section	.rodata,"a",@progbits
	.p2align	6, 0x0
	.amdhsa_kernel _ZL20rocblas_gemvn_kernelILi64ELi16ElPK16rocblas_bfloat16fKPfEviiT3_lPKT2_lT1_lS8_lS9_lS5_lPT4_lS9_li
		.amdhsa_group_segment_fixed_size 16384
		.amdhsa_private_segment_fixed_size 0
		.amdhsa_kernarg_size 400
		.amdhsa_user_sgpr_count 14
		.amdhsa_user_sgpr_dispatch_ptr 0
		.amdhsa_user_sgpr_queue_ptr 0
		.amdhsa_user_sgpr_kernarg_segment_ptr 1
		.amdhsa_user_sgpr_dispatch_id 0
		.amdhsa_user_sgpr_private_segment_size 0
		.amdhsa_wavefront_size32 1
		.amdhsa_uses_dynamic_stack 0
		.amdhsa_enable_private_segment 0
		.amdhsa_system_sgpr_workgroup_id_x 1
		.amdhsa_system_sgpr_workgroup_id_y 0
		.amdhsa_system_sgpr_workgroup_id_z 1
		.amdhsa_system_sgpr_workgroup_info 0
		.amdhsa_system_vgpr_workitem_id 1
		.amdhsa_next_free_vgpr 51
		.amdhsa_next_free_sgpr 35
		.amdhsa_reserve_vcc 1
		.amdhsa_float_round_mode_32 0
		.amdhsa_float_round_mode_16_64 0
		.amdhsa_float_denorm_mode_32 3
		.amdhsa_float_denorm_mode_16_64 3
		.amdhsa_dx10_clamp 1
		.amdhsa_ieee_mode 1
		.amdhsa_fp16_overflow 0
		.amdhsa_workgroup_processor_mode 1
		.amdhsa_memory_ordered 1
		.amdhsa_forward_progress 0
		.amdhsa_shared_vgpr_count 0
		.amdhsa_exception_fp_ieee_invalid_op 0
		.amdhsa_exception_fp_denorm_src 0
		.amdhsa_exception_fp_ieee_div_zero 0
		.amdhsa_exception_fp_ieee_overflow 0
		.amdhsa_exception_fp_ieee_underflow 0
		.amdhsa_exception_fp_ieee_inexact 0
		.amdhsa_exception_int_div_zero 0
	.end_amdhsa_kernel
	.section	.text._ZL20rocblas_gemvn_kernelILi64ELi16ElPK16rocblas_bfloat16fKPfEviiT3_lPKT2_lT1_lS8_lS9_lS5_lPT4_lS9_li,"axG",@progbits,_ZL20rocblas_gemvn_kernelILi64ELi16ElPK16rocblas_bfloat16fKPfEviiT3_lPKT2_lT1_lS8_lS9_lS5_lPT4_lS9_li,comdat
.Lfunc_end675:
	.size	_ZL20rocblas_gemvn_kernelILi64ELi16ElPK16rocblas_bfloat16fKPfEviiT3_lPKT2_lT1_lS8_lS9_lS5_lPT4_lS9_li, .Lfunc_end675-_ZL20rocblas_gemvn_kernelILi64ELi16ElPK16rocblas_bfloat16fKPfEviiT3_lPKT2_lT1_lS8_lS9_lS5_lPT4_lS9_li
                                        ; -- End function
	.section	.AMDGPU.csdata,"",@progbits
; Kernel info:
; codeLenInByte = 3560
; NumSgprs: 37
; NumVgprs: 51
; ScratchSize: 0
; MemoryBound: 0
; FloatMode: 240
; IeeeMode: 1
; LDSByteSize: 16384 bytes/workgroup (compile time only)
; SGPRBlocks: 4
; VGPRBlocks: 6
; NumSGPRsForWavesPerEU: 37
; NumVGPRsForWavesPerEU: 51
; Occupancy: 16
; WaveLimiterHint : 1
; COMPUTE_PGM_RSRC2:SCRATCH_EN: 0
; COMPUTE_PGM_RSRC2:USER_SGPR: 14
; COMPUTE_PGM_RSRC2:TRAP_HANDLER: 0
; COMPUTE_PGM_RSRC2:TGID_X_EN: 1
; COMPUTE_PGM_RSRC2:TGID_Y_EN: 0
; COMPUTE_PGM_RSRC2:TGID_Z_EN: 1
; COMPUTE_PGM_RSRC2:TIDIG_COMP_CNT: 1
	.section	.text._ZL22rocblas_gemvtsm_kernelILb0ELi256EPK16rocblas_bfloat16PKfKPfEviiT2_lPKT1_lilSA_lilS7_lPT3_lil,"axG",@progbits,_ZL22rocblas_gemvtsm_kernelILb0ELi256EPK16rocblas_bfloat16PKfKPfEviiT2_lPKT1_lilSA_lilS7_lPT3_lil,comdat
	.globl	_ZL22rocblas_gemvtsm_kernelILb0ELi256EPK16rocblas_bfloat16PKfKPfEviiT2_lPKT1_lilSA_lilS7_lPT3_lil ; -- Begin function _ZL22rocblas_gemvtsm_kernelILb0ELi256EPK16rocblas_bfloat16PKfKPfEviiT2_lPKT1_lilSA_lilS7_lPT3_lil
	.p2align	8
	.type	_ZL22rocblas_gemvtsm_kernelILb0ELi256EPK16rocblas_bfloat16PKfKPfEviiT2_lPKT1_lilSA_lilS7_lPT3_lil,@function
_ZL22rocblas_gemvtsm_kernelILb0ELi256EPK16rocblas_bfloat16PKfKPfEviiT2_lPKT1_lilSA_lilS7_lPT3_lil: ; @_ZL22rocblas_gemvtsm_kernelILb0ELi256EPK16rocblas_bfloat16PKfKPfEviiT2_lPKT1_lilSA_lilS7_lPT3_lil
; %bb.0:
	s_mov_b32 s2, s15
	s_clause 0x1
	s_load_b256 s[12:19], s[0:1], 0x8
	s_load_b256 s[4:11], s[0:1], 0x58
	s_waitcnt lgkmcnt(0)
	s_mul_i32 s3, s2, s15
	s_mul_hi_u32 s15, s2, s14
	s_mul_i32 s14, s2, s14
	s_add_i32 s15, s15, s3
	s_mul_i32 s3, s2, s7
	s_lshl_b64 s[14:15], s[14:15], 2
	s_mul_hi_u32 s7, s2, s6
	s_add_u32 s12, s12, s14
	s_addc_u32 s13, s13, s15
	s_add_i32 s7, s7, s3
	s_mul_i32 s6, s2, s6
	s_delay_alu instid0(SALU_CYCLE_1) | instskip(NEXT) | instid1(SALU_CYCLE_1)
	s_lshl_b64 s[6:7], s[6:7], 2
	s_add_u32 s4, s4, s6
	s_addc_u32 s5, s5, s7
	s_load_b32 s21, s[12:13], 0x0
	s_load_b32 s20, s[4:5], 0x0
	s_waitcnt lgkmcnt(0)
	v_cmp_eq_f32_e64 s7, s21, 0
	v_cmp_eq_f32_e64 s3, s20, 1.0
	s_delay_alu instid0(VALU_DEP_1) | instskip(NEXT) | instid1(SALU_CYCLE_1)
	s_and_b32 s3, s7, s3
	s_and_b32 vcc_lo, exec_lo, s3
	s_mov_b32 s3, 0
	s_cbranch_vccnz .LBB676_62
; %bb.1:
	v_cmp_neq_f32_e64 s4, s21, 0
	s_mov_b64 s[14:15], 0
	s_and_b32 vcc_lo, exec_lo, s7
	s_mov_b64 s[12:13], 0
	s_cbranch_vccnz .LBB676_3
; %bb.2:
	s_lshl_b64 s[12:13], s[2:3], 3
	s_delay_alu instid0(SALU_CYCLE_1)
	s_add_u32 s12, s16, s12
	s_addc_u32 s13, s17, s13
	s_lshl_b64 s[16:17], s[18:19], 1
	s_load_b64 s[12:13], s[12:13], 0x0
	s_waitcnt lgkmcnt(0)
	s_add_u32 s12, s12, s16
	s_addc_u32 s13, s13, s17
.LBB676_3:
	s_and_not1_b32 vcc_lo, exec_lo, s4
	s_cbranch_vccnz .LBB676_5
; %bb.4:
	s_load_b128 s[16:19], s[0:1], 0x38
	s_lshl_b64 s[4:5], s[2:3], 3
	s_waitcnt lgkmcnt(0)
	s_add_u32 s4, s16, s4
	s_addc_u32 s5, s17, s5
	s_lshl_b64 s[14:15], s[18:19], 1
	s_load_b64 s[4:5], s[4:5], 0x0
	s_waitcnt lgkmcnt(0)
	s_add_u32 s14, s4, s14
	s_addc_u32 s15, s5, s15
.LBB676_5:
	s_lshl_b64 s[2:3], s[2:3], 3
	s_delay_alu instid0(SALU_CYCLE_1)
	s_add_u32 s2, s8, s2
	s_addc_u32 s3, s9, s3
	s_clause 0x1
	s_load_b64 s[4:5], s[0:1], 0x0
	s_load_b32 s6, s[0:1], 0x78
	s_load_b64 s[8:9], s[2:3], 0x0
	s_and_not1_b32 vcc_lo, exec_lo, s7
	s_mov_b32 s2, -1
	s_cbranch_vccnz .LBB676_20
; %bb.6:
	s_waitcnt lgkmcnt(0)
	s_cmp_gt_i32 s5, 0
	v_cmp_neq_f32_e64 s2, s20, 0
	s_cselect_b32 s16, -1, 0
	s_delay_alu instid0(SALU_CYCLE_1) | instskip(NEXT) | instid1(VALU_DEP_2)
	v_cndmask_b32_e64 v1, 0, 1, s16
	s_and_b32 vcc_lo, exec_lo, s2
	s_delay_alu instid0(VALU_DEP_1)
	v_cmp_ne_u32_e64 s2, 1, v1
	s_cbranch_vccnz .LBB676_13
; %bb.7:
	s_delay_alu instid0(VALU_DEP_1)
	s_and_b32 vcc_lo, exec_lo, s2
	s_cbranch_vccnz .LBB676_12
; %bb.8:
	v_mad_i64_i32 v[1:2], null, s6, v0, 0
	s_lshl_b64 s[2:3], s[10:11], 2
	s_ashr_i32 s7, s6, 31
	s_add_u32 s2, s8, s2
	s_addc_u32 s3, s9, s3
	v_mov_b32_e32 v3, 0
	s_delay_alu instid0(VALU_DEP_2) | instskip(NEXT) | instid1(VALU_DEP_1)
	v_lshlrev_b64 v[1:2], 2, v[1:2]
	v_add_co_u32 v1, vcc_lo, s2, v1
	s_delay_alu instid0(VALU_DEP_2)
	v_add_co_ci_u32_e32 v2, vcc_lo, s3, v2, vcc_lo
	s_lshl_b64 s[2:3], s[6:7], 10
	s_mov_b32 s7, 0
	s_branch .LBB676_10
.LBB676_9:                              ;   in Loop: Header=BB676_10 Depth=1
	s_or_b32 exec_lo, exec_lo, s17
	v_add_co_u32 v1, vcc_lo, v1, s2
	v_add_co_ci_u32_e32 v2, vcc_lo, s3, v2, vcc_lo
	s_addk_i32 s7, 0x100
	s_delay_alu instid0(SALU_CYCLE_1)
	s_cmp_ge_i32 s7, s5
	s_cbranch_scc1 .LBB676_12
.LBB676_10:                             ; =>This Inner Loop Header: Depth=1
	v_add_nc_u32_e32 v4, s7, v0
	s_mov_b32 s17, exec_lo
	s_delay_alu instid0(VALU_DEP_1)
	v_cmpx_gt_i32_e64 s5, v4
	s_cbranch_execz .LBB676_9
; %bb.11:                               ;   in Loop: Header=BB676_10 Depth=1
	global_store_b32 v[1:2], v3, off
	s_branch .LBB676_9
.LBB676_12:
	s_cbranch_execz .LBB676_14
	s_branch .LBB676_19
.LBB676_13:
.LBB676_14:
	s_and_not1_b32 vcc_lo, exec_lo, s16
	s_cbranch_vccnz .LBB676_19
; %bb.15:
	v_mad_i64_i32 v[1:2], null, s6, v0, 0
	s_lshl_b64 s[2:3], s[10:11], 2
	s_ashr_i32 s7, s6, 31
	s_add_u32 s2, s8, s2
	s_addc_u32 s3, s9, s3
	s_delay_alu instid0(VALU_DEP_1) | instskip(NEXT) | instid1(VALU_DEP_1)
	v_lshlrev_b64 v[1:2], 2, v[1:2]
	v_add_co_u32 v1, vcc_lo, s2, v1
	s_delay_alu instid0(VALU_DEP_2)
	v_add_co_ci_u32_e32 v2, vcc_lo, s3, v2, vcc_lo
	s_lshl_b64 s[2:3], s[6:7], 10
	s_mov_b32 s7, 0
	s_branch .LBB676_17
	.p2align	6
.LBB676_16:                             ;   in Loop: Header=BB676_17 Depth=1
	s_or_b32 exec_lo, exec_lo, s16
	v_add_co_u32 v1, vcc_lo, v1, s2
	v_add_co_ci_u32_e32 v2, vcc_lo, s3, v2, vcc_lo
	s_addk_i32 s7, 0x100
	s_delay_alu instid0(SALU_CYCLE_1)
	s_cmp_ge_i32 s7, s5
	s_cbranch_scc1 .LBB676_19
.LBB676_17:                             ; =>This Inner Loop Header: Depth=1
	v_add_nc_u32_e32 v3, s7, v0
	s_mov_b32 s16, exec_lo
	s_delay_alu instid0(VALU_DEP_1)
	v_cmpx_gt_i32_e64 s5, v3
	s_cbranch_execz .LBB676_16
; %bb.18:                               ;   in Loop: Header=BB676_17 Depth=1
	global_load_b32 v3, v[1:2], off
	s_waitcnt vmcnt(0)
	v_mul_f32_e32 v3, s20, v3
	global_store_b32 v[1:2], v3, off
	s_branch .LBB676_16
.LBB676_19:
	s_mov_b32 s2, 0
.LBB676_20:
	s_delay_alu instid0(SALU_CYCLE_1)
	s_and_not1_b32 vcc_lo, exec_lo, s2
	s_cbranch_vccnz .LBB676_62
; %bb.21:
	s_mov_b32 s2, exec_lo
	s_waitcnt lgkmcnt(0)
	v_cmpx_gt_i32_e64 s4, v0
	s_cbranch_execz .LBB676_27
; %bb.22:
	s_load_b32 s3, s[0:1], 0x48
	s_waitcnt lgkmcnt(0)
	v_mad_i64_i32 v[1:2], null, s3, v0, 0
	s_delay_alu instid0(VALU_DEP_1) | instskip(NEXT) | instid1(VALU_DEP_1)
	v_lshlrev_b64 v[1:2], 1, v[1:2]
	v_add_co_u32 v1, vcc_lo, s14, v1
	s_delay_alu instid0(VALU_DEP_2) | instskip(SKIP_3) | instid1(VALU_DEP_1)
	v_add_co_ci_u32_e32 v2, vcc_lo, s15, v2, vcc_lo
	flat_load_u16 v1, v[1:2]
	s_waitcnt vmcnt(0) lgkmcnt(0)
	v_lshlrev_b32_e32 v1, 16, v1
	v_mul_f32_e32 v1, s21, v1
	s_delay_alu instid0(VALU_DEP_1) | instskip(NEXT) | instid1(VALU_DEP_1)
	v_and_b32_e32 v2, 0x7f800000, v1
	v_cmp_ne_u32_e32 vcc_lo, 0x7f800000, v2
                                        ; implicit-def: $vgpr2
	s_and_saveexec_b32 s3, vcc_lo
	s_delay_alu instid0(SALU_CYCLE_1)
	s_xor_b32 s3, exec_lo, s3
; %bb.23:
	v_bfe_u32 v2, v1, 16, 1
	s_delay_alu instid0(VALU_DEP_1)
	v_add3_u32 v2, v1, v2, 0x7fff
                                        ; implicit-def: $vgpr1
; %bb.24:
	s_and_not1_saveexec_b32 s3, s3
; %bb.25:
	v_and_b32_e32 v2, 0xffff, v1
	v_or_b32_e32 v3, 0x10000, v1
	s_delay_alu instid0(VALU_DEP_2) | instskip(NEXT) | instid1(VALU_DEP_2)
	v_cmp_eq_u32_e32 vcc_lo, 0, v2
	v_cndmask_b32_e32 v2, v3, v1, vcc_lo
; %bb.26:
	s_or_b32 exec_lo, exec_lo, s3
	s_delay_alu instid0(VALU_DEP_1)
	v_and_b32_e32 v1, 0xffff0000, v2
	v_lshlrev_b32_e32 v2, 2, v0
	ds_store_b32 v2, v1
.LBB676_27:
	s_or_b32 exec_lo, exec_lo, s2
	s_cmp_lt_i32 s5, 1
	s_waitcnt lgkmcnt(0)
	s_waitcnt_vscnt null, 0x0
	s_barrier
	buffer_gl0_inv
	s_cbranch_scc1 .LBB676_62
; %bb.28:
	s_load_b32 s0, s[0:1], 0x28
	s_lshl_b64 s[2:3], s[10:11], 2
	s_delay_alu instid0(SALU_CYCLE_1)
	s_add_u32 s2, s8, s2
	s_addc_u32 s3, s9, s3
	s_ashr_i32 s7, s6, 31
	v_cmp_neq_f32_e64 s8, s20, 0
	s_waitcnt lgkmcnt(0)
	v_mad_i64_i32 v[1:2], null, s0, v0, 0
	s_ashr_i32 s1, s0, 31
	s_cmp_gt_i32 s4, 0
	s_cselect_b32 s9, -1, 0
	s_and_b32 s10, s4, 3
	s_cmp_gt_u32 s4, 3
	s_delay_alu instid0(VALU_DEP_1) | instskip(SKIP_3) | instid1(VALU_DEP_1)
	v_lshlrev_b64 v[1:2], 1, v[1:2]
	s_cselect_b32 s11, -1, 0
	s_and_b32 s4, s4, 0x7ffffffc
	s_cmp_lg_u32 s10, 0
	v_add_co_u32 v1, vcc_lo, s12, v1
	s_delay_alu instid0(VALU_DEP_2)
	v_add_co_ci_u32_e32 v2, vcc_lo, s13, v2, vcc_lo
	s_cselect_b32 s12, -1, 0
	s_mov_b32 s13, 0
	s_lshl_b64 s[0:1], s[0:1], 9
	s_branch .LBB676_31
.LBB676_29:                             ;   in Loop: Header=BB676_31 Depth=1
	s_set_inst_prefetch_distance 0x2
	v_add_co_u32 v3, vcc_lo, s2, v3
	v_add_co_ci_u32_e32 v4, vcc_lo, s3, v4, vcc_lo
	global_store_b32 v[3:4], v7, off
.LBB676_30:                             ;   in Loop: Header=BB676_31 Depth=1
	s_or_b32 exec_lo, exec_lo, s14
	v_add_co_u32 v1, vcc_lo, v1, s0
	v_add_co_ci_u32_e32 v2, vcc_lo, s1, v2, vcc_lo
	s_addk_i32 s13, 0x100
	s_delay_alu instid0(SALU_CYCLE_1)
	s_cmp_ge_i32 s13, s5
	s_cbranch_scc1 .LBB676_62
.LBB676_31:                             ; =>This Loop Header: Depth=1
                                        ;     Child Loop BB676_38 Depth 2
                                        ;     Child Loop BB676_58 Depth 2
	v_add_nc_u32_e32 v3, s13, v0
	s_mov_b32 s14, exec_lo
	s_delay_alu instid0(VALU_DEP_1)
	v_cmpx_gt_i32_e64 s5, v3
	s_cbranch_execz .LBB676_30
; %bb.32:                               ;   in Loop: Header=BB676_31 Depth=1
	v_mad_u64_u32 v[4:5], null, v3, s6, 0
	s_and_not1_b32 vcc_lo, exec_lo, s8
	s_delay_alu instid0(VALU_DEP_1) | instskip(NEXT) | instid1(VALU_DEP_1)
	v_mad_u64_u32 v[6:7], null, v3, s7, v[5:6]
	v_mov_b32_e32 v5, v6
	s_delay_alu instid0(VALU_DEP_1)
	v_lshlrev_b64 v[3:4], 2, v[4:5]
	s_cbranch_vccnz .LBB676_34
; %bb.33:                               ;   in Loop: Header=BB676_31 Depth=1
	s_delay_alu instid0(VALU_DEP_1) | instskip(NEXT) | instid1(VALU_DEP_2)
	v_add_co_u32 v5, vcc_lo, s2, v3
	v_add_co_ci_u32_e32 v6, vcc_lo, s3, v4, vcc_lo
	global_load_b32 v5, v[5:6], off
	s_waitcnt vmcnt(0)
	v_mul_f32_e32 v7, s20, v5
	s_and_not1_b32 vcc_lo, exec_lo, s9
	s_cbranch_vccz .LBB676_35
	s_branch .LBB676_29
.LBB676_34:                             ;   in Loop: Header=BB676_31 Depth=1
	v_mov_b32_e32 v7, 0
	s_and_not1_b32 vcc_lo, exec_lo, s9
	s_cbranch_vccnz .LBB676_29
.LBB676_35:                             ;   in Loop: Header=BB676_31 Depth=1
	s_and_not1_b32 vcc_lo, exec_lo, s11
	s_cbranch_vccnz .LBB676_54
; %bb.36:                               ;   in Loop: Header=BB676_31 Depth=1
	v_dual_mov_b32 v6, v2 :: v_dual_mov_b32 v5, v1
	s_mov_b32 s15, 0
	s_mov_b32 s16, 0
	s_branch .LBB676_38
.LBB676_37:                             ;   in Loop: Header=BB676_38 Depth=2
	s_or_b32 exec_lo, exec_lo, s17
	v_and_b32_e32 v9, 0xffff0000, v9
	v_and_b32_e32 v8, 0xffff0000, v8
	v_add_co_u32 v5, vcc_lo, v5, 8
	v_add_co_ci_u32_e32 v6, vcc_lo, 0, v6, vcc_lo
	s_delay_alu instid0(VALU_DEP_3) | instskip(SKIP_3) | instid1(VALU_DEP_1)
	v_dual_add_f32 v7, v7, v8 :: v_dual_and_b32 v8, 0xffff0000, v10
	s_add_i32 s16, s16, 4
	s_add_i32 s15, s15, 16
	s_cmp_eq_u32 s4, s16
	v_add_f32_e32 v7, v7, v9
	v_and_b32_e32 v9, 0xffff0000, v11
	s_delay_alu instid0(VALU_DEP_2) | instskip(NEXT) | instid1(VALU_DEP_1)
	v_add_f32_e32 v7, v7, v8
	v_add_f32_e32 v7, v7, v9
	s_cbranch_scc1 .LBB676_55
.LBB676_38:                             ;   Parent Loop BB676_31 Depth=1
                                        ; =>  This Inner Loop Header: Depth=2
	flat_load_u16 v8, v[5:6]
	s_waitcnt vmcnt(0) lgkmcnt(0)
	v_dual_mov_b32 v9, s15 :: v_dual_lshlrev_b32 v8, 16, v8
	ds_load_b32 v9, v9
	s_waitcnt lgkmcnt(0)
	v_mul_f32_e32 v9, v9, v8
	s_delay_alu instid0(VALU_DEP_1) | instskip(NEXT) | instid1(VALU_DEP_1)
	v_and_b32_e32 v8, 0x7f800000, v9
	v_cmp_ne_u32_e32 vcc_lo, 0x7f800000, v8
                                        ; implicit-def: $vgpr8
	s_and_saveexec_b32 s17, vcc_lo
	s_delay_alu instid0(SALU_CYCLE_1)
	s_xor_b32 s17, exec_lo, s17
; %bb.39:                               ;   in Loop: Header=BB676_38 Depth=2
	v_bfe_u32 v8, v9, 16, 1
	s_delay_alu instid0(VALU_DEP_1)
	v_add3_u32 v8, v9, v8, 0x7fff
                                        ; implicit-def: $vgpr9
; %bb.40:                               ;   in Loop: Header=BB676_38 Depth=2
	s_and_not1_saveexec_b32 s17, s17
; %bb.41:                               ;   in Loop: Header=BB676_38 Depth=2
	v_and_b32_e32 v8, 0xffff, v9
	v_or_b32_e32 v10, 0x10000, v9
	s_delay_alu instid0(VALU_DEP_2) | instskip(NEXT) | instid1(VALU_DEP_2)
	v_cmp_eq_u32_e32 vcc_lo, 0, v8
	v_cndmask_b32_e32 v8, v10, v9, vcc_lo
; %bb.42:                               ;   in Loop: Header=BB676_38 Depth=2
	s_or_b32 exec_lo, exec_lo, s17
	flat_load_u16 v9, v[5:6] offset:2
	s_waitcnt vmcnt(0) lgkmcnt(0)
	v_dual_mov_b32 v10, s15 :: v_dual_lshlrev_b32 v9, 16, v9
	ds_load_b32 v10, v10 offset:4
	s_waitcnt lgkmcnt(0)
	v_mul_f32_e32 v10, v10, v9
	s_delay_alu instid0(VALU_DEP_1) | instskip(NEXT) | instid1(VALU_DEP_1)
	v_and_b32_e32 v9, 0x7f800000, v10
	v_cmp_ne_u32_e32 vcc_lo, 0x7f800000, v9
                                        ; implicit-def: $vgpr9
	s_and_saveexec_b32 s17, vcc_lo
	s_delay_alu instid0(SALU_CYCLE_1)
	s_xor_b32 s17, exec_lo, s17
; %bb.43:                               ;   in Loop: Header=BB676_38 Depth=2
	v_bfe_u32 v9, v10, 16, 1
	s_delay_alu instid0(VALU_DEP_1)
	v_add3_u32 v9, v10, v9, 0x7fff
                                        ; implicit-def: $vgpr10
; %bb.44:                               ;   in Loop: Header=BB676_38 Depth=2
	s_and_not1_saveexec_b32 s17, s17
; %bb.45:                               ;   in Loop: Header=BB676_38 Depth=2
	v_and_b32_e32 v9, 0xffff, v10
	v_or_b32_e32 v11, 0x10000, v10
	s_delay_alu instid0(VALU_DEP_2) | instskip(NEXT) | instid1(VALU_DEP_2)
	v_cmp_eq_u32_e32 vcc_lo, 0, v9
	v_cndmask_b32_e32 v9, v11, v10, vcc_lo
; %bb.46:                               ;   in Loop: Header=BB676_38 Depth=2
	s_or_b32 exec_lo, exec_lo, s17
	flat_load_u16 v10, v[5:6] offset:4
	s_waitcnt vmcnt(0) lgkmcnt(0)
	v_dual_mov_b32 v11, s15 :: v_dual_lshlrev_b32 v10, 16, v10
	ds_load_b32 v11, v11 offset:8
	s_waitcnt lgkmcnt(0)
	v_mul_f32_e32 v11, v11, v10
	s_delay_alu instid0(VALU_DEP_1) | instskip(NEXT) | instid1(VALU_DEP_1)
	v_and_b32_e32 v10, 0x7f800000, v11
	v_cmp_ne_u32_e32 vcc_lo, 0x7f800000, v10
                                        ; implicit-def: $vgpr10
	s_and_saveexec_b32 s17, vcc_lo
	s_delay_alu instid0(SALU_CYCLE_1)
	s_xor_b32 s17, exec_lo, s17
; %bb.47:                               ;   in Loop: Header=BB676_38 Depth=2
	v_bfe_u32 v10, v11, 16, 1
	s_delay_alu instid0(VALU_DEP_1)
	v_add3_u32 v10, v11, v10, 0x7fff
                                        ; implicit-def: $vgpr11
; %bb.48:                               ;   in Loop: Header=BB676_38 Depth=2
	s_and_not1_saveexec_b32 s17, s17
; %bb.49:                               ;   in Loop: Header=BB676_38 Depth=2
	v_and_b32_e32 v10, 0xffff, v11
	v_or_b32_e32 v12, 0x10000, v11
	s_delay_alu instid0(VALU_DEP_2) | instskip(NEXT) | instid1(VALU_DEP_2)
	v_cmp_eq_u32_e32 vcc_lo, 0, v10
	v_cndmask_b32_e32 v10, v12, v11, vcc_lo
; %bb.50:                               ;   in Loop: Header=BB676_38 Depth=2
	s_or_b32 exec_lo, exec_lo, s17
	flat_load_u16 v11, v[5:6] offset:6
	s_waitcnt vmcnt(0) lgkmcnt(0)
	v_dual_mov_b32 v12, s15 :: v_dual_lshlrev_b32 v11, 16, v11
	ds_load_b32 v12, v12 offset:12
	s_waitcnt lgkmcnt(0)
	v_mul_f32_e32 v12, v12, v11
	s_delay_alu instid0(VALU_DEP_1) | instskip(NEXT) | instid1(VALU_DEP_1)
	v_and_b32_e32 v11, 0x7f800000, v12
	v_cmp_ne_u32_e32 vcc_lo, 0x7f800000, v11
                                        ; implicit-def: $vgpr11
	s_and_saveexec_b32 s17, vcc_lo
	s_delay_alu instid0(SALU_CYCLE_1)
	s_xor_b32 s17, exec_lo, s17
; %bb.51:                               ;   in Loop: Header=BB676_38 Depth=2
	v_bfe_u32 v11, v12, 16, 1
	s_delay_alu instid0(VALU_DEP_1)
	v_add3_u32 v11, v12, v11, 0x7fff
                                        ; implicit-def: $vgpr12
; %bb.52:                               ;   in Loop: Header=BB676_38 Depth=2
	s_and_not1_saveexec_b32 s17, s17
	s_cbranch_execz .LBB676_37
; %bb.53:                               ;   in Loop: Header=BB676_38 Depth=2
	v_and_b32_e32 v11, 0xffff, v12
	v_or_b32_e32 v13, 0x10000, v12
	s_delay_alu instid0(VALU_DEP_2) | instskip(NEXT) | instid1(VALU_DEP_2)
	v_cmp_eq_u32_e32 vcc_lo, 0, v11
	v_cndmask_b32_e32 v11, v13, v12, vcc_lo
	s_branch .LBB676_37
.LBB676_54:                             ;   in Loop: Header=BB676_31 Depth=1
	s_mov_b32 s15, 0
	s_and_not1_b32 vcc_lo, exec_lo, s12
	s_cbranch_vccz .LBB676_56
	s_branch .LBB676_29
.LBB676_55:                             ;   in Loop: Header=BB676_31 Depth=1
	s_mov_b32 s15, s4
	s_and_not1_b32 vcc_lo, exec_lo, s12
	s_cbranch_vccnz .LBB676_29
.LBB676_56:                             ;   in Loop: Header=BB676_31 Depth=1
	s_lshl_b32 s16, s15, 1
	s_lshl_b32 s15, s15, 2
	v_add_co_u32 v5, vcc_lo, v1, s16
	v_add_co_ci_u32_e32 v6, vcc_lo, 0, v2, vcc_lo
	s_mov_b32 s16, s10
	s_set_inst_prefetch_distance 0x1
	s_branch .LBB676_58
	.p2align	6
.LBB676_57:                             ;   in Loop: Header=BB676_58 Depth=2
	s_or_b32 exec_lo, exec_lo, s17
	s_delay_alu instid0(VALU_DEP_1) | instskip(SKIP_2) | instid1(VALU_DEP_3)
	v_and_b32_e32 v8, 0xffff0000, v9
	v_add_co_u32 v5, vcc_lo, v5, 2
	v_add_co_ci_u32_e32 v6, vcc_lo, 0, v6, vcc_lo
	v_add_f32_e32 v7, v7, v8
	s_add_i32 s16, s16, -1
	s_add_i32 s15, s15, 4
	s_cmp_lg_u32 s16, 0
	s_cbranch_scc0 .LBB676_29
.LBB676_58:                             ;   Parent Loop BB676_31 Depth=1
                                        ; =>  This Inner Loop Header: Depth=2
	flat_load_u16 v8, v[5:6]
	s_waitcnt vmcnt(0) lgkmcnt(0)
	v_dual_mov_b32 v9, s15 :: v_dual_lshlrev_b32 v8, 16, v8
	ds_load_b32 v9, v9
	s_waitcnt lgkmcnt(0)
	v_mul_f32_e32 v8, v9, v8
	s_delay_alu instid0(VALU_DEP_1) | instskip(NEXT) | instid1(VALU_DEP_1)
	v_and_b32_e32 v9, 0x7f800000, v8
	v_cmp_ne_u32_e32 vcc_lo, 0x7f800000, v9
                                        ; implicit-def: $vgpr9
	s_and_saveexec_b32 s17, vcc_lo
	s_delay_alu instid0(SALU_CYCLE_1)
	s_xor_b32 s17, exec_lo, s17
; %bb.59:                               ;   in Loop: Header=BB676_58 Depth=2
	v_bfe_u32 v9, v8, 16, 1
	s_delay_alu instid0(VALU_DEP_1)
	v_add3_u32 v9, v8, v9, 0x7fff
                                        ; implicit-def: $vgpr8
; %bb.60:                               ;   in Loop: Header=BB676_58 Depth=2
	s_and_not1_saveexec_b32 s17, s17
	s_cbranch_execz .LBB676_57
; %bb.61:                               ;   in Loop: Header=BB676_58 Depth=2
	v_and_b32_e32 v9, 0xffff, v8
	v_or_b32_e32 v10, 0x10000, v8
	s_delay_alu instid0(VALU_DEP_2) | instskip(NEXT) | instid1(VALU_DEP_2)
	v_cmp_eq_u32_e32 vcc_lo, 0, v9
	v_cndmask_b32_e32 v9, v10, v8, vcc_lo
	s_branch .LBB676_57
.LBB676_62:
	s_nop 0
	s_sendmsg sendmsg(MSG_DEALLOC_VGPRS)
	s_endpgm
	.section	.rodata,"a",@progbits
	.p2align	6, 0x0
	.amdhsa_kernel _ZL22rocblas_gemvtsm_kernelILb0ELi256EPK16rocblas_bfloat16PKfKPfEviiT2_lPKT1_lilSA_lilS7_lPT3_lil
		.amdhsa_group_segment_fixed_size 256
		.amdhsa_private_segment_fixed_size 0
		.amdhsa_kernarg_size 136
		.amdhsa_user_sgpr_count 15
		.amdhsa_user_sgpr_dispatch_ptr 0
		.amdhsa_user_sgpr_queue_ptr 0
		.amdhsa_user_sgpr_kernarg_segment_ptr 1
		.amdhsa_user_sgpr_dispatch_id 0
		.amdhsa_user_sgpr_private_segment_size 0
		.amdhsa_wavefront_size32 1
		.amdhsa_uses_dynamic_stack 0
		.amdhsa_enable_private_segment 0
		.amdhsa_system_sgpr_workgroup_id_x 1
		.amdhsa_system_sgpr_workgroup_id_y 0
		.amdhsa_system_sgpr_workgroup_id_z 0
		.amdhsa_system_sgpr_workgroup_info 0
		.amdhsa_system_vgpr_workitem_id 0
		.amdhsa_next_free_vgpr 14
		.amdhsa_next_free_sgpr 22
		.amdhsa_reserve_vcc 1
		.amdhsa_float_round_mode_32 0
		.amdhsa_float_round_mode_16_64 0
		.amdhsa_float_denorm_mode_32 3
		.amdhsa_float_denorm_mode_16_64 3
		.amdhsa_dx10_clamp 1
		.amdhsa_ieee_mode 1
		.amdhsa_fp16_overflow 0
		.amdhsa_workgroup_processor_mode 1
		.amdhsa_memory_ordered 1
		.amdhsa_forward_progress 0
		.amdhsa_shared_vgpr_count 0
		.amdhsa_exception_fp_ieee_invalid_op 0
		.amdhsa_exception_fp_denorm_src 0
		.amdhsa_exception_fp_ieee_div_zero 0
		.amdhsa_exception_fp_ieee_overflow 0
		.amdhsa_exception_fp_ieee_underflow 0
		.amdhsa_exception_fp_ieee_inexact 0
		.amdhsa_exception_int_div_zero 0
	.end_amdhsa_kernel
	.section	.text._ZL22rocblas_gemvtsm_kernelILb0ELi256EPK16rocblas_bfloat16PKfKPfEviiT2_lPKT1_lilSA_lilS7_lPT3_lil,"axG",@progbits,_ZL22rocblas_gemvtsm_kernelILb0ELi256EPK16rocblas_bfloat16PKfKPfEviiT2_lPKT1_lilSA_lilS7_lPT3_lil,comdat
.Lfunc_end676:
	.size	_ZL22rocblas_gemvtsm_kernelILb0ELi256EPK16rocblas_bfloat16PKfKPfEviiT2_lPKT1_lilSA_lilS7_lPT3_lil, .Lfunc_end676-_ZL22rocblas_gemvtsm_kernelILb0ELi256EPK16rocblas_bfloat16PKfKPfEviiT2_lPKT1_lilSA_lilS7_lPT3_lil
                                        ; -- End function
	.section	.AMDGPU.csdata,"",@progbits
; Kernel info:
; codeLenInByte = 2128
; NumSgprs: 24
; NumVgprs: 14
; ScratchSize: 0
; MemoryBound: 0
; FloatMode: 240
; IeeeMode: 1
; LDSByteSize: 256 bytes/workgroup (compile time only)
; SGPRBlocks: 2
; VGPRBlocks: 1
; NumSGPRsForWavesPerEU: 24
; NumVGPRsForWavesPerEU: 14
; Occupancy: 16
; WaveLimiterHint : 1
; COMPUTE_PGM_RSRC2:SCRATCH_EN: 0
; COMPUTE_PGM_RSRC2:USER_SGPR: 15
; COMPUTE_PGM_RSRC2:TRAP_HANDLER: 0
; COMPUTE_PGM_RSRC2:TGID_X_EN: 1
; COMPUTE_PGM_RSRC2:TGID_Y_EN: 0
; COMPUTE_PGM_RSRC2:TGID_Z_EN: 0
; COMPUTE_PGM_RSRC2:TIDIG_COMP_CNT: 0
	.section	.text._ZL22rocblas_gemvtsm_kernelILb0ELi256EPK16rocblas_bfloat16fKPfEviiT2_lPKT1_lilS8_lilS5_lPT3_lil,"axG",@progbits,_ZL22rocblas_gemvtsm_kernelILb0ELi256EPK16rocblas_bfloat16fKPfEviiT2_lPKT1_lilS8_lilS5_lPT3_lil,comdat
	.globl	_ZL22rocblas_gemvtsm_kernelILb0ELi256EPK16rocblas_bfloat16fKPfEviiT2_lPKT1_lilS8_lilS5_lPT3_lil ; -- Begin function _ZL22rocblas_gemvtsm_kernelILb0ELi256EPK16rocblas_bfloat16fKPfEviiT2_lPKT1_lilS8_lilS5_lPT3_lil
	.p2align	8
	.type	_ZL22rocblas_gemvtsm_kernelILb0ELi256EPK16rocblas_bfloat16fKPfEviiT2_lPKT1_lilS8_lilS5_lPT3_lil,@function
_ZL22rocblas_gemvtsm_kernelILb0ELi256EPK16rocblas_bfloat16fKPfEviiT2_lPKT1_lilS8_lilS5_lPT3_lil: ; @_ZL22rocblas_gemvtsm_kernelILb0ELi256EPK16rocblas_bfloat16fKPfEviiT2_lPKT1_lilS8_lilS5_lPT3_lil
; %bb.0:
	s_load_b128 s[4:7], s[0:1], 0x0
	s_waitcnt lgkmcnt(0)
	s_load_b32 s7, s[0:1], 0x58
	v_cmp_eq_f32_e64 s13, s6, 0
	s_waitcnt lgkmcnt(0)
	v_cmp_eq_f32_e64 s3, s7, 1.0
	s_delay_alu instid0(VALU_DEP_1) | instskip(NEXT) | instid1(SALU_CYCLE_1)
	s_and_b32 s3, s13, s3
	s_and_b32 vcc_lo, exec_lo, s3
	s_cbranch_vccnz .LBB677_65
; %bb.1:
	v_cmp_neq_f32_e64 s8, s6, 0
	s_mov_b32 s2, s15
	s_delay_alu instid0(VALU_DEP_1)
	s_and_b32 vcc_lo, exec_lo, s8
	s_cbranch_vccnz .LBB677_3
; %bb.2:
	s_mov_b32 s3, 0
	s_mov_b64 s[14:15], 0
	s_cbranch_execz .LBB677_4
	s_branch .LBB677_5
.LBB677_3:
	s_mov_b32 s3, -1
                                        ; implicit-def: $sgpr14_sgpr15
.LBB677_4:
	s_load_b128 s[16:19], s[0:1], 0x18
	s_mov_b32 s3, 0
	s_delay_alu instid0(SALU_CYCLE_1)
	s_lshl_b64 s[10:11], s[2:3], 3
	s_waitcnt lgkmcnt(0)
	s_add_u32 s10, s16, s10
	s_addc_u32 s11, s17, s11
	s_lshl_b64 s[14:15], s[18:19], 1
	s_load_b64 s[10:11], s[10:11], 0x0
	s_waitcnt lgkmcnt(0)
	s_add_u32 s14, s10, s14
	s_addc_u32 s15, s11, s15
.LBB677_5:
	s_and_not1_b32 vcc_lo, exec_lo, s8
	s_cbranch_vccnz .LBB677_7
; %bb.6:
	s_load_b128 s[8:11], s[0:1], 0x38
	s_lshl_b64 s[16:17], s[2:3], 3
	s_waitcnt lgkmcnt(0)
	s_add_u32 s8, s8, s16
	s_addc_u32 s9, s9, s17
	s_lshl_b64 s[10:11], s[10:11], 1
	s_load_b64 s[8:9], s[8:9], 0x0
	s_waitcnt lgkmcnt(0)
	s_add_u32 s16, s8, s10
	s_addc_u32 s17, s9, s11
	s_branch .LBB677_8
.LBB677_7:
	s_mov_b64 s[16:17], 0
.LBB677_8:
	s_clause 0x1
	s_load_b128 s[8:11], s[0:1], 0x68
	s_load_b32 s12, s[0:1], 0x78
	s_lshl_b64 s[2:3], s[2:3], 3
	s_waitcnt lgkmcnt(0)
	s_add_u32 s2, s8, s2
	s_addc_u32 s3, s9, s3
	s_and_not1_b32 vcc_lo, exec_lo, s13
	s_load_b64 s[8:9], s[2:3], 0x0
	s_mov_b32 s2, -1
	s_cbranch_vccnz .LBB677_23
; %bb.9:
	s_cmp_gt_i32 s5, 0
	v_cmp_neq_f32_e64 s2, s7, 0
	s_cselect_b32 s18, -1, 0
	s_delay_alu instid0(SALU_CYCLE_1) | instskip(NEXT) | instid1(VALU_DEP_2)
	v_cndmask_b32_e64 v1, 0, 1, s18
	s_and_b32 vcc_lo, exec_lo, s2
	s_delay_alu instid0(VALU_DEP_1)
	v_cmp_ne_u32_e64 s2, 1, v1
	s_cbranch_vccnz .LBB677_16
; %bb.10:
	s_delay_alu instid0(VALU_DEP_1)
	s_and_b32 vcc_lo, exec_lo, s2
	s_cbranch_vccnz .LBB677_15
; %bb.11:
	v_mad_i64_i32 v[1:2], null, s12, v0, 0
	s_lshl_b64 s[2:3], s[10:11], 2
	s_ashr_i32 s13, s12, 31
	s_waitcnt lgkmcnt(0)
	s_add_u32 s2, s8, s2
	s_addc_u32 s3, s9, s3
	v_mov_b32_e32 v3, 0
	s_delay_alu instid0(VALU_DEP_2) | instskip(NEXT) | instid1(VALU_DEP_1)
	v_lshlrev_b64 v[1:2], 2, v[1:2]
	v_add_co_u32 v1, vcc_lo, s2, v1
	s_delay_alu instid0(VALU_DEP_2)
	v_add_co_ci_u32_e32 v2, vcc_lo, s3, v2, vcc_lo
	s_lshl_b64 s[2:3], s[12:13], 10
	s_mov_b32 s13, 0
	s_branch .LBB677_13
.LBB677_12:                             ;   in Loop: Header=BB677_13 Depth=1
	s_or_b32 exec_lo, exec_lo, s19
	v_add_co_u32 v1, vcc_lo, v1, s2
	v_add_co_ci_u32_e32 v2, vcc_lo, s3, v2, vcc_lo
	s_addk_i32 s13, 0x100
	s_delay_alu instid0(SALU_CYCLE_1)
	s_cmp_ge_i32 s13, s5
	s_cbranch_scc1 .LBB677_15
.LBB677_13:                             ; =>This Inner Loop Header: Depth=1
	v_add_nc_u32_e32 v4, s13, v0
	s_mov_b32 s19, exec_lo
	s_delay_alu instid0(VALU_DEP_1)
	v_cmpx_gt_i32_e64 s5, v4
	s_cbranch_execz .LBB677_12
; %bb.14:                               ;   in Loop: Header=BB677_13 Depth=1
	global_store_b32 v[1:2], v3, off
	s_branch .LBB677_12
.LBB677_15:
	s_cbranch_execz .LBB677_17
	s_branch .LBB677_22
.LBB677_16:
.LBB677_17:
	s_and_not1_b32 vcc_lo, exec_lo, s18
	s_cbranch_vccnz .LBB677_22
; %bb.18:
	v_mad_i64_i32 v[1:2], null, s12, v0, 0
	s_lshl_b64 s[2:3], s[10:11], 2
	s_ashr_i32 s13, s12, 31
	s_waitcnt lgkmcnt(0)
	s_add_u32 s2, s8, s2
	s_addc_u32 s3, s9, s3
	s_delay_alu instid0(VALU_DEP_1) | instskip(NEXT) | instid1(VALU_DEP_1)
	v_lshlrev_b64 v[1:2], 2, v[1:2]
	v_add_co_u32 v1, vcc_lo, s2, v1
	s_delay_alu instid0(VALU_DEP_2)
	v_add_co_ci_u32_e32 v2, vcc_lo, s3, v2, vcc_lo
	s_lshl_b64 s[2:3], s[12:13], 10
	s_mov_b32 s13, 0
	s_branch .LBB677_20
	.p2align	6
.LBB677_19:                             ;   in Loop: Header=BB677_20 Depth=1
	s_or_b32 exec_lo, exec_lo, s18
	v_add_co_u32 v1, vcc_lo, v1, s2
	v_add_co_ci_u32_e32 v2, vcc_lo, s3, v2, vcc_lo
	s_addk_i32 s13, 0x100
	s_delay_alu instid0(SALU_CYCLE_1)
	s_cmp_ge_i32 s13, s5
	s_cbranch_scc1 .LBB677_22
.LBB677_20:                             ; =>This Inner Loop Header: Depth=1
	v_add_nc_u32_e32 v3, s13, v0
	s_mov_b32 s18, exec_lo
	s_delay_alu instid0(VALU_DEP_1)
	v_cmpx_gt_i32_e64 s5, v3
	s_cbranch_execz .LBB677_19
; %bb.21:                               ;   in Loop: Header=BB677_20 Depth=1
	global_load_b32 v3, v[1:2], off
	s_waitcnt vmcnt(0)
	v_mul_f32_e32 v3, s7, v3
	global_store_b32 v[1:2], v3, off
	s_branch .LBB677_19
.LBB677_22:
	s_mov_b32 s2, 0
.LBB677_23:
	s_delay_alu instid0(SALU_CYCLE_1)
	s_and_not1_b32 vcc_lo, exec_lo, s2
	s_cbranch_vccnz .LBB677_65
; %bb.24:
	s_mov_b32 s2, exec_lo
	v_cmpx_gt_i32_e64 s4, v0
	s_cbranch_execz .LBB677_30
; %bb.25:
	s_load_b32 s3, s[0:1], 0x48
	s_waitcnt lgkmcnt(0)
	v_mad_i64_i32 v[1:2], null, s3, v0, 0
	s_delay_alu instid0(VALU_DEP_1) | instskip(NEXT) | instid1(VALU_DEP_1)
	v_lshlrev_b64 v[1:2], 1, v[1:2]
	v_add_co_u32 v1, vcc_lo, s16, v1
	s_delay_alu instid0(VALU_DEP_2) | instskip(SKIP_3) | instid1(VALU_DEP_1)
	v_add_co_ci_u32_e32 v2, vcc_lo, s17, v2, vcc_lo
	flat_load_u16 v1, v[1:2]
	s_waitcnt vmcnt(0) lgkmcnt(0)
	v_lshlrev_b32_e32 v1, 16, v1
	v_mul_f32_e32 v1, s6, v1
	s_delay_alu instid0(VALU_DEP_1) | instskip(NEXT) | instid1(VALU_DEP_1)
	v_and_b32_e32 v2, 0x7f800000, v1
	v_cmp_ne_u32_e32 vcc_lo, 0x7f800000, v2
                                        ; implicit-def: $vgpr2
	s_and_saveexec_b32 s3, vcc_lo
	s_delay_alu instid0(SALU_CYCLE_1)
	s_xor_b32 s3, exec_lo, s3
; %bb.26:
	v_bfe_u32 v2, v1, 16, 1
	s_delay_alu instid0(VALU_DEP_1)
	v_add3_u32 v2, v1, v2, 0x7fff
                                        ; implicit-def: $vgpr1
; %bb.27:
	s_and_not1_saveexec_b32 s3, s3
; %bb.28:
	v_and_b32_e32 v2, 0xffff, v1
	v_or_b32_e32 v3, 0x10000, v1
	s_delay_alu instid0(VALU_DEP_2) | instskip(NEXT) | instid1(VALU_DEP_2)
	v_cmp_eq_u32_e32 vcc_lo, 0, v2
	v_cndmask_b32_e32 v2, v3, v1, vcc_lo
; %bb.29:
	s_or_b32 exec_lo, exec_lo, s3
	s_delay_alu instid0(VALU_DEP_1)
	v_and_b32_e32 v1, 0xffff0000, v2
	v_lshlrev_b32_e32 v2, 2, v0
	ds_store_b32 v2, v1
.LBB677_30:
	s_or_b32 exec_lo, exec_lo, s2
	s_cmp_lt_i32 s5, 1
	s_waitcnt lgkmcnt(0)
	s_waitcnt_vscnt null, 0x0
	s_barrier
	buffer_gl0_inv
	s_cbranch_scc1 .LBB677_65
; %bb.31:
	s_load_b32 s0, s[0:1], 0x28
	s_lshl_b64 s[2:3], s[10:11], 2
	s_delay_alu instid0(SALU_CYCLE_1)
	s_add_u32 s2, s8, s2
	s_addc_u32 s3, s9, s3
	s_ashr_i32 s6, s12, 31
	v_cmp_neq_f32_e64 s8, s7, 0
	s_waitcnt lgkmcnt(0)
	v_mad_i64_i32 v[1:2], null, s0, v0, 0
	s_ashr_i32 s1, s0, 31
	s_cmp_gt_i32 s4, 0
	s_cselect_b32 s9, -1, 0
	s_and_b32 s10, s4, 3
	s_cmp_gt_u32 s4, 3
	s_delay_alu instid0(VALU_DEP_1) | instskip(SKIP_4) | instid1(VALU_DEP_1)
	v_lshlrev_b64 v[1:2], 1, v[1:2]
	s_cselect_b32 s11, -1, 0
	s_and_b32 s4, s4, 0x7ffffffc
	s_cmp_lg_u32 s10, 0
	s_cselect_b32 s13, -1, 0
	v_add_co_u32 v1, vcc_lo, s14, v1
	v_add_co_ci_u32_e32 v2, vcc_lo, s15, v2, vcc_lo
	s_mov_b32 s14, 0
	s_lshl_b64 s[0:1], s[0:1], 9
	s_branch .LBB677_34
.LBB677_32:                             ;   in Loop: Header=BB677_34 Depth=1
	s_set_inst_prefetch_distance 0x2
	v_add_co_u32 v3, vcc_lo, s2, v3
	v_add_co_ci_u32_e32 v4, vcc_lo, s3, v4, vcc_lo
	global_store_b32 v[3:4], v7, off
.LBB677_33:                             ;   in Loop: Header=BB677_34 Depth=1
	s_or_b32 exec_lo, exec_lo, s15
	v_add_co_u32 v1, vcc_lo, v1, s0
	v_add_co_ci_u32_e32 v2, vcc_lo, s1, v2, vcc_lo
	s_addk_i32 s14, 0x100
	s_delay_alu instid0(SALU_CYCLE_1)
	s_cmp_ge_i32 s14, s5
	s_cbranch_scc1 .LBB677_65
.LBB677_34:                             ; =>This Loop Header: Depth=1
                                        ;     Child Loop BB677_41 Depth 2
                                        ;     Child Loop BB677_61 Depth 2
	v_add_nc_u32_e32 v3, s14, v0
	s_mov_b32 s15, exec_lo
	s_delay_alu instid0(VALU_DEP_1)
	v_cmpx_gt_i32_e64 s5, v3
	s_cbranch_execz .LBB677_33
; %bb.35:                               ;   in Loop: Header=BB677_34 Depth=1
	v_mad_u64_u32 v[4:5], null, v3, s12, 0
	s_and_not1_b32 vcc_lo, exec_lo, s8
	s_delay_alu instid0(VALU_DEP_1) | instskip(NEXT) | instid1(VALU_DEP_1)
	v_mad_u64_u32 v[6:7], null, v3, s6, v[5:6]
	v_mov_b32_e32 v5, v6
	s_delay_alu instid0(VALU_DEP_1)
	v_lshlrev_b64 v[3:4], 2, v[4:5]
	s_cbranch_vccnz .LBB677_37
; %bb.36:                               ;   in Loop: Header=BB677_34 Depth=1
	s_delay_alu instid0(VALU_DEP_1) | instskip(NEXT) | instid1(VALU_DEP_2)
	v_add_co_u32 v5, vcc_lo, s2, v3
	v_add_co_ci_u32_e32 v6, vcc_lo, s3, v4, vcc_lo
	global_load_b32 v5, v[5:6], off
	s_waitcnt vmcnt(0)
	v_mul_f32_e32 v7, s7, v5
	s_and_not1_b32 vcc_lo, exec_lo, s9
	s_cbranch_vccz .LBB677_38
	s_branch .LBB677_32
.LBB677_37:                             ;   in Loop: Header=BB677_34 Depth=1
	v_mov_b32_e32 v7, 0
	s_and_not1_b32 vcc_lo, exec_lo, s9
	s_cbranch_vccnz .LBB677_32
.LBB677_38:                             ;   in Loop: Header=BB677_34 Depth=1
	s_and_not1_b32 vcc_lo, exec_lo, s11
	s_cbranch_vccnz .LBB677_57
; %bb.39:                               ;   in Loop: Header=BB677_34 Depth=1
	v_dual_mov_b32 v6, v2 :: v_dual_mov_b32 v5, v1
	s_mov_b32 s16, 0
	s_mov_b32 s17, 0
	s_branch .LBB677_41
.LBB677_40:                             ;   in Loop: Header=BB677_41 Depth=2
	s_or_b32 exec_lo, exec_lo, s18
	v_and_b32_e32 v9, 0xffff0000, v9
	v_and_b32_e32 v8, 0xffff0000, v8
	v_add_co_u32 v5, vcc_lo, v5, 8
	v_add_co_ci_u32_e32 v6, vcc_lo, 0, v6, vcc_lo
	s_delay_alu instid0(VALU_DEP_3) | instskip(SKIP_3) | instid1(VALU_DEP_1)
	v_dual_add_f32 v7, v7, v8 :: v_dual_and_b32 v8, 0xffff0000, v10
	s_add_i32 s17, s17, 4
	s_add_i32 s16, s16, 16
	s_cmp_eq_u32 s4, s17
	v_add_f32_e32 v7, v7, v9
	v_and_b32_e32 v9, 0xffff0000, v11
	s_delay_alu instid0(VALU_DEP_2) | instskip(NEXT) | instid1(VALU_DEP_1)
	v_add_f32_e32 v7, v7, v8
	v_add_f32_e32 v7, v7, v9
	s_cbranch_scc1 .LBB677_58
.LBB677_41:                             ;   Parent Loop BB677_34 Depth=1
                                        ; =>  This Inner Loop Header: Depth=2
	flat_load_u16 v8, v[5:6]
	s_waitcnt vmcnt(0) lgkmcnt(0)
	v_dual_mov_b32 v9, s16 :: v_dual_lshlrev_b32 v8, 16, v8
	ds_load_b32 v9, v9
	s_waitcnt lgkmcnt(0)
	v_mul_f32_e32 v9, v9, v8
	s_delay_alu instid0(VALU_DEP_1) | instskip(NEXT) | instid1(VALU_DEP_1)
	v_and_b32_e32 v8, 0x7f800000, v9
	v_cmp_ne_u32_e32 vcc_lo, 0x7f800000, v8
                                        ; implicit-def: $vgpr8
	s_and_saveexec_b32 s18, vcc_lo
	s_delay_alu instid0(SALU_CYCLE_1)
	s_xor_b32 s18, exec_lo, s18
; %bb.42:                               ;   in Loop: Header=BB677_41 Depth=2
	v_bfe_u32 v8, v9, 16, 1
	s_delay_alu instid0(VALU_DEP_1)
	v_add3_u32 v8, v9, v8, 0x7fff
                                        ; implicit-def: $vgpr9
; %bb.43:                               ;   in Loop: Header=BB677_41 Depth=2
	s_and_not1_saveexec_b32 s18, s18
; %bb.44:                               ;   in Loop: Header=BB677_41 Depth=2
	v_and_b32_e32 v8, 0xffff, v9
	v_or_b32_e32 v10, 0x10000, v9
	s_delay_alu instid0(VALU_DEP_2) | instskip(NEXT) | instid1(VALU_DEP_2)
	v_cmp_eq_u32_e32 vcc_lo, 0, v8
	v_cndmask_b32_e32 v8, v10, v9, vcc_lo
; %bb.45:                               ;   in Loop: Header=BB677_41 Depth=2
	s_or_b32 exec_lo, exec_lo, s18
	flat_load_u16 v9, v[5:6] offset:2
	s_waitcnt vmcnt(0) lgkmcnt(0)
	v_dual_mov_b32 v10, s16 :: v_dual_lshlrev_b32 v9, 16, v9
	ds_load_b32 v10, v10 offset:4
	s_waitcnt lgkmcnt(0)
	v_mul_f32_e32 v10, v10, v9
	s_delay_alu instid0(VALU_DEP_1) | instskip(NEXT) | instid1(VALU_DEP_1)
	v_and_b32_e32 v9, 0x7f800000, v10
	v_cmp_ne_u32_e32 vcc_lo, 0x7f800000, v9
                                        ; implicit-def: $vgpr9
	s_and_saveexec_b32 s18, vcc_lo
	s_delay_alu instid0(SALU_CYCLE_1)
	s_xor_b32 s18, exec_lo, s18
; %bb.46:                               ;   in Loop: Header=BB677_41 Depth=2
	v_bfe_u32 v9, v10, 16, 1
	s_delay_alu instid0(VALU_DEP_1)
	v_add3_u32 v9, v10, v9, 0x7fff
                                        ; implicit-def: $vgpr10
; %bb.47:                               ;   in Loop: Header=BB677_41 Depth=2
	s_and_not1_saveexec_b32 s18, s18
; %bb.48:                               ;   in Loop: Header=BB677_41 Depth=2
	v_and_b32_e32 v9, 0xffff, v10
	v_or_b32_e32 v11, 0x10000, v10
	s_delay_alu instid0(VALU_DEP_2) | instskip(NEXT) | instid1(VALU_DEP_2)
	v_cmp_eq_u32_e32 vcc_lo, 0, v9
	v_cndmask_b32_e32 v9, v11, v10, vcc_lo
; %bb.49:                               ;   in Loop: Header=BB677_41 Depth=2
	s_or_b32 exec_lo, exec_lo, s18
	flat_load_u16 v10, v[5:6] offset:4
	s_waitcnt vmcnt(0) lgkmcnt(0)
	v_dual_mov_b32 v11, s16 :: v_dual_lshlrev_b32 v10, 16, v10
	ds_load_b32 v11, v11 offset:8
	s_waitcnt lgkmcnt(0)
	v_mul_f32_e32 v11, v11, v10
	s_delay_alu instid0(VALU_DEP_1) | instskip(NEXT) | instid1(VALU_DEP_1)
	v_and_b32_e32 v10, 0x7f800000, v11
	v_cmp_ne_u32_e32 vcc_lo, 0x7f800000, v10
                                        ; implicit-def: $vgpr10
	s_and_saveexec_b32 s18, vcc_lo
	s_delay_alu instid0(SALU_CYCLE_1)
	s_xor_b32 s18, exec_lo, s18
; %bb.50:                               ;   in Loop: Header=BB677_41 Depth=2
	v_bfe_u32 v10, v11, 16, 1
	s_delay_alu instid0(VALU_DEP_1)
	v_add3_u32 v10, v11, v10, 0x7fff
                                        ; implicit-def: $vgpr11
; %bb.51:                               ;   in Loop: Header=BB677_41 Depth=2
	s_and_not1_saveexec_b32 s18, s18
; %bb.52:                               ;   in Loop: Header=BB677_41 Depth=2
	v_and_b32_e32 v10, 0xffff, v11
	v_or_b32_e32 v12, 0x10000, v11
	s_delay_alu instid0(VALU_DEP_2) | instskip(NEXT) | instid1(VALU_DEP_2)
	v_cmp_eq_u32_e32 vcc_lo, 0, v10
	v_cndmask_b32_e32 v10, v12, v11, vcc_lo
; %bb.53:                               ;   in Loop: Header=BB677_41 Depth=2
	s_or_b32 exec_lo, exec_lo, s18
	flat_load_u16 v11, v[5:6] offset:6
	s_waitcnt vmcnt(0) lgkmcnt(0)
	v_dual_mov_b32 v12, s16 :: v_dual_lshlrev_b32 v11, 16, v11
	ds_load_b32 v12, v12 offset:12
	s_waitcnt lgkmcnt(0)
	v_mul_f32_e32 v12, v12, v11
	s_delay_alu instid0(VALU_DEP_1) | instskip(NEXT) | instid1(VALU_DEP_1)
	v_and_b32_e32 v11, 0x7f800000, v12
	v_cmp_ne_u32_e32 vcc_lo, 0x7f800000, v11
                                        ; implicit-def: $vgpr11
	s_and_saveexec_b32 s18, vcc_lo
	s_delay_alu instid0(SALU_CYCLE_1)
	s_xor_b32 s18, exec_lo, s18
; %bb.54:                               ;   in Loop: Header=BB677_41 Depth=2
	v_bfe_u32 v11, v12, 16, 1
	s_delay_alu instid0(VALU_DEP_1)
	v_add3_u32 v11, v12, v11, 0x7fff
                                        ; implicit-def: $vgpr12
; %bb.55:                               ;   in Loop: Header=BB677_41 Depth=2
	s_and_not1_saveexec_b32 s18, s18
	s_cbranch_execz .LBB677_40
; %bb.56:                               ;   in Loop: Header=BB677_41 Depth=2
	v_and_b32_e32 v11, 0xffff, v12
	v_or_b32_e32 v13, 0x10000, v12
	s_delay_alu instid0(VALU_DEP_2) | instskip(NEXT) | instid1(VALU_DEP_2)
	v_cmp_eq_u32_e32 vcc_lo, 0, v11
	v_cndmask_b32_e32 v11, v13, v12, vcc_lo
	s_branch .LBB677_40
.LBB677_57:                             ;   in Loop: Header=BB677_34 Depth=1
	s_mov_b32 s16, 0
	s_and_not1_b32 vcc_lo, exec_lo, s13
	s_cbranch_vccz .LBB677_59
	s_branch .LBB677_32
.LBB677_58:                             ;   in Loop: Header=BB677_34 Depth=1
	s_mov_b32 s16, s4
	s_and_not1_b32 vcc_lo, exec_lo, s13
	s_cbranch_vccnz .LBB677_32
.LBB677_59:                             ;   in Loop: Header=BB677_34 Depth=1
	s_lshl_b32 s17, s16, 1
	s_lshl_b32 s16, s16, 2
	v_add_co_u32 v5, vcc_lo, v1, s17
	v_add_co_ci_u32_e32 v6, vcc_lo, 0, v2, vcc_lo
	s_mov_b32 s17, s10
	s_set_inst_prefetch_distance 0x1
	s_branch .LBB677_61
	.p2align	6
.LBB677_60:                             ;   in Loop: Header=BB677_61 Depth=2
	s_or_b32 exec_lo, exec_lo, s18
	s_delay_alu instid0(VALU_DEP_1) | instskip(SKIP_2) | instid1(VALU_DEP_3)
	v_and_b32_e32 v8, 0xffff0000, v9
	v_add_co_u32 v5, vcc_lo, v5, 2
	v_add_co_ci_u32_e32 v6, vcc_lo, 0, v6, vcc_lo
	v_add_f32_e32 v7, v7, v8
	s_add_i32 s17, s17, -1
	s_add_i32 s16, s16, 4
	s_cmp_lg_u32 s17, 0
	s_cbranch_scc0 .LBB677_32
.LBB677_61:                             ;   Parent Loop BB677_34 Depth=1
                                        ; =>  This Inner Loop Header: Depth=2
	flat_load_u16 v8, v[5:6]
	s_waitcnt vmcnt(0) lgkmcnt(0)
	v_dual_mov_b32 v9, s16 :: v_dual_lshlrev_b32 v8, 16, v8
	ds_load_b32 v9, v9
	s_waitcnt lgkmcnt(0)
	v_mul_f32_e32 v8, v9, v8
	s_delay_alu instid0(VALU_DEP_1) | instskip(NEXT) | instid1(VALU_DEP_1)
	v_and_b32_e32 v9, 0x7f800000, v8
	v_cmp_ne_u32_e32 vcc_lo, 0x7f800000, v9
                                        ; implicit-def: $vgpr9
	s_and_saveexec_b32 s18, vcc_lo
	s_delay_alu instid0(SALU_CYCLE_1)
	s_xor_b32 s18, exec_lo, s18
; %bb.62:                               ;   in Loop: Header=BB677_61 Depth=2
	v_bfe_u32 v9, v8, 16, 1
	s_delay_alu instid0(VALU_DEP_1)
	v_add3_u32 v9, v8, v9, 0x7fff
                                        ; implicit-def: $vgpr8
; %bb.63:                               ;   in Loop: Header=BB677_61 Depth=2
	s_and_not1_saveexec_b32 s18, s18
	s_cbranch_execz .LBB677_60
; %bb.64:                               ;   in Loop: Header=BB677_61 Depth=2
	v_and_b32_e32 v9, 0xffff, v8
	v_or_b32_e32 v10, 0x10000, v8
	s_delay_alu instid0(VALU_DEP_2) | instskip(NEXT) | instid1(VALU_DEP_2)
	v_cmp_eq_u32_e32 vcc_lo, 0, v9
	v_cndmask_b32_e32 v9, v10, v8, vcc_lo
	s_branch .LBB677_60
.LBB677_65:
	s_nop 0
	s_sendmsg sendmsg(MSG_DEALLOC_VGPRS)
	s_endpgm
	.section	.rodata,"a",@progbits
	.p2align	6, 0x0
	.amdhsa_kernel _ZL22rocblas_gemvtsm_kernelILb0ELi256EPK16rocblas_bfloat16fKPfEviiT2_lPKT1_lilS8_lilS5_lPT3_lil
		.amdhsa_group_segment_fixed_size 256
		.amdhsa_private_segment_fixed_size 0
		.amdhsa_kernarg_size 136
		.amdhsa_user_sgpr_count 15
		.amdhsa_user_sgpr_dispatch_ptr 0
		.amdhsa_user_sgpr_queue_ptr 0
		.amdhsa_user_sgpr_kernarg_segment_ptr 1
		.amdhsa_user_sgpr_dispatch_id 0
		.amdhsa_user_sgpr_private_segment_size 0
		.amdhsa_wavefront_size32 1
		.amdhsa_uses_dynamic_stack 0
		.amdhsa_enable_private_segment 0
		.amdhsa_system_sgpr_workgroup_id_x 1
		.amdhsa_system_sgpr_workgroup_id_y 0
		.amdhsa_system_sgpr_workgroup_id_z 0
		.amdhsa_system_sgpr_workgroup_info 0
		.amdhsa_system_vgpr_workitem_id 0
		.amdhsa_next_free_vgpr 14
		.amdhsa_next_free_sgpr 20
		.amdhsa_reserve_vcc 1
		.amdhsa_float_round_mode_32 0
		.amdhsa_float_round_mode_16_64 0
		.amdhsa_float_denorm_mode_32 3
		.amdhsa_float_denorm_mode_16_64 3
		.amdhsa_dx10_clamp 1
		.amdhsa_ieee_mode 1
		.amdhsa_fp16_overflow 0
		.amdhsa_workgroup_processor_mode 1
		.amdhsa_memory_ordered 1
		.amdhsa_forward_progress 0
		.amdhsa_shared_vgpr_count 0
		.amdhsa_exception_fp_ieee_invalid_op 0
		.amdhsa_exception_fp_denorm_src 0
		.amdhsa_exception_fp_ieee_div_zero 0
		.amdhsa_exception_fp_ieee_overflow 0
		.amdhsa_exception_fp_ieee_underflow 0
		.amdhsa_exception_fp_ieee_inexact 0
		.amdhsa_exception_int_div_zero 0
	.end_amdhsa_kernel
	.section	.text._ZL22rocblas_gemvtsm_kernelILb0ELi256EPK16rocblas_bfloat16fKPfEviiT2_lPKT1_lilS8_lilS5_lPT3_lil,"axG",@progbits,_ZL22rocblas_gemvtsm_kernelILb0ELi256EPK16rocblas_bfloat16fKPfEviiT2_lPKT1_lilS8_lilS5_lPT3_lil,comdat
.Lfunc_end677:
	.size	_ZL22rocblas_gemvtsm_kernelILb0ELi256EPK16rocblas_bfloat16fKPfEviiT2_lPKT1_lilS8_lilS5_lPT3_lil, .Lfunc_end677-_ZL22rocblas_gemvtsm_kernelILb0ELi256EPK16rocblas_bfloat16fKPfEviiT2_lPKT1_lilS8_lilS5_lPT3_lil
                                        ; -- End function
	.section	.AMDGPU.csdata,"",@progbits
; Kernel info:
; codeLenInByte = 2080
; NumSgprs: 22
; NumVgprs: 14
; ScratchSize: 0
; MemoryBound: 0
; FloatMode: 240
; IeeeMode: 1
; LDSByteSize: 256 bytes/workgroup (compile time only)
; SGPRBlocks: 2
; VGPRBlocks: 1
; NumSGPRsForWavesPerEU: 22
; NumVGPRsForWavesPerEU: 14
; Occupancy: 16
; WaveLimiterHint : 1
; COMPUTE_PGM_RSRC2:SCRATCH_EN: 0
; COMPUTE_PGM_RSRC2:USER_SGPR: 15
; COMPUTE_PGM_RSRC2:TRAP_HANDLER: 0
; COMPUTE_PGM_RSRC2:TGID_X_EN: 1
; COMPUTE_PGM_RSRC2:TGID_Y_EN: 0
; COMPUTE_PGM_RSRC2:TGID_Z_EN: 0
; COMPUTE_PGM_RSRC2:TIDIG_COMP_CNT: 0
	.section	.text._ZL32rocblas_gemvt_warp_reduce_kernelILb0ELi256EiPK16rocblas_bfloat16PKfKPfEviiT3_lPKT2_lT1_lSA_lSB_lS7_lPT4_lSB_li,"axG",@progbits,_ZL32rocblas_gemvt_warp_reduce_kernelILb0ELi256EiPK16rocblas_bfloat16PKfKPfEviiT3_lPKT2_lT1_lSA_lSB_lS7_lPT4_lSB_li,comdat
	.globl	_ZL32rocblas_gemvt_warp_reduce_kernelILb0ELi256EiPK16rocblas_bfloat16PKfKPfEviiT3_lPKT2_lT1_lSA_lSB_lS7_lPT4_lSB_li ; -- Begin function _ZL32rocblas_gemvt_warp_reduce_kernelILb0ELi256EiPK16rocblas_bfloat16PKfKPfEviiT3_lPKT2_lT1_lSA_lSB_lS7_lPT4_lSB_li
	.p2align	8
	.type	_ZL32rocblas_gemvt_warp_reduce_kernelILb0ELi256EiPK16rocblas_bfloat16PKfKPfEviiT3_lPKT2_lT1_lSA_lSB_lS7_lPT4_lSB_li,@function
_ZL32rocblas_gemvt_warp_reduce_kernelILb0ELi256EiPK16rocblas_bfloat16PKfKPfEviiT3_lPKT2_lT1_lSA_lSB_lS7_lPT4_lSB_li: ; @_ZL32rocblas_gemvt_warp_reduce_kernelILb0ELi256EiPK16rocblas_bfloat16PKfKPfEviiT3_lPKT2_lT1_lSA_lSB_lS7_lPT4_lSB_li
; %bb.0:
	s_clause 0x1
	s_load_b256 s[16:23], s[0:1], 0x8
	s_load_b256 s[4:11], s[0:1], 0x58
	s_mov_b32 s2, s15
	s_waitcnt lgkmcnt(0)
	s_mul_i32 s3, s15, s19
	s_mul_hi_u32 s13, s15, s18
	s_mul_i32 s12, s15, s18
	s_add_i32 s13, s13, s3
	s_mul_i32 s3, s15, s7
	s_lshl_b64 s[12:13], s[12:13], 2
	s_mul_hi_u32 s7, s15, s6
	s_add_u32 s12, s16, s12
	s_addc_u32 s13, s17, s13
	s_add_i32 s7, s7, s3
	s_mul_i32 s6, s15, s6
	s_delay_alu instid0(SALU_CYCLE_1) | instskip(NEXT) | instid1(SALU_CYCLE_1)
	s_lshl_b64 s[6:7], s[6:7], 2
	s_add_u32 s4, s4, s6
	s_addc_u32 s5, s5, s7
	s_load_b32 s13, s[12:13], 0x0
	s_load_b32 s12, s[4:5], 0x0
	s_waitcnt lgkmcnt(0)
	v_cmp_eq_f32_e64 s15, s13, 0
	v_cmp_eq_f32_e64 s3, s12, 1.0
	s_delay_alu instid0(VALU_DEP_1) | instskip(NEXT) | instid1(SALU_CYCLE_1)
	s_and_b32 s3, s15, s3
	s_and_b32 vcc_lo, exec_lo, s3
	s_mov_b32 s3, 0
	s_cbranch_vccnz .LBB678_41
; %bb.1:
	v_cmp_neq_f32_e64 s16, s13, 0
	s_mov_b64 s[4:5], 0
	s_and_b32 vcc_lo, exec_lo, s15
	s_mov_b64 s[6:7], 0
	s_cbranch_vccnz .LBB678_3
; %bb.2:
	s_lshl_b64 s[6:7], s[2:3], 3
	s_delay_alu instid0(SALU_CYCLE_1)
	s_add_u32 s6, s20, s6
	s_addc_u32 s7, s21, s7
	s_lshl_b64 s[18:19], s[22:23], 1
	s_load_b64 s[6:7], s[6:7], 0x0
	s_waitcnt lgkmcnt(0)
	s_add_u32 s6, s6, s18
	s_addc_u32 s7, s7, s19
.LBB678_3:
	s_and_not1_b32 vcc_lo, exec_lo, s16
	s_cbranch_vccnz .LBB678_5
; %bb.4:
	s_load_b128 s[16:19], s[0:1], 0x38
	s_lshl_b64 s[4:5], s[2:3], 3
	s_waitcnt lgkmcnt(0)
	s_add_u32 s4, s16, s4
	s_addc_u32 s5, s17, s5
	s_lshl_b64 s[16:17], s[18:19], 1
	s_load_b64 s[4:5], s[4:5], 0x0
	s_waitcnt lgkmcnt(0)
	s_add_u32 s4, s4, s16
	s_addc_u32 s5, s5, s17
.LBB678_5:
	s_lshl_b64 s[2:3], s[2:3], 3
	s_delay_alu instid0(SALU_CYCLE_1)
	s_add_u32 s2, s8, s2
	s_addc_u32 s3, s9, s3
	s_lshl_b64 s[10:11], s[10:11], 2
	s_load_b64 s[8:9], s[2:3], 0x0
	s_load_b32 s16, s[0:1], 0x78
	v_cmp_eq_u32_e64 s2, 0, v0
	s_waitcnt lgkmcnt(0)
	s_add_u32 s10, s8, s10
	s_addc_u32 s11, s9, s11
	s_and_not1_b32 vcc_lo, exec_lo, s15
	s_cbranch_vccnz .LBB678_10
; %bb.6:
	s_mov_b32 s3, 0
	s_mov_b32 s15, 0
                                        ; implicit-def: $vgpr1
                                        ; implicit-def: $sgpr8_sgpr9
	s_and_saveexec_b32 s17, s2
	s_cbranch_execz .LBB678_11
; %bb.7:
	v_cmp_eq_f32_e64 s2, s12, 0
	v_mov_b32_e32 v1, 0
	s_mul_i32 s8, s14, s16
	s_delay_alu instid0(SALU_CYCLE_1) | instskip(NEXT) | instid1(VALU_DEP_2)
	s_ashr_i32 s9, s8, 31
	s_and_b32 vcc_lo, exec_lo, s2
	s_cbranch_vccnz .LBB678_9
; %bb.8:
	s_lshl_b64 s[18:19], s[8:9], 2
	s_delay_alu instid0(SALU_CYCLE_1)
	s_add_u32 s18, s10, s18
	s_addc_u32 s19, s11, s19
	s_load_b32 s2, s[18:19], 0x0
	s_waitcnt lgkmcnt(0)
	v_mul_f32_e64 v1, s12, s2
.LBB678_9:
	s_mov_b32 s15, exec_lo
	s_or_b32 exec_lo, exec_lo, s17
	s_delay_alu instid0(SALU_CYCLE_1)
	s_and_b32 vcc_lo, exec_lo, s3
	s_cbranch_vccnz .LBB678_12
	s_branch .LBB678_39
.LBB678_10:
	s_mov_b32 s15, 0
                                        ; implicit-def: $vgpr1
                                        ; implicit-def: $sgpr8_sgpr9
	s_cbranch_execnz .LBB678_12
	s_branch .LBB678_39
.LBB678_11:
	s_or_b32 exec_lo, exec_lo, s17
	s_delay_alu instid0(SALU_CYCLE_1)
	s_and_b32 vcc_lo, exec_lo, s3
	s_cbranch_vccz .LBB678_39
.LBB678_12:
	s_clause 0x2
	s_load_b32 s2, s[0:1], 0x28
	s_load_b32 s3, s[0:1], 0x0
	;; [unrolled: 1-line block ×3, first 2 shown]
	v_mov_b32_e32 v7, 0
	s_waitcnt lgkmcnt(0)
	s_mul_i32 s8, s14, s2
	v_cmp_gt_i32_e32 vcc_lo, s3, v0
	s_ashr_i32 s9, s8, 31
	s_delay_alu instid0(SALU_CYCLE_1)
	s_lshl_b64 s[8:9], s[8:9], 1
	v_cndmask_b32_e32 v1, 0, v0, vcc_lo
	s_add_u32 s0, s8, s6
	s_addc_u32 s6, s9, s7
	s_ashr_i32 s2, s3, 31
	s_mov_b32 s7, 0
	v_lshlrev_b32_e32 v1, 1, v1
	s_lshr_b32 s2, s2, 24
	s_delay_alu instid0(SALU_CYCLE_1) | instskip(NEXT) | instid1(SALU_CYCLE_1)
	s_add_i32 s2, s3, s2
	s_and_b32 s2, s2, 0xffffff00
	s_delay_alu instid0(VALU_DEP_1) | instskip(NEXT) | instid1(VALU_DEP_1)
	v_add_co_u32 v1, s0, s0, v1
	v_add_co_ci_u32_e64 v2, null, s6, 0, s0
	s_mov_b32 s6, exec_lo
	v_cmpx_gt_i32_e64 s2, v0
	s_cbranch_execz .LBB678_20
; %bb.13:
	v_mul_lo_u32 v3, v0, s1
	v_dual_mov_b32 v7, 0 :: v_dual_mov_b32 v6, v2
	v_dual_mov_b32 v5, v1 :: v_dual_mov_b32 v8, v0
	s_lshl_b32 s8, s1, 8
	s_branch .LBB678_15
.LBB678_14:                             ;   in Loop: Header=BB678_15 Depth=1
	s_or_b32 exec_lo, exec_lo, s0
	v_add_nc_u32_e32 v8, 0x100, v8
	s_delay_alu instid0(VALU_DEP_2) | instskip(SKIP_1) | instid1(VALU_DEP_1)
	v_and_b32_e32 v4, 0xffff0000, v9
	v_add_co_u32 v5, s0, 0x200, v5
	v_add_co_ci_u32_e64 v6, s0, 0, v6, s0
	s_delay_alu instid0(VALU_DEP_4) | instskip(NEXT) | instid1(VALU_DEP_4)
	v_cmp_le_i32_e32 vcc_lo, s2, v8
	v_add_f32_e32 v7, v7, v4
	v_add_nc_u32_e32 v3, s8, v3
	s_or_b32 s7, vcc_lo, s7
	s_delay_alu instid0(SALU_CYCLE_1)
	s_and_not1_b32 exec_lo, exec_lo, s7
	s_cbranch_execz .LBB678_19
.LBB678_15:                             ; =>This Inner Loop Header: Depth=1
	s_delay_alu instid0(VALU_DEP_1) | instskip(NEXT) | instid1(VALU_DEP_1)
	v_ashrrev_i32_e32 v4, 31, v3
	v_lshlrev_b64 v[9:10], 1, v[3:4]
	s_delay_alu instid0(VALU_DEP_1) | instskip(NEXT) | instid1(VALU_DEP_2)
	v_add_co_u32 v9, vcc_lo, s4, v9
	v_add_co_ci_u32_e32 v10, vcc_lo, s5, v10, vcc_lo
	flat_load_u16 v4, v[5:6]
	flat_load_u16 v9, v[9:10]
	s_waitcnt vmcnt(1) lgkmcnt(1)
	v_lshlrev_b32_e32 v4, 16, v4
	s_waitcnt vmcnt(0) lgkmcnt(0)
	v_lshlrev_b32_e32 v9, 16, v9
	s_delay_alu instid0(VALU_DEP_1) | instskip(NEXT) | instid1(VALU_DEP_1)
	v_mul_f32_e32 v4, v4, v9
	v_and_b32_e32 v9, 0x7f800000, v4
	s_delay_alu instid0(VALU_DEP_1) | instskip(SKIP_1) | instid1(SALU_CYCLE_1)
	v_cmp_ne_u32_e32 vcc_lo, 0x7f800000, v9
                                        ; implicit-def: $vgpr9
	s_and_saveexec_b32 s0, vcc_lo
	s_xor_b32 s0, exec_lo, s0
; %bb.16:                               ;   in Loop: Header=BB678_15 Depth=1
	v_bfe_u32 v9, v4, 16, 1
	s_delay_alu instid0(VALU_DEP_1)
	v_add3_u32 v9, v4, v9, 0x7fff
                                        ; implicit-def: $vgpr4
; %bb.17:                               ;   in Loop: Header=BB678_15 Depth=1
	s_and_not1_saveexec_b32 s0, s0
	s_cbranch_execz .LBB678_14
; %bb.18:                               ;   in Loop: Header=BB678_15 Depth=1
	v_and_b32_e32 v9, 0xffff, v4
	v_or_b32_e32 v10, 0x10000, v4
	s_delay_alu instid0(VALU_DEP_2) | instskip(NEXT) | instid1(VALU_DEP_2)
	v_cmp_eq_u32_e32 vcc_lo, 0, v9
	v_cndmask_b32_e32 v9, v10, v4, vcc_lo
	s_branch .LBB678_14
.LBB678_19:
	s_or_b32 exec_lo, exec_lo, s7
.LBB678_20:
	s_delay_alu instid0(SALU_CYCLE_1) | instskip(SKIP_2) | instid1(VALU_DEP_1)
	s_or_b32 exec_lo, exec_lo, s6
	v_add_nc_u32_e32 v3, s2, v0
	s_mov_b32 s0, exec_lo
	v_cmpx_gt_i32_e64 s3, v3
	s_cbranch_execz .LBB678_26
; %bb.21:
	v_mul_lo_u32 v3, v3, s1
	s_ashr_i32 s3, s2, 31
	s_delay_alu instid0(SALU_CYCLE_1) | instskip(NEXT) | instid1(VALU_DEP_1)
	s_lshl_b64 s[2:3], s[2:3], 1
	v_ashrrev_i32_e32 v4, 31, v3
	s_delay_alu instid0(VALU_DEP_1) | instskip(NEXT) | instid1(VALU_DEP_1)
	v_lshlrev_b64 v[3:4], 1, v[3:4]
	v_add_co_u32 v3, vcc_lo, s4, v3
	s_delay_alu instid0(VALU_DEP_2)
	v_add_co_ci_u32_e32 v4, vcc_lo, s5, v4, vcc_lo
	v_add_co_u32 v1, vcc_lo, v1, s2
	v_add_co_ci_u32_e32 v2, vcc_lo, s3, v2, vcc_lo
	flat_load_u16 v3, v[3:4]
	flat_load_u16 v1, v[1:2]
	s_waitcnt vmcnt(1) lgkmcnt(1)
	v_lshlrev_b32_e32 v2, 16, v3
	s_waitcnt vmcnt(0) lgkmcnt(0)
	v_lshlrev_b32_e32 v1, 16, v1
	s_delay_alu instid0(VALU_DEP_1) | instskip(NEXT) | instid1(VALU_DEP_1)
	v_mul_f32_e32 v1, v1, v2
	v_and_b32_e32 v2, 0x7f800000, v1
	s_delay_alu instid0(VALU_DEP_1) | instskip(SKIP_1) | instid1(SALU_CYCLE_1)
	v_cmp_ne_u32_e32 vcc_lo, 0x7f800000, v2
                                        ; implicit-def: $vgpr2
	s_and_saveexec_b32 s1, vcc_lo
	s_xor_b32 s1, exec_lo, s1
; %bb.22:
	v_bfe_u32 v2, v1, 16, 1
	s_delay_alu instid0(VALU_DEP_1)
	v_add3_u32 v2, v1, v2, 0x7fff
                                        ; implicit-def: $vgpr1
; %bb.23:
	s_and_not1_saveexec_b32 s1, s1
; %bb.24:
	v_and_b32_e32 v2, 0xffff, v1
	v_or_b32_e32 v3, 0x10000, v1
	s_delay_alu instid0(VALU_DEP_2) | instskip(NEXT) | instid1(VALU_DEP_2)
	v_cmp_eq_u32_e32 vcc_lo, 0, v2
	v_cndmask_b32_e32 v2, v3, v1, vcc_lo
; %bb.25:
	s_or_b32 exec_lo, exec_lo, s1
	s_delay_alu instid0(VALU_DEP_1) | instskip(NEXT) | instid1(VALU_DEP_1)
	v_and_b32_e32 v1, 0xffff0000, v2
	v_add_f32_e32 v7, v7, v1
.LBB678_26:
	s_or_b32 exec_lo, exec_lo, s0
	v_and_b32_e32 v4, 31, v0
	v_cmp_gt_u32_e32 vcc_lo, 32, v0
	s_delay_alu instid0(VALU_DEP_2)
	v_lshlrev_b32_e32 v1, 2, v4
	s_and_saveexec_b32 s0, vcc_lo
	s_cbranch_execz .LBB678_28
; %bb.27:
	v_mov_b32_e32 v2, 0
	ds_store_b32 v1, v2
.LBB678_28:
	s_or_b32 exec_lo, exec_lo, s0
	v_mbcnt_lo_u32_b32 v5, -1, 0
	s_mov_b32 s1, exec_lo
	s_waitcnt lgkmcnt(0)
	s_barrier
	buffer_gl0_inv
	v_cmp_gt_u32_e64 s0, 16, v5
	s_delay_alu instid0(VALU_DEP_1) | instskip(SKIP_1) | instid1(VALU_DEP_2)
	v_cndmask_b32_e64 v2, 0, 1, s0
	v_cmp_gt_u32_e64 s0, 24, v5
	v_lshlrev_b32_e32 v2, 4, v2
	s_delay_alu instid0(VALU_DEP_2) | instskip(SKIP_1) | instid1(VALU_DEP_3)
	v_cndmask_b32_e64 v3, 0, 1, s0
	v_cmp_gt_u32_e64 s0, 28, v5
	v_add_lshl_u32 v2, v2, v5, 2
	ds_bpermute_b32 v2, v2, v7
	s_waitcnt lgkmcnt(0)
	v_dual_add_f32 v6, v7, v2 :: v_dual_lshlrev_b32 v3, 3, v3
	s_delay_alu instid0(VALU_DEP_1) | instskip(SKIP_4) | instid1(VALU_DEP_1)
	v_add_lshl_u32 v3, v3, v5, 2
	v_cndmask_b32_e64 v2, 0, 1, s0
	v_cmp_gt_u32_e64 s0, 30, v5
	ds_bpermute_b32 v3, v3, v6
	v_lshlrev_b32_e32 v2, 2, v2
	v_add_lshl_u32 v2, v2, v5, 2
	s_waitcnt lgkmcnt(0)
	v_add_f32_e32 v6, v6, v3
	v_cndmask_b32_e64 v3, 0, 1, s0
	v_cmp_ne_u32_e64 s0, 31, v5
	s_delay_alu instid0(VALU_DEP_2) | instskip(NEXT) | instid1(VALU_DEP_1)
	v_lshlrev_b32_e32 v3, 1, v3
	v_add_lshl_u32 v3, v3, v5, 2
	s_delay_alu instid0(VALU_DEP_3) | instskip(NEXT) | instid1(VALU_DEP_1)
	v_add_co_ci_u32_e64 v5, s0, 0, v5, s0
	v_lshlrev_b32_e32 v5, 2, v5
	ds_bpermute_b32 v7, v2, v6
	s_waitcnt lgkmcnt(0)
	v_add_f32_e32 v6, v6, v7
	ds_bpermute_b32 v7, v3, v6
	s_waitcnt lgkmcnt(0)
	v_add_f32_e32 v6, v6, v7
	ds_bpermute_b32 v7, v5, v6
	v_cmpx_eq_u32_e32 0, v4
	s_cbranch_execz .LBB678_30
; %bb.29:
	v_lshrrev_b32_e32 v4, 3, v0
	s_waitcnt lgkmcnt(0)
	v_add_f32_e32 v6, v6, v7
	s_delay_alu instid0(VALU_DEP_2)
	v_and_b32_e32 v4, 28, v4
	ds_store_b32 v4, v6
.LBB678_30:
	s_or_b32 exec_lo, exec_lo, s1
	v_mov_b32_e32 v4, 0
	s_mov_b32 s1, exec_lo
	s_waitcnt lgkmcnt(0)
	s_barrier
	buffer_gl0_inv
	v_cmpx_gt_u32_e32 8, v0
	s_cbranch_execz .LBB678_32
; %bb.31:
	ds_load_b32 v4, v1
.LBB678_32:
	s_or_b32 exec_lo, exec_lo, s1
	s_and_saveexec_b32 s0, vcc_lo
	s_cbranch_execz .LBB678_34
; %bb.33:
	s_waitcnt lgkmcnt(0)
	ds_bpermute_b32 v1, v2, v4
	s_waitcnt lgkmcnt(0)
	v_add_f32_e32 v1, v4, v1
	ds_bpermute_b32 v2, v3, v1
	s_waitcnt lgkmcnt(0)
	v_add_f32_e32 v1, v1, v2
	;; [unrolled: 3-line block ×3, first 2 shown]
.LBB678_34:
	s_or_b32 exec_lo, exec_lo, s0
	s_delay_alu instid0(SALU_CYCLE_1)
	s_mov_b32 s0, exec_lo
                                        ; implicit-def: $vgpr1
                                        ; implicit-def: $sgpr8_sgpr9
	v_cmpx_eq_u32_e32 0, v0
	s_cbranch_execz .LBB678_38
; %bb.35:
	v_cmp_eq_f32_e64 s1, s12, 0
	s_waitcnt lgkmcnt(0)
	v_mul_f32_e32 v1, s13, v4
	s_mul_i32 s8, s14, s16
	s_delay_alu instid0(SALU_CYCLE_1)
	s_ashr_i32 s9, s8, 31
	s_and_b32 vcc_lo, exec_lo, s1
	s_cbranch_vccnz .LBB678_37
; %bb.36:
	s_lshl_b64 s[2:3], s[8:9], 2
	s_delay_alu instid0(SALU_CYCLE_1)
	s_add_u32 s2, s10, s2
	s_addc_u32 s3, s11, s3
	s_load_b32 s1, s[2:3], 0x0
	s_waitcnt lgkmcnt(0)
	v_fmac_f32_e64 v1, s12, s1
.LBB678_37:
	s_or_b32 s15, s15, exec_lo
.LBB678_38:
	s_or_b32 exec_lo, exec_lo, s0
.LBB678_39:
	s_and_saveexec_b32 s0, s15
	s_cbranch_execz .LBB678_41
; %bb.40:
	s_lshl_b64 s[0:1], s[8:9], 2
	v_mov_b32_e32 v0, 0
	s_add_u32 s0, s10, s0
	s_addc_u32 s1, s11, s1
	global_store_b32 v0, v1, s[0:1]
.LBB678_41:
	s_nop 0
	s_sendmsg sendmsg(MSG_DEALLOC_VGPRS)
	s_endpgm
	.section	.rodata,"a",@progbits
	.p2align	6, 0x0
	.amdhsa_kernel _ZL32rocblas_gemvt_warp_reduce_kernelILb0ELi256EiPK16rocblas_bfloat16PKfKPfEviiT3_lPKT2_lT1_lSA_lSB_lS7_lPT4_lSB_li
		.amdhsa_group_segment_fixed_size 128
		.amdhsa_private_segment_fixed_size 0
		.amdhsa_kernarg_size 140
		.amdhsa_user_sgpr_count 14
		.amdhsa_user_sgpr_dispatch_ptr 0
		.amdhsa_user_sgpr_queue_ptr 0
		.amdhsa_user_sgpr_kernarg_segment_ptr 1
		.amdhsa_user_sgpr_dispatch_id 0
		.amdhsa_user_sgpr_private_segment_size 0
		.amdhsa_wavefront_size32 1
		.amdhsa_uses_dynamic_stack 0
		.amdhsa_enable_private_segment 0
		.amdhsa_system_sgpr_workgroup_id_x 1
		.amdhsa_system_sgpr_workgroup_id_y 0
		.amdhsa_system_sgpr_workgroup_id_z 1
		.amdhsa_system_sgpr_workgroup_info 0
		.amdhsa_system_vgpr_workitem_id 0
		.amdhsa_next_free_vgpr 11
		.amdhsa_next_free_sgpr 24
		.amdhsa_reserve_vcc 1
		.amdhsa_float_round_mode_32 0
		.amdhsa_float_round_mode_16_64 0
		.amdhsa_float_denorm_mode_32 3
		.amdhsa_float_denorm_mode_16_64 3
		.amdhsa_dx10_clamp 1
		.amdhsa_ieee_mode 1
		.amdhsa_fp16_overflow 0
		.amdhsa_workgroup_processor_mode 1
		.amdhsa_memory_ordered 1
		.amdhsa_forward_progress 0
		.amdhsa_shared_vgpr_count 0
		.amdhsa_exception_fp_ieee_invalid_op 0
		.amdhsa_exception_fp_denorm_src 0
		.amdhsa_exception_fp_ieee_div_zero 0
		.amdhsa_exception_fp_ieee_overflow 0
		.amdhsa_exception_fp_ieee_underflow 0
		.amdhsa_exception_fp_ieee_inexact 0
		.amdhsa_exception_int_div_zero 0
	.end_amdhsa_kernel
	.section	.text._ZL32rocblas_gemvt_warp_reduce_kernelILb0ELi256EiPK16rocblas_bfloat16PKfKPfEviiT3_lPKT2_lT1_lSA_lSB_lS7_lPT4_lSB_li,"axG",@progbits,_ZL32rocblas_gemvt_warp_reduce_kernelILb0ELi256EiPK16rocblas_bfloat16PKfKPfEviiT3_lPKT2_lT1_lSA_lSB_lS7_lPT4_lSB_li,comdat
.Lfunc_end678:
	.size	_ZL32rocblas_gemvt_warp_reduce_kernelILb0ELi256EiPK16rocblas_bfloat16PKfKPfEviiT3_lPKT2_lT1_lSA_lSB_lS7_lPT4_lSB_li, .Lfunc_end678-_ZL32rocblas_gemvt_warp_reduce_kernelILb0ELi256EiPK16rocblas_bfloat16PKfKPfEviiT3_lPKT2_lT1_lSA_lSB_lS7_lPT4_lSB_li
                                        ; -- End function
	.section	.AMDGPU.csdata,"",@progbits
; Kernel info:
; codeLenInByte = 1696
; NumSgprs: 26
; NumVgprs: 11
; ScratchSize: 0
; MemoryBound: 0
; FloatMode: 240
; IeeeMode: 1
; LDSByteSize: 128 bytes/workgroup (compile time only)
; SGPRBlocks: 3
; VGPRBlocks: 1
; NumSGPRsForWavesPerEU: 26
; NumVGPRsForWavesPerEU: 11
; Occupancy: 16
; WaveLimiterHint : 1
; COMPUTE_PGM_RSRC2:SCRATCH_EN: 0
; COMPUTE_PGM_RSRC2:USER_SGPR: 14
; COMPUTE_PGM_RSRC2:TRAP_HANDLER: 0
; COMPUTE_PGM_RSRC2:TGID_X_EN: 1
; COMPUTE_PGM_RSRC2:TGID_Y_EN: 0
; COMPUTE_PGM_RSRC2:TGID_Z_EN: 1
; COMPUTE_PGM_RSRC2:TIDIG_COMP_CNT: 0
	.section	.text._ZL32rocblas_gemvt_warp_reduce_kernelILb0ELi256ElPK16rocblas_bfloat16PKfKPfEviiT3_lPKT2_lT1_lSA_lSB_lS7_lPT4_lSB_li,"axG",@progbits,_ZL32rocblas_gemvt_warp_reduce_kernelILb0ELi256ElPK16rocblas_bfloat16PKfKPfEviiT3_lPKT2_lT1_lSA_lSB_lS7_lPT4_lSB_li,comdat
	.globl	_ZL32rocblas_gemvt_warp_reduce_kernelILb0ELi256ElPK16rocblas_bfloat16PKfKPfEviiT3_lPKT2_lT1_lSA_lSB_lS7_lPT4_lSB_li ; -- Begin function _ZL32rocblas_gemvt_warp_reduce_kernelILb0ELi256ElPK16rocblas_bfloat16PKfKPfEviiT3_lPKT2_lT1_lSA_lSB_lS7_lPT4_lSB_li
	.p2align	8
	.type	_ZL32rocblas_gemvt_warp_reduce_kernelILb0ELi256ElPK16rocblas_bfloat16PKfKPfEviiT3_lPKT2_lT1_lSA_lSB_lS7_lPT4_lSB_li,@function
_ZL32rocblas_gemvt_warp_reduce_kernelILb0ELi256ElPK16rocblas_bfloat16PKfKPfEviiT3_lPKT2_lT1_lSA_lSB_lS7_lPT4_lSB_li: ; @_ZL32rocblas_gemvt_warp_reduce_kernelILb0ELi256ElPK16rocblas_bfloat16PKfKPfEviiT3_lPKT2_lT1_lSA_lSB_lS7_lPT4_lSB_li
; %bb.0:
	s_clause 0x1
	s_load_b256 s[16:23], s[0:1], 0x8
	s_load_b256 s[4:11], s[0:1], 0x58
	s_mov_b32 s2, s15
	s_waitcnt lgkmcnt(0)
	s_mul_i32 s3, s15, s19
	s_mul_hi_u32 s13, s15, s18
	s_mul_i32 s12, s15, s18
	s_add_i32 s13, s13, s3
	s_mul_i32 s3, s15, s7
	s_lshl_b64 s[12:13], s[12:13], 2
	s_mul_hi_u32 s7, s15, s6
	s_add_u32 s12, s16, s12
	s_addc_u32 s13, s17, s13
	s_add_i32 s7, s7, s3
	s_mul_i32 s6, s15, s6
	s_delay_alu instid0(SALU_CYCLE_1) | instskip(NEXT) | instid1(SALU_CYCLE_1)
	s_lshl_b64 s[6:7], s[6:7], 2
	s_add_u32 s4, s4, s6
	s_addc_u32 s5, s5, s7
	s_load_b32 s28, s[12:13], 0x0
	s_load_b32 s15, s[4:5], 0x0
	s_waitcnt lgkmcnt(0)
	v_cmp_eq_f32_e64 s29, s28, 0
	v_cmp_eq_f32_e64 s3, s15, 1.0
	s_delay_alu instid0(VALU_DEP_1) | instskip(NEXT) | instid1(SALU_CYCLE_1)
	s_and_b32 s3, s29, s3
	s_and_b32 vcc_lo, exec_lo, s3
	s_mov_b32 s3, 0
	s_cbranch_vccnz .LBB679_41
; %bb.1:
	s_clause 0x1
	s_load_b64 s[24:25], s[0:1], 0x28
	s_load_b64 s[12:13], s[0:1], 0x78
	v_cmp_neq_f32_e64 s30, s28, 0
	s_mov_b64 s[16:17], 0
	s_and_b32 vcc_lo, exec_lo, s29
	s_mov_b64 s[26:27], 0
	s_cbranch_vccnz .LBB679_3
; %bb.2:
	s_lshl_b64 s[4:5], s[2:3], 3
	s_delay_alu instid0(SALU_CYCLE_1)
	s_add_u32 s4, s20, s4
	s_addc_u32 s5, s21, s5
	s_lshl_b64 s[6:7], s[22:23], 1
	s_load_b64 s[4:5], s[4:5], 0x0
	s_waitcnt lgkmcnt(0)
	s_add_u32 s26, s4, s6
	s_addc_u32 s27, s5, s7
.LBB679_3:
	s_clause 0x1
	s_load_b128 s[4:7], s[0:1], 0x38
	s_load_b64 s[18:19], s[0:1], 0x48
	s_and_not1_b32 vcc_lo, exec_lo, s30
	s_cbranch_vccnz .LBB679_5
; %bb.4:
	s_lshl_b64 s[16:17], s[2:3], 3
	s_waitcnt lgkmcnt(0)
	s_add_u32 s4, s4, s16
	s_addc_u32 s5, s5, s17
	s_lshl_b64 s[6:7], s[6:7], 1
	s_load_b64 s[4:5], s[4:5], 0x0
	s_waitcnt lgkmcnt(0)
	s_add_u32 s16, s4, s6
	s_addc_u32 s17, s5, s7
.LBB679_5:
	s_lshl_b64 s[2:3], s[2:3], 3
	s_delay_alu instid0(SALU_CYCLE_1)
	s_add_u32 s2, s8, s2
	s_addc_u32 s3, s9, s3
	s_waitcnt lgkmcnt(0)
	s_lshl_b64 s[6:7], s[10:11], 2
	s_load_b64 s[4:5], s[2:3], 0x0
	v_cmp_eq_u32_e64 s2, 0, v0
	s_waitcnt lgkmcnt(0)
	s_add_u32 s6, s4, s6
	s_addc_u32 s7, s5, s7
	s_and_not1_b32 vcc_lo, exec_lo, s29
	s_cbranch_vccnz .LBB679_10
; %bb.6:
	s_mov_b32 s3, 0
	s_mov_b32 s8, 0
                                        ; implicit-def: $vgpr1
                                        ; implicit-def: $sgpr4_sgpr5
	s_and_saveexec_b32 s9, s2
	s_cbranch_execz .LBB679_11
; %bb.7:
	v_cmp_eq_f32_e64 s2, s15, 0
	s_mul_i32 s4, s14, s13
	s_mul_hi_u32 s5, s14, s12
	s_ashr_i32 s8, s14, 31
	v_mov_b32_e32 v1, 0
	s_add_i32 s4, s5, s4
	s_mul_i32 s8, s8, s12
	s_and_b32 vcc_lo, exec_lo, s2
	s_add_i32 s5, s4, s8
	s_mul_i32 s4, s14, s12
	s_cbranch_vccnz .LBB679_9
; %bb.8:
	s_lshl_b64 s[10:11], s[4:5], 2
	s_delay_alu instid0(SALU_CYCLE_1)
	s_add_u32 s10, s6, s10
	s_addc_u32 s11, s7, s11
	s_load_b32 s2, s[10:11], 0x0
	s_waitcnt lgkmcnt(0)
	v_mul_f32_e64 v1, s15, s2
.LBB679_9:
	s_mov_b32 s8, exec_lo
	s_or_b32 exec_lo, exec_lo, s9
	s_delay_alu instid0(SALU_CYCLE_1)
	s_and_b32 vcc_lo, exec_lo, s3
	s_cbranch_vccnz .LBB679_12
	s_branch .LBB679_39
.LBB679_10:
	s_mov_b32 s8, 0
                                        ; implicit-def: $vgpr1
                                        ; implicit-def: $sgpr4_sgpr5
	s_cbranch_execnz .LBB679_12
	s_branch .LBB679_39
.LBB679_11:
	s_or_b32 exec_lo, exec_lo, s9
	s_delay_alu instid0(SALU_CYCLE_1)
	s_and_b32 vcc_lo, exec_lo, s3
	s_cbranch_vccz .LBB679_39
.LBB679_12:
	s_load_b32 s3, s[0:1], 0x0
	s_mul_i32 s0, s14, s25
	s_mul_hi_u32 s2, s14, s24
	s_ashr_i32 s1, s14, 31
	s_add_i32 s0, s2, s0
	s_mul_i32 s2, s1, s24
	s_mul_i32 s4, s14, s24
	s_add_i32 s5, s0, s2
	v_mov_b32_e32 v7, 0
	s_lshl_b64 s[4:5], s[4:5], 1
	s_mov_b32 s10, 0
	s_add_u32 s0, s4, s26
	s_addc_u32 s4, s5, s27
	s_mov_b32 s9, exec_lo
	s_waitcnt lgkmcnt(0)
	v_cmp_gt_i32_e32 vcc_lo, s3, v0
	s_ashr_i32 s2, s3, 31
	s_delay_alu instid0(SALU_CYCLE_1) | instskip(NEXT) | instid1(SALU_CYCLE_1)
	s_lshr_b32 s2, s2, 24
	s_add_i32 s2, s3, s2
	v_cndmask_b32_e32 v1, 0, v0, vcc_lo
	s_and_b32 s2, s2, 0xffffff00
	s_delay_alu instid0(VALU_DEP_1) | instskip(NEXT) | instid1(VALU_DEP_1)
	v_lshlrev_b32_e32 v1, 1, v1
	v_add_co_u32 v1, s0, s0, v1
	s_delay_alu instid0(VALU_DEP_1)
	v_add_co_ci_u32_e64 v2, null, s4, 0, s0
	v_cmpx_gt_i32_e64 s2, v0
	s_cbranch_execz .LBB679_20
; %bb.13:
	v_mad_u64_u32 v[3:4], null, s18, v0, 0
	v_mov_b32_e32 v8, v0
	s_lshl_b64 s[4:5], s[18:19], 9
	v_mov_b32_e32 v7, 0
	s_delay_alu instid0(VALU_DEP_3) | instskip(NEXT) | instid1(VALU_DEP_1)
	v_mad_u64_u32 v[5:6], null, s19, v0, v[4:5]
	v_mov_b32_e32 v4, v5
	s_delay_alu instid0(VALU_DEP_1) | instskip(SKIP_1) | instid1(VALU_DEP_2)
	v_lshlrev_b64 v[5:6], 1, v[3:4]
	v_dual_mov_b32 v4, v2 :: v_dual_mov_b32 v3, v1
	v_add_co_u32 v5, vcc_lo, s16, v5
	s_delay_alu instid0(VALU_DEP_3)
	v_add_co_ci_u32_e32 v6, vcc_lo, s17, v6, vcc_lo
	s_set_inst_prefetch_distance 0x1
	s_branch .LBB679_15
	.p2align	6
.LBB679_14:                             ;   in Loop: Header=BB679_15 Depth=1
	s_or_b32 exec_lo, exec_lo, s0
	s_delay_alu instid0(VALU_DEP_1) | instskip(SKIP_3) | instid1(VALU_DEP_4)
	v_and_b32_e32 v9, 0xffff0000, v10
	v_add_nc_u32_e32 v8, 0x100, v8
	v_add_co_u32 v3, vcc_lo, 0x200, v3
	v_add_co_ci_u32_e32 v4, vcc_lo, 0, v4, vcc_lo
	v_add_f32_e32 v7, v7, v9
	s_delay_alu instid0(VALU_DEP_4) | instskip(SKIP_1) | instid1(VALU_DEP_1)
	v_cmp_le_i32_e32 vcc_lo, s2, v8
	v_add_co_u32 v5, s0, v5, s4
	v_add_co_ci_u32_e64 v6, s0, s5, v6, s0
	s_or_b32 s10, vcc_lo, s10
	s_delay_alu instid0(SALU_CYCLE_1)
	s_and_not1_b32 exec_lo, exec_lo, s10
	s_cbranch_execz .LBB679_19
.LBB679_15:                             ; =>This Inner Loop Header: Depth=1
	flat_load_u16 v9, v[5:6]
	flat_load_u16 v10, v[3:4]
	s_waitcnt vmcnt(1) lgkmcnt(1)
	v_lshlrev_b32_e32 v9, 16, v9
	s_waitcnt vmcnt(0) lgkmcnt(0)
	v_lshlrev_b32_e32 v10, 16, v10
	s_delay_alu instid0(VALU_DEP_1) | instskip(NEXT) | instid1(VALU_DEP_1)
	v_mul_f32_e32 v9, v10, v9
	v_and_b32_e32 v10, 0x7f800000, v9
	s_delay_alu instid0(VALU_DEP_1) | instskip(SKIP_1) | instid1(SALU_CYCLE_1)
	v_cmp_ne_u32_e32 vcc_lo, 0x7f800000, v10
                                        ; implicit-def: $vgpr10
	s_and_saveexec_b32 s0, vcc_lo
	s_xor_b32 s0, exec_lo, s0
; %bb.16:                               ;   in Loop: Header=BB679_15 Depth=1
	v_bfe_u32 v10, v9, 16, 1
	s_delay_alu instid0(VALU_DEP_1)
	v_add3_u32 v10, v9, v10, 0x7fff
                                        ; implicit-def: $vgpr9
; %bb.17:                               ;   in Loop: Header=BB679_15 Depth=1
	s_and_not1_saveexec_b32 s0, s0
	s_cbranch_execz .LBB679_14
; %bb.18:                               ;   in Loop: Header=BB679_15 Depth=1
	v_and_b32_e32 v10, 0xffff, v9
	v_or_b32_e32 v11, 0x10000, v9
	s_delay_alu instid0(VALU_DEP_2) | instskip(NEXT) | instid1(VALU_DEP_2)
	v_cmp_eq_u32_e32 vcc_lo, 0, v10
	v_cndmask_b32_e32 v10, v11, v9, vcc_lo
	s_branch .LBB679_14
.LBB679_19:
	s_set_inst_prefetch_distance 0x2
	s_or_b32 exec_lo, exec_lo, s10
.LBB679_20:
	s_delay_alu instid0(SALU_CYCLE_1) | instskip(SKIP_2) | instid1(VALU_DEP_1)
	s_or_b32 exec_lo, exec_lo, s9
	v_add_nc_u32_e32 v3, s2, v0
	s_mov_b32 s0, exec_lo
	v_cmpx_gt_i32_e64 s3, v3
	s_cbranch_execz .LBB679_26
; %bb.21:
	v_ashrrev_i32_e32 v6, 31, v3
	v_mul_lo_u32 v8, v3, s19
	v_mad_u64_u32 v[4:5], null, v3, s18, 0
	s_ashr_i32 s3, s2, 31
	s_delay_alu instid0(VALU_DEP_3) | instskip(SKIP_1) | instid1(VALU_DEP_1)
	v_mul_lo_u32 v3, v6, s18
	s_lshl_b64 s[2:3], s[2:3], 1
	v_add3_u32 v5, v5, v8, v3
	s_delay_alu instid0(VALU_DEP_1) | instskip(NEXT) | instid1(VALU_DEP_1)
	v_lshlrev_b64 v[3:4], 1, v[4:5]
	v_add_co_u32 v3, vcc_lo, s16, v3
	s_delay_alu instid0(VALU_DEP_2)
	v_add_co_ci_u32_e32 v4, vcc_lo, s17, v4, vcc_lo
	v_add_co_u32 v1, vcc_lo, v1, s2
	v_add_co_ci_u32_e32 v2, vcc_lo, s3, v2, vcc_lo
	flat_load_u16 v3, v[3:4]
	flat_load_u16 v1, v[1:2]
	s_waitcnt vmcnt(1) lgkmcnt(1)
	v_lshlrev_b32_e32 v2, 16, v3
	s_waitcnt vmcnt(0) lgkmcnt(0)
	v_lshlrev_b32_e32 v1, 16, v1
	s_delay_alu instid0(VALU_DEP_1) | instskip(NEXT) | instid1(VALU_DEP_1)
	v_mul_f32_e32 v1, v1, v2
	v_and_b32_e32 v2, 0x7f800000, v1
	s_delay_alu instid0(VALU_DEP_1) | instskip(SKIP_1) | instid1(SALU_CYCLE_1)
	v_cmp_ne_u32_e32 vcc_lo, 0x7f800000, v2
                                        ; implicit-def: $vgpr2
	s_and_saveexec_b32 s2, vcc_lo
	s_xor_b32 s2, exec_lo, s2
; %bb.22:
	v_bfe_u32 v2, v1, 16, 1
	s_delay_alu instid0(VALU_DEP_1)
	v_add3_u32 v2, v1, v2, 0x7fff
                                        ; implicit-def: $vgpr1
; %bb.23:
	s_and_not1_saveexec_b32 s2, s2
; %bb.24:
	v_and_b32_e32 v2, 0xffff, v1
	v_or_b32_e32 v3, 0x10000, v1
	s_delay_alu instid0(VALU_DEP_2) | instskip(NEXT) | instid1(VALU_DEP_2)
	v_cmp_eq_u32_e32 vcc_lo, 0, v2
	v_cndmask_b32_e32 v2, v3, v1, vcc_lo
; %bb.25:
	s_or_b32 exec_lo, exec_lo, s2
	s_delay_alu instid0(VALU_DEP_1) | instskip(NEXT) | instid1(VALU_DEP_1)
	v_and_b32_e32 v1, 0xffff0000, v2
	v_add_f32_e32 v7, v7, v1
.LBB679_26:
	s_or_b32 exec_lo, exec_lo, s0
	v_and_b32_e32 v4, 31, v0
	v_cmp_gt_u32_e32 vcc_lo, 32, v0
	s_delay_alu instid0(VALU_DEP_2)
	v_lshlrev_b32_e32 v1, 2, v4
	s_and_saveexec_b32 s0, vcc_lo
	s_cbranch_execz .LBB679_28
; %bb.27:
	v_mov_b32_e32 v2, 0
	ds_store_b32 v1, v2
.LBB679_28:
	s_or_b32 exec_lo, exec_lo, s0
	v_mbcnt_lo_u32_b32 v5, -1, 0
	s_mov_b32 s2, exec_lo
	s_waitcnt lgkmcnt(0)
	s_barrier
	buffer_gl0_inv
	v_cmp_gt_u32_e64 s0, 16, v5
	s_delay_alu instid0(VALU_DEP_1) | instskip(SKIP_1) | instid1(VALU_DEP_2)
	v_cndmask_b32_e64 v2, 0, 1, s0
	v_cmp_gt_u32_e64 s0, 24, v5
	v_lshlrev_b32_e32 v2, 4, v2
	s_delay_alu instid0(VALU_DEP_2) | instskip(SKIP_1) | instid1(VALU_DEP_3)
	v_cndmask_b32_e64 v3, 0, 1, s0
	v_cmp_gt_u32_e64 s0, 28, v5
	v_add_lshl_u32 v2, v2, v5, 2
	ds_bpermute_b32 v2, v2, v7
	s_waitcnt lgkmcnt(0)
	v_dual_add_f32 v6, v7, v2 :: v_dual_lshlrev_b32 v3, 3, v3
	s_delay_alu instid0(VALU_DEP_1) | instskip(SKIP_4) | instid1(VALU_DEP_1)
	v_add_lshl_u32 v3, v3, v5, 2
	v_cndmask_b32_e64 v2, 0, 1, s0
	v_cmp_gt_u32_e64 s0, 30, v5
	ds_bpermute_b32 v3, v3, v6
	v_lshlrev_b32_e32 v2, 2, v2
	v_add_lshl_u32 v2, v2, v5, 2
	s_waitcnt lgkmcnt(0)
	v_add_f32_e32 v6, v6, v3
	v_cndmask_b32_e64 v3, 0, 1, s0
	v_cmp_ne_u32_e64 s0, 31, v5
	s_delay_alu instid0(VALU_DEP_2) | instskip(NEXT) | instid1(VALU_DEP_1)
	v_lshlrev_b32_e32 v3, 1, v3
	v_add_lshl_u32 v3, v3, v5, 2
	s_delay_alu instid0(VALU_DEP_3) | instskip(NEXT) | instid1(VALU_DEP_1)
	v_add_co_ci_u32_e64 v5, s0, 0, v5, s0
	v_lshlrev_b32_e32 v5, 2, v5
	ds_bpermute_b32 v7, v2, v6
	s_waitcnt lgkmcnt(0)
	v_add_f32_e32 v6, v6, v7
	ds_bpermute_b32 v7, v3, v6
	s_waitcnt lgkmcnt(0)
	v_add_f32_e32 v6, v6, v7
	ds_bpermute_b32 v7, v5, v6
	v_cmpx_eq_u32_e32 0, v4
	s_cbranch_execz .LBB679_30
; %bb.29:
	v_lshrrev_b32_e32 v4, 3, v0
	s_waitcnt lgkmcnt(0)
	v_add_f32_e32 v6, v6, v7
	s_delay_alu instid0(VALU_DEP_2)
	v_and_b32_e32 v4, 28, v4
	ds_store_b32 v4, v6
.LBB679_30:
	s_or_b32 exec_lo, exec_lo, s2
	v_mov_b32_e32 v4, 0
	s_mov_b32 s2, exec_lo
	s_waitcnt lgkmcnt(0)
	s_barrier
	buffer_gl0_inv
	v_cmpx_gt_u32_e32 8, v0
	s_cbranch_execz .LBB679_32
; %bb.31:
	ds_load_b32 v4, v1
.LBB679_32:
	s_or_b32 exec_lo, exec_lo, s2
	s_and_saveexec_b32 s0, vcc_lo
	s_cbranch_execz .LBB679_34
; %bb.33:
	s_waitcnt lgkmcnt(0)
	ds_bpermute_b32 v1, v2, v4
	s_waitcnt lgkmcnt(0)
	v_add_f32_e32 v1, v4, v1
	ds_bpermute_b32 v2, v3, v1
	s_waitcnt lgkmcnt(0)
	v_add_f32_e32 v1, v1, v2
	;; [unrolled: 3-line block ×3, first 2 shown]
.LBB679_34:
	s_or_b32 exec_lo, exec_lo, s0
	s_delay_alu instid0(SALU_CYCLE_1)
	s_mov_b32 s0, exec_lo
                                        ; implicit-def: $vgpr1
                                        ; implicit-def: $sgpr4_sgpr5
	v_cmpx_eq_u32_e32 0, v0
	s_cbranch_execz .LBB679_38
; %bb.35:
	v_cmp_eq_f32_e64 s4, s15, 0
	s_mul_i32 s2, s14, s13
	s_mul_hi_u32 s3, s14, s12
	s_waitcnt lgkmcnt(0)
	v_mul_f32_e32 v1, s28, v4
	s_add_i32 s2, s3, s2
	s_mul_i32 s1, s1, s12
	s_and_b32 vcc_lo, exec_lo, s4
	s_add_i32 s5, s2, s1
	s_mul_i32 s4, s14, s12
	s_cbranch_vccnz .LBB679_37
; %bb.36:
	s_lshl_b64 s[2:3], s[4:5], 2
	s_delay_alu instid0(SALU_CYCLE_1)
	s_add_u32 s2, s6, s2
	s_addc_u32 s3, s7, s3
	s_load_b32 s1, s[2:3], 0x0
	s_waitcnt lgkmcnt(0)
	v_fmac_f32_e64 v1, s15, s1
.LBB679_37:
	s_or_b32 s8, s8, exec_lo
.LBB679_38:
	s_or_b32 exec_lo, exec_lo, s0
.LBB679_39:
	s_and_saveexec_b32 s0, s8
	s_cbranch_execz .LBB679_41
; %bb.40:
	s_lshl_b64 s[0:1], s[4:5], 2
	v_mov_b32_e32 v0, 0
	s_add_u32 s0, s6, s0
	s_addc_u32 s1, s7, s1
	global_store_b32 v0, v1, s[0:1]
.LBB679_41:
	s_nop 0
	s_sendmsg sendmsg(MSG_DEALLOC_VGPRS)
	s_endpgm
	.section	.rodata,"a",@progbits
	.p2align	6, 0x0
	.amdhsa_kernel _ZL32rocblas_gemvt_warp_reduce_kernelILb0ELi256ElPK16rocblas_bfloat16PKfKPfEviiT3_lPKT2_lT1_lSA_lSB_lS7_lPT4_lSB_li
		.amdhsa_group_segment_fixed_size 128
		.amdhsa_private_segment_fixed_size 0
		.amdhsa_kernarg_size 140
		.amdhsa_user_sgpr_count 14
		.amdhsa_user_sgpr_dispatch_ptr 0
		.amdhsa_user_sgpr_queue_ptr 0
		.amdhsa_user_sgpr_kernarg_segment_ptr 1
		.amdhsa_user_sgpr_dispatch_id 0
		.amdhsa_user_sgpr_private_segment_size 0
		.amdhsa_wavefront_size32 1
		.amdhsa_uses_dynamic_stack 0
		.amdhsa_enable_private_segment 0
		.amdhsa_system_sgpr_workgroup_id_x 1
		.amdhsa_system_sgpr_workgroup_id_y 0
		.amdhsa_system_sgpr_workgroup_id_z 1
		.amdhsa_system_sgpr_workgroup_info 0
		.amdhsa_system_vgpr_workitem_id 0
		.amdhsa_next_free_vgpr 12
		.amdhsa_next_free_sgpr 31
		.amdhsa_reserve_vcc 1
		.amdhsa_float_round_mode_32 0
		.amdhsa_float_round_mode_16_64 0
		.amdhsa_float_denorm_mode_32 3
		.amdhsa_float_denorm_mode_16_64 3
		.amdhsa_dx10_clamp 1
		.amdhsa_ieee_mode 1
		.amdhsa_fp16_overflow 0
		.amdhsa_workgroup_processor_mode 1
		.amdhsa_memory_ordered 1
		.amdhsa_forward_progress 0
		.amdhsa_shared_vgpr_count 0
		.amdhsa_exception_fp_ieee_invalid_op 0
		.amdhsa_exception_fp_denorm_src 0
		.amdhsa_exception_fp_ieee_div_zero 0
		.amdhsa_exception_fp_ieee_overflow 0
		.amdhsa_exception_fp_ieee_underflow 0
		.amdhsa_exception_fp_ieee_inexact 0
		.amdhsa_exception_int_div_zero 0
	.end_amdhsa_kernel
	.section	.text._ZL32rocblas_gemvt_warp_reduce_kernelILb0ELi256ElPK16rocblas_bfloat16PKfKPfEviiT3_lPKT2_lT1_lSA_lSB_lS7_lPT4_lSB_li,"axG",@progbits,_ZL32rocblas_gemvt_warp_reduce_kernelILb0ELi256ElPK16rocblas_bfloat16PKfKPfEviiT3_lPKT2_lT1_lSA_lSB_lS7_lPT4_lSB_li,comdat
.Lfunc_end679:
	.size	_ZL32rocblas_gemvt_warp_reduce_kernelILb0ELi256ElPK16rocblas_bfloat16PKfKPfEviiT3_lPKT2_lT1_lSA_lSB_lS7_lPT4_lSB_li, .Lfunc_end679-_ZL32rocblas_gemvt_warp_reduce_kernelILb0ELi256ElPK16rocblas_bfloat16PKfKPfEviiT3_lPKT2_lT1_lSA_lSB_lS7_lPT4_lSB_li
                                        ; -- End function
	.section	.AMDGPU.csdata,"",@progbits
; Kernel info:
; codeLenInByte = 1804
; NumSgprs: 33
; NumVgprs: 12
; ScratchSize: 0
; MemoryBound: 0
; FloatMode: 240
; IeeeMode: 1
; LDSByteSize: 128 bytes/workgroup (compile time only)
; SGPRBlocks: 4
; VGPRBlocks: 1
; NumSGPRsForWavesPerEU: 33
; NumVGPRsForWavesPerEU: 12
; Occupancy: 16
; WaveLimiterHint : 1
; COMPUTE_PGM_RSRC2:SCRATCH_EN: 0
; COMPUTE_PGM_RSRC2:USER_SGPR: 14
; COMPUTE_PGM_RSRC2:TRAP_HANDLER: 0
; COMPUTE_PGM_RSRC2:TGID_X_EN: 1
; COMPUTE_PGM_RSRC2:TGID_Y_EN: 0
; COMPUTE_PGM_RSRC2:TGID_Z_EN: 1
; COMPUTE_PGM_RSRC2:TIDIG_COMP_CNT: 0
	.section	.text._ZL32rocblas_gemvt_warp_reduce_kernelILb0ELi256EiPK16rocblas_bfloat16fKPfEviiT3_lPKT2_lT1_lS8_lS9_lS5_lPT4_lS9_li,"axG",@progbits,_ZL32rocblas_gemvt_warp_reduce_kernelILb0ELi256EiPK16rocblas_bfloat16fKPfEviiT3_lPKT2_lT1_lS8_lS9_lS5_lPT4_lS9_li,comdat
	.globl	_ZL32rocblas_gemvt_warp_reduce_kernelILb0ELi256EiPK16rocblas_bfloat16fKPfEviiT3_lPKT2_lT1_lS8_lS9_lS5_lPT4_lS9_li ; -- Begin function _ZL32rocblas_gemvt_warp_reduce_kernelILb0ELi256EiPK16rocblas_bfloat16fKPfEviiT3_lPKT2_lT1_lS8_lS9_lS5_lPT4_lS9_li
	.p2align	8
	.type	_ZL32rocblas_gemvt_warp_reduce_kernelILb0ELi256EiPK16rocblas_bfloat16fKPfEviiT3_lPKT2_lT1_lS8_lS9_lS5_lPT4_lS9_li,@function
_ZL32rocblas_gemvt_warp_reduce_kernelILb0ELi256EiPK16rocblas_bfloat16fKPfEviiT3_lPKT2_lT1_lS8_lS9_lS5_lPT4_lS9_li: ; @_ZL32rocblas_gemvt_warp_reduce_kernelILb0ELi256EiPK16rocblas_bfloat16fKPfEviiT3_lPKT2_lT1_lS8_lS9_lS5_lPT4_lS9_li
; %bb.0:
	s_clause 0x1
	s_load_b32 s11, s[0:1], 0x8
	s_load_b32 s10, s[0:1], 0x58
	s_waitcnt lgkmcnt(0)
	v_cmp_eq_f32_e64 s8, s11, 0
	v_cmp_eq_f32_e64 s3, s10, 1.0
	s_delay_alu instid0(VALU_DEP_1) | instskip(NEXT) | instid1(SALU_CYCLE_1)
	s_and_b32 s3, s8, s3
	s_and_b32 vcc_lo, exec_lo, s3
	s_cbranch_vccnz .LBB680_44
; %bb.1:
	v_cmp_neq_f32_e64 s4, s11, 0
	s_mov_b32 s2, s15
	s_delay_alu instid0(VALU_DEP_1)
	s_and_b32 vcc_lo, exec_lo, s4
	s_cbranch_vccnz .LBB680_3
; %bb.2:
	s_mov_b32 s3, 0
	s_mov_b64 s[6:7], 0
	s_cbranch_execz .LBB680_4
	s_branch .LBB680_5
.LBB680_3:
	s_mov_b32 s3, -1
                                        ; implicit-def: $sgpr6_sgpr7
.LBB680_4:
	s_load_b128 s[16:19], s[0:1], 0x18
	s_mov_b32 s3, 0
	s_delay_alu instid0(SALU_CYCLE_1)
	s_lshl_b64 s[6:7], s[2:3], 3
	s_waitcnt lgkmcnt(0)
	s_add_u32 s6, s16, s6
	s_addc_u32 s7, s17, s7
	s_lshl_b64 s[12:13], s[18:19], 1
	s_load_b64 s[6:7], s[6:7], 0x0
	s_waitcnt lgkmcnt(0)
	s_add_u32 s6, s6, s12
	s_addc_u32 s7, s7, s13
.LBB680_5:
	s_and_not1_b32 vcc_lo, exec_lo, s4
	s_cbranch_vccnz .LBB680_7
; %bb.6:
	s_load_b128 s[16:19], s[0:1], 0x38
	s_lshl_b64 s[4:5], s[2:3], 3
	s_waitcnt lgkmcnt(0)
	s_add_u32 s4, s16, s4
	s_addc_u32 s5, s17, s5
	s_lshl_b64 s[12:13], s[18:19], 1
	s_load_b64 s[4:5], s[4:5], 0x0
	s_waitcnt lgkmcnt(0)
	s_add_u32 s4, s4, s12
	s_addc_u32 s5, s5, s13
	s_branch .LBB680_8
.LBB680_7:
	s_mov_b64 s[4:5], 0
.LBB680_8:
	s_clause 0x1
	s_load_b128 s[16:19], s[0:1], 0x68
	s_load_b32 s15, s[0:1], 0x78
	s_lshl_b64 s[2:3], s[2:3], 3
	s_waitcnt lgkmcnt(0)
	s_add_u32 s2, s16, s2
	s_addc_u32 s3, s17, s3
	s_lshl_b64 s[16:17], s[18:19], 2
	s_load_b64 s[12:13], s[2:3], 0x0
	v_cmp_eq_u32_e64 s2, 0, v0
	s_waitcnt lgkmcnt(0)
	s_add_u32 s12, s12, s16
	s_addc_u32 s13, s13, s17
	s_and_not1_b32 vcc_lo, exec_lo, s8
	s_cbranch_vccnz .LBB680_13
; %bb.9:
	s_mov_b32 s3, 0
	s_mov_b32 s16, 0
                                        ; implicit-def: $vgpr1
                                        ; implicit-def: $sgpr8_sgpr9
	s_and_saveexec_b32 s17, s2
	s_cbranch_execz .LBB680_14
; %bb.10:
	v_cmp_eq_f32_e64 s2, s10, 0
	v_mov_b32_e32 v1, 0
	s_mul_i32 s8, s14, s15
	s_delay_alu instid0(SALU_CYCLE_1) | instskip(NEXT) | instid1(VALU_DEP_2)
	s_ashr_i32 s9, s8, 31
	s_and_b32 vcc_lo, exec_lo, s2
	s_cbranch_vccnz .LBB680_12
; %bb.11:
	s_lshl_b64 s[18:19], s[8:9], 2
	s_delay_alu instid0(SALU_CYCLE_1)
	s_add_u32 s18, s12, s18
	s_addc_u32 s19, s13, s19
	s_load_b32 s2, s[18:19], 0x0
	s_waitcnt lgkmcnt(0)
	v_mul_f32_e64 v1, s2, s10
.LBB680_12:
	s_mov_b32 s16, exec_lo
	s_or_b32 exec_lo, exec_lo, s17
	s_delay_alu instid0(SALU_CYCLE_1)
	s_and_b32 vcc_lo, exec_lo, s3
	s_cbranch_vccnz .LBB680_15
	s_branch .LBB680_42
.LBB680_13:
	s_mov_b32 s16, 0
                                        ; implicit-def: $vgpr1
                                        ; implicit-def: $sgpr8_sgpr9
	s_cbranch_execnz .LBB680_15
	s_branch .LBB680_42
.LBB680_14:
	s_or_b32 exec_lo, exec_lo, s17
	s_delay_alu instid0(SALU_CYCLE_1)
	s_and_b32 vcc_lo, exec_lo, s3
	s_cbranch_vccz .LBB680_42
.LBB680_15:
	s_clause 0x2
	s_load_b32 s2, s[0:1], 0x28
	s_load_b32 s3, s[0:1], 0x0
	;; [unrolled: 1-line block ×3, first 2 shown]
	v_mov_b32_e32 v7, 0
	s_waitcnt lgkmcnt(0)
	s_mul_i32 s8, s14, s2
	v_cmp_gt_i32_e32 vcc_lo, s3, v0
	s_ashr_i32 s9, s8, 31
	s_delay_alu instid0(SALU_CYCLE_1)
	s_lshl_b64 s[8:9], s[8:9], 1
	v_cndmask_b32_e32 v1, 0, v0, vcc_lo
	s_add_u32 s0, s8, s6
	s_addc_u32 s6, s9, s7
	s_ashr_i32 s2, s3, 31
	s_mov_b32 s7, 0
	v_lshlrev_b32_e32 v1, 1, v1
	s_lshr_b32 s2, s2, 24
	s_delay_alu instid0(SALU_CYCLE_1) | instskip(NEXT) | instid1(SALU_CYCLE_1)
	s_add_i32 s2, s3, s2
	s_and_b32 s2, s2, 0xffffff00
	s_delay_alu instid0(VALU_DEP_1) | instskip(NEXT) | instid1(VALU_DEP_1)
	v_add_co_u32 v1, s0, s0, v1
	v_add_co_ci_u32_e64 v2, null, s6, 0, s0
	s_mov_b32 s6, exec_lo
	v_cmpx_gt_i32_e64 s2, v0
	s_cbranch_execz .LBB680_23
; %bb.16:
	v_mul_lo_u32 v3, v0, s1
	v_dual_mov_b32 v7, 0 :: v_dual_mov_b32 v6, v2
	v_dual_mov_b32 v5, v1 :: v_dual_mov_b32 v8, v0
	s_lshl_b32 s8, s1, 8
	s_branch .LBB680_18
.LBB680_17:                             ;   in Loop: Header=BB680_18 Depth=1
	s_or_b32 exec_lo, exec_lo, s0
	v_add_nc_u32_e32 v8, 0x100, v8
	s_delay_alu instid0(VALU_DEP_2) | instskip(SKIP_1) | instid1(VALU_DEP_1)
	v_and_b32_e32 v4, 0xffff0000, v9
	v_add_co_u32 v5, s0, 0x200, v5
	v_add_co_ci_u32_e64 v6, s0, 0, v6, s0
	s_delay_alu instid0(VALU_DEP_4) | instskip(NEXT) | instid1(VALU_DEP_4)
	v_cmp_le_i32_e32 vcc_lo, s2, v8
	v_add_f32_e32 v7, v7, v4
	v_add_nc_u32_e32 v3, s8, v3
	s_or_b32 s7, vcc_lo, s7
	s_delay_alu instid0(SALU_CYCLE_1)
	s_and_not1_b32 exec_lo, exec_lo, s7
	s_cbranch_execz .LBB680_22
.LBB680_18:                             ; =>This Inner Loop Header: Depth=1
	s_delay_alu instid0(VALU_DEP_1) | instskip(NEXT) | instid1(VALU_DEP_1)
	v_ashrrev_i32_e32 v4, 31, v3
	v_lshlrev_b64 v[9:10], 1, v[3:4]
	s_delay_alu instid0(VALU_DEP_1) | instskip(NEXT) | instid1(VALU_DEP_2)
	v_add_co_u32 v9, vcc_lo, s4, v9
	v_add_co_ci_u32_e32 v10, vcc_lo, s5, v10, vcc_lo
	flat_load_u16 v4, v[5:6]
	flat_load_u16 v9, v[9:10]
	s_waitcnt vmcnt(1) lgkmcnt(1)
	v_lshlrev_b32_e32 v4, 16, v4
	s_waitcnt vmcnt(0) lgkmcnt(0)
	v_lshlrev_b32_e32 v9, 16, v9
	s_delay_alu instid0(VALU_DEP_1) | instskip(NEXT) | instid1(VALU_DEP_1)
	v_mul_f32_e32 v4, v4, v9
	v_and_b32_e32 v9, 0x7f800000, v4
	s_delay_alu instid0(VALU_DEP_1) | instskip(SKIP_1) | instid1(SALU_CYCLE_1)
	v_cmp_ne_u32_e32 vcc_lo, 0x7f800000, v9
                                        ; implicit-def: $vgpr9
	s_and_saveexec_b32 s0, vcc_lo
	s_xor_b32 s0, exec_lo, s0
; %bb.19:                               ;   in Loop: Header=BB680_18 Depth=1
	v_bfe_u32 v9, v4, 16, 1
	s_delay_alu instid0(VALU_DEP_1)
	v_add3_u32 v9, v4, v9, 0x7fff
                                        ; implicit-def: $vgpr4
; %bb.20:                               ;   in Loop: Header=BB680_18 Depth=1
	s_and_not1_saveexec_b32 s0, s0
	s_cbranch_execz .LBB680_17
; %bb.21:                               ;   in Loop: Header=BB680_18 Depth=1
	v_and_b32_e32 v9, 0xffff, v4
	v_or_b32_e32 v10, 0x10000, v4
	s_delay_alu instid0(VALU_DEP_2) | instskip(NEXT) | instid1(VALU_DEP_2)
	v_cmp_eq_u32_e32 vcc_lo, 0, v9
	v_cndmask_b32_e32 v9, v10, v4, vcc_lo
	s_branch .LBB680_17
.LBB680_22:
	s_or_b32 exec_lo, exec_lo, s7
.LBB680_23:
	s_delay_alu instid0(SALU_CYCLE_1) | instskip(SKIP_2) | instid1(VALU_DEP_1)
	s_or_b32 exec_lo, exec_lo, s6
	v_add_nc_u32_e32 v3, s2, v0
	s_mov_b32 s0, exec_lo
	v_cmpx_gt_i32_e64 s3, v3
	s_cbranch_execz .LBB680_29
; %bb.24:
	v_mul_lo_u32 v3, v3, s1
	s_ashr_i32 s3, s2, 31
	s_delay_alu instid0(SALU_CYCLE_1) | instskip(NEXT) | instid1(VALU_DEP_1)
	s_lshl_b64 s[2:3], s[2:3], 1
	v_ashrrev_i32_e32 v4, 31, v3
	s_delay_alu instid0(VALU_DEP_1) | instskip(NEXT) | instid1(VALU_DEP_1)
	v_lshlrev_b64 v[3:4], 1, v[3:4]
	v_add_co_u32 v3, vcc_lo, s4, v3
	s_delay_alu instid0(VALU_DEP_2)
	v_add_co_ci_u32_e32 v4, vcc_lo, s5, v4, vcc_lo
	v_add_co_u32 v1, vcc_lo, v1, s2
	v_add_co_ci_u32_e32 v2, vcc_lo, s3, v2, vcc_lo
	flat_load_u16 v3, v[3:4]
	flat_load_u16 v1, v[1:2]
	s_waitcnt vmcnt(1) lgkmcnt(1)
	v_lshlrev_b32_e32 v2, 16, v3
	s_waitcnt vmcnt(0) lgkmcnt(0)
	v_lshlrev_b32_e32 v1, 16, v1
	s_delay_alu instid0(VALU_DEP_1) | instskip(NEXT) | instid1(VALU_DEP_1)
	v_mul_f32_e32 v1, v1, v2
	v_and_b32_e32 v2, 0x7f800000, v1
	s_delay_alu instid0(VALU_DEP_1) | instskip(SKIP_1) | instid1(SALU_CYCLE_1)
	v_cmp_ne_u32_e32 vcc_lo, 0x7f800000, v2
                                        ; implicit-def: $vgpr2
	s_and_saveexec_b32 s1, vcc_lo
	s_xor_b32 s1, exec_lo, s1
; %bb.25:
	v_bfe_u32 v2, v1, 16, 1
	s_delay_alu instid0(VALU_DEP_1)
	v_add3_u32 v2, v1, v2, 0x7fff
                                        ; implicit-def: $vgpr1
; %bb.26:
	s_and_not1_saveexec_b32 s1, s1
; %bb.27:
	v_and_b32_e32 v2, 0xffff, v1
	v_or_b32_e32 v3, 0x10000, v1
	s_delay_alu instid0(VALU_DEP_2) | instskip(NEXT) | instid1(VALU_DEP_2)
	v_cmp_eq_u32_e32 vcc_lo, 0, v2
	v_cndmask_b32_e32 v2, v3, v1, vcc_lo
; %bb.28:
	s_or_b32 exec_lo, exec_lo, s1
	s_delay_alu instid0(VALU_DEP_1) | instskip(NEXT) | instid1(VALU_DEP_1)
	v_and_b32_e32 v1, 0xffff0000, v2
	v_add_f32_e32 v7, v7, v1
.LBB680_29:
	s_or_b32 exec_lo, exec_lo, s0
	v_and_b32_e32 v4, 31, v0
	v_cmp_gt_u32_e32 vcc_lo, 32, v0
	s_delay_alu instid0(VALU_DEP_2)
	v_lshlrev_b32_e32 v1, 2, v4
	s_and_saveexec_b32 s0, vcc_lo
	s_cbranch_execz .LBB680_31
; %bb.30:
	v_mov_b32_e32 v2, 0
	ds_store_b32 v1, v2
.LBB680_31:
	s_or_b32 exec_lo, exec_lo, s0
	v_mbcnt_lo_u32_b32 v5, -1, 0
	s_mov_b32 s1, exec_lo
	s_waitcnt lgkmcnt(0)
	s_barrier
	buffer_gl0_inv
	v_cmp_gt_u32_e64 s0, 16, v5
	s_delay_alu instid0(VALU_DEP_1) | instskip(SKIP_1) | instid1(VALU_DEP_2)
	v_cndmask_b32_e64 v2, 0, 1, s0
	v_cmp_gt_u32_e64 s0, 24, v5
	v_lshlrev_b32_e32 v2, 4, v2
	s_delay_alu instid0(VALU_DEP_2) | instskip(SKIP_1) | instid1(VALU_DEP_3)
	v_cndmask_b32_e64 v3, 0, 1, s0
	v_cmp_gt_u32_e64 s0, 28, v5
	v_add_lshl_u32 v2, v2, v5, 2
	ds_bpermute_b32 v2, v2, v7
	s_waitcnt lgkmcnt(0)
	v_dual_add_f32 v6, v7, v2 :: v_dual_lshlrev_b32 v3, 3, v3
	s_delay_alu instid0(VALU_DEP_1) | instskip(SKIP_4) | instid1(VALU_DEP_1)
	v_add_lshl_u32 v3, v3, v5, 2
	v_cndmask_b32_e64 v2, 0, 1, s0
	v_cmp_gt_u32_e64 s0, 30, v5
	ds_bpermute_b32 v3, v3, v6
	v_lshlrev_b32_e32 v2, 2, v2
	v_add_lshl_u32 v2, v2, v5, 2
	s_waitcnt lgkmcnt(0)
	v_add_f32_e32 v6, v6, v3
	v_cndmask_b32_e64 v3, 0, 1, s0
	v_cmp_ne_u32_e64 s0, 31, v5
	s_delay_alu instid0(VALU_DEP_2) | instskip(NEXT) | instid1(VALU_DEP_1)
	v_lshlrev_b32_e32 v3, 1, v3
	v_add_lshl_u32 v3, v3, v5, 2
	s_delay_alu instid0(VALU_DEP_3) | instskip(NEXT) | instid1(VALU_DEP_1)
	v_add_co_ci_u32_e64 v5, s0, 0, v5, s0
	v_lshlrev_b32_e32 v5, 2, v5
	ds_bpermute_b32 v7, v2, v6
	s_waitcnt lgkmcnt(0)
	v_add_f32_e32 v6, v6, v7
	ds_bpermute_b32 v7, v3, v6
	s_waitcnt lgkmcnt(0)
	v_add_f32_e32 v6, v6, v7
	ds_bpermute_b32 v7, v5, v6
	v_cmpx_eq_u32_e32 0, v4
	s_cbranch_execz .LBB680_33
; %bb.32:
	v_lshrrev_b32_e32 v4, 3, v0
	s_waitcnt lgkmcnt(0)
	v_add_f32_e32 v6, v6, v7
	s_delay_alu instid0(VALU_DEP_2)
	v_and_b32_e32 v4, 28, v4
	ds_store_b32 v4, v6
.LBB680_33:
	s_or_b32 exec_lo, exec_lo, s1
	v_mov_b32_e32 v4, 0
	s_mov_b32 s1, exec_lo
	s_waitcnt lgkmcnt(0)
	s_barrier
	buffer_gl0_inv
	v_cmpx_gt_u32_e32 8, v0
	s_cbranch_execz .LBB680_35
; %bb.34:
	ds_load_b32 v4, v1
.LBB680_35:
	s_or_b32 exec_lo, exec_lo, s1
	s_and_saveexec_b32 s0, vcc_lo
	s_cbranch_execz .LBB680_37
; %bb.36:
	s_waitcnt lgkmcnt(0)
	ds_bpermute_b32 v1, v2, v4
	s_waitcnt lgkmcnt(0)
	v_add_f32_e32 v1, v4, v1
	ds_bpermute_b32 v2, v3, v1
	s_waitcnt lgkmcnt(0)
	v_add_f32_e32 v1, v1, v2
	;; [unrolled: 3-line block ×3, first 2 shown]
.LBB680_37:
	s_or_b32 exec_lo, exec_lo, s0
	s_delay_alu instid0(SALU_CYCLE_1)
	s_mov_b32 s0, exec_lo
                                        ; implicit-def: $vgpr1
                                        ; implicit-def: $sgpr8_sgpr9
	v_cmpx_eq_u32_e32 0, v0
	s_cbranch_execz .LBB680_41
; %bb.38:
	v_cmp_eq_f32_e64 s1, s10, 0
	s_waitcnt lgkmcnt(0)
	v_mul_f32_e32 v1, s11, v4
	s_mul_i32 s8, s14, s15
	s_delay_alu instid0(SALU_CYCLE_1)
	s_ashr_i32 s9, s8, 31
	s_and_b32 vcc_lo, exec_lo, s1
	s_cbranch_vccnz .LBB680_40
; %bb.39:
	s_lshl_b64 s[2:3], s[8:9], 2
	s_delay_alu instid0(SALU_CYCLE_1)
	s_add_u32 s2, s12, s2
	s_addc_u32 s3, s13, s3
	s_load_b32 s1, s[2:3], 0x0
	s_waitcnt lgkmcnt(0)
	v_fmac_f32_e64 v1, s1, s10
.LBB680_40:
	s_or_b32 s16, s16, exec_lo
.LBB680_41:
	s_or_b32 exec_lo, exec_lo, s0
.LBB680_42:
	s_and_saveexec_b32 s0, s16
	s_cbranch_execz .LBB680_44
; %bb.43:
	s_lshl_b64 s[0:1], s[8:9], 2
	v_mov_b32_e32 v0, 0
	s_add_u32 s0, s12, s0
	s_addc_u32 s1, s13, s1
	global_store_b32 v0, v1, s[0:1]
.LBB680_44:
	s_nop 0
	s_sendmsg sendmsg(MSG_DEALLOC_VGPRS)
	s_endpgm
	.section	.rodata,"a",@progbits
	.p2align	6, 0x0
	.amdhsa_kernel _ZL32rocblas_gemvt_warp_reduce_kernelILb0ELi256EiPK16rocblas_bfloat16fKPfEviiT3_lPKT2_lT1_lS8_lS9_lS5_lPT4_lS9_li
		.amdhsa_group_segment_fixed_size 128
		.amdhsa_private_segment_fixed_size 0
		.amdhsa_kernarg_size 140
		.amdhsa_user_sgpr_count 14
		.amdhsa_user_sgpr_dispatch_ptr 0
		.amdhsa_user_sgpr_queue_ptr 0
		.amdhsa_user_sgpr_kernarg_segment_ptr 1
		.amdhsa_user_sgpr_dispatch_id 0
		.amdhsa_user_sgpr_private_segment_size 0
		.amdhsa_wavefront_size32 1
		.amdhsa_uses_dynamic_stack 0
		.amdhsa_enable_private_segment 0
		.amdhsa_system_sgpr_workgroup_id_x 1
		.amdhsa_system_sgpr_workgroup_id_y 0
		.amdhsa_system_sgpr_workgroup_id_z 1
		.amdhsa_system_sgpr_workgroup_info 0
		.amdhsa_system_vgpr_workitem_id 0
		.amdhsa_next_free_vgpr 11
		.amdhsa_next_free_sgpr 20
		.amdhsa_reserve_vcc 1
		.amdhsa_float_round_mode_32 0
		.amdhsa_float_round_mode_16_64 0
		.amdhsa_float_denorm_mode_32 3
		.amdhsa_float_denorm_mode_16_64 3
		.amdhsa_dx10_clamp 1
		.amdhsa_ieee_mode 1
		.amdhsa_fp16_overflow 0
		.amdhsa_workgroup_processor_mode 1
		.amdhsa_memory_ordered 1
		.amdhsa_forward_progress 0
		.amdhsa_shared_vgpr_count 0
		.amdhsa_exception_fp_ieee_invalid_op 0
		.amdhsa_exception_fp_denorm_src 0
		.amdhsa_exception_fp_ieee_div_zero 0
		.amdhsa_exception_fp_ieee_overflow 0
		.amdhsa_exception_fp_ieee_underflow 0
		.amdhsa_exception_fp_ieee_inexact 0
		.amdhsa_exception_int_div_zero 0
	.end_amdhsa_kernel
	.section	.text._ZL32rocblas_gemvt_warp_reduce_kernelILb0ELi256EiPK16rocblas_bfloat16fKPfEviiT3_lPKT2_lT1_lS8_lS9_lS5_lPT4_lS9_li,"axG",@progbits,_ZL32rocblas_gemvt_warp_reduce_kernelILb0ELi256EiPK16rocblas_bfloat16fKPfEviiT3_lPKT2_lT1_lS8_lS9_lS5_lPT4_lS9_li,comdat
.Lfunc_end680:
	.size	_ZL32rocblas_gemvt_warp_reduce_kernelILb0ELi256EiPK16rocblas_bfloat16fKPfEviiT3_lPKT2_lT1_lS8_lS9_lS5_lPT4_lS9_li, .Lfunc_end680-_ZL32rocblas_gemvt_warp_reduce_kernelILb0ELi256EiPK16rocblas_bfloat16fKPfEviiT3_lPKT2_lT1_lS8_lS9_lS5_lPT4_lS9_li
                                        ; -- End function
	.section	.AMDGPU.csdata,"",@progbits
; Kernel info:
; codeLenInByte = 1664
; NumSgprs: 22
; NumVgprs: 11
; ScratchSize: 0
; MemoryBound: 0
; FloatMode: 240
; IeeeMode: 1
; LDSByteSize: 128 bytes/workgroup (compile time only)
; SGPRBlocks: 2
; VGPRBlocks: 1
; NumSGPRsForWavesPerEU: 22
; NumVGPRsForWavesPerEU: 11
; Occupancy: 16
; WaveLimiterHint : 1
; COMPUTE_PGM_RSRC2:SCRATCH_EN: 0
; COMPUTE_PGM_RSRC2:USER_SGPR: 14
; COMPUTE_PGM_RSRC2:TRAP_HANDLER: 0
; COMPUTE_PGM_RSRC2:TGID_X_EN: 1
; COMPUTE_PGM_RSRC2:TGID_Y_EN: 0
; COMPUTE_PGM_RSRC2:TGID_Z_EN: 1
; COMPUTE_PGM_RSRC2:TIDIG_COMP_CNT: 0
	.section	.text._ZL32rocblas_gemvt_warp_reduce_kernelILb0ELi256ElPK16rocblas_bfloat16fKPfEviiT3_lPKT2_lT1_lS8_lS9_lS5_lPT4_lS9_li,"axG",@progbits,_ZL32rocblas_gemvt_warp_reduce_kernelILb0ELi256ElPK16rocblas_bfloat16fKPfEviiT3_lPKT2_lT1_lS8_lS9_lS5_lPT4_lS9_li,comdat
	.globl	_ZL32rocblas_gemvt_warp_reduce_kernelILb0ELi256ElPK16rocblas_bfloat16fKPfEviiT3_lPKT2_lT1_lS8_lS9_lS5_lPT4_lS9_li ; -- Begin function _ZL32rocblas_gemvt_warp_reduce_kernelILb0ELi256ElPK16rocblas_bfloat16fKPfEviiT3_lPKT2_lT1_lS8_lS9_lS5_lPT4_lS9_li
	.p2align	8
	.type	_ZL32rocblas_gemvt_warp_reduce_kernelILb0ELi256ElPK16rocblas_bfloat16fKPfEviiT3_lPKT2_lT1_lS8_lS9_lS5_lPT4_lS9_li,@function
_ZL32rocblas_gemvt_warp_reduce_kernelILb0ELi256ElPK16rocblas_bfloat16fKPfEviiT3_lPKT2_lT1_lS8_lS9_lS5_lPT4_lS9_li: ; @_ZL32rocblas_gemvt_warp_reduce_kernelILb0ELi256ElPK16rocblas_bfloat16fKPfEviiT3_lPKT2_lT1_lS8_lS9_lS5_lPT4_lS9_li
; %bb.0:
	s_mov_b32 s2, s15
	s_clause 0x1
	s_load_b32 s18, s[0:1], 0x8
	s_load_b32 s15, s[0:1], 0x58
	s_waitcnt lgkmcnt(0)
	v_cmp_eq_f32_e64 s16, s18, 0
	v_cmp_eq_f32_e64 s3, s15, 1.0
	s_delay_alu instid0(VALU_DEP_1) | instskip(NEXT) | instid1(SALU_CYCLE_1)
	s_and_b32 s3, s16, s3
	s_and_b32 vcc_lo, exec_lo, s3
	s_cbranch_vccnz .LBB681_44
; %bb.1:
	s_clause 0x1
	s_load_b128 s[4:7], s[0:1], 0x18
	s_load_b64 s[10:11], s[0:1], 0x28
	v_cmp_neq_f32_e64 s17, s18, 0
	s_delay_alu instid0(VALU_DEP_1)
	s_and_b32 vcc_lo, exec_lo, s17
	s_cbranch_vccnz .LBB681_3
; %bb.2:
	s_mov_b32 s3, 0
	s_mov_b64 s[12:13], 0
	s_cbranch_execz .LBB681_4
	s_branch .LBB681_5
.LBB681_3:
	s_mov_b32 s3, -1
                                        ; implicit-def: $sgpr12_sgpr13
.LBB681_4:
	s_mov_b32 s3, 0
	s_delay_alu instid0(SALU_CYCLE_1)
	s_lshl_b64 s[8:9], s[2:3], 3
	s_waitcnt lgkmcnt(0)
	s_add_u32 s4, s4, s8
	s_addc_u32 s5, s5, s9
	s_lshl_b64 s[6:7], s[6:7], 1
	s_load_b64 s[4:5], s[4:5], 0x0
	s_waitcnt lgkmcnt(0)
	s_add_u32 s12, s4, s6
	s_addc_u32 s13, s5, s7
.LBB681_5:
	s_waitcnt lgkmcnt(0)
	s_clause 0x1
	s_load_b128 s[4:7], s[0:1], 0x38
	s_load_b64 s[8:9], s[0:1], 0x48
	s_and_not1_b32 vcc_lo, exec_lo, s17
	s_cbranch_vccnz .LBB681_7
; %bb.6:
	s_lshl_b64 s[20:21], s[2:3], 3
	s_waitcnt lgkmcnt(0)
	s_add_u32 s4, s4, s20
	s_addc_u32 s5, s5, s21
	s_lshl_b64 s[6:7], s[6:7], 1
	s_load_b64 s[4:5], s[4:5], 0x0
	s_waitcnt lgkmcnt(0)
	s_add_u32 s6, s4, s6
	s_addc_u32 s7, s5, s7
	s_branch .LBB681_8
.LBB681_7:
	s_waitcnt lgkmcnt(0)
	s_mov_b64 s[6:7], 0
.LBB681_8:
	s_clause 0x1
	s_load_b128 s[20:23], s[0:1], 0x68
	s_load_b64 s[4:5], s[0:1], 0x78
	s_lshl_b64 s[2:3], s[2:3], 3
	s_waitcnt lgkmcnt(0)
	s_add_u32 s2, s20, s2
	s_addc_u32 s3, s21, s3
	s_lshl_b64 s[22:23], s[22:23], 2
	s_load_b64 s[20:21], s[2:3], 0x0
	v_cmp_eq_u32_e64 s2, 0, v0
	s_waitcnt lgkmcnt(0)
	s_add_u32 s19, s20, s22
	s_addc_u32 s20, s21, s23
	s_and_not1_b32 vcc_lo, exec_lo, s16
	s_cbranch_vccnz .LBB681_13
; %bb.9:
	s_mov_b32 s3, 0
	s_mov_b32 s21, 0
                                        ; implicit-def: $vgpr1
                                        ; implicit-def: $sgpr16_sgpr17
	s_and_saveexec_b32 s22, s2
	s_cbranch_execz .LBB681_14
; %bb.10:
	v_cmp_eq_f32_e64 s2, s15, 0
	s_mul_i32 s16, s14, s5
	s_mul_hi_u32 s17, s14, s4
	s_ashr_i32 s21, s14, 31
	v_mov_b32_e32 v1, 0
	s_add_i32 s16, s17, s16
	s_mul_i32 s21, s21, s4
	s_and_b32 vcc_lo, exec_lo, s2
	s_add_i32 s17, s16, s21
	s_mul_i32 s16, s14, s4
	s_cbranch_vccnz .LBB681_12
; %bb.11:
	s_lshl_b64 s[24:25], s[16:17], 2
	s_delay_alu instid0(SALU_CYCLE_1)
	s_add_u32 s24, s19, s24
	s_addc_u32 s25, s20, s25
	s_load_b32 s2, s[24:25], 0x0
	s_waitcnt lgkmcnt(0)
	v_mul_f32_e64 v1, s2, s15
.LBB681_12:
	s_mov_b32 s21, exec_lo
	s_or_b32 exec_lo, exec_lo, s22
	s_delay_alu instid0(SALU_CYCLE_1)
	s_and_b32 vcc_lo, exec_lo, s3
	s_cbranch_vccnz .LBB681_15
	s_branch .LBB681_42
.LBB681_13:
	s_mov_b32 s21, 0
                                        ; implicit-def: $vgpr1
                                        ; implicit-def: $sgpr16_sgpr17
	s_cbranch_execnz .LBB681_15
	s_branch .LBB681_42
.LBB681_14:
	s_or_b32 exec_lo, exec_lo, s22
	s_delay_alu instid0(SALU_CYCLE_1)
	s_and_b32 vcc_lo, exec_lo, s3
	s_cbranch_vccz .LBB681_42
.LBB681_15:
	s_load_b32 s3, s[0:1], 0x0
	s_mul_i32 s0, s14, s11
	s_mul_hi_u32 s2, s14, s10
	s_ashr_i32 s1, s14, 31
	s_add_i32 s0, s2, s0
	s_mul_i32 s2, s1, s10
	s_mul_i32 s10, s14, s10
	s_add_i32 s11, s0, s2
	v_mov_b32_e32 v7, 0
	s_lshl_b64 s[10:11], s[10:11], 1
	s_delay_alu instid0(SALU_CYCLE_1)
	s_add_u32 s0, s10, s12
	s_addc_u32 s10, s11, s13
	s_mov_b32 s13, 0
	s_mov_b32 s12, exec_lo
	s_waitcnt lgkmcnt(0)
	v_cmp_gt_i32_e32 vcc_lo, s3, v0
	s_ashr_i32 s2, s3, 31
	s_delay_alu instid0(SALU_CYCLE_1) | instskip(NEXT) | instid1(SALU_CYCLE_1)
	s_lshr_b32 s2, s2, 24
	s_add_i32 s2, s3, s2
	v_cndmask_b32_e32 v1, 0, v0, vcc_lo
	s_and_b32 s2, s2, 0xffffff00
	s_delay_alu instid0(VALU_DEP_1) | instskip(NEXT) | instid1(VALU_DEP_1)
	v_lshlrev_b32_e32 v1, 1, v1
	v_add_co_u32 v1, s0, s0, v1
	s_delay_alu instid0(VALU_DEP_1)
	v_add_co_ci_u32_e64 v2, null, s10, 0, s0
	v_cmpx_gt_i32_e64 s2, v0
	s_cbranch_execz .LBB681_23
; %bb.16:
	v_mad_u64_u32 v[3:4], null, s8, v0, 0
	v_mov_b32_e32 v8, v0
	s_lshl_b64 s[10:11], s[8:9], 9
	v_mov_b32_e32 v7, 0
	s_delay_alu instid0(VALU_DEP_3) | instskip(NEXT) | instid1(VALU_DEP_1)
	v_mad_u64_u32 v[5:6], null, s9, v0, v[4:5]
	v_mov_b32_e32 v4, v5
	s_delay_alu instid0(VALU_DEP_1) | instskip(SKIP_1) | instid1(VALU_DEP_2)
	v_lshlrev_b64 v[5:6], 1, v[3:4]
	v_dual_mov_b32 v4, v2 :: v_dual_mov_b32 v3, v1
	v_add_co_u32 v5, vcc_lo, s6, v5
	s_delay_alu instid0(VALU_DEP_3)
	v_add_co_ci_u32_e32 v6, vcc_lo, s7, v6, vcc_lo
	s_set_inst_prefetch_distance 0x1
	s_branch .LBB681_18
	.p2align	6
.LBB681_17:                             ;   in Loop: Header=BB681_18 Depth=1
	s_or_b32 exec_lo, exec_lo, s0
	s_delay_alu instid0(VALU_DEP_1) | instskip(SKIP_3) | instid1(VALU_DEP_4)
	v_and_b32_e32 v9, 0xffff0000, v10
	v_add_nc_u32_e32 v8, 0x100, v8
	v_add_co_u32 v3, vcc_lo, 0x200, v3
	v_add_co_ci_u32_e32 v4, vcc_lo, 0, v4, vcc_lo
	v_add_f32_e32 v7, v7, v9
	s_delay_alu instid0(VALU_DEP_4) | instskip(SKIP_1) | instid1(VALU_DEP_1)
	v_cmp_le_i32_e32 vcc_lo, s2, v8
	v_add_co_u32 v5, s0, v5, s10
	v_add_co_ci_u32_e64 v6, s0, s11, v6, s0
	s_or_b32 s13, vcc_lo, s13
	s_delay_alu instid0(SALU_CYCLE_1)
	s_and_not1_b32 exec_lo, exec_lo, s13
	s_cbranch_execz .LBB681_22
.LBB681_18:                             ; =>This Inner Loop Header: Depth=1
	flat_load_u16 v9, v[5:6]
	flat_load_u16 v10, v[3:4]
	s_waitcnt vmcnt(1) lgkmcnt(1)
	v_lshlrev_b32_e32 v9, 16, v9
	s_waitcnt vmcnt(0) lgkmcnt(0)
	v_lshlrev_b32_e32 v10, 16, v10
	s_delay_alu instid0(VALU_DEP_1) | instskip(NEXT) | instid1(VALU_DEP_1)
	v_mul_f32_e32 v9, v10, v9
	v_and_b32_e32 v10, 0x7f800000, v9
	s_delay_alu instid0(VALU_DEP_1) | instskip(SKIP_1) | instid1(SALU_CYCLE_1)
	v_cmp_ne_u32_e32 vcc_lo, 0x7f800000, v10
                                        ; implicit-def: $vgpr10
	s_and_saveexec_b32 s0, vcc_lo
	s_xor_b32 s0, exec_lo, s0
; %bb.19:                               ;   in Loop: Header=BB681_18 Depth=1
	v_bfe_u32 v10, v9, 16, 1
	s_delay_alu instid0(VALU_DEP_1)
	v_add3_u32 v10, v9, v10, 0x7fff
                                        ; implicit-def: $vgpr9
; %bb.20:                               ;   in Loop: Header=BB681_18 Depth=1
	s_and_not1_saveexec_b32 s0, s0
	s_cbranch_execz .LBB681_17
; %bb.21:                               ;   in Loop: Header=BB681_18 Depth=1
	v_and_b32_e32 v10, 0xffff, v9
	v_or_b32_e32 v11, 0x10000, v9
	s_delay_alu instid0(VALU_DEP_2) | instskip(NEXT) | instid1(VALU_DEP_2)
	v_cmp_eq_u32_e32 vcc_lo, 0, v10
	v_cndmask_b32_e32 v10, v11, v9, vcc_lo
	s_branch .LBB681_17
.LBB681_22:
	s_set_inst_prefetch_distance 0x2
	s_or_b32 exec_lo, exec_lo, s13
.LBB681_23:
	s_delay_alu instid0(SALU_CYCLE_1) | instskip(SKIP_2) | instid1(VALU_DEP_1)
	s_or_b32 exec_lo, exec_lo, s12
	v_add_nc_u32_e32 v3, s2, v0
	s_mov_b32 s0, exec_lo
	v_cmpx_gt_i32_e64 s3, v3
	s_cbranch_execz .LBB681_29
; %bb.24:
	v_ashrrev_i32_e32 v6, 31, v3
	v_mul_lo_u32 v8, v3, s9
	v_mad_u64_u32 v[4:5], null, v3, s8, 0
	s_ashr_i32 s3, s2, 31
	s_delay_alu instid0(VALU_DEP_3) | instskip(SKIP_1) | instid1(VALU_DEP_1)
	v_mul_lo_u32 v3, v6, s8
	s_lshl_b64 s[2:3], s[2:3], 1
	v_add3_u32 v5, v5, v8, v3
	s_delay_alu instid0(VALU_DEP_1) | instskip(NEXT) | instid1(VALU_DEP_1)
	v_lshlrev_b64 v[3:4], 1, v[4:5]
	v_add_co_u32 v3, vcc_lo, s6, v3
	s_delay_alu instid0(VALU_DEP_2)
	v_add_co_ci_u32_e32 v4, vcc_lo, s7, v4, vcc_lo
	v_add_co_u32 v1, vcc_lo, v1, s2
	v_add_co_ci_u32_e32 v2, vcc_lo, s3, v2, vcc_lo
	flat_load_u16 v3, v[3:4]
	flat_load_u16 v1, v[1:2]
	s_waitcnt vmcnt(1) lgkmcnt(1)
	v_lshlrev_b32_e32 v2, 16, v3
	s_waitcnt vmcnt(0) lgkmcnt(0)
	v_lshlrev_b32_e32 v1, 16, v1
	s_delay_alu instid0(VALU_DEP_1) | instskip(NEXT) | instid1(VALU_DEP_1)
	v_mul_f32_e32 v1, v1, v2
	v_and_b32_e32 v2, 0x7f800000, v1
	s_delay_alu instid0(VALU_DEP_1) | instskip(SKIP_1) | instid1(SALU_CYCLE_1)
	v_cmp_ne_u32_e32 vcc_lo, 0x7f800000, v2
                                        ; implicit-def: $vgpr2
	s_and_saveexec_b32 s2, vcc_lo
	s_xor_b32 s2, exec_lo, s2
; %bb.25:
	v_bfe_u32 v2, v1, 16, 1
	s_delay_alu instid0(VALU_DEP_1)
	v_add3_u32 v2, v1, v2, 0x7fff
                                        ; implicit-def: $vgpr1
; %bb.26:
	s_and_not1_saveexec_b32 s2, s2
; %bb.27:
	v_and_b32_e32 v2, 0xffff, v1
	v_or_b32_e32 v3, 0x10000, v1
	s_delay_alu instid0(VALU_DEP_2) | instskip(NEXT) | instid1(VALU_DEP_2)
	v_cmp_eq_u32_e32 vcc_lo, 0, v2
	v_cndmask_b32_e32 v2, v3, v1, vcc_lo
; %bb.28:
	s_or_b32 exec_lo, exec_lo, s2
	s_delay_alu instid0(VALU_DEP_1) | instskip(NEXT) | instid1(VALU_DEP_1)
	v_and_b32_e32 v1, 0xffff0000, v2
	v_add_f32_e32 v7, v7, v1
.LBB681_29:
	s_or_b32 exec_lo, exec_lo, s0
	v_and_b32_e32 v4, 31, v0
	v_cmp_gt_u32_e32 vcc_lo, 32, v0
	s_delay_alu instid0(VALU_DEP_2)
	v_lshlrev_b32_e32 v1, 2, v4
	s_and_saveexec_b32 s0, vcc_lo
	s_cbranch_execz .LBB681_31
; %bb.30:
	v_mov_b32_e32 v2, 0
	ds_store_b32 v1, v2
.LBB681_31:
	s_or_b32 exec_lo, exec_lo, s0
	v_mbcnt_lo_u32_b32 v5, -1, 0
	s_mov_b32 s2, exec_lo
	s_waitcnt lgkmcnt(0)
	s_barrier
	buffer_gl0_inv
	v_cmp_gt_u32_e64 s0, 16, v5
	s_delay_alu instid0(VALU_DEP_1) | instskip(SKIP_1) | instid1(VALU_DEP_2)
	v_cndmask_b32_e64 v2, 0, 1, s0
	v_cmp_gt_u32_e64 s0, 24, v5
	v_lshlrev_b32_e32 v2, 4, v2
	s_delay_alu instid0(VALU_DEP_2) | instskip(SKIP_1) | instid1(VALU_DEP_3)
	v_cndmask_b32_e64 v3, 0, 1, s0
	v_cmp_gt_u32_e64 s0, 28, v5
	v_add_lshl_u32 v2, v2, v5, 2
	ds_bpermute_b32 v2, v2, v7
	s_waitcnt lgkmcnt(0)
	v_dual_add_f32 v6, v7, v2 :: v_dual_lshlrev_b32 v3, 3, v3
	s_delay_alu instid0(VALU_DEP_1) | instskip(SKIP_4) | instid1(VALU_DEP_1)
	v_add_lshl_u32 v3, v3, v5, 2
	v_cndmask_b32_e64 v2, 0, 1, s0
	v_cmp_gt_u32_e64 s0, 30, v5
	ds_bpermute_b32 v3, v3, v6
	v_lshlrev_b32_e32 v2, 2, v2
	v_add_lshl_u32 v2, v2, v5, 2
	s_waitcnt lgkmcnt(0)
	v_add_f32_e32 v6, v6, v3
	v_cndmask_b32_e64 v3, 0, 1, s0
	v_cmp_ne_u32_e64 s0, 31, v5
	s_delay_alu instid0(VALU_DEP_2) | instskip(NEXT) | instid1(VALU_DEP_1)
	v_lshlrev_b32_e32 v3, 1, v3
	v_add_lshl_u32 v3, v3, v5, 2
	s_delay_alu instid0(VALU_DEP_3) | instskip(NEXT) | instid1(VALU_DEP_1)
	v_add_co_ci_u32_e64 v5, s0, 0, v5, s0
	v_lshlrev_b32_e32 v5, 2, v5
	ds_bpermute_b32 v7, v2, v6
	s_waitcnt lgkmcnt(0)
	v_add_f32_e32 v6, v6, v7
	ds_bpermute_b32 v7, v3, v6
	s_waitcnt lgkmcnt(0)
	v_add_f32_e32 v6, v6, v7
	ds_bpermute_b32 v7, v5, v6
	v_cmpx_eq_u32_e32 0, v4
	s_cbranch_execz .LBB681_33
; %bb.32:
	v_lshrrev_b32_e32 v4, 3, v0
	s_waitcnt lgkmcnt(0)
	v_add_f32_e32 v6, v6, v7
	s_delay_alu instid0(VALU_DEP_2)
	v_and_b32_e32 v4, 28, v4
	ds_store_b32 v4, v6
.LBB681_33:
	s_or_b32 exec_lo, exec_lo, s2
	v_mov_b32_e32 v4, 0
	s_mov_b32 s2, exec_lo
	s_waitcnt lgkmcnt(0)
	s_barrier
	buffer_gl0_inv
	v_cmpx_gt_u32_e32 8, v0
	s_cbranch_execz .LBB681_35
; %bb.34:
	ds_load_b32 v4, v1
.LBB681_35:
	s_or_b32 exec_lo, exec_lo, s2
	s_and_saveexec_b32 s0, vcc_lo
	s_cbranch_execz .LBB681_37
; %bb.36:
	s_waitcnt lgkmcnt(0)
	ds_bpermute_b32 v1, v2, v4
	s_waitcnt lgkmcnt(0)
	v_add_f32_e32 v1, v4, v1
	ds_bpermute_b32 v2, v3, v1
	s_waitcnt lgkmcnt(0)
	v_add_f32_e32 v1, v1, v2
	;; [unrolled: 3-line block ×3, first 2 shown]
.LBB681_37:
	s_or_b32 exec_lo, exec_lo, s0
	s_delay_alu instid0(SALU_CYCLE_1)
	s_mov_b32 s0, exec_lo
                                        ; implicit-def: $vgpr1
                                        ; implicit-def: $sgpr16_sgpr17
	v_cmpx_eq_u32_e32 0, v0
	s_cbranch_execz .LBB681_41
; %bb.38:
	s_mul_i32 s2, s14, s5
	v_cmp_eq_f32_e64 s5, s15, 0
	s_mul_hi_u32 s3, s14, s4
	s_waitcnt lgkmcnt(0)
	v_mul_f32_e32 v1, s18, v4
	s_add_i32 s2, s3, s2
	s_mul_i32 s1, s1, s4
	s_and_b32 vcc_lo, exec_lo, s5
	s_add_i32 s17, s2, s1
	s_mul_i32 s16, s14, s4
	s_cbranch_vccnz .LBB681_40
; %bb.39:
	s_lshl_b64 s[2:3], s[16:17], 2
	s_delay_alu instid0(SALU_CYCLE_1)
	s_add_u32 s2, s19, s2
	s_addc_u32 s3, s20, s3
	s_load_b32 s1, s[2:3], 0x0
	s_waitcnt lgkmcnt(0)
	v_fmac_f32_e64 v1, s1, s15
.LBB681_40:
	s_or_b32 s21, s21, exec_lo
.LBB681_41:
	s_or_b32 exec_lo, exec_lo, s0
.LBB681_42:
	s_and_saveexec_b32 s0, s21
	s_cbranch_execz .LBB681_44
; %bb.43:
	s_lshl_b64 s[0:1], s[16:17], 2
	v_mov_b32_e32 v0, 0
	s_add_u32 s0, s19, s0
	s_addc_u32 s1, s20, s1
	global_store_b32 v0, v1, s[0:1]
.LBB681_44:
	s_nop 0
	s_sendmsg sendmsg(MSG_DEALLOC_VGPRS)
	s_endpgm
	.section	.rodata,"a",@progbits
	.p2align	6, 0x0
	.amdhsa_kernel _ZL32rocblas_gemvt_warp_reduce_kernelILb0ELi256ElPK16rocblas_bfloat16fKPfEviiT3_lPKT2_lT1_lS8_lS9_lS5_lPT4_lS9_li
		.amdhsa_group_segment_fixed_size 128
		.amdhsa_private_segment_fixed_size 0
		.amdhsa_kernarg_size 140
		.amdhsa_user_sgpr_count 14
		.amdhsa_user_sgpr_dispatch_ptr 0
		.amdhsa_user_sgpr_queue_ptr 0
		.amdhsa_user_sgpr_kernarg_segment_ptr 1
		.amdhsa_user_sgpr_dispatch_id 0
		.amdhsa_user_sgpr_private_segment_size 0
		.amdhsa_wavefront_size32 1
		.amdhsa_uses_dynamic_stack 0
		.amdhsa_enable_private_segment 0
		.amdhsa_system_sgpr_workgroup_id_x 1
		.amdhsa_system_sgpr_workgroup_id_y 0
		.amdhsa_system_sgpr_workgroup_id_z 1
		.amdhsa_system_sgpr_workgroup_info 0
		.amdhsa_system_vgpr_workitem_id 0
		.amdhsa_next_free_vgpr 12
		.amdhsa_next_free_sgpr 26
		.amdhsa_reserve_vcc 1
		.amdhsa_float_round_mode_32 0
		.amdhsa_float_round_mode_16_64 0
		.amdhsa_float_denorm_mode_32 3
		.amdhsa_float_denorm_mode_16_64 3
		.amdhsa_dx10_clamp 1
		.amdhsa_ieee_mode 1
		.amdhsa_fp16_overflow 0
		.amdhsa_workgroup_processor_mode 1
		.amdhsa_memory_ordered 1
		.amdhsa_forward_progress 0
		.amdhsa_shared_vgpr_count 0
		.amdhsa_exception_fp_ieee_invalid_op 0
		.amdhsa_exception_fp_denorm_src 0
		.amdhsa_exception_fp_ieee_div_zero 0
		.amdhsa_exception_fp_ieee_overflow 0
		.amdhsa_exception_fp_ieee_underflow 0
		.amdhsa_exception_fp_ieee_inexact 0
		.amdhsa_exception_int_div_zero 0
	.end_amdhsa_kernel
	.section	.text._ZL32rocblas_gemvt_warp_reduce_kernelILb0ELi256ElPK16rocblas_bfloat16fKPfEviiT3_lPKT2_lT1_lS8_lS9_lS5_lPT4_lS9_li,"axG",@progbits,_ZL32rocblas_gemvt_warp_reduce_kernelILb0ELi256ElPK16rocblas_bfloat16fKPfEviiT3_lPKT2_lT1_lS8_lS9_lS5_lPT4_lS9_li,comdat
.Lfunc_end681:
	.size	_ZL32rocblas_gemvt_warp_reduce_kernelILb0ELi256ElPK16rocblas_bfloat16fKPfEviiT3_lPKT2_lT1_lS8_lS9_lS5_lPT4_lS9_li, .Lfunc_end681-_ZL32rocblas_gemvt_warp_reduce_kernelILb0ELi256ElPK16rocblas_bfloat16fKPfEviiT3_lPKT2_lT1_lS8_lS9_lS5_lPT4_lS9_li
                                        ; -- End function
	.section	.AMDGPU.csdata,"",@progbits
; Kernel info:
; codeLenInByte = 1780
; NumSgprs: 28
; NumVgprs: 12
; ScratchSize: 0
; MemoryBound: 0
; FloatMode: 240
; IeeeMode: 1
; LDSByteSize: 128 bytes/workgroup (compile time only)
; SGPRBlocks: 3
; VGPRBlocks: 1
; NumSGPRsForWavesPerEU: 28
; NumVGPRsForWavesPerEU: 12
; Occupancy: 16
; WaveLimiterHint : 1
; COMPUTE_PGM_RSRC2:SCRATCH_EN: 0
; COMPUTE_PGM_RSRC2:USER_SGPR: 14
; COMPUTE_PGM_RSRC2:TRAP_HANDLER: 0
; COMPUTE_PGM_RSRC2:TGID_X_EN: 1
; COMPUTE_PGM_RSRC2:TGID_Y_EN: 0
; COMPUTE_PGM_RSRC2:TGID_Z_EN: 1
; COMPUTE_PGM_RSRC2:TIDIG_COMP_CNT: 0
	.section	.text._ZL20rocblas_gemvt_kernelILb0ELi256EPK16rocblas_bfloat16PKfKPfEviiT2_lPKT1_lilSA_lilS7_lPT3_lili,"axG",@progbits,_ZL20rocblas_gemvt_kernelILb0ELi256EPK16rocblas_bfloat16PKfKPfEviiT2_lPKT1_lilSA_lilS7_lPT3_lili,comdat
	.globl	_ZL20rocblas_gemvt_kernelILb0ELi256EPK16rocblas_bfloat16PKfKPfEviiT2_lPKT1_lilSA_lilS7_lPT3_lili ; -- Begin function _ZL20rocblas_gemvt_kernelILb0ELi256EPK16rocblas_bfloat16PKfKPfEviiT2_lPKT1_lilSA_lilS7_lPT3_lili
	.p2align	8
	.type	_ZL20rocblas_gemvt_kernelILb0ELi256EPK16rocblas_bfloat16PKfKPfEviiT2_lPKT1_lilSA_lilS7_lPT3_lili,@function
_ZL20rocblas_gemvt_kernelILb0ELi256EPK16rocblas_bfloat16PKfKPfEviiT2_lPKT1_lilSA_lilS7_lPT3_lili: ; @_ZL20rocblas_gemvt_kernelILb0ELi256EPK16rocblas_bfloat16PKfKPfEviiT2_lPKT1_lilSA_lilS7_lPT3_lili
; %bb.0:
	s_clause 0x1
	s_load_b256 s[16:23], s[0:1], 0x8
	s_load_b256 s[4:11], s[0:1], 0x58
	s_waitcnt lgkmcnt(0)
	s_mul_i32 s3, s15, s19
	s_mul_hi_u32 s13, s15, s18
	s_mul_i32 s12, s15, s18
	s_add_i32 s13, s13, s3
	s_mul_i32 s3, s15, s7
	s_lshl_b64 s[12:13], s[12:13], 2
	s_mul_hi_u32 s7, s15, s6
	s_add_u32 s12, s16, s12
	s_addc_u32 s13, s17, s13
	s_add_i32 s7, s7, s3
	s_mul_i32 s6, s15, s6
	s_delay_alu instid0(SALU_CYCLE_1) | instskip(NEXT) | instid1(SALU_CYCLE_1)
	s_lshl_b64 s[6:7], s[6:7], 2
	s_add_u32 s4, s4, s6
	s_addc_u32 s5, s5, s7
	s_load_b32 s13, s[12:13], 0x0
	s_load_b32 s12, s[4:5], 0x0
	s_waitcnt lgkmcnt(0)
	v_cmp_eq_f32_e64 s16, s13, 0
	v_cmp_eq_f32_e64 s3, s12, 1.0
	s_delay_alu instid0(VALU_DEP_1) | instskip(NEXT) | instid1(SALU_CYCLE_1)
	s_and_b32 s3, s16, s3
	s_and_b32 vcc_lo, exec_lo, s3
	s_mov_b32 s3, 0
	s_cbranch_vccnz .LBB682_48
; %bb.1:
	s_mov_b32 s2, s15
	v_cmp_neq_f32_e64 s15, s13, 0
	s_mov_b64 s[4:5], 0
	s_and_b32 vcc_lo, exec_lo, s16
	s_mov_b64 s[6:7], 0
	s_cbranch_vccnz .LBB682_3
; %bb.2:
	s_lshl_b64 s[6:7], s[2:3], 3
	s_delay_alu instid0(SALU_CYCLE_1)
	s_add_u32 s6, s20, s6
	s_addc_u32 s7, s21, s7
	s_lshl_b64 s[18:19], s[22:23], 1
	s_load_b64 s[6:7], s[6:7], 0x0
	s_waitcnt lgkmcnt(0)
	s_add_u32 s6, s6, s18
	s_addc_u32 s7, s7, s19
.LBB682_3:
	s_and_not1_b32 vcc_lo, exec_lo, s15
	s_cbranch_vccnz .LBB682_5
; %bb.4:
	s_load_b128 s[20:23], s[0:1], 0x38
	s_lshl_b64 s[4:5], s[2:3], 3
	s_waitcnt lgkmcnt(0)
	s_add_u32 s4, s20, s4
	s_addc_u32 s5, s21, s5
	s_lshl_b64 s[18:19], s[22:23], 1
	s_load_b64 s[4:5], s[4:5], 0x0
	s_waitcnt lgkmcnt(0)
	s_add_u32 s4, s4, s18
	s_addc_u32 s5, s5, s19
.LBB682_5:
	s_lshl_b64 s[2:3], s[2:3], 3
	s_delay_alu instid0(SALU_CYCLE_1)
	s_add_u32 s2, s8, s2
	s_addc_u32 s3, s9, s3
	s_lshl_b64 s[10:11], s[10:11], 2
	s_load_b64 s[8:9], s[2:3], 0x0
	s_load_b32 s15, s[0:1], 0x78
	v_cmp_eq_u32_e64 s2, 0, v0
	s_waitcnt lgkmcnt(0)
	s_add_u32 s10, s8, s10
	s_addc_u32 s11, s9, s11
	s_and_not1_b32 vcc_lo, exec_lo, s16
	s_cbranch_vccnz .LBB682_10
; %bb.6:
	s_mov_b32 s3, 0
	s_mov_b32 s16, 0
                                        ; implicit-def: $vgpr1
                                        ; implicit-def: $sgpr8_sgpr9
	s_and_saveexec_b32 s17, s2
	s_cbranch_execz .LBB682_11
; %bb.7:
	v_cmp_eq_f32_e64 s2, s12, 0
	v_mov_b32_e32 v1, 0
	s_mul_hi_i32 s9, s15, s14
	s_mul_i32 s8, s15, s14
	s_delay_alu instid0(VALU_DEP_2)
	s_and_b32 vcc_lo, exec_lo, s2
	s_cbranch_vccnz .LBB682_9
; %bb.8:
	s_lshl_b64 s[18:19], s[8:9], 2
	s_delay_alu instid0(SALU_CYCLE_1)
	s_add_u32 s18, s10, s18
	s_addc_u32 s19, s11, s19
	s_load_b32 s2, s[18:19], 0x0
	s_waitcnt lgkmcnt(0)
	v_mul_f32_e64 v1, s12, s2
.LBB682_9:
	s_mov_b32 s16, exec_lo
	s_or_b32 exec_lo, exec_lo, s17
	s_delay_alu instid0(SALU_CYCLE_1)
	s_and_b32 vcc_lo, exec_lo, s3
	s_cbranch_vccnz .LBB682_12
	s_branch .LBB682_46
.LBB682_10:
	s_mov_b32 s16, 0
                                        ; implicit-def: $vgpr1
                                        ; implicit-def: $sgpr8_sgpr9
	s_cbranch_execnz .LBB682_12
	s_branch .LBB682_46
.LBB682_11:
	s_or_b32 exec_lo, exec_lo, s17
	s_delay_alu instid0(SALU_CYCLE_1)
	s_and_b32 vcc_lo, exec_lo, s3
	s_cbranch_vccz .LBB682_46
.LBB682_12:
	s_clause 0x2
	s_load_b32 s2, s[0:1], 0x28
	s_load_b32 s3, s[0:1], 0x0
	;; [unrolled: 1-line block ×3, first 2 shown]
	v_mov_b32_e32 v7, 0
	s_waitcnt lgkmcnt(0)
	s_mul_hi_i32 s9, s2, s14
	v_cmp_gt_i32_e32 vcc_lo, s3, v0
	s_mul_i32 s8, s2, s14
	s_delay_alu instid0(SALU_CYCLE_1) | instskip(NEXT) | instid1(SALU_CYCLE_1)
	s_lshl_b64 s[8:9], s[8:9], 1
	s_add_u32 s1, s8, s6
	v_cndmask_b32_e32 v1, 0, v0, vcc_lo
	s_addc_u32 s2, s9, s7
	s_ashr_i32 s6, s3, 31
	s_mov_b32 s8, 0
	s_lshr_b32 s6, s6, 24
	v_lshlrev_b32_e32 v1, 1, v1
	s_add_i32 s6, s3, s6
	s_delay_alu instid0(VALU_DEP_1) | instskip(NEXT) | instid1(VALU_DEP_1)
	v_add_co_u32 v1, s1, s1, v1
	v_add_co_ci_u32_e64 v2, null, s2, 0, s1
	s_and_b32 s2, s6, 0xffffff00
	s_cmpk_lt_i32 s3, 0x100
	s_cbranch_scc1 .LBB682_19
; %bb.13:
	v_mad_i64_i32 v[3:4], null, s0, v0, 0
	v_dual_mov_b32 v7, 0 :: v_dual_mov_b32 v6, v2
	v_mov_b32_e32 v5, v1
	s_ashr_i32 s1, s0, 31
	s_delay_alu instid0(SALU_CYCLE_1) | instskip(NEXT) | instid1(VALU_DEP_3)
	s_lshl_b64 s[6:7], s[0:1], 9
	v_lshlrev_b64 v[3:4], 1, v[3:4]
	s_delay_alu instid0(VALU_DEP_1) | instskip(NEXT) | instid1(VALU_DEP_2)
	v_add_co_u32 v3, vcc_lo, s4, v3
	v_add_co_ci_u32_e32 v4, vcc_lo, s5, v4, vcc_lo
	s_set_inst_prefetch_distance 0x1
	s_branch .LBB682_15
	.p2align	6
.LBB682_14:                             ;   in Loop: Header=BB682_15 Depth=1
	s_or_b32 exec_lo, exec_lo, s1
	s_delay_alu instid0(VALU_DEP_1) | instskip(SKIP_3) | instid1(VALU_DEP_4)
	v_and_b32_e32 v8, 0xffff0000, v9
	v_add_co_u32 v3, vcc_lo, v3, s6
	v_add_co_ci_u32_e32 v4, vcc_lo, s7, v4, vcc_lo
	v_add_co_u32 v5, vcc_lo, 0x200, v5
	v_add_f32_e32 v7, v7, v8
	v_add_co_ci_u32_e32 v6, vcc_lo, 0, v6, vcc_lo
	s_addk_i32 s8, 0x100
	s_delay_alu instid0(SALU_CYCLE_1)
	s_cmp_ge_i32 s8, s2
	s_cbranch_scc1 .LBB682_19
.LBB682_15:                             ; =>This Inner Loop Header: Depth=1
	flat_load_u16 v8, v[3:4]
	flat_load_u16 v9, v[5:6]
	s_waitcnt vmcnt(1) lgkmcnt(1)
	v_lshlrev_b32_e32 v8, 16, v8
	s_waitcnt vmcnt(0) lgkmcnt(0)
	v_lshlrev_b32_e32 v9, 16, v9
	s_delay_alu instid0(VALU_DEP_1) | instskip(NEXT) | instid1(VALU_DEP_1)
	v_mul_f32_e32 v8, v9, v8
	v_and_b32_e32 v9, 0x7f800000, v8
	s_delay_alu instid0(VALU_DEP_1) | instskip(SKIP_1) | instid1(SALU_CYCLE_1)
	v_cmp_ne_u32_e32 vcc_lo, 0x7f800000, v9
                                        ; implicit-def: $vgpr9
	s_and_saveexec_b32 s1, vcc_lo
	s_xor_b32 s1, exec_lo, s1
; %bb.16:                               ;   in Loop: Header=BB682_15 Depth=1
	v_bfe_u32 v9, v8, 16, 1
	s_delay_alu instid0(VALU_DEP_1)
	v_add3_u32 v9, v8, v9, 0x7fff
                                        ; implicit-def: $vgpr8
; %bb.17:                               ;   in Loop: Header=BB682_15 Depth=1
	s_and_not1_saveexec_b32 s1, s1
	s_cbranch_execz .LBB682_14
; %bb.18:                               ;   in Loop: Header=BB682_15 Depth=1
	v_and_b32_e32 v9, 0xffff, v8
	v_or_b32_e32 v10, 0x10000, v8
	s_delay_alu instid0(VALU_DEP_2) | instskip(NEXT) | instid1(VALU_DEP_2)
	v_cmp_eq_u32_e32 vcc_lo, 0, v9
	v_cndmask_b32_e32 v9, v10, v8, vcc_lo
	s_branch .LBB682_14
.LBB682_19:
	s_set_inst_prefetch_distance 0x2
	v_add_nc_u32_e32 v3, s2, v0
	s_mov_b32 s1, exec_lo
	s_delay_alu instid0(VALU_DEP_1)
	v_cmpx_gt_i32_e64 s3, v3
	s_cbranch_execz .LBB682_25
; %bb.20:
	v_mad_i64_i32 v[4:5], null, s0, v3, 0
	s_ashr_i32 s3, s2, 31
	s_delay_alu instid0(SALU_CYCLE_1) | instskip(NEXT) | instid1(VALU_DEP_1)
	s_lshl_b64 s[2:3], s[2:3], 1
	v_lshlrev_b64 v[3:4], 1, v[4:5]
	s_delay_alu instid0(VALU_DEP_1) | instskip(NEXT) | instid1(VALU_DEP_2)
	v_add_co_u32 v3, vcc_lo, s4, v3
	v_add_co_ci_u32_e32 v4, vcc_lo, s5, v4, vcc_lo
	v_add_co_u32 v1, vcc_lo, v1, s2
	v_add_co_ci_u32_e32 v2, vcc_lo, s3, v2, vcc_lo
	flat_load_u16 v3, v[3:4]
	flat_load_u16 v1, v[1:2]
	s_waitcnt vmcnt(1) lgkmcnt(1)
	v_lshlrev_b32_e32 v2, 16, v3
	s_waitcnt vmcnt(0) lgkmcnt(0)
	v_lshlrev_b32_e32 v1, 16, v1
	s_delay_alu instid0(VALU_DEP_1) | instskip(NEXT) | instid1(VALU_DEP_1)
	v_mul_f32_e32 v1, v1, v2
	v_and_b32_e32 v2, 0x7f800000, v1
	s_delay_alu instid0(VALU_DEP_1) | instskip(SKIP_1) | instid1(SALU_CYCLE_1)
	v_cmp_ne_u32_e32 vcc_lo, 0x7f800000, v2
                                        ; implicit-def: $vgpr2
	s_and_saveexec_b32 s0, vcc_lo
	s_xor_b32 s0, exec_lo, s0
; %bb.21:
	v_bfe_u32 v2, v1, 16, 1
	s_delay_alu instid0(VALU_DEP_1)
	v_add3_u32 v2, v1, v2, 0x7fff
                                        ; implicit-def: $vgpr1
; %bb.22:
	s_and_not1_saveexec_b32 s0, s0
; %bb.23:
	v_and_b32_e32 v2, 0xffff, v1
	v_or_b32_e32 v3, 0x10000, v1
	s_delay_alu instid0(VALU_DEP_2) | instskip(NEXT) | instid1(VALU_DEP_2)
	v_cmp_eq_u32_e32 vcc_lo, 0, v2
	v_cndmask_b32_e32 v2, v3, v1, vcc_lo
; %bb.24:
	s_or_b32 exec_lo, exec_lo, s0
	s_delay_alu instid0(VALU_DEP_1) | instskip(NEXT) | instid1(VALU_DEP_1)
	v_and_b32_e32 v1, 0xffff0000, v2
	v_add_f32_e32 v7, v7, v1
.LBB682_25:
	s_or_b32 exec_lo, exec_lo, s1
	v_lshlrev_b32_e32 v1, 2, v0
	s_mov_b32 s0, exec_lo
	ds_store_b32 v1, v7
	s_waitcnt lgkmcnt(0)
	s_barrier
	buffer_gl0_inv
	v_cmpx_gt_u32_e32 0x80, v0
	s_cbranch_execz .LBB682_27
; %bb.26:
	ds_load_2addr_stride64_b32 v[2:3], v1 offset1:2
	s_waitcnt lgkmcnt(0)
	v_add_f32_e32 v2, v3, v2
	ds_store_b32 v1, v2
.LBB682_27:
	s_or_b32 exec_lo, exec_lo, s0
	s_delay_alu instid0(SALU_CYCLE_1)
	s_mov_b32 s0, exec_lo
	s_waitcnt lgkmcnt(0)
	s_barrier
	buffer_gl0_inv
	v_cmpx_gt_u32_e32 64, v0
	s_cbranch_execz .LBB682_29
; %bb.28:
	ds_load_2addr_stride64_b32 v[2:3], v1 offset1:1
	s_waitcnt lgkmcnt(0)
	v_add_f32_e32 v2, v3, v2
	ds_store_b32 v1, v2
.LBB682_29:
	s_or_b32 exec_lo, exec_lo, s0
	s_delay_alu instid0(SALU_CYCLE_1)
	s_mov_b32 s0, exec_lo
	s_waitcnt lgkmcnt(0)
	s_barrier
	buffer_gl0_inv
	v_cmpx_gt_u32_e32 32, v0
	s_cbranch_execz .LBB682_31
; %bb.30:
	ds_load_2addr_b32 v[2:3], v1 offset1:32
	s_waitcnt lgkmcnt(0)
	v_add_f32_e32 v2, v3, v2
	ds_store_b32 v1, v2
.LBB682_31:
	s_or_b32 exec_lo, exec_lo, s0
	s_delay_alu instid0(SALU_CYCLE_1)
	s_mov_b32 s0, exec_lo
	s_waitcnt lgkmcnt(0)
	s_barrier
	buffer_gl0_inv
	v_cmpx_gt_u32_e32 16, v0
	s_cbranch_execz .LBB682_33
; %bb.32:
	ds_load_2addr_b32 v[2:3], v1 offset1:16
	s_waitcnt lgkmcnt(0)
	v_add_f32_e32 v2, v3, v2
	ds_store_b32 v1, v2
.LBB682_33:
	;; [unrolled: 14-line block ×5, first 2 shown]
	s_or_b32 exec_lo, exec_lo, s0
	v_cmp_eq_u32_e32 vcc_lo, 0, v0
	s_waitcnt lgkmcnt(0)
	s_barrier
	buffer_gl0_inv
	s_and_saveexec_b32 s0, vcc_lo
	s_cbranch_execz .LBB682_41
; %bb.40:
	v_mov_b32_e32 v2, 0
	ds_load_b64 v[0:1], v2
	s_waitcnt lgkmcnt(0)
	v_add_f32_e32 v0, v1, v0
	ds_store_b32 v2, v0
.LBB682_41:
	s_or_b32 exec_lo, exec_lo, s0
	s_waitcnt lgkmcnt(0)
	s_barrier
	buffer_gl0_inv
                                        ; implicit-def: $vgpr1
                                        ; implicit-def: $sgpr8_sgpr9
	s_and_saveexec_b32 s0, vcc_lo
	s_cbranch_execz .LBB682_45
; %bb.42:
	v_mov_b32_e32 v0, 0
	v_cmp_eq_f32_e64 s1, s12, 0
	s_mul_hi_i32 s9, s15, s14
	s_mul_i32 s8, s15, s14
	ds_load_b32 v0, v0
	s_and_b32 vcc_lo, exec_lo, s1
	s_waitcnt lgkmcnt(0)
	v_mul_f32_e32 v1, s13, v0
	s_cbranch_vccnz .LBB682_44
; %bb.43:
	s_lshl_b64 s[2:3], s[8:9], 2
	s_delay_alu instid0(SALU_CYCLE_1)
	s_add_u32 s2, s10, s2
	s_addc_u32 s3, s11, s3
	s_load_b32 s1, s[2:3], 0x0
	s_waitcnt lgkmcnt(0)
	v_fmac_f32_e64 v1, s12, s1
.LBB682_44:
	s_or_b32 s16, s16, exec_lo
.LBB682_45:
	s_or_b32 exec_lo, exec_lo, s0
.LBB682_46:
	s_and_saveexec_b32 s0, s16
	s_cbranch_execz .LBB682_48
; %bb.47:
	s_lshl_b64 s[0:1], s[8:9], 2
	v_mov_b32_e32 v0, 0
	s_add_u32 s0, s10, s0
	s_addc_u32 s1, s11, s1
	global_store_b32 v0, v1, s[0:1]
.LBB682_48:
	s_nop 0
	s_sendmsg sendmsg(MSG_DEALLOC_VGPRS)
	s_endpgm
	.section	.rodata,"a",@progbits
	.p2align	6, 0x0
	.amdhsa_kernel _ZL20rocblas_gemvt_kernelILb0ELi256EPK16rocblas_bfloat16PKfKPfEviiT2_lPKT1_lilSA_lilS7_lPT3_lili
		.amdhsa_group_segment_fixed_size 1024
		.amdhsa_private_segment_fixed_size 0
		.amdhsa_kernarg_size 140
		.amdhsa_user_sgpr_count 14
		.amdhsa_user_sgpr_dispatch_ptr 0
		.amdhsa_user_sgpr_queue_ptr 0
		.amdhsa_user_sgpr_kernarg_segment_ptr 1
		.amdhsa_user_sgpr_dispatch_id 0
		.amdhsa_user_sgpr_private_segment_size 0
		.amdhsa_wavefront_size32 1
		.amdhsa_uses_dynamic_stack 0
		.amdhsa_enable_private_segment 0
		.amdhsa_system_sgpr_workgroup_id_x 1
		.amdhsa_system_sgpr_workgroup_id_y 0
		.amdhsa_system_sgpr_workgroup_id_z 1
		.amdhsa_system_sgpr_workgroup_info 0
		.amdhsa_system_vgpr_workitem_id 0
		.amdhsa_next_free_vgpr 11
		.amdhsa_next_free_sgpr 24
		.amdhsa_reserve_vcc 1
		.amdhsa_float_round_mode_32 0
		.amdhsa_float_round_mode_16_64 0
		.amdhsa_float_denorm_mode_32 3
		.amdhsa_float_denorm_mode_16_64 3
		.amdhsa_dx10_clamp 1
		.amdhsa_ieee_mode 1
		.amdhsa_fp16_overflow 0
		.amdhsa_workgroup_processor_mode 1
		.amdhsa_memory_ordered 1
		.amdhsa_forward_progress 0
		.amdhsa_shared_vgpr_count 0
		.amdhsa_exception_fp_ieee_invalid_op 0
		.amdhsa_exception_fp_denorm_src 0
		.amdhsa_exception_fp_ieee_div_zero 0
		.amdhsa_exception_fp_ieee_overflow 0
		.amdhsa_exception_fp_ieee_underflow 0
		.amdhsa_exception_fp_ieee_inexact 0
		.amdhsa_exception_int_div_zero 0
	.end_amdhsa_kernel
	.section	.text._ZL20rocblas_gemvt_kernelILb0ELi256EPK16rocblas_bfloat16PKfKPfEviiT2_lPKT1_lilSA_lilS7_lPT3_lili,"axG",@progbits,_ZL20rocblas_gemvt_kernelILb0ELi256EPK16rocblas_bfloat16PKfKPfEviiT2_lPKT1_lilSA_lilS7_lPT3_lili,comdat
.Lfunc_end682:
	.size	_ZL20rocblas_gemvt_kernelILb0ELi256EPK16rocblas_bfloat16PKfKPfEviiT2_lPKT1_lilSA_lilS7_lPT3_lili, .Lfunc_end682-_ZL20rocblas_gemvt_kernelILb0ELi256EPK16rocblas_bfloat16PKfKPfEviiT2_lPKT1_lilSA_lilS7_lPT3_lili
                                        ; -- End function
	.section	.AMDGPU.csdata,"",@progbits
; Kernel info:
; codeLenInByte = 1728
; NumSgprs: 26
; NumVgprs: 11
; ScratchSize: 0
; MemoryBound: 0
; FloatMode: 240
; IeeeMode: 1
; LDSByteSize: 1024 bytes/workgroup (compile time only)
; SGPRBlocks: 3
; VGPRBlocks: 1
; NumSGPRsForWavesPerEU: 26
; NumVGPRsForWavesPerEU: 11
; Occupancy: 16
; WaveLimiterHint : 1
; COMPUTE_PGM_RSRC2:SCRATCH_EN: 0
; COMPUTE_PGM_RSRC2:USER_SGPR: 14
; COMPUTE_PGM_RSRC2:TRAP_HANDLER: 0
; COMPUTE_PGM_RSRC2:TGID_X_EN: 1
; COMPUTE_PGM_RSRC2:TGID_Y_EN: 0
; COMPUTE_PGM_RSRC2:TGID_Z_EN: 1
; COMPUTE_PGM_RSRC2:TIDIG_COMP_CNT: 0
	.section	.text._ZL20rocblas_gemvt_kernelILb0ELi256EPK16rocblas_bfloat16fKPfEviiT2_lPKT1_lilS8_lilS5_lPT3_lili,"axG",@progbits,_ZL20rocblas_gemvt_kernelILb0ELi256EPK16rocblas_bfloat16fKPfEviiT2_lPKT1_lilS8_lilS5_lPT3_lili,comdat
	.globl	_ZL20rocblas_gemvt_kernelILb0ELi256EPK16rocblas_bfloat16fKPfEviiT2_lPKT1_lilS8_lilS5_lPT3_lili ; -- Begin function _ZL20rocblas_gemvt_kernelILb0ELi256EPK16rocblas_bfloat16fKPfEviiT2_lPKT1_lilS8_lilS5_lPT3_lili
	.p2align	8
	.type	_ZL20rocblas_gemvt_kernelILb0ELi256EPK16rocblas_bfloat16fKPfEviiT2_lPKT1_lilS8_lilS5_lPT3_lili,@function
_ZL20rocblas_gemvt_kernelILb0ELi256EPK16rocblas_bfloat16fKPfEviiT2_lPKT1_lilS8_lilS5_lPT3_lili: ; @_ZL20rocblas_gemvt_kernelILb0ELi256EPK16rocblas_bfloat16fKPfEviiT2_lPKT1_lilS8_lilS5_lPT3_lili
; %bb.0:
	s_clause 0x1
	s_load_b32 s11, s[0:1], 0x8
	s_load_b32 s10, s[0:1], 0x58
	s_waitcnt lgkmcnt(0)
	v_cmp_eq_f32_e64 s8, s11, 0
	v_cmp_eq_f32_e64 s3, s10, 1.0
	s_delay_alu instid0(VALU_DEP_1) | instskip(NEXT) | instid1(SALU_CYCLE_1)
	s_and_b32 s3, s8, s3
	s_and_b32 vcc_lo, exec_lo, s3
	s_cbranch_vccnz .LBB683_51
; %bb.1:
	v_cmp_neq_f32_e64 s4, s11, 0
	s_mov_b32 s2, s15
	s_delay_alu instid0(VALU_DEP_1)
	s_and_b32 vcc_lo, exec_lo, s4
	s_cbranch_vccnz .LBB683_3
; %bb.2:
	s_mov_b32 s3, 0
	s_mov_b64 s[6:7], 0
	s_cbranch_execz .LBB683_4
	s_branch .LBB683_5
.LBB683_3:
	s_mov_b32 s3, -1
                                        ; implicit-def: $sgpr6_sgpr7
.LBB683_4:
	s_load_b128 s[16:19], s[0:1], 0x18
	s_mov_b32 s3, 0
	s_delay_alu instid0(SALU_CYCLE_1)
	s_lshl_b64 s[6:7], s[2:3], 3
	s_waitcnt lgkmcnt(0)
	s_add_u32 s6, s16, s6
	s_addc_u32 s7, s17, s7
	s_lshl_b64 s[12:13], s[18:19], 1
	s_load_b64 s[6:7], s[6:7], 0x0
	s_waitcnt lgkmcnt(0)
	s_add_u32 s6, s6, s12
	s_addc_u32 s7, s7, s13
.LBB683_5:
	s_and_not1_b32 vcc_lo, exec_lo, s4
	s_cbranch_vccnz .LBB683_7
; %bb.6:
	s_load_b128 s[16:19], s[0:1], 0x38
	s_lshl_b64 s[4:5], s[2:3], 3
	s_waitcnt lgkmcnt(0)
	s_add_u32 s4, s16, s4
	s_addc_u32 s5, s17, s5
	s_lshl_b64 s[12:13], s[18:19], 1
	s_load_b64 s[4:5], s[4:5], 0x0
	s_waitcnt lgkmcnt(0)
	s_add_u32 s4, s4, s12
	s_addc_u32 s5, s5, s13
	s_branch .LBB683_8
.LBB683_7:
	s_mov_b64 s[4:5], 0
.LBB683_8:
	s_clause 0x1
	s_load_b128 s[16:19], s[0:1], 0x68
	s_load_b32 s15, s[0:1], 0x78
	s_lshl_b64 s[2:3], s[2:3], 3
	s_waitcnt lgkmcnt(0)
	s_add_u32 s2, s16, s2
	s_addc_u32 s3, s17, s3
	s_lshl_b64 s[16:17], s[18:19], 2
	s_load_b64 s[12:13], s[2:3], 0x0
	v_cmp_eq_u32_e64 s2, 0, v0
	s_waitcnt lgkmcnt(0)
	s_add_u32 s12, s12, s16
	s_addc_u32 s13, s13, s17
	s_and_not1_b32 vcc_lo, exec_lo, s8
	s_cbranch_vccnz .LBB683_13
; %bb.9:
	s_mov_b32 s3, 0
	s_mov_b32 s16, 0
                                        ; implicit-def: $vgpr1
                                        ; implicit-def: $sgpr8_sgpr9
	s_and_saveexec_b32 s17, s2
	s_cbranch_execz .LBB683_14
; %bb.10:
	v_cmp_eq_f32_e64 s2, s10, 0
	v_mov_b32_e32 v1, 0
	s_mul_hi_i32 s9, s15, s14
	s_mul_i32 s8, s15, s14
	s_delay_alu instid0(VALU_DEP_2)
	s_and_b32 vcc_lo, exec_lo, s2
	s_cbranch_vccnz .LBB683_12
; %bb.11:
	s_lshl_b64 s[18:19], s[8:9], 2
	s_delay_alu instid0(SALU_CYCLE_1)
	s_add_u32 s18, s12, s18
	s_addc_u32 s19, s13, s19
	s_load_b32 s2, s[18:19], 0x0
	s_waitcnt lgkmcnt(0)
	v_mul_f32_e64 v1, s2, s10
.LBB683_12:
	s_mov_b32 s16, exec_lo
	s_or_b32 exec_lo, exec_lo, s17
	s_delay_alu instid0(SALU_CYCLE_1)
	s_and_b32 vcc_lo, exec_lo, s3
	s_cbranch_vccnz .LBB683_15
	s_branch .LBB683_49
.LBB683_13:
	s_mov_b32 s16, 0
                                        ; implicit-def: $vgpr1
                                        ; implicit-def: $sgpr8_sgpr9
	s_cbranch_execnz .LBB683_15
	s_branch .LBB683_49
.LBB683_14:
	s_or_b32 exec_lo, exec_lo, s17
	s_delay_alu instid0(SALU_CYCLE_1)
	s_and_b32 vcc_lo, exec_lo, s3
	s_cbranch_vccz .LBB683_49
.LBB683_15:
	s_clause 0x2
	s_load_b32 s2, s[0:1], 0x28
	s_load_b32 s3, s[0:1], 0x0
	;; [unrolled: 1-line block ×3, first 2 shown]
	v_mov_b32_e32 v7, 0
	s_waitcnt lgkmcnt(0)
	s_mul_hi_i32 s9, s2, s14
	v_cmp_gt_i32_e32 vcc_lo, s3, v0
	s_mul_i32 s8, s2, s14
	s_delay_alu instid0(SALU_CYCLE_1) | instskip(NEXT) | instid1(SALU_CYCLE_1)
	s_lshl_b64 s[8:9], s[8:9], 1
	s_add_u32 s1, s8, s6
	v_cndmask_b32_e32 v1, 0, v0, vcc_lo
	s_addc_u32 s2, s9, s7
	s_ashr_i32 s6, s3, 31
	s_mov_b32 s8, 0
	s_lshr_b32 s6, s6, 24
	v_lshlrev_b32_e32 v1, 1, v1
	s_add_i32 s6, s3, s6
	s_delay_alu instid0(VALU_DEP_1) | instskip(NEXT) | instid1(VALU_DEP_1)
	v_add_co_u32 v1, s1, s1, v1
	v_add_co_ci_u32_e64 v2, null, s2, 0, s1
	s_and_b32 s2, s6, 0xffffff00
	s_cmpk_lt_i32 s3, 0x100
	s_cbranch_scc1 .LBB683_22
; %bb.16:
	v_mad_i64_i32 v[3:4], null, s0, v0, 0
	v_dual_mov_b32 v7, 0 :: v_dual_mov_b32 v6, v2
	v_mov_b32_e32 v5, v1
	s_ashr_i32 s1, s0, 31
	s_delay_alu instid0(SALU_CYCLE_1) | instskip(NEXT) | instid1(VALU_DEP_3)
	s_lshl_b64 s[6:7], s[0:1], 9
	v_lshlrev_b64 v[3:4], 1, v[3:4]
	s_delay_alu instid0(VALU_DEP_1) | instskip(NEXT) | instid1(VALU_DEP_2)
	v_add_co_u32 v3, vcc_lo, s4, v3
	v_add_co_ci_u32_e32 v4, vcc_lo, s5, v4, vcc_lo
	s_set_inst_prefetch_distance 0x1
	s_branch .LBB683_18
	.p2align	6
.LBB683_17:                             ;   in Loop: Header=BB683_18 Depth=1
	s_or_b32 exec_lo, exec_lo, s1
	s_delay_alu instid0(VALU_DEP_1) | instskip(SKIP_3) | instid1(VALU_DEP_4)
	v_and_b32_e32 v8, 0xffff0000, v9
	v_add_co_u32 v3, vcc_lo, v3, s6
	v_add_co_ci_u32_e32 v4, vcc_lo, s7, v4, vcc_lo
	v_add_co_u32 v5, vcc_lo, 0x200, v5
	v_add_f32_e32 v7, v7, v8
	v_add_co_ci_u32_e32 v6, vcc_lo, 0, v6, vcc_lo
	s_addk_i32 s8, 0x100
	s_delay_alu instid0(SALU_CYCLE_1)
	s_cmp_ge_i32 s8, s2
	s_cbranch_scc1 .LBB683_22
.LBB683_18:                             ; =>This Inner Loop Header: Depth=1
	flat_load_u16 v8, v[3:4]
	flat_load_u16 v9, v[5:6]
	s_waitcnt vmcnt(1) lgkmcnt(1)
	v_lshlrev_b32_e32 v8, 16, v8
	s_waitcnt vmcnt(0) lgkmcnt(0)
	v_lshlrev_b32_e32 v9, 16, v9
	s_delay_alu instid0(VALU_DEP_1) | instskip(NEXT) | instid1(VALU_DEP_1)
	v_mul_f32_e32 v8, v9, v8
	v_and_b32_e32 v9, 0x7f800000, v8
	s_delay_alu instid0(VALU_DEP_1) | instskip(SKIP_1) | instid1(SALU_CYCLE_1)
	v_cmp_ne_u32_e32 vcc_lo, 0x7f800000, v9
                                        ; implicit-def: $vgpr9
	s_and_saveexec_b32 s1, vcc_lo
	s_xor_b32 s1, exec_lo, s1
; %bb.19:                               ;   in Loop: Header=BB683_18 Depth=1
	v_bfe_u32 v9, v8, 16, 1
	s_delay_alu instid0(VALU_DEP_1)
	v_add3_u32 v9, v8, v9, 0x7fff
                                        ; implicit-def: $vgpr8
; %bb.20:                               ;   in Loop: Header=BB683_18 Depth=1
	s_and_not1_saveexec_b32 s1, s1
	s_cbranch_execz .LBB683_17
; %bb.21:                               ;   in Loop: Header=BB683_18 Depth=1
	v_and_b32_e32 v9, 0xffff, v8
	v_or_b32_e32 v10, 0x10000, v8
	s_delay_alu instid0(VALU_DEP_2) | instskip(NEXT) | instid1(VALU_DEP_2)
	v_cmp_eq_u32_e32 vcc_lo, 0, v9
	v_cndmask_b32_e32 v9, v10, v8, vcc_lo
	s_branch .LBB683_17
.LBB683_22:
	s_set_inst_prefetch_distance 0x2
	v_add_nc_u32_e32 v3, s2, v0
	s_mov_b32 s1, exec_lo
	s_delay_alu instid0(VALU_DEP_1)
	v_cmpx_gt_i32_e64 s3, v3
	s_cbranch_execz .LBB683_28
; %bb.23:
	v_mad_i64_i32 v[4:5], null, s0, v3, 0
	s_ashr_i32 s3, s2, 31
	s_delay_alu instid0(SALU_CYCLE_1) | instskip(NEXT) | instid1(VALU_DEP_1)
	s_lshl_b64 s[2:3], s[2:3], 1
	v_lshlrev_b64 v[3:4], 1, v[4:5]
	s_delay_alu instid0(VALU_DEP_1) | instskip(NEXT) | instid1(VALU_DEP_2)
	v_add_co_u32 v3, vcc_lo, s4, v3
	v_add_co_ci_u32_e32 v4, vcc_lo, s5, v4, vcc_lo
	v_add_co_u32 v1, vcc_lo, v1, s2
	v_add_co_ci_u32_e32 v2, vcc_lo, s3, v2, vcc_lo
	flat_load_u16 v3, v[3:4]
	flat_load_u16 v1, v[1:2]
	s_waitcnt vmcnt(1) lgkmcnt(1)
	v_lshlrev_b32_e32 v2, 16, v3
	s_waitcnt vmcnt(0) lgkmcnt(0)
	v_lshlrev_b32_e32 v1, 16, v1
	s_delay_alu instid0(VALU_DEP_1) | instskip(NEXT) | instid1(VALU_DEP_1)
	v_mul_f32_e32 v1, v1, v2
	v_and_b32_e32 v2, 0x7f800000, v1
	s_delay_alu instid0(VALU_DEP_1) | instskip(SKIP_1) | instid1(SALU_CYCLE_1)
	v_cmp_ne_u32_e32 vcc_lo, 0x7f800000, v2
                                        ; implicit-def: $vgpr2
	s_and_saveexec_b32 s0, vcc_lo
	s_xor_b32 s0, exec_lo, s0
; %bb.24:
	v_bfe_u32 v2, v1, 16, 1
	s_delay_alu instid0(VALU_DEP_1)
	v_add3_u32 v2, v1, v2, 0x7fff
                                        ; implicit-def: $vgpr1
; %bb.25:
	s_and_not1_saveexec_b32 s0, s0
; %bb.26:
	v_and_b32_e32 v2, 0xffff, v1
	v_or_b32_e32 v3, 0x10000, v1
	s_delay_alu instid0(VALU_DEP_2) | instskip(NEXT) | instid1(VALU_DEP_2)
	v_cmp_eq_u32_e32 vcc_lo, 0, v2
	v_cndmask_b32_e32 v2, v3, v1, vcc_lo
; %bb.27:
	s_or_b32 exec_lo, exec_lo, s0
	s_delay_alu instid0(VALU_DEP_1) | instskip(NEXT) | instid1(VALU_DEP_1)
	v_and_b32_e32 v1, 0xffff0000, v2
	v_add_f32_e32 v7, v7, v1
.LBB683_28:
	s_or_b32 exec_lo, exec_lo, s1
	v_lshlrev_b32_e32 v1, 2, v0
	s_mov_b32 s0, exec_lo
	ds_store_b32 v1, v7
	s_waitcnt lgkmcnt(0)
	s_barrier
	buffer_gl0_inv
	v_cmpx_gt_u32_e32 0x80, v0
	s_cbranch_execz .LBB683_30
; %bb.29:
	ds_load_2addr_stride64_b32 v[2:3], v1 offset1:2
	s_waitcnt lgkmcnt(0)
	v_add_f32_e32 v2, v3, v2
	ds_store_b32 v1, v2
.LBB683_30:
	s_or_b32 exec_lo, exec_lo, s0
	s_delay_alu instid0(SALU_CYCLE_1)
	s_mov_b32 s0, exec_lo
	s_waitcnt lgkmcnt(0)
	s_barrier
	buffer_gl0_inv
	v_cmpx_gt_u32_e32 64, v0
	s_cbranch_execz .LBB683_32
; %bb.31:
	ds_load_2addr_stride64_b32 v[2:3], v1 offset1:1
	s_waitcnt lgkmcnt(0)
	v_add_f32_e32 v2, v3, v2
	ds_store_b32 v1, v2
.LBB683_32:
	s_or_b32 exec_lo, exec_lo, s0
	s_delay_alu instid0(SALU_CYCLE_1)
	s_mov_b32 s0, exec_lo
	s_waitcnt lgkmcnt(0)
	s_barrier
	buffer_gl0_inv
	v_cmpx_gt_u32_e32 32, v0
	s_cbranch_execz .LBB683_34
; %bb.33:
	ds_load_2addr_b32 v[2:3], v1 offset1:32
	s_waitcnt lgkmcnt(0)
	v_add_f32_e32 v2, v3, v2
	ds_store_b32 v1, v2
.LBB683_34:
	s_or_b32 exec_lo, exec_lo, s0
	s_delay_alu instid0(SALU_CYCLE_1)
	s_mov_b32 s0, exec_lo
	s_waitcnt lgkmcnt(0)
	s_barrier
	buffer_gl0_inv
	v_cmpx_gt_u32_e32 16, v0
	s_cbranch_execz .LBB683_36
; %bb.35:
	ds_load_2addr_b32 v[2:3], v1 offset1:16
	s_waitcnt lgkmcnt(0)
	v_add_f32_e32 v2, v3, v2
	ds_store_b32 v1, v2
.LBB683_36:
	;; [unrolled: 14-line block ×5, first 2 shown]
	s_or_b32 exec_lo, exec_lo, s0
	v_cmp_eq_u32_e32 vcc_lo, 0, v0
	s_waitcnt lgkmcnt(0)
	s_barrier
	buffer_gl0_inv
	s_and_saveexec_b32 s0, vcc_lo
	s_cbranch_execz .LBB683_44
; %bb.43:
	v_mov_b32_e32 v2, 0
	ds_load_b64 v[0:1], v2
	s_waitcnt lgkmcnt(0)
	v_add_f32_e32 v0, v1, v0
	ds_store_b32 v2, v0
.LBB683_44:
	s_or_b32 exec_lo, exec_lo, s0
	s_waitcnt lgkmcnt(0)
	s_barrier
	buffer_gl0_inv
                                        ; implicit-def: $vgpr1
                                        ; implicit-def: $sgpr8_sgpr9
	s_and_saveexec_b32 s0, vcc_lo
	s_cbranch_execz .LBB683_48
; %bb.45:
	v_mov_b32_e32 v0, 0
	v_cmp_eq_f32_e64 s1, s10, 0
	s_mul_hi_i32 s9, s15, s14
	s_mul_i32 s8, s15, s14
	ds_load_b32 v0, v0
	s_and_b32 vcc_lo, exec_lo, s1
	s_waitcnt lgkmcnt(0)
	v_mul_f32_e32 v1, s11, v0
	s_cbranch_vccnz .LBB683_47
; %bb.46:
	s_lshl_b64 s[2:3], s[8:9], 2
	s_delay_alu instid0(SALU_CYCLE_1)
	s_add_u32 s2, s12, s2
	s_addc_u32 s3, s13, s3
	s_load_b32 s1, s[2:3], 0x0
	s_waitcnt lgkmcnt(0)
	v_fmac_f32_e64 v1, s1, s10
.LBB683_47:
	s_or_b32 s16, s16, exec_lo
.LBB683_48:
	s_or_b32 exec_lo, exec_lo, s0
.LBB683_49:
	s_and_saveexec_b32 s0, s16
	s_cbranch_execz .LBB683_51
; %bb.50:
	s_lshl_b64 s[0:1], s[8:9], 2
	v_mov_b32_e32 v0, 0
	s_add_u32 s0, s12, s0
	s_addc_u32 s1, s13, s1
	global_store_b32 v0, v1, s[0:1]
.LBB683_51:
	s_nop 0
	s_sendmsg sendmsg(MSG_DEALLOC_VGPRS)
	s_endpgm
	.section	.rodata,"a",@progbits
	.p2align	6, 0x0
	.amdhsa_kernel _ZL20rocblas_gemvt_kernelILb0ELi256EPK16rocblas_bfloat16fKPfEviiT2_lPKT1_lilS8_lilS5_lPT3_lili
		.amdhsa_group_segment_fixed_size 1024
		.amdhsa_private_segment_fixed_size 0
		.amdhsa_kernarg_size 140
		.amdhsa_user_sgpr_count 14
		.amdhsa_user_sgpr_dispatch_ptr 0
		.amdhsa_user_sgpr_queue_ptr 0
		.amdhsa_user_sgpr_kernarg_segment_ptr 1
		.amdhsa_user_sgpr_dispatch_id 0
		.amdhsa_user_sgpr_private_segment_size 0
		.amdhsa_wavefront_size32 1
		.amdhsa_uses_dynamic_stack 0
		.amdhsa_enable_private_segment 0
		.amdhsa_system_sgpr_workgroup_id_x 1
		.amdhsa_system_sgpr_workgroup_id_y 0
		.amdhsa_system_sgpr_workgroup_id_z 1
		.amdhsa_system_sgpr_workgroup_info 0
		.amdhsa_system_vgpr_workitem_id 0
		.amdhsa_next_free_vgpr 11
		.amdhsa_next_free_sgpr 20
		.amdhsa_reserve_vcc 1
		.amdhsa_float_round_mode_32 0
		.amdhsa_float_round_mode_16_64 0
		.amdhsa_float_denorm_mode_32 3
		.amdhsa_float_denorm_mode_16_64 3
		.amdhsa_dx10_clamp 1
		.amdhsa_ieee_mode 1
		.amdhsa_fp16_overflow 0
		.amdhsa_workgroup_processor_mode 1
		.amdhsa_memory_ordered 1
		.amdhsa_forward_progress 0
		.amdhsa_shared_vgpr_count 0
		.amdhsa_exception_fp_ieee_invalid_op 0
		.amdhsa_exception_fp_denorm_src 0
		.amdhsa_exception_fp_ieee_div_zero 0
		.amdhsa_exception_fp_ieee_overflow 0
		.amdhsa_exception_fp_ieee_underflow 0
		.amdhsa_exception_fp_ieee_inexact 0
		.amdhsa_exception_int_div_zero 0
	.end_amdhsa_kernel
	.section	.text._ZL20rocblas_gemvt_kernelILb0ELi256EPK16rocblas_bfloat16fKPfEviiT2_lPKT1_lilS8_lilS5_lPT3_lili,"axG",@progbits,_ZL20rocblas_gemvt_kernelILb0ELi256EPK16rocblas_bfloat16fKPfEviiT2_lPKT1_lilS8_lilS5_lPT3_lili,comdat
.Lfunc_end683:
	.size	_ZL20rocblas_gemvt_kernelILb0ELi256EPK16rocblas_bfloat16fKPfEviiT2_lPKT1_lilS8_lilS5_lPT3_lili, .Lfunc_end683-_ZL20rocblas_gemvt_kernelILb0ELi256EPK16rocblas_bfloat16fKPfEviiT2_lPKT1_lilS8_lilS5_lPT3_lili
                                        ; -- End function
	.section	.AMDGPU.csdata,"",@progbits
; Kernel info:
; codeLenInByte = 1696
; NumSgprs: 22
; NumVgprs: 11
; ScratchSize: 0
; MemoryBound: 0
; FloatMode: 240
; IeeeMode: 1
; LDSByteSize: 1024 bytes/workgroup (compile time only)
; SGPRBlocks: 2
; VGPRBlocks: 1
; NumSGPRsForWavesPerEU: 22
; NumVGPRsForWavesPerEU: 11
; Occupancy: 16
; WaveLimiterHint : 1
; COMPUTE_PGM_RSRC2:SCRATCH_EN: 0
; COMPUTE_PGM_RSRC2:USER_SGPR: 14
; COMPUTE_PGM_RSRC2:TRAP_HANDLER: 0
; COMPUTE_PGM_RSRC2:TGID_X_EN: 1
; COMPUTE_PGM_RSRC2:TGID_Y_EN: 0
; COMPUTE_PGM_RSRC2:TGID_Z_EN: 1
; COMPUTE_PGM_RSRC2:TIDIG_COMP_CNT: 0
	.section	.text._ZL32rocblas_gemvt_warp_reduce_kernelILb0ELi1024EiPK16rocblas_bfloat16PKfKPfEviiT3_lPKT2_lT1_lSA_lSB_lS7_lPT4_lSB_li,"axG",@progbits,_ZL32rocblas_gemvt_warp_reduce_kernelILb0ELi1024EiPK16rocblas_bfloat16PKfKPfEviiT3_lPKT2_lT1_lSA_lSB_lS7_lPT4_lSB_li,comdat
	.globl	_ZL32rocblas_gemvt_warp_reduce_kernelILb0ELi1024EiPK16rocblas_bfloat16PKfKPfEviiT3_lPKT2_lT1_lSA_lSB_lS7_lPT4_lSB_li ; -- Begin function _ZL32rocblas_gemvt_warp_reduce_kernelILb0ELi1024EiPK16rocblas_bfloat16PKfKPfEviiT3_lPKT2_lT1_lSA_lSB_lS7_lPT4_lSB_li
	.p2align	8
	.type	_ZL32rocblas_gemvt_warp_reduce_kernelILb0ELi1024EiPK16rocblas_bfloat16PKfKPfEviiT3_lPKT2_lT1_lSA_lSB_lS7_lPT4_lSB_li,@function
_ZL32rocblas_gemvt_warp_reduce_kernelILb0ELi1024EiPK16rocblas_bfloat16PKfKPfEviiT3_lPKT2_lT1_lSA_lSB_lS7_lPT4_lSB_li: ; @_ZL32rocblas_gemvt_warp_reduce_kernelILb0ELi1024EiPK16rocblas_bfloat16PKfKPfEviiT3_lPKT2_lT1_lSA_lSB_lS7_lPT4_lSB_li
; %bb.0:
	s_clause 0x1
	s_load_b256 s[16:23], s[0:1], 0x8
	s_load_b256 s[4:11], s[0:1], 0x58
	s_mov_b32 s2, s15
	s_waitcnt lgkmcnt(0)
	s_mul_i32 s3, s15, s19
	s_mul_hi_u32 s13, s15, s18
	s_mul_i32 s12, s15, s18
	s_add_i32 s13, s13, s3
	s_mul_i32 s3, s15, s7
	s_lshl_b64 s[12:13], s[12:13], 2
	s_mul_hi_u32 s7, s15, s6
	s_add_u32 s12, s16, s12
	s_addc_u32 s13, s17, s13
	s_add_i32 s7, s7, s3
	s_mul_i32 s6, s15, s6
	s_delay_alu instid0(SALU_CYCLE_1) | instskip(NEXT) | instid1(SALU_CYCLE_1)
	s_lshl_b64 s[6:7], s[6:7], 2
	s_add_u32 s4, s4, s6
	s_addc_u32 s5, s5, s7
	s_load_b32 s13, s[12:13], 0x0
	s_load_b32 s12, s[4:5], 0x0
	s_waitcnt lgkmcnt(0)
	v_cmp_eq_f32_e64 s15, s13, 0
	v_cmp_eq_f32_e64 s3, s12, 1.0
	s_delay_alu instid0(VALU_DEP_1) | instskip(NEXT) | instid1(SALU_CYCLE_1)
	s_and_b32 s3, s15, s3
	s_and_b32 vcc_lo, exec_lo, s3
	s_mov_b32 s3, 0
	s_cbranch_vccnz .LBB684_41
; %bb.1:
	v_cmp_neq_f32_e64 s16, s13, 0
	s_mov_b64 s[4:5], 0
	s_and_b32 vcc_lo, exec_lo, s15
	s_mov_b64 s[6:7], 0
	s_cbranch_vccnz .LBB684_3
; %bb.2:
	s_lshl_b64 s[6:7], s[2:3], 3
	s_delay_alu instid0(SALU_CYCLE_1)
	s_add_u32 s6, s20, s6
	s_addc_u32 s7, s21, s7
	s_lshl_b64 s[18:19], s[22:23], 1
	s_load_b64 s[6:7], s[6:7], 0x0
	s_waitcnt lgkmcnt(0)
	s_add_u32 s6, s6, s18
	s_addc_u32 s7, s7, s19
.LBB684_3:
	s_and_not1_b32 vcc_lo, exec_lo, s16
	s_cbranch_vccnz .LBB684_5
; %bb.4:
	s_load_b128 s[16:19], s[0:1], 0x38
	s_lshl_b64 s[4:5], s[2:3], 3
	s_waitcnt lgkmcnt(0)
	s_add_u32 s4, s16, s4
	s_addc_u32 s5, s17, s5
	s_lshl_b64 s[16:17], s[18:19], 1
	s_load_b64 s[4:5], s[4:5], 0x0
	s_waitcnt lgkmcnt(0)
	s_add_u32 s4, s4, s16
	s_addc_u32 s5, s5, s17
.LBB684_5:
	s_lshl_b64 s[2:3], s[2:3], 3
	s_delay_alu instid0(SALU_CYCLE_1)
	s_add_u32 s2, s8, s2
	s_addc_u32 s3, s9, s3
	s_lshl_b64 s[10:11], s[10:11], 2
	s_load_b64 s[8:9], s[2:3], 0x0
	s_load_b32 s16, s[0:1], 0x78
	v_cmp_eq_u32_e64 s2, 0, v0
	s_waitcnt lgkmcnt(0)
	s_add_u32 s10, s8, s10
	s_addc_u32 s11, s9, s11
	s_and_not1_b32 vcc_lo, exec_lo, s15
	s_cbranch_vccnz .LBB684_10
; %bb.6:
	s_mov_b32 s3, 0
	s_mov_b32 s15, 0
                                        ; implicit-def: $vgpr1
                                        ; implicit-def: $sgpr8_sgpr9
	s_and_saveexec_b32 s17, s2
	s_cbranch_execz .LBB684_11
; %bb.7:
	v_cmp_eq_f32_e64 s2, s12, 0
	v_mov_b32_e32 v1, 0
	s_mul_i32 s8, s14, s16
	s_delay_alu instid0(SALU_CYCLE_1) | instskip(NEXT) | instid1(VALU_DEP_2)
	s_ashr_i32 s9, s8, 31
	s_and_b32 vcc_lo, exec_lo, s2
	s_cbranch_vccnz .LBB684_9
; %bb.8:
	s_lshl_b64 s[18:19], s[8:9], 2
	s_delay_alu instid0(SALU_CYCLE_1)
	s_add_u32 s18, s10, s18
	s_addc_u32 s19, s11, s19
	s_load_b32 s2, s[18:19], 0x0
	s_waitcnt lgkmcnt(0)
	v_mul_f32_e64 v1, s12, s2
.LBB684_9:
	s_mov_b32 s15, exec_lo
	s_or_b32 exec_lo, exec_lo, s17
	s_delay_alu instid0(SALU_CYCLE_1)
	s_and_b32 vcc_lo, exec_lo, s3
	s_cbranch_vccnz .LBB684_12
	s_branch .LBB684_39
.LBB684_10:
	s_mov_b32 s15, 0
                                        ; implicit-def: $vgpr1
                                        ; implicit-def: $sgpr8_sgpr9
	s_cbranch_execnz .LBB684_12
	s_branch .LBB684_39
.LBB684_11:
	s_or_b32 exec_lo, exec_lo, s17
	s_delay_alu instid0(SALU_CYCLE_1)
	s_and_b32 vcc_lo, exec_lo, s3
	s_cbranch_vccz .LBB684_39
.LBB684_12:
	s_clause 0x2
	s_load_b32 s2, s[0:1], 0x28
	s_load_b32 s3, s[0:1], 0x0
	;; [unrolled: 1-line block ×3, first 2 shown]
	v_mov_b32_e32 v7, 0
	s_waitcnt lgkmcnt(0)
	s_mul_i32 s8, s14, s2
	v_cmp_gt_i32_e32 vcc_lo, s3, v0
	s_ashr_i32 s9, s8, 31
	s_delay_alu instid0(SALU_CYCLE_1)
	s_lshl_b64 s[8:9], s[8:9], 1
	v_cndmask_b32_e32 v1, 0, v0, vcc_lo
	s_add_u32 s0, s8, s6
	s_addc_u32 s6, s9, s7
	s_ashr_i32 s2, s3, 31
	s_mov_b32 s7, 0
	v_lshlrev_b32_e32 v1, 1, v1
	s_lshr_b32 s2, s2, 22
	s_delay_alu instid0(SALU_CYCLE_1) | instskip(NEXT) | instid1(SALU_CYCLE_1)
	s_add_i32 s2, s3, s2
	s_and_b32 s2, s2, 0xfffffc00
	s_delay_alu instid0(VALU_DEP_1) | instskip(NEXT) | instid1(VALU_DEP_1)
	v_add_co_u32 v1, s0, s0, v1
	v_add_co_ci_u32_e64 v2, null, s6, 0, s0
	s_mov_b32 s6, exec_lo
	v_cmpx_gt_i32_e64 s2, v0
	s_cbranch_execz .LBB684_20
; %bb.13:
	v_mul_lo_u32 v3, v0, s1
	v_dual_mov_b32 v7, 0 :: v_dual_mov_b32 v6, v2
	v_dual_mov_b32 v5, v1 :: v_dual_mov_b32 v8, v0
	s_lshl_b32 s8, s1, 10
	s_branch .LBB684_15
.LBB684_14:                             ;   in Loop: Header=BB684_15 Depth=1
	s_or_b32 exec_lo, exec_lo, s0
	v_add_nc_u32_e32 v8, 0x400, v8
	s_delay_alu instid0(VALU_DEP_2) | instskip(SKIP_2) | instid1(VALU_DEP_4)
	v_and_b32_e32 v4, 0xffff0000, v9
	v_add_co_u32 v5, s0, 0x800, v5
	v_add_nc_u32_e32 v3, s8, v3
	v_cmp_le_i32_e32 vcc_lo, s2, v8
	s_delay_alu instid0(VALU_DEP_4) | instskip(SKIP_2) | instid1(SALU_CYCLE_1)
	v_add_f32_e32 v7, v7, v4
	v_add_co_ci_u32_e64 v6, s0, 0, v6, s0
	s_or_b32 s7, vcc_lo, s7
	s_and_not1_b32 exec_lo, exec_lo, s7
	s_cbranch_execz .LBB684_19
.LBB684_15:                             ; =>This Inner Loop Header: Depth=1
	s_delay_alu instid0(VALU_DEP_3) | instskip(NEXT) | instid1(VALU_DEP_1)
	v_ashrrev_i32_e32 v4, 31, v3
	v_lshlrev_b64 v[9:10], 1, v[3:4]
	s_delay_alu instid0(VALU_DEP_1) | instskip(NEXT) | instid1(VALU_DEP_2)
	v_add_co_u32 v9, vcc_lo, s4, v9
	v_add_co_ci_u32_e32 v10, vcc_lo, s5, v10, vcc_lo
	flat_load_u16 v4, v[5:6]
	flat_load_u16 v9, v[9:10]
	s_waitcnt vmcnt(1) lgkmcnt(1)
	v_lshlrev_b32_e32 v4, 16, v4
	s_waitcnt vmcnt(0) lgkmcnt(0)
	v_lshlrev_b32_e32 v9, 16, v9
	s_delay_alu instid0(VALU_DEP_1) | instskip(NEXT) | instid1(VALU_DEP_1)
	v_mul_f32_e32 v4, v4, v9
	v_and_b32_e32 v9, 0x7f800000, v4
	s_delay_alu instid0(VALU_DEP_1) | instskip(SKIP_1) | instid1(SALU_CYCLE_1)
	v_cmp_ne_u32_e32 vcc_lo, 0x7f800000, v9
                                        ; implicit-def: $vgpr9
	s_and_saveexec_b32 s0, vcc_lo
	s_xor_b32 s0, exec_lo, s0
; %bb.16:                               ;   in Loop: Header=BB684_15 Depth=1
	v_bfe_u32 v9, v4, 16, 1
	s_delay_alu instid0(VALU_DEP_1)
	v_add3_u32 v9, v4, v9, 0x7fff
                                        ; implicit-def: $vgpr4
; %bb.17:                               ;   in Loop: Header=BB684_15 Depth=1
	s_and_not1_saveexec_b32 s0, s0
	s_cbranch_execz .LBB684_14
; %bb.18:                               ;   in Loop: Header=BB684_15 Depth=1
	v_and_b32_e32 v9, 0xffff, v4
	v_or_b32_e32 v10, 0x10000, v4
	s_delay_alu instid0(VALU_DEP_2) | instskip(NEXT) | instid1(VALU_DEP_2)
	v_cmp_eq_u32_e32 vcc_lo, 0, v9
	v_cndmask_b32_e32 v9, v10, v4, vcc_lo
	s_branch .LBB684_14
.LBB684_19:
	s_or_b32 exec_lo, exec_lo, s7
.LBB684_20:
	s_delay_alu instid0(SALU_CYCLE_1) | instskip(SKIP_2) | instid1(VALU_DEP_1)
	s_or_b32 exec_lo, exec_lo, s6
	v_or_b32_e32 v3, s2, v0
	s_mov_b32 s0, exec_lo
	v_cmpx_gt_i32_e64 s3, v3
	s_cbranch_execz .LBB684_26
; %bb.21:
	v_mul_lo_u32 v3, v3, s1
	s_ashr_i32 s3, s2, 31
	s_delay_alu instid0(SALU_CYCLE_1) | instskip(NEXT) | instid1(VALU_DEP_1)
	s_lshl_b64 s[2:3], s[2:3], 1
	v_ashrrev_i32_e32 v4, 31, v3
	s_delay_alu instid0(VALU_DEP_1) | instskip(NEXT) | instid1(VALU_DEP_1)
	v_lshlrev_b64 v[3:4], 1, v[3:4]
	v_add_co_u32 v3, vcc_lo, s4, v3
	s_delay_alu instid0(VALU_DEP_2)
	v_add_co_ci_u32_e32 v4, vcc_lo, s5, v4, vcc_lo
	v_add_co_u32 v1, vcc_lo, v1, s2
	v_add_co_ci_u32_e32 v2, vcc_lo, s3, v2, vcc_lo
	flat_load_u16 v3, v[3:4]
	flat_load_u16 v1, v[1:2]
	s_waitcnt vmcnt(1) lgkmcnt(1)
	v_lshlrev_b32_e32 v2, 16, v3
	s_waitcnt vmcnt(0) lgkmcnt(0)
	v_lshlrev_b32_e32 v1, 16, v1
	s_delay_alu instid0(VALU_DEP_1) | instskip(NEXT) | instid1(VALU_DEP_1)
	v_mul_f32_e32 v1, v1, v2
	v_and_b32_e32 v2, 0x7f800000, v1
	s_delay_alu instid0(VALU_DEP_1) | instskip(SKIP_1) | instid1(SALU_CYCLE_1)
	v_cmp_ne_u32_e32 vcc_lo, 0x7f800000, v2
                                        ; implicit-def: $vgpr2
	s_and_saveexec_b32 s1, vcc_lo
	s_xor_b32 s1, exec_lo, s1
; %bb.22:
	v_bfe_u32 v2, v1, 16, 1
	s_delay_alu instid0(VALU_DEP_1)
	v_add3_u32 v2, v1, v2, 0x7fff
                                        ; implicit-def: $vgpr1
; %bb.23:
	s_and_not1_saveexec_b32 s1, s1
; %bb.24:
	v_and_b32_e32 v2, 0xffff, v1
	v_or_b32_e32 v3, 0x10000, v1
	s_delay_alu instid0(VALU_DEP_2) | instskip(NEXT) | instid1(VALU_DEP_2)
	v_cmp_eq_u32_e32 vcc_lo, 0, v2
	v_cndmask_b32_e32 v2, v3, v1, vcc_lo
; %bb.25:
	s_or_b32 exec_lo, exec_lo, s1
	s_delay_alu instid0(VALU_DEP_1) | instskip(NEXT) | instid1(VALU_DEP_1)
	v_and_b32_e32 v1, 0xffff0000, v2
	v_add_f32_e32 v7, v7, v1
.LBB684_26:
	s_or_b32 exec_lo, exec_lo, s0
	v_and_b32_e32 v6, 31, v0
	v_cmp_gt_u32_e32 vcc_lo, 32, v0
	s_delay_alu instid0(VALU_DEP_2)
	v_lshlrev_b32_e32 v1, 2, v6
	s_and_saveexec_b32 s0, vcc_lo
	s_cbranch_execz .LBB684_28
; %bb.27:
	v_mov_b32_e32 v2, 0
	ds_store_b32 v1, v2
.LBB684_28:
	s_or_b32 exec_lo, exec_lo, s0
	v_mbcnt_lo_u32_b32 v8, -1, 0
	s_mov_b32 s1, exec_lo
	s_waitcnt lgkmcnt(0)
	s_barrier
	buffer_gl0_inv
	v_cmp_gt_u32_e64 s0, 16, v8
	s_delay_alu instid0(VALU_DEP_1) | instskip(SKIP_1) | instid1(VALU_DEP_2)
	v_cndmask_b32_e64 v2, 0, 1, s0
	v_cmp_gt_u32_e64 s0, 24, v8
	v_lshlrev_b32_e32 v2, 4, v2
	s_delay_alu instid0(VALU_DEP_2) | instskip(SKIP_1) | instid1(VALU_DEP_3)
	v_cndmask_b32_e64 v3, 0, 1, s0
	v_cmp_gt_u32_e64 s0, 28, v8
	v_add_lshl_u32 v2, v2, v8, 2
	s_delay_alu instid0(VALU_DEP_3)
	v_lshlrev_b32_e32 v3, 3, v3
	ds_bpermute_b32 v4, v2, v7
	v_add_lshl_u32 v3, v3, v8, 2
	s_waitcnt lgkmcnt(0)
	v_add_f32_e32 v5, v7, v4
	v_cndmask_b32_e64 v4, 0, 1, s0
	v_cmp_gt_u32_e64 s0, 30, v8
	ds_bpermute_b32 v7, v3, v5
	s_waitcnt lgkmcnt(0)
	v_dual_add_f32 v7, v5, v7 :: v_dual_lshlrev_b32 v4, 2, v4
	s_delay_alu instid0(VALU_DEP_1)
	v_add_lshl_u32 v4, v4, v8, 2
	v_cndmask_b32_e64 v5, 0, 1, s0
	v_cmp_ne_u32_e64 s0, 31, v8
	ds_bpermute_b32 v9, v4, v7
	v_lshlrev_b32_e32 v5, 1, v5
	v_add_co_ci_u32_e64 v10, s0, 0, v8, s0
	s_delay_alu instid0(VALU_DEP_2)
	v_add_lshl_u32 v5, v5, v8, 2
	s_waitcnt lgkmcnt(0)
	v_add_f32_e32 v7, v7, v9
	ds_bpermute_b32 v9, v5, v7
	s_waitcnt lgkmcnt(0)
	v_dual_add_f32 v8, v7, v9 :: v_dual_lshlrev_b32 v7, 2, v10
	ds_bpermute_b32 v9, v7, v8
	v_cmpx_eq_u32_e32 0, v6
	s_cbranch_execz .LBB684_30
; %bb.29:
	v_lshrrev_b32_e32 v6, 3, v0
	s_waitcnt lgkmcnt(0)
	v_add_f32_e32 v8, v8, v9
	s_delay_alu instid0(VALU_DEP_2)
	v_and_b32_e32 v6, 0x7c, v6
	ds_store_b32 v6, v8
.LBB684_30:
	s_or_b32 exec_lo, exec_lo, s1
	v_mov_b32_e32 v6, 0
	s_waitcnt lgkmcnt(0)
	s_barrier
	buffer_gl0_inv
	s_and_saveexec_b32 s0, vcc_lo
	s_cbranch_execz .LBB684_32
; %bb.31:
	ds_load_b32 v6, v1
.LBB684_32:
	s_or_b32 exec_lo, exec_lo, s0
	s_and_saveexec_b32 s0, vcc_lo
	s_cbranch_execz .LBB684_34
; %bb.33:
	s_waitcnt lgkmcnt(0)
	ds_bpermute_b32 v1, v2, v6
	s_waitcnt lgkmcnt(0)
	v_add_f32_e32 v1, v6, v1
	ds_bpermute_b32 v2, v3, v1
	s_waitcnt lgkmcnt(0)
	v_add_f32_e32 v1, v1, v2
	ds_bpermute_b32 v2, v4, v1
	s_waitcnt lgkmcnt(0)
	v_add_f32_e32 v1, v1, v2
	ds_bpermute_b32 v2, v5, v1
	s_waitcnt lgkmcnt(0)
	v_add_f32_e32 v1, v1, v2
	ds_bpermute_b32 v2, v7, v1
	s_waitcnt lgkmcnt(0)
	v_add_f32_e32 v6, v1, v2
.LBB684_34:
	s_or_b32 exec_lo, exec_lo, s0
	s_delay_alu instid0(SALU_CYCLE_1)
	s_mov_b32 s0, exec_lo
                                        ; implicit-def: $vgpr1
                                        ; implicit-def: $sgpr8_sgpr9
	v_cmpx_eq_u32_e32 0, v0
	s_cbranch_execz .LBB684_38
; %bb.35:
	v_cmp_eq_f32_e64 s1, s12, 0
	s_waitcnt lgkmcnt(0)
	v_mul_f32_e32 v1, s13, v6
	s_mul_i32 s8, s14, s16
	s_delay_alu instid0(SALU_CYCLE_1)
	s_ashr_i32 s9, s8, 31
	s_and_b32 vcc_lo, exec_lo, s1
	s_cbranch_vccnz .LBB684_37
; %bb.36:
	s_lshl_b64 s[2:3], s[8:9], 2
	s_delay_alu instid0(SALU_CYCLE_1)
	s_add_u32 s2, s10, s2
	s_addc_u32 s3, s11, s3
	s_load_b32 s1, s[2:3], 0x0
	s_waitcnt lgkmcnt(0)
	v_fmac_f32_e64 v1, s12, s1
.LBB684_37:
	s_or_b32 s15, s15, exec_lo
.LBB684_38:
	s_or_b32 exec_lo, exec_lo, s0
.LBB684_39:
	s_and_saveexec_b32 s0, s15
	s_cbranch_execz .LBB684_41
; %bb.40:
	s_lshl_b64 s[0:1], s[8:9], 2
	v_mov_b32_e32 v0, 0
	s_add_u32 s0, s10, s0
	s_addc_u32 s1, s11, s1
	global_store_b32 v0, v1, s[0:1]
.LBB684_41:
	s_nop 0
	s_sendmsg sendmsg(MSG_DEALLOC_VGPRS)
	s_endpgm
	.section	.rodata,"a",@progbits
	.p2align	6, 0x0
	.amdhsa_kernel _ZL32rocblas_gemvt_warp_reduce_kernelILb0ELi1024EiPK16rocblas_bfloat16PKfKPfEviiT3_lPKT2_lT1_lSA_lSB_lS7_lPT4_lSB_li
		.amdhsa_group_segment_fixed_size 128
		.amdhsa_private_segment_fixed_size 0
		.amdhsa_kernarg_size 140
		.amdhsa_user_sgpr_count 14
		.amdhsa_user_sgpr_dispatch_ptr 0
		.amdhsa_user_sgpr_queue_ptr 0
		.amdhsa_user_sgpr_kernarg_segment_ptr 1
		.amdhsa_user_sgpr_dispatch_id 0
		.amdhsa_user_sgpr_private_segment_size 0
		.amdhsa_wavefront_size32 1
		.amdhsa_uses_dynamic_stack 0
		.amdhsa_enable_private_segment 0
		.amdhsa_system_sgpr_workgroup_id_x 1
		.amdhsa_system_sgpr_workgroup_id_y 0
		.amdhsa_system_sgpr_workgroup_id_z 1
		.amdhsa_system_sgpr_workgroup_info 0
		.amdhsa_system_vgpr_workitem_id 0
		.amdhsa_next_free_vgpr 11
		.amdhsa_next_free_sgpr 24
		.amdhsa_reserve_vcc 1
		.amdhsa_float_round_mode_32 0
		.amdhsa_float_round_mode_16_64 0
		.amdhsa_float_denorm_mode_32 3
		.amdhsa_float_denorm_mode_16_64 3
		.amdhsa_dx10_clamp 1
		.amdhsa_ieee_mode 1
		.amdhsa_fp16_overflow 0
		.amdhsa_workgroup_processor_mode 1
		.amdhsa_memory_ordered 1
		.amdhsa_forward_progress 0
		.amdhsa_shared_vgpr_count 0
		.amdhsa_exception_fp_ieee_invalid_op 0
		.amdhsa_exception_fp_denorm_src 0
		.amdhsa_exception_fp_ieee_div_zero 0
		.amdhsa_exception_fp_ieee_overflow 0
		.amdhsa_exception_fp_ieee_underflow 0
		.amdhsa_exception_fp_ieee_inexact 0
		.amdhsa_exception_int_div_zero 0
	.end_amdhsa_kernel
	.section	.text._ZL32rocblas_gemvt_warp_reduce_kernelILb0ELi1024EiPK16rocblas_bfloat16PKfKPfEviiT3_lPKT2_lT1_lSA_lSB_lS7_lPT4_lSB_li,"axG",@progbits,_ZL32rocblas_gemvt_warp_reduce_kernelILb0ELi1024EiPK16rocblas_bfloat16PKfKPfEviiT3_lPKT2_lT1_lSA_lSB_lS7_lPT4_lSB_li,comdat
.Lfunc_end684:
	.size	_ZL32rocblas_gemvt_warp_reduce_kernelILb0ELi1024EiPK16rocblas_bfloat16PKfKPfEviiT3_lPKT2_lT1_lSA_lSB_lS7_lPT4_lSB_li, .Lfunc_end684-_ZL32rocblas_gemvt_warp_reduce_kernelILb0ELi1024EiPK16rocblas_bfloat16PKfKPfEviiT3_lPKT2_lT1_lSA_lSB_lS7_lPT4_lSB_li
                                        ; -- End function
	.section	.AMDGPU.csdata,"",@progbits
; Kernel info:
; codeLenInByte = 1724
; NumSgprs: 26
; NumVgprs: 11
; ScratchSize: 0
; MemoryBound: 0
; FloatMode: 240
; IeeeMode: 1
; LDSByteSize: 128 bytes/workgroup (compile time only)
; SGPRBlocks: 3
; VGPRBlocks: 1
; NumSGPRsForWavesPerEU: 26
; NumVGPRsForWavesPerEU: 11
; Occupancy: 16
; WaveLimiterHint : 1
; COMPUTE_PGM_RSRC2:SCRATCH_EN: 0
; COMPUTE_PGM_RSRC2:USER_SGPR: 14
; COMPUTE_PGM_RSRC2:TRAP_HANDLER: 0
; COMPUTE_PGM_RSRC2:TGID_X_EN: 1
; COMPUTE_PGM_RSRC2:TGID_Y_EN: 0
; COMPUTE_PGM_RSRC2:TGID_Z_EN: 1
; COMPUTE_PGM_RSRC2:TIDIG_COMP_CNT: 0
	.section	.text._ZL32rocblas_gemvt_warp_reduce_kernelILb0ELi1024ElPK16rocblas_bfloat16PKfKPfEviiT3_lPKT2_lT1_lSA_lSB_lS7_lPT4_lSB_li,"axG",@progbits,_ZL32rocblas_gemvt_warp_reduce_kernelILb0ELi1024ElPK16rocblas_bfloat16PKfKPfEviiT3_lPKT2_lT1_lSA_lSB_lS7_lPT4_lSB_li,comdat
	.globl	_ZL32rocblas_gemvt_warp_reduce_kernelILb0ELi1024ElPK16rocblas_bfloat16PKfKPfEviiT3_lPKT2_lT1_lSA_lSB_lS7_lPT4_lSB_li ; -- Begin function _ZL32rocblas_gemvt_warp_reduce_kernelILb0ELi1024ElPK16rocblas_bfloat16PKfKPfEviiT3_lPKT2_lT1_lSA_lSB_lS7_lPT4_lSB_li
	.p2align	8
	.type	_ZL32rocblas_gemvt_warp_reduce_kernelILb0ELi1024ElPK16rocblas_bfloat16PKfKPfEviiT3_lPKT2_lT1_lSA_lSB_lS7_lPT4_lSB_li,@function
_ZL32rocblas_gemvt_warp_reduce_kernelILb0ELi1024ElPK16rocblas_bfloat16PKfKPfEviiT3_lPKT2_lT1_lSA_lSB_lS7_lPT4_lSB_li: ; @_ZL32rocblas_gemvt_warp_reduce_kernelILb0ELi1024ElPK16rocblas_bfloat16PKfKPfEviiT3_lPKT2_lT1_lSA_lSB_lS7_lPT4_lSB_li
; %bb.0:
	s_clause 0x1
	s_load_b256 s[16:23], s[0:1], 0x8
	s_load_b256 s[4:11], s[0:1], 0x58
	s_mov_b32 s2, s15
	s_waitcnt lgkmcnt(0)
	s_mul_i32 s3, s15, s19
	s_mul_hi_u32 s13, s15, s18
	s_mul_i32 s12, s15, s18
	s_add_i32 s13, s13, s3
	s_mul_i32 s3, s15, s7
	s_lshl_b64 s[12:13], s[12:13], 2
	s_mul_hi_u32 s7, s15, s6
	s_add_u32 s12, s16, s12
	s_addc_u32 s13, s17, s13
	s_add_i32 s7, s7, s3
	s_mul_i32 s6, s15, s6
	s_delay_alu instid0(SALU_CYCLE_1) | instskip(NEXT) | instid1(SALU_CYCLE_1)
	s_lshl_b64 s[6:7], s[6:7], 2
	s_add_u32 s4, s4, s6
	s_addc_u32 s5, s5, s7
	s_load_b32 s28, s[12:13], 0x0
	s_load_b32 s15, s[4:5], 0x0
	s_waitcnt lgkmcnt(0)
	v_cmp_eq_f32_e64 s29, s28, 0
	v_cmp_eq_f32_e64 s3, s15, 1.0
	s_delay_alu instid0(VALU_DEP_1) | instskip(NEXT) | instid1(SALU_CYCLE_1)
	s_and_b32 s3, s29, s3
	s_and_b32 vcc_lo, exec_lo, s3
	s_mov_b32 s3, 0
	s_cbranch_vccnz .LBB685_41
; %bb.1:
	s_clause 0x1
	s_load_b64 s[24:25], s[0:1], 0x28
	s_load_b64 s[12:13], s[0:1], 0x78
	v_cmp_neq_f32_e64 s30, s28, 0
	s_mov_b64 s[16:17], 0
	s_and_b32 vcc_lo, exec_lo, s29
	s_mov_b64 s[26:27], 0
	s_cbranch_vccnz .LBB685_3
; %bb.2:
	s_lshl_b64 s[4:5], s[2:3], 3
	s_delay_alu instid0(SALU_CYCLE_1)
	s_add_u32 s4, s20, s4
	s_addc_u32 s5, s21, s5
	s_lshl_b64 s[6:7], s[22:23], 1
	s_load_b64 s[4:5], s[4:5], 0x0
	s_waitcnt lgkmcnt(0)
	s_add_u32 s26, s4, s6
	s_addc_u32 s27, s5, s7
.LBB685_3:
	s_clause 0x1
	s_load_b128 s[4:7], s[0:1], 0x38
	s_load_b64 s[18:19], s[0:1], 0x48
	s_and_not1_b32 vcc_lo, exec_lo, s30
	s_cbranch_vccnz .LBB685_5
; %bb.4:
	s_lshl_b64 s[16:17], s[2:3], 3
	s_waitcnt lgkmcnt(0)
	s_add_u32 s4, s4, s16
	s_addc_u32 s5, s5, s17
	s_lshl_b64 s[6:7], s[6:7], 1
	s_load_b64 s[4:5], s[4:5], 0x0
	s_waitcnt lgkmcnt(0)
	s_add_u32 s16, s4, s6
	s_addc_u32 s17, s5, s7
.LBB685_5:
	s_lshl_b64 s[2:3], s[2:3], 3
	s_delay_alu instid0(SALU_CYCLE_1)
	s_add_u32 s2, s8, s2
	s_addc_u32 s3, s9, s3
	s_waitcnt lgkmcnt(0)
	s_lshl_b64 s[6:7], s[10:11], 2
	s_load_b64 s[4:5], s[2:3], 0x0
	v_cmp_eq_u32_e64 s2, 0, v0
	s_waitcnt lgkmcnt(0)
	s_add_u32 s6, s4, s6
	s_addc_u32 s7, s5, s7
	s_and_not1_b32 vcc_lo, exec_lo, s29
	s_cbranch_vccnz .LBB685_10
; %bb.6:
	s_mov_b32 s3, 0
	s_mov_b32 s8, 0
                                        ; implicit-def: $vgpr1
                                        ; implicit-def: $sgpr4_sgpr5
	s_and_saveexec_b32 s9, s2
	s_cbranch_execz .LBB685_11
; %bb.7:
	v_cmp_eq_f32_e64 s2, s15, 0
	s_mul_i32 s4, s14, s13
	s_mul_hi_u32 s5, s14, s12
	s_ashr_i32 s8, s14, 31
	v_mov_b32_e32 v1, 0
	s_add_i32 s4, s5, s4
	s_mul_i32 s8, s8, s12
	s_and_b32 vcc_lo, exec_lo, s2
	s_add_i32 s5, s4, s8
	s_mul_i32 s4, s14, s12
	s_cbranch_vccnz .LBB685_9
; %bb.8:
	s_lshl_b64 s[10:11], s[4:5], 2
	s_delay_alu instid0(SALU_CYCLE_1)
	s_add_u32 s10, s6, s10
	s_addc_u32 s11, s7, s11
	s_load_b32 s2, s[10:11], 0x0
	s_waitcnt lgkmcnt(0)
	v_mul_f32_e64 v1, s15, s2
.LBB685_9:
	s_mov_b32 s8, exec_lo
	s_or_b32 exec_lo, exec_lo, s9
	s_delay_alu instid0(SALU_CYCLE_1)
	s_and_b32 vcc_lo, exec_lo, s3
	s_cbranch_vccnz .LBB685_12
	s_branch .LBB685_39
.LBB685_10:
	s_mov_b32 s8, 0
                                        ; implicit-def: $vgpr1
                                        ; implicit-def: $sgpr4_sgpr5
	s_cbranch_execnz .LBB685_12
	s_branch .LBB685_39
.LBB685_11:
	s_or_b32 exec_lo, exec_lo, s9
	s_delay_alu instid0(SALU_CYCLE_1)
	s_and_b32 vcc_lo, exec_lo, s3
	s_cbranch_vccz .LBB685_39
.LBB685_12:
	s_load_b32 s3, s[0:1], 0x0
	s_mul_i32 s0, s14, s25
	s_mul_hi_u32 s2, s14, s24
	s_ashr_i32 s1, s14, 31
	s_add_i32 s0, s2, s0
	s_mul_i32 s2, s1, s24
	s_mul_i32 s4, s14, s24
	s_add_i32 s5, s0, s2
	v_mov_b32_e32 v7, 0
	s_lshl_b64 s[4:5], s[4:5], 1
	s_mov_b32 s10, 0
	s_add_u32 s0, s4, s26
	s_addc_u32 s4, s5, s27
	s_mov_b32 s9, exec_lo
	s_waitcnt lgkmcnt(0)
	v_cmp_gt_i32_e32 vcc_lo, s3, v0
	s_ashr_i32 s2, s3, 31
	s_delay_alu instid0(SALU_CYCLE_1) | instskip(NEXT) | instid1(SALU_CYCLE_1)
	s_lshr_b32 s2, s2, 22
	s_add_i32 s2, s3, s2
	v_cndmask_b32_e32 v1, 0, v0, vcc_lo
	s_and_b32 s2, s2, 0xfffffc00
	s_delay_alu instid0(VALU_DEP_1) | instskip(NEXT) | instid1(VALU_DEP_1)
	v_lshlrev_b32_e32 v1, 1, v1
	v_add_co_u32 v1, s0, s0, v1
	s_delay_alu instid0(VALU_DEP_1)
	v_add_co_ci_u32_e64 v2, null, s4, 0, s0
	v_cmpx_gt_i32_e64 s2, v0
	s_cbranch_execz .LBB685_20
; %bb.13:
	v_mad_u64_u32 v[3:4], null, s18, v0, 0
	v_mov_b32_e32 v8, v0
	s_lshl_b64 s[4:5], s[18:19], 11
	v_mov_b32_e32 v7, 0
	s_delay_alu instid0(VALU_DEP_3) | instskip(NEXT) | instid1(VALU_DEP_1)
	v_mad_u64_u32 v[5:6], null, s19, v0, v[4:5]
	v_mov_b32_e32 v4, v5
	s_delay_alu instid0(VALU_DEP_1) | instskip(SKIP_1) | instid1(VALU_DEP_2)
	v_lshlrev_b64 v[5:6], 1, v[3:4]
	v_dual_mov_b32 v4, v2 :: v_dual_mov_b32 v3, v1
	v_add_co_u32 v5, vcc_lo, s16, v5
	s_delay_alu instid0(VALU_DEP_3)
	v_add_co_ci_u32_e32 v6, vcc_lo, s17, v6, vcc_lo
	s_set_inst_prefetch_distance 0x1
	s_branch .LBB685_15
	.p2align	6
.LBB685_14:                             ;   in Loop: Header=BB685_15 Depth=1
	s_or_b32 exec_lo, exec_lo, s0
	s_delay_alu instid0(VALU_DEP_1) | instskip(SKIP_3) | instid1(VALU_DEP_4)
	v_and_b32_e32 v9, 0xffff0000, v10
	v_add_nc_u32_e32 v8, 0x400, v8
	v_add_co_u32 v3, vcc_lo, 0x800, v3
	v_add_co_ci_u32_e32 v4, vcc_lo, 0, v4, vcc_lo
	v_add_f32_e32 v7, v7, v9
	s_delay_alu instid0(VALU_DEP_4) | instskip(SKIP_1) | instid1(VALU_DEP_1)
	v_cmp_le_i32_e32 vcc_lo, s2, v8
	v_add_co_u32 v5, s0, v5, s4
	v_add_co_ci_u32_e64 v6, s0, s5, v6, s0
	s_or_b32 s10, vcc_lo, s10
	s_delay_alu instid0(SALU_CYCLE_1)
	s_and_not1_b32 exec_lo, exec_lo, s10
	s_cbranch_execz .LBB685_19
.LBB685_15:                             ; =>This Inner Loop Header: Depth=1
	flat_load_u16 v9, v[5:6]
	flat_load_u16 v10, v[3:4]
	s_waitcnt vmcnt(1) lgkmcnt(1)
	v_lshlrev_b32_e32 v9, 16, v9
	s_waitcnt vmcnt(0) lgkmcnt(0)
	v_lshlrev_b32_e32 v10, 16, v10
	s_delay_alu instid0(VALU_DEP_1) | instskip(NEXT) | instid1(VALU_DEP_1)
	v_mul_f32_e32 v9, v10, v9
	v_and_b32_e32 v10, 0x7f800000, v9
	s_delay_alu instid0(VALU_DEP_1) | instskip(SKIP_1) | instid1(SALU_CYCLE_1)
	v_cmp_ne_u32_e32 vcc_lo, 0x7f800000, v10
                                        ; implicit-def: $vgpr10
	s_and_saveexec_b32 s0, vcc_lo
	s_xor_b32 s0, exec_lo, s0
; %bb.16:                               ;   in Loop: Header=BB685_15 Depth=1
	v_bfe_u32 v10, v9, 16, 1
	s_delay_alu instid0(VALU_DEP_1)
	v_add3_u32 v10, v9, v10, 0x7fff
                                        ; implicit-def: $vgpr9
; %bb.17:                               ;   in Loop: Header=BB685_15 Depth=1
	s_and_not1_saveexec_b32 s0, s0
	s_cbranch_execz .LBB685_14
; %bb.18:                               ;   in Loop: Header=BB685_15 Depth=1
	v_and_b32_e32 v10, 0xffff, v9
	v_or_b32_e32 v11, 0x10000, v9
	s_delay_alu instid0(VALU_DEP_2) | instskip(NEXT) | instid1(VALU_DEP_2)
	v_cmp_eq_u32_e32 vcc_lo, 0, v10
	v_cndmask_b32_e32 v10, v11, v9, vcc_lo
	s_branch .LBB685_14
.LBB685_19:
	s_set_inst_prefetch_distance 0x2
	s_or_b32 exec_lo, exec_lo, s10
.LBB685_20:
	s_delay_alu instid0(SALU_CYCLE_1) | instskip(SKIP_2) | instid1(VALU_DEP_1)
	s_or_b32 exec_lo, exec_lo, s9
	v_or_b32_e32 v3, s2, v0
	s_mov_b32 s0, exec_lo
	v_cmpx_gt_i32_e64 s3, v3
	s_cbranch_execz .LBB685_26
; %bb.21:
	v_ashrrev_i32_e32 v6, 31, v3
	v_mul_lo_u32 v8, v3, s19
	v_mad_u64_u32 v[4:5], null, v3, s18, 0
	s_ashr_i32 s3, s2, 31
	s_delay_alu instid0(VALU_DEP_3) | instskip(SKIP_1) | instid1(VALU_DEP_1)
	v_mul_lo_u32 v3, v6, s18
	s_lshl_b64 s[2:3], s[2:3], 1
	v_add3_u32 v5, v5, v8, v3
	s_delay_alu instid0(VALU_DEP_1) | instskip(NEXT) | instid1(VALU_DEP_1)
	v_lshlrev_b64 v[3:4], 1, v[4:5]
	v_add_co_u32 v3, vcc_lo, s16, v3
	s_delay_alu instid0(VALU_DEP_2)
	v_add_co_ci_u32_e32 v4, vcc_lo, s17, v4, vcc_lo
	v_add_co_u32 v1, vcc_lo, v1, s2
	v_add_co_ci_u32_e32 v2, vcc_lo, s3, v2, vcc_lo
	flat_load_u16 v3, v[3:4]
	flat_load_u16 v1, v[1:2]
	s_waitcnt vmcnt(1) lgkmcnt(1)
	v_lshlrev_b32_e32 v2, 16, v3
	s_waitcnt vmcnt(0) lgkmcnt(0)
	v_lshlrev_b32_e32 v1, 16, v1
	s_delay_alu instid0(VALU_DEP_1) | instskip(NEXT) | instid1(VALU_DEP_1)
	v_mul_f32_e32 v1, v1, v2
	v_and_b32_e32 v2, 0x7f800000, v1
	s_delay_alu instid0(VALU_DEP_1) | instskip(SKIP_1) | instid1(SALU_CYCLE_1)
	v_cmp_ne_u32_e32 vcc_lo, 0x7f800000, v2
                                        ; implicit-def: $vgpr2
	s_and_saveexec_b32 s2, vcc_lo
	s_xor_b32 s2, exec_lo, s2
; %bb.22:
	v_bfe_u32 v2, v1, 16, 1
	s_delay_alu instid0(VALU_DEP_1)
	v_add3_u32 v2, v1, v2, 0x7fff
                                        ; implicit-def: $vgpr1
; %bb.23:
	s_and_not1_saveexec_b32 s2, s2
; %bb.24:
	v_and_b32_e32 v2, 0xffff, v1
	v_or_b32_e32 v3, 0x10000, v1
	s_delay_alu instid0(VALU_DEP_2) | instskip(NEXT) | instid1(VALU_DEP_2)
	v_cmp_eq_u32_e32 vcc_lo, 0, v2
	v_cndmask_b32_e32 v2, v3, v1, vcc_lo
; %bb.25:
	s_or_b32 exec_lo, exec_lo, s2
	s_delay_alu instid0(VALU_DEP_1) | instskip(NEXT) | instid1(VALU_DEP_1)
	v_and_b32_e32 v1, 0xffff0000, v2
	v_add_f32_e32 v7, v7, v1
.LBB685_26:
	s_or_b32 exec_lo, exec_lo, s0
	v_and_b32_e32 v6, 31, v0
	v_cmp_gt_u32_e32 vcc_lo, 32, v0
	s_delay_alu instid0(VALU_DEP_2)
	v_lshlrev_b32_e32 v1, 2, v6
	s_and_saveexec_b32 s0, vcc_lo
	s_cbranch_execz .LBB685_28
; %bb.27:
	v_mov_b32_e32 v2, 0
	ds_store_b32 v1, v2
.LBB685_28:
	s_or_b32 exec_lo, exec_lo, s0
	v_mbcnt_lo_u32_b32 v8, -1, 0
	s_mov_b32 s2, exec_lo
	s_waitcnt lgkmcnt(0)
	s_barrier
	buffer_gl0_inv
	v_cmp_gt_u32_e64 s0, 16, v8
	s_delay_alu instid0(VALU_DEP_1) | instskip(SKIP_1) | instid1(VALU_DEP_2)
	v_cndmask_b32_e64 v2, 0, 1, s0
	v_cmp_gt_u32_e64 s0, 24, v8
	v_lshlrev_b32_e32 v2, 4, v2
	s_delay_alu instid0(VALU_DEP_2) | instskip(SKIP_1) | instid1(VALU_DEP_3)
	v_cndmask_b32_e64 v3, 0, 1, s0
	v_cmp_gt_u32_e64 s0, 28, v8
	v_add_lshl_u32 v2, v2, v8, 2
	s_delay_alu instid0(VALU_DEP_3)
	v_lshlrev_b32_e32 v3, 3, v3
	ds_bpermute_b32 v4, v2, v7
	v_add_lshl_u32 v3, v3, v8, 2
	s_waitcnt lgkmcnt(0)
	v_add_f32_e32 v5, v7, v4
	v_cndmask_b32_e64 v4, 0, 1, s0
	v_cmp_gt_u32_e64 s0, 30, v8
	ds_bpermute_b32 v7, v3, v5
	s_waitcnt lgkmcnt(0)
	v_dual_add_f32 v7, v5, v7 :: v_dual_lshlrev_b32 v4, 2, v4
	s_delay_alu instid0(VALU_DEP_1)
	v_add_lshl_u32 v4, v4, v8, 2
	v_cndmask_b32_e64 v5, 0, 1, s0
	v_cmp_ne_u32_e64 s0, 31, v8
	ds_bpermute_b32 v9, v4, v7
	v_lshlrev_b32_e32 v5, 1, v5
	v_add_co_ci_u32_e64 v10, s0, 0, v8, s0
	s_delay_alu instid0(VALU_DEP_2)
	v_add_lshl_u32 v5, v5, v8, 2
	s_waitcnt lgkmcnt(0)
	v_add_f32_e32 v7, v7, v9
	ds_bpermute_b32 v9, v5, v7
	s_waitcnt lgkmcnt(0)
	v_dual_add_f32 v8, v7, v9 :: v_dual_lshlrev_b32 v7, 2, v10
	ds_bpermute_b32 v9, v7, v8
	v_cmpx_eq_u32_e32 0, v6
	s_cbranch_execz .LBB685_30
; %bb.29:
	v_lshrrev_b32_e32 v6, 3, v0
	s_waitcnt lgkmcnt(0)
	v_add_f32_e32 v8, v8, v9
	s_delay_alu instid0(VALU_DEP_2)
	v_and_b32_e32 v6, 0x7c, v6
	ds_store_b32 v6, v8
.LBB685_30:
	s_or_b32 exec_lo, exec_lo, s2
	v_mov_b32_e32 v6, 0
	s_waitcnt lgkmcnt(0)
	s_barrier
	buffer_gl0_inv
	s_and_saveexec_b32 s0, vcc_lo
	s_cbranch_execz .LBB685_32
; %bb.31:
	ds_load_b32 v6, v1
.LBB685_32:
	s_or_b32 exec_lo, exec_lo, s0
	s_and_saveexec_b32 s0, vcc_lo
	s_cbranch_execz .LBB685_34
; %bb.33:
	s_waitcnt lgkmcnt(0)
	ds_bpermute_b32 v1, v2, v6
	s_waitcnt lgkmcnt(0)
	v_add_f32_e32 v1, v6, v1
	ds_bpermute_b32 v2, v3, v1
	s_waitcnt lgkmcnt(0)
	v_add_f32_e32 v1, v1, v2
	;; [unrolled: 3-line block ×5, first 2 shown]
.LBB685_34:
	s_or_b32 exec_lo, exec_lo, s0
	s_delay_alu instid0(SALU_CYCLE_1)
	s_mov_b32 s0, exec_lo
                                        ; implicit-def: $vgpr1
                                        ; implicit-def: $sgpr4_sgpr5
	v_cmpx_eq_u32_e32 0, v0
	s_cbranch_execz .LBB685_38
; %bb.35:
	v_cmp_eq_f32_e64 s4, s15, 0
	s_mul_i32 s2, s14, s13
	s_mul_hi_u32 s3, s14, s12
	s_waitcnt lgkmcnt(0)
	v_mul_f32_e32 v1, s28, v6
	s_add_i32 s2, s3, s2
	s_mul_i32 s1, s1, s12
	s_and_b32 vcc_lo, exec_lo, s4
	s_add_i32 s5, s2, s1
	s_mul_i32 s4, s14, s12
	s_cbranch_vccnz .LBB685_37
; %bb.36:
	s_lshl_b64 s[2:3], s[4:5], 2
	s_delay_alu instid0(SALU_CYCLE_1)
	s_add_u32 s2, s6, s2
	s_addc_u32 s3, s7, s3
	s_load_b32 s1, s[2:3], 0x0
	s_waitcnt lgkmcnt(0)
	v_fmac_f32_e64 v1, s15, s1
.LBB685_37:
	s_or_b32 s8, s8, exec_lo
.LBB685_38:
	s_or_b32 exec_lo, exec_lo, s0
.LBB685_39:
	s_and_saveexec_b32 s0, s8
	s_cbranch_execz .LBB685_41
; %bb.40:
	s_lshl_b64 s[0:1], s[4:5], 2
	v_mov_b32_e32 v0, 0
	s_add_u32 s0, s6, s0
	s_addc_u32 s1, s7, s1
	global_store_b32 v0, v1, s[0:1]
.LBB685_41:
	s_nop 0
	s_sendmsg sendmsg(MSG_DEALLOC_VGPRS)
	s_endpgm
	.section	.rodata,"a",@progbits
	.p2align	6, 0x0
	.amdhsa_kernel _ZL32rocblas_gemvt_warp_reduce_kernelILb0ELi1024ElPK16rocblas_bfloat16PKfKPfEviiT3_lPKT2_lT1_lSA_lSB_lS7_lPT4_lSB_li
		.amdhsa_group_segment_fixed_size 128
		.amdhsa_private_segment_fixed_size 0
		.amdhsa_kernarg_size 140
		.amdhsa_user_sgpr_count 14
		.amdhsa_user_sgpr_dispatch_ptr 0
		.amdhsa_user_sgpr_queue_ptr 0
		.amdhsa_user_sgpr_kernarg_segment_ptr 1
		.amdhsa_user_sgpr_dispatch_id 0
		.amdhsa_user_sgpr_private_segment_size 0
		.amdhsa_wavefront_size32 1
		.amdhsa_uses_dynamic_stack 0
		.amdhsa_enable_private_segment 0
		.amdhsa_system_sgpr_workgroup_id_x 1
		.amdhsa_system_sgpr_workgroup_id_y 0
		.amdhsa_system_sgpr_workgroup_id_z 1
		.amdhsa_system_sgpr_workgroup_info 0
		.amdhsa_system_vgpr_workitem_id 0
		.amdhsa_next_free_vgpr 12
		.amdhsa_next_free_sgpr 31
		.amdhsa_reserve_vcc 1
		.amdhsa_float_round_mode_32 0
		.amdhsa_float_round_mode_16_64 0
		.amdhsa_float_denorm_mode_32 3
		.amdhsa_float_denorm_mode_16_64 3
		.amdhsa_dx10_clamp 1
		.amdhsa_ieee_mode 1
		.amdhsa_fp16_overflow 0
		.amdhsa_workgroup_processor_mode 1
		.amdhsa_memory_ordered 1
		.amdhsa_forward_progress 0
		.amdhsa_shared_vgpr_count 0
		.amdhsa_exception_fp_ieee_invalid_op 0
		.amdhsa_exception_fp_denorm_src 0
		.amdhsa_exception_fp_ieee_div_zero 0
		.amdhsa_exception_fp_ieee_overflow 0
		.amdhsa_exception_fp_ieee_underflow 0
		.amdhsa_exception_fp_ieee_inexact 0
		.amdhsa_exception_int_div_zero 0
	.end_amdhsa_kernel
	.section	.text._ZL32rocblas_gemvt_warp_reduce_kernelILb0ELi1024ElPK16rocblas_bfloat16PKfKPfEviiT3_lPKT2_lT1_lSA_lSB_lS7_lPT4_lSB_li,"axG",@progbits,_ZL32rocblas_gemvt_warp_reduce_kernelILb0ELi1024ElPK16rocblas_bfloat16PKfKPfEviiT3_lPKT2_lT1_lSA_lSB_lS7_lPT4_lSB_li,comdat
.Lfunc_end685:
	.size	_ZL32rocblas_gemvt_warp_reduce_kernelILb0ELi1024ElPK16rocblas_bfloat16PKfKPfEviiT3_lPKT2_lT1_lSA_lSB_lS7_lPT4_lSB_li, .Lfunc_end685-_ZL32rocblas_gemvt_warp_reduce_kernelILb0ELi1024ElPK16rocblas_bfloat16PKfKPfEviiT3_lPKT2_lT1_lSA_lSB_lS7_lPT4_lSB_li
                                        ; -- End function
	.section	.AMDGPU.csdata,"",@progbits
; Kernel info:
; codeLenInByte = 1836
; NumSgprs: 33
; NumVgprs: 12
; ScratchSize: 0
; MemoryBound: 0
; FloatMode: 240
; IeeeMode: 1
; LDSByteSize: 128 bytes/workgroup (compile time only)
; SGPRBlocks: 4
; VGPRBlocks: 1
; NumSGPRsForWavesPerEU: 33
; NumVGPRsForWavesPerEU: 12
; Occupancy: 16
; WaveLimiterHint : 1
; COMPUTE_PGM_RSRC2:SCRATCH_EN: 0
; COMPUTE_PGM_RSRC2:USER_SGPR: 14
; COMPUTE_PGM_RSRC2:TRAP_HANDLER: 0
; COMPUTE_PGM_RSRC2:TGID_X_EN: 1
; COMPUTE_PGM_RSRC2:TGID_Y_EN: 0
; COMPUTE_PGM_RSRC2:TGID_Z_EN: 1
; COMPUTE_PGM_RSRC2:TIDIG_COMP_CNT: 0
	.section	.text._ZL32rocblas_gemvt_warp_reduce_kernelILb0ELi1024EiPK16rocblas_bfloat16fKPfEviiT3_lPKT2_lT1_lS8_lS9_lS5_lPT4_lS9_li,"axG",@progbits,_ZL32rocblas_gemvt_warp_reduce_kernelILb0ELi1024EiPK16rocblas_bfloat16fKPfEviiT3_lPKT2_lT1_lS8_lS9_lS5_lPT4_lS9_li,comdat
	.globl	_ZL32rocblas_gemvt_warp_reduce_kernelILb0ELi1024EiPK16rocblas_bfloat16fKPfEviiT3_lPKT2_lT1_lS8_lS9_lS5_lPT4_lS9_li ; -- Begin function _ZL32rocblas_gemvt_warp_reduce_kernelILb0ELi1024EiPK16rocblas_bfloat16fKPfEviiT3_lPKT2_lT1_lS8_lS9_lS5_lPT4_lS9_li
	.p2align	8
	.type	_ZL32rocblas_gemvt_warp_reduce_kernelILb0ELi1024EiPK16rocblas_bfloat16fKPfEviiT3_lPKT2_lT1_lS8_lS9_lS5_lPT4_lS9_li,@function
_ZL32rocblas_gemvt_warp_reduce_kernelILb0ELi1024EiPK16rocblas_bfloat16fKPfEviiT3_lPKT2_lT1_lS8_lS9_lS5_lPT4_lS9_li: ; @_ZL32rocblas_gemvt_warp_reduce_kernelILb0ELi1024EiPK16rocblas_bfloat16fKPfEviiT3_lPKT2_lT1_lS8_lS9_lS5_lPT4_lS9_li
; %bb.0:
	s_clause 0x1
	s_load_b32 s11, s[0:1], 0x8
	s_load_b32 s10, s[0:1], 0x58
	s_waitcnt lgkmcnt(0)
	v_cmp_eq_f32_e64 s8, s11, 0
	v_cmp_eq_f32_e64 s3, s10, 1.0
	s_delay_alu instid0(VALU_DEP_1) | instskip(NEXT) | instid1(SALU_CYCLE_1)
	s_and_b32 s3, s8, s3
	s_and_b32 vcc_lo, exec_lo, s3
	s_cbranch_vccnz .LBB686_44
; %bb.1:
	v_cmp_neq_f32_e64 s4, s11, 0
	s_mov_b32 s2, s15
	s_delay_alu instid0(VALU_DEP_1)
	s_and_b32 vcc_lo, exec_lo, s4
	s_cbranch_vccnz .LBB686_3
; %bb.2:
	s_mov_b32 s3, 0
	s_mov_b64 s[6:7], 0
	s_cbranch_execz .LBB686_4
	s_branch .LBB686_5
.LBB686_3:
	s_mov_b32 s3, -1
                                        ; implicit-def: $sgpr6_sgpr7
.LBB686_4:
	s_load_b128 s[16:19], s[0:1], 0x18
	s_mov_b32 s3, 0
	s_delay_alu instid0(SALU_CYCLE_1)
	s_lshl_b64 s[6:7], s[2:3], 3
	s_waitcnt lgkmcnt(0)
	s_add_u32 s6, s16, s6
	s_addc_u32 s7, s17, s7
	s_lshl_b64 s[12:13], s[18:19], 1
	s_load_b64 s[6:7], s[6:7], 0x0
	s_waitcnt lgkmcnt(0)
	s_add_u32 s6, s6, s12
	s_addc_u32 s7, s7, s13
.LBB686_5:
	s_and_not1_b32 vcc_lo, exec_lo, s4
	s_cbranch_vccnz .LBB686_7
; %bb.6:
	s_load_b128 s[16:19], s[0:1], 0x38
	s_lshl_b64 s[4:5], s[2:3], 3
	s_waitcnt lgkmcnt(0)
	s_add_u32 s4, s16, s4
	s_addc_u32 s5, s17, s5
	s_lshl_b64 s[12:13], s[18:19], 1
	s_load_b64 s[4:5], s[4:5], 0x0
	s_waitcnt lgkmcnt(0)
	s_add_u32 s4, s4, s12
	s_addc_u32 s5, s5, s13
	s_branch .LBB686_8
.LBB686_7:
	s_mov_b64 s[4:5], 0
.LBB686_8:
	s_clause 0x1
	s_load_b128 s[16:19], s[0:1], 0x68
	s_load_b32 s15, s[0:1], 0x78
	s_lshl_b64 s[2:3], s[2:3], 3
	s_waitcnt lgkmcnt(0)
	s_add_u32 s2, s16, s2
	s_addc_u32 s3, s17, s3
	s_lshl_b64 s[16:17], s[18:19], 2
	s_load_b64 s[12:13], s[2:3], 0x0
	v_cmp_eq_u32_e64 s2, 0, v0
	s_waitcnt lgkmcnt(0)
	s_add_u32 s12, s12, s16
	s_addc_u32 s13, s13, s17
	s_and_not1_b32 vcc_lo, exec_lo, s8
	s_cbranch_vccnz .LBB686_13
; %bb.9:
	s_mov_b32 s3, 0
	s_mov_b32 s16, 0
                                        ; implicit-def: $vgpr1
                                        ; implicit-def: $sgpr8_sgpr9
	s_and_saveexec_b32 s17, s2
	s_cbranch_execz .LBB686_14
; %bb.10:
	v_cmp_eq_f32_e64 s2, s10, 0
	v_mov_b32_e32 v1, 0
	s_mul_i32 s8, s14, s15
	s_delay_alu instid0(SALU_CYCLE_1) | instskip(NEXT) | instid1(VALU_DEP_2)
	s_ashr_i32 s9, s8, 31
	s_and_b32 vcc_lo, exec_lo, s2
	s_cbranch_vccnz .LBB686_12
; %bb.11:
	s_lshl_b64 s[18:19], s[8:9], 2
	s_delay_alu instid0(SALU_CYCLE_1)
	s_add_u32 s18, s12, s18
	s_addc_u32 s19, s13, s19
	s_load_b32 s2, s[18:19], 0x0
	s_waitcnt lgkmcnt(0)
	v_mul_f32_e64 v1, s2, s10
.LBB686_12:
	s_mov_b32 s16, exec_lo
	s_or_b32 exec_lo, exec_lo, s17
	s_delay_alu instid0(SALU_CYCLE_1)
	s_and_b32 vcc_lo, exec_lo, s3
	s_cbranch_vccnz .LBB686_15
	s_branch .LBB686_42
.LBB686_13:
	s_mov_b32 s16, 0
                                        ; implicit-def: $vgpr1
                                        ; implicit-def: $sgpr8_sgpr9
	s_cbranch_execnz .LBB686_15
	s_branch .LBB686_42
.LBB686_14:
	s_or_b32 exec_lo, exec_lo, s17
	s_delay_alu instid0(SALU_CYCLE_1)
	s_and_b32 vcc_lo, exec_lo, s3
	s_cbranch_vccz .LBB686_42
.LBB686_15:
	s_clause 0x2
	s_load_b32 s2, s[0:1], 0x28
	s_load_b32 s3, s[0:1], 0x0
	;; [unrolled: 1-line block ×3, first 2 shown]
	v_mov_b32_e32 v7, 0
	s_waitcnt lgkmcnt(0)
	s_mul_i32 s8, s14, s2
	v_cmp_gt_i32_e32 vcc_lo, s3, v0
	s_ashr_i32 s9, s8, 31
	s_delay_alu instid0(SALU_CYCLE_1)
	s_lshl_b64 s[8:9], s[8:9], 1
	v_cndmask_b32_e32 v1, 0, v0, vcc_lo
	s_add_u32 s0, s8, s6
	s_addc_u32 s6, s9, s7
	s_ashr_i32 s2, s3, 31
	s_mov_b32 s7, 0
	v_lshlrev_b32_e32 v1, 1, v1
	s_lshr_b32 s2, s2, 22
	s_delay_alu instid0(SALU_CYCLE_1) | instskip(NEXT) | instid1(SALU_CYCLE_1)
	s_add_i32 s2, s3, s2
	s_and_b32 s2, s2, 0xfffffc00
	s_delay_alu instid0(VALU_DEP_1) | instskip(NEXT) | instid1(VALU_DEP_1)
	v_add_co_u32 v1, s0, s0, v1
	v_add_co_ci_u32_e64 v2, null, s6, 0, s0
	s_mov_b32 s6, exec_lo
	v_cmpx_gt_i32_e64 s2, v0
	s_cbranch_execz .LBB686_23
; %bb.16:
	v_mul_lo_u32 v3, v0, s1
	v_dual_mov_b32 v7, 0 :: v_dual_mov_b32 v6, v2
	v_dual_mov_b32 v5, v1 :: v_dual_mov_b32 v8, v0
	s_lshl_b32 s8, s1, 10
	s_branch .LBB686_18
.LBB686_17:                             ;   in Loop: Header=BB686_18 Depth=1
	s_or_b32 exec_lo, exec_lo, s0
	v_add_nc_u32_e32 v8, 0x400, v8
	s_delay_alu instid0(VALU_DEP_2) | instskip(SKIP_2) | instid1(VALU_DEP_4)
	v_and_b32_e32 v4, 0xffff0000, v9
	v_add_co_u32 v5, s0, 0x800, v5
	v_add_nc_u32_e32 v3, s8, v3
	v_cmp_le_i32_e32 vcc_lo, s2, v8
	s_delay_alu instid0(VALU_DEP_4) | instskip(SKIP_2) | instid1(SALU_CYCLE_1)
	v_add_f32_e32 v7, v7, v4
	v_add_co_ci_u32_e64 v6, s0, 0, v6, s0
	s_or_b32 s7, vcc_lo, s7
	s_and_not1_b32 exec_lo, exec_lo, s7
	s_cbranch_execz .LBB686_22
.LBB686_18:                             ; =>This Inner Loop Header: Depth=1
	s_delay_alu instid0(VALU_DEP_3) | instskip(NEXT) | instid1(VALU_DEP_1)
	v_ashrrev_i32_e32 v4, 31, v3
	v_lshlrev_b64 v[9:10], 1, v[3:4]
	s_delay_alu instid0(VALU_DEP_1) | instskip(NEXT) | instid1(VALU_DEP_2)
	v_add_co_u32 v9, vcc_lo, s4, v9
	v_add_co_ci_u32_e32 v10, vcc_lo, s5, v10, vcc_lo
	flat_load_u16 v4, v[5:6]
	flat_load_u16 v9, v[9:10]
	s_waitcnt vmcnt(1) lgkmcnt(1)
	v_lshlrev_b32_e32 v4, 16, v4
	s_waitcnt vmcnt(0) lgkmcnt(0)
	v_lshlrev_b32_e32 v9, 16, v9
	s_delay_alu instid0(VALU_DEP_1) | instskip(NEXT) | instid1(VALU_DEP_1)
	v_mul_f32_e32 v4, v4, v9
	v_and_b32_e32 v9, 0x7f800000, v4
	s_delay_alu instid0(VALU_DEP_1) | instskip(SKIP_1) | instid1(SALU_CYCLE_1)
	v_cmp_ne_u32_e32 vcc_lo, 0x7f800000, v9
                                        ; implicit-def: $vgpr9
	s_and_saveexec_b32 s0, vcc_lo
	s_xor_b32 s0, exec_lo, s0
; %bb.19:                               ;   in Loop: Header=BB686_18 Depth=1
	v_bfe_u32 v9, v4, 16, 1
	s_delay_alu instid0(VALU_DEP_1)
	v_add3_u32 v9, v4, v9, 0x7fff
                                        ; implicit-def: $vgpr4
; %bb.20:                               ;   in Loop: Header=BB686_18 Depth=1
	s_and_not1_saveexec_b32 s0, s0
	s_cbranch_execz .LBB686_17
; %bb.21:                               ;   in Loop: Header=BB686_18 Depth=1
	v_and_b32_e32 v9, 0xffff, v4
	v_or_b32_e32 v10, 0x10000, v4
	s_delay_alu instid0(VALU_DEP_2) | instskip(NEXT) | instid1(VALU_DEP_2)
	v_cmp_eq_u32_e32 vcc_lo, 0, v9
	v_cndmask_b32_e32 v9, v10, v4, vcc_lo
	s_branch .LBB686_17
.LBB686_22:
	s_or_b32 exec_lo, exec_lo, s7
.LBB686_23:
	s_delay_alu instid0(SALU_CYCLE_1) | instskip(SKIP_2) | instid1(VALU_DEP_1)
	s_or_b32 exec_lo, exec_lo, s6
	v_or_b32_e32 v3, s2, v0
	s_mov_b32 s0, exec_lo
	v_cmpx_gt_i32_e64 s3, v3
	s_cbranch_execz .LBB686_29
; %bb.24:
	v_mul_lo_u32 v3, v3, s1
	s_ashr_i32 s3, s2, 31
	s_delay_alu instid0(SALU_CYCLE_1) | instskip(NEXT) | instid1(VALU_DEP_1)
	s_lshl_b64 s[2:3], s[2:3], 1
	v_ashrrev_i32_e32 v4, 31, v3
	s_delay_alu instid0(VALU_DEP_1) | instskip(NEXT) | instid1(VALU_DEP_1)
	v_lshlrev_b64 v[3:4], 1, v[3:4]
	v_add_co_u32 v3, vcc_lo, s4, v3
	s_delay_alu instid0(VALU_DEP_2)
	v_add_co_ci_u32_e32 v4, vcc_lo, s5, v4, vcc_lo
	v_add_co_u32 v1, vcc_lo, v1, s2
	v_add_co_ci_u32_e32 v2, vcc_lo, s3, v2, vcc_lo
	flat_load_u16 v3, v[3:4]
	flat_load_u16 v1, v[1:2]
	s_waitcnt vmcnt(1) lgkmcnt(1)
	v_lshlrev_b32_e32 v2, 16, v3
	s_waitcnt vmcnt(0) lgkmcnt(0)
	v_lshlrev_b32_e32 v1, 16, v1
	s_delay_alu instid0(VALU_DEP_1) | instskip(NEXT) | instid1(VALU_DEP_1)
	v_mul_f32_e32 v1, v1, v2
	v_and_b32_e32 v2, 0x7f800000, v1
	s_delay_alu instid0(VALU_DEP_1) | instskip(SKIP_1) | instid1(SALU_CYCLE_1)
	v_cmp_ne_u32_e32 vcc_lo, 0x7f800000, v2
                                        ; implicit-def: $vgpr2
	s_and_saveexec_b32 s1, vcc_lo
	s_xor_b32 s1, exec_lo, s1
; %bb.25:
	v_bfe_u32 v2, v1, 16, 1
	s_delay_alu instid0(VALU_DEP_1)
	v_add3_u32 v2, v1, v2, 0x7fff
                                        ; implicit-def: $vgpr1
; %bb.26:
	s_and_not1_saveexec_b32 s1, s1
; %bb.27:
	v_and_b32_e32 v2, 0xffff, v1
	v_or_b32_e32 v3, 0x10000, v1
	s_delay_alu instid0(VALU_DEP_2) | instskip(NEXT) | instid1(VALU_DEP_2)
	v_cmp_eq_u32_e32 vcc_lo, 0, v2
	v_cndmask_b32_e32 v2, v3, v1, vcc_lo
; %bb.28:
	s_or_b32 exec_lo, exec_lo, s1
	s_delay_alu instid0(VALU_DEP_1) | instskip(NEXT) | instid1(VALU_DEP_1)
	v_and_b32_e32 v1, 0xffff0000, v2
	v_add_f32_e32 v7, v7, v1
.LBB686_29:
	s_or_b32 exec_lo, exec_lo, s0
	v_and_b32_e32 v6, 31, v0
	v_cmp_gt_u32_e32 vcc_lo, 32, v0
	s_delay_alu instid0(VALU_DEP_2)
	v_lshlrev_b32_e32 v1, 2, v6
	s_and_saveexec_b32 s0, vcc_lo
	s_cbranch_execz .LBB686_31
; %bb.30:
	v_mov_b32_e32 v2, 0
	ds_store_b32 v1, v2
.LBB686_31:
	s_or_b32 exec_lo, exec_lo, s0
	v_mbcnt_lo_u32_b32 v8, -1, 0
	s_mov_b32 s1, exec_lo
	s_waitcnt lgkmcnt(0)
	s_barrier
	buffer_gl0_inv
	v_cmp_gt_u32_e64 s0, 16, v8
	s_delay_alu instid0(VALU_DEP_1) | instskip(SKIP_1) | instid1(VALU_DEP_2)
	v_cndmask_b32_e64 v2, 0, 1, s0
	v_cmp_gt_u32_e64 s0, 24, v8
	v_lshlrev_b32_e32 v2, 4, v2
	s_delay_alu instid0(VALU_DEP_2) | instskip(SKIP_1) | instid1(VALU_DEP_3)
	v_cndmask_b32_e64 v3, 0, 1, s0
	v_cmp_gt_u32_e64 s0, 28, v8
	v_add_lshl_u32 v2, v2, v8, 2
	s_delay_alu instid0(VALU_DEP_3)
	v_lshlrev_b32_e32 v3, 3, v3
	ds_bpermute_b32 v4, v2, v7
	v_add_lshl_u32 v3, v3, v8, 2
	s_waitcnt lgkmcnt(0)
	v_add_f32_e32 v5, v7, v4
	v_cndmask_b32_e64 v4, 0, 1, s0
	v_cmp_gt_u32_e64 s0, 30, v8
	ds_bpermute_b32 v7, v3, v5
	s_waitcnt lgkmcnt(0)
	v_dual_add_f32 v7, v5, v7 :: v_dual_lshlrev_b32 v4, 2, v4
	s_delay_alu instid0(VALU_DEP_1)
	v_add_lshl_u32 v4, v4, v8, 2
	v_cndmask_b32_e64 v5, 0, 1, s0
	v_cmp_ne_u32_e64 s0, 31, v8
	ds_bpermute_b32 v9, v4, v7
	v_lshlrev_b32_e32 v5, 1, v5
	v_add_co_ci_u32_e64 v10, s0, 0, v8, s0
	s_delay_alu instid0(VALU_DEP_2)
	v_add_lshl_u32 v5, v5, v8, 2
	s_waitcnt lgkmcnt(0)
	v_add_f32_e32 v7, v7, v9
	ds_bpermute_b32 v9, v5, v7
	s_waitcnt lgkmcnt(0)
	v_dual_add_f32 v8, v7, v9 :: v_dual_lshlrev_b32 v7, 2, v10
	ds_bpermute_b32 v9, v7, v8
	v_cmpx_eq_u32_e32 0, v6
	s_cbranch_execz .LBB686_33
; %bb.32:
	v_lshrrev_b32_e32 v6, 3, v0
	s_waitcnt lgkmcnt(0)
	v_add_f32_e32 v8, v8, v9
	s_delay_alu instid0(VALU_DEP_2)
	v_and_b32_e32 v6, 0x7c, v6
	ds_store_b32 v6, v8
.LBB686_33:
	s_or_b32 exec_lo, exec_lo, s1
	v_mov_b32_e32 v6, 0
	s_waitcnt lgkmcnt(0)
	s_barrier
	buffer_gl0_inv
	s_and_saveexec_b32 s0, vcc_lo
	s_cbranch_execz .LBB686_35
; %bb.34:
	ds_load_b32 v6, v1
.LBB686_35:
	s_or_b32 exec_lo, exec_lo, s0
	s_and_saveexec_b32 s0, vcc_lo
	s_cbranch_execz .LBB686_37
; %bb.36:
	s_waitcnt lgkmcnt(0)
	ds_bpermute_b32 v1, v2, v6
	s_waitcnt lgkmcnt(0)
	v_add_f32_e32 v1, v6, v1
	ds_bpermute_b32 v2, v3, v1
	s_waitcnt lgkmcnt(0)
	v_add_f32_e32 v1, v1, v2
	;; [unrolled: 3-line block ×5, first 2 shown]
.LBB686_37:
	s_or_b32 exec_lo, exec_lo, s0
	s_delay_alu instid0(SALU_CYCLE_1)
	s_mov_b32 s0, exec_lo
                                        ; implicit-def: $vgpr1
                                        ; implicit-def: $sgpr8_sgpr9
	v_cmpx_eq_u32_e32 0, v0
	s_cbranch_execz .LBB686_41
; %bb.38:
	v_cmp_eq_f32_e64 s1, s10, 0
	s_waitcnt lgkmcnt(0)
	v_mul_f32_e32 v1, s11, v6
	s_mul_i32 s8, s14, s15
	s_delay_alu instid0(SALU_CYCLE_1)
	s_ashr_i32 s9, s8, 31
	s_and_b32 vcc_lo, exec_lo, s1
	s_cbranch_vccnz .LBB686_40
; %bb.39:
	s_lshl_b64 s[2:3], s[8:9], 2
	s_delay_alu instid0(SALU_CYCLE_1)
	s_add_u32 s2, s12, s2
	s_addc_u32 s3, s13, s3
	s_load_b32 s1, s[2:3], 0x0
	s_waitcnt lgkmcnt(0)
	v_fmac_f32_e64 v1, s1, s10
.LBB686_40:
	s_or_b32 s16, s16, exec_lo
.LBB686_41:
	s_or_b32 exec_lo, exec_lo, s0
.LBB686_42:
	s_and_saveexec_b32 s0, s16
	s_cbranch_execz .LBB686_44
; %bb.43:
	s_lshl_b64 s[0:1], s[8:9], 2
	v_mov_b32_e32 v0, 0
	s_add_u32 s0, s12, s0
	s_addc_u32 s1, s13, s1
	global_store_b32 v0, v1, s[0:1]
.LBB686_44:
	s_nop 0
	s_sendmsg sendmsg(MSG_DEALLOC_VGPRS)
	s_endpgm
	.section	.rodata,"a",@progbits
	.p2align	6, 0x0
	.amdhsa_kernel _ZL32rocblas_gemvt_warp_reduce_kernelILb0ELi1024EiPK16rocblas_bfloat16fKPfEviiT3_lPKT2_lT1_lS8_lS9_lS5_lPT4_lS9_li
		.amdhsa_group_segment_fixed_size 128
		.amdhsa_private_segment_fixed_size 0
		.amdhsa_kernarg_size 140
		.amdhsa_user_sgpr_count 14
		.amdhsa_user_sgpr_dispatch_ptr 0
		.amdhsa_user_sgpr_queue_ptr 0
		.amdhsa_user_sgpr_kernarg_segment_ptr 1
		.amdhsa_user_sgpr_dispatch_id 0
		.amdhsa_user_sgpr_private_segment_size 0
		.amdhsa_wavefront_size32 1
		.amdhsa_uses_dynamic_stack 0
		.amdhsa_enable_private_segment 0
		.amdhsa_system_sgpr_workgroup_id_x 1
		.amdhsa_system_sgpr_workgroup_id_y 0
		.amdhsa_system_sgpr_workgroup_id_z 1
		.amdhsa_system_sgpr_workgroup_info 0
		.amdhsa_system_vgpr_workitem_id 0
		.amdhsa_next_free_vgpr 11
		.amdhsa_next_free_sgpr 20
		.amdhsa_reserve_vcc 1
		.amdhsa_float_round_mode_32 0
		.amdhsa_float_round_mode_16_64 0
		.amdhsa_float_denorm_mode_32 3
		.amdhsa_float_denorm_mode_16_64 3
		.amdhsa_dx10_clamp 1
		.amdhsa_ieee_mode 1
		.amdhsa_fp16_overflow 0
		.amdhsa_workgroup_processor_mode 1
		.amdhsa_memory_ordered 1
		.amdhsa_forward_progress 0
		.amdhsa_shared_vgpr_count 0
		.amdhsa_exception_fp_ieee_invalid_op 0
		.amdhsa_exception_fp_denorm_src 0
		.amdhsa_exception_fp_ieee_div_zero 0
		.amdhsa_exception_fp_ieee_overflow 0
		.amdhsa_exception_fp_ieee_underflow 0
		.amdhsa_exception_fp_ieee_inexact 0
		.amdhsa_exception_int_div_zero 0
	.end_amdhsa_kernel
	.section	.text._ZL32rocblas_gemvt_warp_reduce_kernelILb0ELi1024EiPK16rocblas_bfloat16fKPfEviiT3_lPKT2_lT1_lS8_lS9_lS5_lPT4_lS9_li,"axG",@progbits,_ZL32rocblas_gemvt_warp_reduce_kernelILb0ELi1024EiPK16rocblas_bfloat16fKPfEviiT3_lPKT2_lT1_lS8_lS9_lS5_lPT4_lS9_li,comdat
.Lfunc_end686:
	.size	_ZL32rocblas_gemvt_warp_reduce_kernelILb0ELi1024EiPK16rocblas_bfloat16fKPfEviiT3_lPKT2_lT1_lS8_lS9_lS5_lPT4_lS9_li, .Lfunc_end686-_ZL32rocblas_gemvt_warp_reduce_kernelILb0ELi1024EiPK16rocblas_bfloat16fKPfEviiT3_lPKT2_lT1_lS8_lS9_lS5_lPT4_lS9_li
                                        ; -- End function
	.section	.AMDGPU.csdata,"",@progbits
; Kernel info:
; codeLenInByte = 1692
; NumSgprs: 22
; NumVgprs: 11
; ScratchSize: 0
; MemoryBound: 0
; FloatMode: 240
; IeeeMode: 1
; LDSByteSize: 128 bytes/workgroup (compile time only)
; SGPRBlocks: 2
; VGPRBlocks: 1
; NumSGPRsForWavesPerEU: 22
; NumVGPRsForWavesPerEU: 11
; Occupancy: 16
; WaveLimiterHint : 1
; COMPUTE_PGM_RSRC2:SCRATCH_EN: 0
; COMPUTE_PGM_RSRC2:USER_SGPR: 14
; COMPUTE_PGM_RSRC2:TRAP_HANDLER: 0
; COMPUTE_PGM_RSRC2:TGID_X_EN: 1
; COMPUTE_PGM_RSRC2:TGID_Y_EN: 0
; COMPUTE_PGM_RSRC2:TGID_Z_EN: 1
; COMPUTE_PGM_RSRC2:TIDIG_COMP_CNT: 0
	.section	.text._ZL32rocblas_gemvt_warp_reduce_kernelILb0ELi1024ElPK16rocblas_bfloat16fKPfEviiT3_lPKT2_lT1_lS8_lS9_lS5_lPT4_lS9_li,"axG",@progbits,_ZL32rocblas_gemvt_warp_reduce_kernelILb0ELi1024ElPK16rocblas_bfloat16fKPfEviiT3_lPKT2_lT1_lS8_lS9_lS5_lPT4_lS9_li,comdat
	.globl	_ZL32rocblas_gemvt_warp_reduce_kernelILb0ELi1024ElPK16rocblas_bfloat16fKPfEviiT3_lPKT2_lT1_lS8_lS9_lS5_lPT4_lS9_li ; -- Begin function _ZL32rocblas_gemvt_warp_reduce_kernelILb0ELi1024ElPK16rocblas_bfloat16fKPfEviiT3_lPKT2_lT1_lS8_lS9_lS5_lPT4_lS9_li
	.p2align	8
	.type	_ZL32rocblas_gemvt_warp_reduce_kernelILb0ELi1024ElPK16rocblas_bfloat16fKPfEviiT3_lPKT2_lT1_lS8_lS9_lS5_lPT4_lS9_li,@function
_ZL32rocblas_gemvt_warp_reduce_kernelILb0ELi1024ElPK16rocblas_bfloat16fKPfEviiT3_lPKT2_lT1_lS8_lS9_lS5_lPT4_lS9_li: ; @_ZL32rocblas_gemvt_warp_reduce_kernelILb0ELi1024ElPK16rocblas_bfloat16fKPfEviiT3_lPKT2_lT1_lS8_lS9_lS5_lPT4_lS9_li
; %bb.0:
	s_mov_b32 s2, s15
	s_clause 0x1
	s_load_b32 s18, s[0:1], 0x8
	s_load_b32 s15, s[0:1], 0x58
	s_waitcnt lgkmcnt(0)
	v_cmp_eq_f32_e64 s16, s18, 0
	v_cmp_eq_f32_e64 s3, s15, 1.0
	s_delay_alu instid0(VALU_DEP_1) | instskip(NEXT) | instid1(SALU_CYCLE_1)
	s_and_b32 s3, s16, s3
	s_and_b32 vcc_lo, exec_lo, s3
	s_cbranch_vccnz .LBB687_44
; %bb.1:
	s_clause 0x1
	s_load_b128 s[4:7], s[0:1], 0x18
	s_load_b64 s[10:11], s[0:1], 0x28
	v_cmp_neq_f32_e64 s17, s18, 0
	s_delay_alu instid0(VALU_DEP_1)
	s_and_b32 vcc_lo, exec_lo, s17
	s_cbranch_vccnz .LBB687_3
; %bb.2:
	s_mov_b32 s3, 0
	s_mov_b64 s[12:13], 0
	s_cbranch_execz .LBB687_4
	s_branch .LBB687_5
.LBB687_3:
	s_mov_b32 s3, -1
                                        ; implicit-def: $sgpr12_sgpr13
.LBB687_4:
	s_mov_b32 s3, 0
	s_delay_alu instid0(SALU_CYCLE_1)
	s_lshl_b64 s[8:9], s[2:3], 3
	s_waitcnt lgkmcnt(0)
	s_add_u32 s4, s4, s8
	s_addc_u32 s5, s5, s9
	s_lshl_b64 s[6:7], s[6:7], 1
	s_load_b64 s[4:5], s[4:5], 0x0
	s_waitcnt lgkmcnt(0)
	s_add_u32 s12, s4, s6
	s_addc_u32 s13, s5, s7
.LBB687_5:
	s_waitcnt lgkmcnt(0)
	s_clause 0x1
	s_load_b128 s[4:7], s[0:1], 0x38
	s_load_b64 s[8:9], s[0:1], 0x48
	s_and_not1_b32 vcc_lo, exec_lo, s17
	s_cbranch_vccnz .LBB687_7
; %bb.6:
	s_lshl_b64 s[20:21], s[2:3], 3
	s_waitcnt lgkmcnt(0)
	s_add_u32 s4, s4, s20
	s_addc_u32 s5, s5, s21
	s_lshl_b64 s[6:7], s[6:7], 1
	s_load_b64 s[4:5], s[4:5], 0x0
	s_waitcnt lgkmcnt(0)
	s_add_u32 s6, s4, s6
	s_addc_u32 s7, s5, s7
	s_branch .LBB687_8
.LBB687_7:
	s_waitcnt lgkmcnt(0)
	s_mov_b64 s[6:7], 0
.LBB687_8:
	s_clause 0x1
	s_load_b128 s[20:23], s[0:1], 0x68
	s_load_b64 s[4:5], s[0:1], 0x78
	s_lshl_b64 s[2:3], s[2:3], 3
	s_waitcnt lgkmcnt(0)
	s_add_u32 s2, s20, s2
	s_addc_u32 s3, s21, s3
	s_lshl_b64 s[22:23], s[22:23], 2
	s_load_b64 s[20:21], s[2:3], 0x0
	v_cmp_eq_u32_e64 s2, 0, v0
	s_waitcnt lgkmcnt(0)
	s_add_u32 s19, s20, s22
	s_addc_u32 s20, s21, s23
	s_and_not1_b32 vcc_lo, exec_lo, s16
	s_cbranch_vccnz .LBB687_13
; %bb.9:
	s_mov_b32 s3, 0
	s_mov_b32 s21, 0
                                        ; implicit-def: $vgpr1
                                        ; implicit-def: $sgpr16_sgpr17
	s_and_saveexec_b32 s22, s2
	s_cbranch_execz .LBB687_14
; %bb.10:
	v_cmp_eq_f32_e64 s2, s15, 0
	s_mul_i32 s16, s14, s5
	s_mul_hi_u32 s17, s14, s4
	s_ashr_i32 s21, s14, 31
	v_mov_b32_e32 v1, 0
	s_add_i32 s16, s17, s16
	s_mul_i32 s21, s21, s4
	s_and_b32 vcc_lo, exec_lo, s2
	s_add_i32 s17, s16, s21
	s_mul_i32 s16, s14, s4
	s_cbranch_vccnz .LBB687_12
; %bb.11:
	s_lshl_b64 s[24:25], s[16:17], 2
	s_delay_alu instid0(SALU_CYCLE_1)
	s_add_u32 s24, s19, s24
	s_addc_u32 s25, s20, s25
	s_load_b32 s2, s[24:25], 0x0
	s_waitcnt lgkmcnt(0)
	v_mul_f32_e64 v1, s2, s15
.LBB687_12:
	s_mov_b32 s21, exec_lo
	s_or_b32 exec_lo, exec_lo, s22
	s_delay_alu instid0(SALU_CYCLE_1)
	s_and_b32 vcc_lo, exec_lo, s3
	s_cbranch_vccnz .LBB687_15
	s_branch .LBB687_42
.LBB687_13:
	s_mov_b32 s21, 0
                                        ; implicit-def: $vgpr1
                                        ; implicit-def: $sgpr16_sgpr17
	s_cbranch_execnz .LBB687_15
	s_branch .LBB687_42
.LBB687_14:
	s_or_b32 exec_lo, exec_lo, s22
	s_delay_alu instid0(SALU_CYCLE_1)
	s_and_b32 vcc_lo, exec_lo, s3
	s_cbranch_vccz .LBB687_42
.LBB687_15:
	s_load_b32 s3, s[0:1], 0x0
	s_mul_i32 s0, s14, s11
	s_mul_hi_u32 s2, s14, s10
	s_ashr_i32 s1, s14, 31
	s_add_i32 s0, s2, s0
	s_mul_i32 s2, s1, s10
	s_mul_i32 s10, s14, s10
	s_add_i32 s11, s0, s2
	v_mov_b32_e32 v7, 0
	s_lshl_b64 s[10:11], s[10:11], 1
	s_delay_alu instid0(SALU_CYCLE_1)
	s_add_u32 s0, s10, s12
	s_addc_u32 s10, s11, s13
	s_mov_b32 s13, 0
	s_mov_b32 s12, exec_lo
	s_waitcnt lgkmcnt(0)
	v_cmp_gt_i32_e32 vcc_lo, s3, v0
	s_ashr_i32 s2, s3, 31
	s_delay_alu instid0(SALU_CYCLE_1) | instskip(NEXT) | instid1(SALU_CYCLE_1)
	s_lshr_b32 s2, s2, 22
	s_add_i32 s2, s3, s2
	v_cndmask_b32_e32 v1, 0, v0, vcc_lo
	s_and_b32 s2, s2, 0xfffffc00
	s_delay_alu instid0(VALU_DEP_1) | instskip(NEXT) | instid1(VALU_DEP_1)
	v_lshlrev_b32_e32 v1, 1, v1
	v_add_co_u32 v1, s0, s0, v1
	s_delay_alu instid0(VALU_DEP_1)
	v_add_co_ci_u32_e64 v2, null, s10, 0, s0
	v_cmpx_gt_i32_e64 s2, v0
	s_cbranch_execz .LBB687_23
; %bb.16:
	v_mad_u64_u32 v[3:4], null, s8, v0, 0
	v_mov_b32_e32 v8, v0
	s_lshl_b64 s[10:11], s[8:9], 11
	v_mov_b32_e32 v7, 0
	s_delay_alu instid0(VALU_DEP_3) | instskip(NEXT) | instid1(VALU_DEP_1)
	v_mad_u64_u32 v[5:6], null, s9, v0, v[4:5]
	v_mov_b32_e32 v4, v5
	s_delay_alu instid0(VALU_DEP_1) | instskip(SKIP_1) | instid1(VALU_DEP_2)
	v_lshlrev_b64 v[5:6], 1, v[3:4]
	v_dual_mov_b32 v4, v2 :: v_dual_mov_b32 v3, v1
	v_add_co_u32 v5, vcc_lo, s6, v5
	s_delay_alu instid0(VALU_DEP_3)
	v_add_co_ci_u32_e32 v6, vcc_lo, s7, v6, vcc_lo
	s_set_inst_prefetch_distance 0x1
	s_branch .LBB687_18
	.p2align	6
.LBB687_17:                             ;   in Loop: Header=BB687_18 Depth=1
	s_or_b32 exec_lo, exec_lo, s0
	s_delay_alu instid0(VALU_DEP_1) | instskip(SKIP_3) | instid1(VALU_DEP_4)
	v_and_b32_e32 v9, 0xffff0000, v10
	v_add_nc_u32_e32 v8, 0x400, v8
	v_add_co_u32 v3, vcc_lo, 0x800, v3
	v_add_co_ci_u32_e32 v4, vcc_lo, 0, v4, vcc_lo
	v_add_f32_e32 v7, v7, v9
	s_delay_alu instid0(VALU_DEP_4) | instskip(SKIP_1) | instid1(VALU_DEP_1)
	v_cmp_le_i32_e32 vcc_lo, s2, v8
	v_add_co_u32 v5, s0, v5, s10
	v_add_co_ci_u32_e64 v6, s0, s11, v6, s0
	s_or_b32 s13, vcc_lo, s13
	s_delay_alu instid0(SALU_CYCLE_1)
	s_and_not1_b32 exec_lo, exec_lo, s13
	s_cbranch_execz .LBB687_22
.LBB687_18:                             ; =>This Inner Loop Header: Depth=1
	flat_load_u16 v9, v[5:6]
	flat_load_u16 v10, v[3:4]
	s_waitcnt vmcnt(1) lgkmcnt(1)
	v_lshlrev_b32_e32 v9, 16, v9
	s_waitcnt vmcnt(0) lgkmcnt(0)
	v_lshlrev_b32_e32 v10, 16, v10
	s_delay_alu instid0(VALU_DEP_1) | instskip(NEXT) | instid1(VALU_DEP_1)
	v_mul_f32_e32 v9, v10, v9
	v_and_b32_e32 v10, 0x7f800000, v9
	s_delay_alu instid0(VALU_DEP_1) | instskip(SKIP_1) | instid1(SALU_CYCLE_1)
	v_cmp_ne_u32_e32 vcc_lo, 0x7f800000, v10
                                        ; implicit-def: $vgpr10
	s_and_saveexec_b32 s0, vcc_lo
	s_xor_b32 s0, exec_lo, s0
; %bb.19:                               ;   in Loop: Header=BB687_18 Depth=1
	v_bfe_u32 v10, v9, 16, 1
	s_delay_alu instid0(VALU_DEP_1)
	v_add3_u32 v10, v9, v10, 0x7fff
                                        ; implicit-def: $vgpr9
; %bb.20:                               ;   in Loop: Header=BB687_18 Depth=1
	s_and_not1_saveexec_b32 s0, s0
	s_cbranch_execz .LBB687_17
; %bb.21:                               ;   in Loop: Header=BB687_18 Depth=1
	v_and_b32_e32 v10, 0xffff, v9
	v_or_b32_e32 v11, 0x10000, v9
	s_delay_alu instid0(VALU_DEP_2) | instskip(NEXT) | instid1(VALU_DEP_2)
	v_cmp_eq_u32_e32 vcc_lo, 0, v10
	v_cndmask_b32_e32 v10, v11, v9, vcc_lo
	s_branch .LBB687_17
.LBB687_22:
	s_set_inst_prefetch_distance 0x2
	s_or_b32 exec_lo, exec_lo, s13
.LBB687_23:
	s_delay_alu instid0(SALU_CYCLE_1) | instskip(SKIP_2) | instid1(VALU_DEP_1)
	s_or_b32 exec_lo, exec_lo, s12
	v_or_b32_e32 v3, s2, v0
	s_mov_b32 s0, exec_lo
	v_cmpx_gt_i32_e64 s3, v3
	s_cbranch_execz .LBB687_29
; %bb.24:
	v_ashrrev_i32_e32 v6, 31, v3
	v_mul_lo_u32 v8, v3, s9
	v_mad_u64_u32 v[4:5], null, v3, s8, 0
	s_ashr_i32 s3, s2, 31
	s_delay_alu instid0(VALU_DEP_3) | instskip(SKIP_1) | instid1(VALU_DEP_1)
	v_mul_lo_u32 v3, v6, s8
	s_lshl_b64 s[2:3], s[2:3], 1
	v_add3_u32 v5, v5, v8, v3
	s_delay_alu instid0(VALU_DEP_1) | instskip(NEXT) | instid1(VALU_DEP_1)
	v_lshlrev_b64 v[3:4], 1, v[4:5]
	v_add_co_u32 v3, vcc_lo, s6, v3
	s_delay_alu instid0(VALU_DEP_2)
	v_add_co_ci_u32_e32 v4, vcc_lo, s7, v4, vcc_lo
	v_add_co_u32 v1, vcc_lo, v1, s2
	v_add_co_ci_u32_e32 v2, vcc_lo, s3, v2, vcc_lo
	flat_load_u16 v3, v[3:4]
	flat_load_u16 v1, v[1:2]
	s_waitcnt vmcnt(1) lgkmcnt(1)
	v_lshlrev_b32_e32 v2, 16, v3
	s_waitcnt vmcnt(0) lgkmcnt(0)
	v_lshlrev_b32_e32 v1, 16, v1
	s_delay_alu instid0(VALU_DEP_1) | instskip(NEXT) | instid1(VALU_DEP_1)
	v_mul_f32_e32 v1, v1, v2
	v_and_b32_e32 v2, 0x7f800000, v1
	s_delay_alu instid0(VALU_DEP_1) | instskip(SKIP_1) | instid1(SALU_CYCLE_1)
	v_cmp_ne_u32_e32 vcc_lo, 0x7f800000, v2
                                        ; implicit-def: $vgpr2
	s_and_saveexec_b32 s2, vcc_lo
	s_xor_b32 s2, exec_lo, s2
; %bb.25:
	v_bfe_u32 v2, v1, 16, 1
	s_delay_alu instid0(VALU_DEP_1)
	v_add3_u32 v2, v1, v2, 0x7fff
                                        ; implicit-def: $vgpr1
; %bb.26:
	s_and_not1_saveexec_b32 s2, s2
; %bb.27:
	v_and_b32_e32 v2, 0xffff, v1
	v_or_b32_e32 v3, 0x10000, v1
	s_delay_alu instid0(VALU_DEP_2) | instskip(NEXT) | instid1(VALU_DEP_2)
	v_cmp_eq_u32_e32 vcc_lo, 0, v2
	v_cndmask_b32_e32 v2, v3, v1, vcc_lo
; %bb.28:
	s_or_b32 exec_lo, exec_lo, s2
	s_delay_alu instid0(VALU_DEP_1) | instskip(NEXT) | instid1(VALU_DEP_1)
	v_and_b32_e32 v1, 0xffff0000, v2
	v_add_f32_e32 v7, v7, v1
.LBB687_29:
	s_or_b32 exec_lo, exec_lo, s0
	v_and_b32_e32 v6, 31, v0
	v_cmp_gt_u32_e32 vcc_lo, 32, v0
	s_delay_alu instid0(VALU_DEP_2)
	v_lshlrev_b32_e32 v1, 2, v6
	s_and_saveexec_b32 s0, vcc_lo
	s_cbranch_execz .LBB687_31
; %bb.30:
	v_mov_b32_e32 v2, 0
	ds_store_b32 v1, v2
.LBB687_31:
	s_or_b32 exec_lo, exec_lo, s0
	v_mbcnt_lo_u32_b32 v8, -1, 0
	s_mov_b32 s2, exec_lo
	s_waitcnt lgkmcnt(0)
	s_barrier
	buffer_gl0_inv
	v_cmp_gt_u32_e64 s0, 16, v8
	s_delay_alu instid0(VALU_DEP_1) | instskip(SKIP_1) | instid1(VALU_DEP_2)
	v_cndmask_b32_e64 v2, 0, 1, s0
	v_cmp_gt_u32_e64 s0, 24, v8
	v_lshlrev_b32_e32 v2, 4, v2
	s_delay_alu instid0(VALU_DEP_2) | instskip(SKIP_1) | instid1(VALU_DEP_3)
	v_cndmask_b32_e64 v3, 0, 1, s0
	v_cmp_gt_u32_e64 s0, 28, v8
	v_add_lshl_u32 v2, v2, v8, 2
	s_delay_alu instid0(VALU_DEP_3)
	v_lshlrev_b32_e32 v3, 3, v3
	ds_bpermute_b32 v4, v2, v7
	v_add_lshl_u32 v3, v3, v8, 2
	s_waitcnt lgkmcnt(0)
	v_add_f32_e32 v5, v7, v4
	v_cndmask_b32_e64 v4, 0, 1, s0
	v_cmp_gt_u32_e64 s0, 30, v8
	ds_bpermute_b32 v7, v3, v5
	s_waitcnt lgkmcnt(0)
	v_dual_add_f32 v7, v5, v7 :: v_dual_lshlrev_b32 v4, 2, v4
	s_delay_alu instid0(VALU_DEP_1)
	v_add_lshl_u32 v4, v4, v8, 2
	v_cndmask_b32_e64 v5, 0, 1, s0
	v_cmp_ne_u32_e64 s0, 31, v8
	ds_bpermute_b32 v9, v4, v7
	v_lshlrev_b32_e32 v5, 1, v5
	v_add_co_ci_u32_e64 v10, s0, 0, v8, s0
	s_delay_alu instid0(VALU_DEP_2)
	v_add_lshl_u32 v5, v5, v8, 2
	s_waitcnt lgkmcnt(0)
	v_add_f32_e32 v7, v7, v9
	ds_bpermute_b32 v9, v5, v7
	s_waitcnt lgkmcnt(0)
	v_dual_add_f32 v8, v7, v9 :: v_dual_lshlrev_b32 v7, 2, v10
	ds_bpermute_b32 v9, v7, v8
	v_cmpx_eq_u32_e32 0, v6
	s_cbranch_execz .LBB687_33
; %bb.32:
	v_lshrrev_b32_e32 v6, 3, v0
	s_waitcnt lgkmcnt(0)
	v_add_f32_e32 v8, v8, v9
	s_delay_alu instid0(VALU_DEP_2)
	v_and_b32_e32 v6, 0x7c, v6
	ds_store_b32 v6, v8
.LBB687_33:
	s_or_b32 exec_lo, exec_lo, s2
	v_mov_b32_e32 v6, 0
	s_waitcnt lgkmcnt(0)
	s_barrier
	buffer_gl0_inv
	s_and_saveexec_b32 s0, vcc_lo
	s_cbranch_execz .LBB687_35
; %bb.34:
	ds_load_b32 v6, v1
.LBB687_35:
	s_or_b32 exec_lo, exec_lo, s0
	s_and_saveexec_b32 s0, vcc_lo
	s_cbranch_execz .LBB687_37
; %bb.36:
	s_waitcnt lgkmcnt(0)
	ds_bpermute_b32 v1, v2, v6
	s_waitcnt lgkmcnt(0)
	v_add_f32_e32 v1, v6, v1
	ds_bpermute_b32 v2, v3, v1
	s_waitcnt lgkmcnt(0)
	v_add_f32_e32 v1, v1, v2
	;; [unrolled: 3-line block ×5, first 2 shown]
.LBB687_37:
	s_or_b32 exec_lo, exec_lo, s0
	s_delay_alu instid0(SALU_CYCLE_1)
	s_mov_b32 s0, exec_lo
                                        ; implicit-def: $vgpr1
                                        ; implicit-def: $sgpr16_sgpr17
	v_cmpx_eq_u32_e32 0, v0
	s_cbranch_execz .LBB687_41
; %bb.38:
	s_mul_i32 s2, s14, s5
	v_cmp_eq_f32_e64 s5, s15, 0
	s_mul_hi_u32 s3, s14, s4
	s_waitcnt lgkmcnt(0)
	v_mul_f32_e32 v1, s18, v6
	s_add_i32 s2, s3, s2
	s_mul_i32 s1, s1, s4
	s_and_b32 vcc_lo, exec_lo, s5
	s_add_i32 s17, s2, s1
	s_mul_i32 s16, s14, s4
	s_cbranch_vccnz .LBB687_40
; %bb.39:
	s_lshl_b64 s[2:3], s[16:17], 2
	s_delay_alu instid0(SALU_CYCLE_1)
	s_add_u32 s2, s19, s2
	s_addc_u32 s3, s20, s3
	s_load_b32 s1, s[2:3], 0x0
	s_waitcnt lgkmcnt(0)
	v_fmac_f32_e64 v1, s1, s15
.LBB687_40:
	s_or_b32 s21, s21, exec_lo
.LBB687_41:
	s_or_b32 exec_lo, exec_lo, s0
.LBB687_42:
	s_and_saveexec_b32 s0, s21
	s_cbranch_execz .LBB687_44
; %bb.43:
	s_lshl_b64 s[0:1], s[16:17], 2
	v_mov_b32_e32 v0, 0
	s_add_u32 s0, s19, s0
	s_addc_u32 s1, s20, s1
	global_store_b32 v0, v1, s[0:1]
.LBB687_44:
	s_nop 0
	s_sendmsg sendmsg(MSG_DEALLOC_VGPRS)
	s_endpgm
	.section	.rodata,"a",@progbits
	.p2align	6, 0x0
	.amdhsa_kernel _ZL32rocblas_gemvt_warp_reduce_kernelILb0ELi1024ElPK16rocblas_bfloat16fKPfEviiT3_lPKT2_lT1_lS8_lS9_lS5_lPT4_lS9_li
		.amdhsa_group_segment_fixed_size 128
		.amdhsa_private_segment_fixed_size 0
		.amdhsa_kernarg_size 140
		.amdhsa_user_sgpr_count 14
		.amdhsa_user_sgpr_dispatch_ptr 0
		.amdhsa_user_sgpr_queue_ptr 0
		.amdhsa_user_sgpr_kernarg_segment_ptr 1
		.amdhsa_user_sgpr_dispatch_id 0
		.amdhsa_user_sgpr_private_segment_size 0
		.amdhsa_wavefront_size32 1
		.amdhsa_uses_dynamic_stack 0
		.amdhsa_enable_private_segment 0
		.amdhsa_system_sgpr_workgroup_id_x 1
		.amdhsa_system_sgpr_workgroup_id_y 0
		.amdhsa_system_sgpr_workgroup_id_z 1
		.amdhsa_system_sgpr_workgroup_info 0
		.amdhsa_system_vgpr_workitem_id 0
		.amdhsa_next_free_vgpr 12
		.amdhsa_next_free_sgpr 26
		.amdhsa_reserve_vcc 1
		.amdhsa_float_round_mode_32 0
		.amdhsa_float_round_mode_16_64 0
		.amdhsa_float_denorm_mode_32 3
		.amdhsa_float_denorm_mode_16_64 3
		.amdhsa_dx10_clamp 1
		.amdhsa_ieee_mode 1
		.amdhsa_fp16_overflow 0
		.amdhsa_workgroup_processor_mode 1
		.amdhsa_memory_ordered 1
		.amdhsa_forward_progress 0
		.amdhsa_shared_vgpr_count 0
		.amdhsa_exception_fp_ieee_invalid_op 0
		.amdhsa_exception_fp_denorm_src 0
		.amdhsa_exception_fp_ieee_div_zero 0
		.amdhsa_exception_fp_ieee_overflow 0
		.amdhsa_exception_fp_ieee_underflow 0
		.amdhsa_exception_fp_ieee_inexact 0
		.amdhsa_exception_int_div_zero 0
	.end_amdhsa_kernel
	.section	.text._ZL32rocblas_gemvt_warp_reduce_kernelILb0ELi1024ElPK16rocblas_bfloat16fKPfEviiT3_lPKT2_lT1_lS8_lS9_lS5_lPT4_lS9_li,"axG",@progbits,_ZL32rocblas_gemvt_warp_reduce_kernelILb0ELi1024ElPK16rocblas_bfloat16fKPfEviiT3_lPKT2_lT1_lS8_lS9_lS5_lPT4_lS9_li,comdat
.Lfunc_end687:
	.size	_ZL32rocblas_gemvt_warp_reduce_kernelILb0ELi1024ElPK16rocblas_bfloat16fKPfEviiT3_lPKT2_lT1_lS8_lS9_lS5_lPT4_lS9_li, .Lfunc_end687-_ZL32rocblas_gemvt_warp_reduce_kernelILb0ELi1024ElPK16rocblas_bfloat16fKPfEviiT3_lPKT2_lT1_lS8_lS9_lS5_lPT4_lS9_li
                                        ; -- End function
	.section	.AMDGPU.csdata,"",@progbits
; Kernel info:
; codeLenInByte = 1812
; NumSgprs: 28
; NumVgprs: 12
; ScratchSize: 0
; MemoryBound: 0
; FloatMode: 240
; IeeeMode: 1
; LDSByteSize: 128 bytes/workgroup (compile time only)
; SGPRBlocks: 3
; VGPRBlocks: 1
; NumSGPRsForWavesPerEU: 28
; NumVGPRsForWavesPerEU: 12
; Occupancy: 16
; WaveLimiterHint : 1
; COMPUTE_PGM_RSRC2:SCRATCH_EN: 0
; COMPUTE_PGM_RSRC2:USER_SGPR: 14
; COMPUTE_PGM_RSRC2:TRAP_HANDLER: 0
; COMPUTE_PGM_RSRC2:TGID_X_EN: 1
; COMPUTE_PGM_RSRC2:TGID_Y_EN: 0
; COMPUTE_PGM_RSRC2:TGID_Z_EN: 1
; COMPUTE_PGM_RSRC2:TIDIG_COMP_CNT: 0
	.section	.text._ZL22rocblas_gemvtsm_kernelILb1ELi256EPK16rocblas_bfloat16PKfKPfEviiT2_lPKT1_lilSA_lilS7_lPT3_lil,"axG",@progbits,_ZL22rocblas_gemvtsm_kernelILb1ELi256EPK16rocblas_bfloat16PKfKPfEviiT2_lPKT1_lilSA_lilS7_lPT3_lil,comdat
	.globl	_ZL22rocblas_gemvtsm_kernelILb1ELi256EPK16rocblas_bfloat16PKfKPfEviiT2_lPKT1_lilSA_lilS7_lPT3_lil ; -- Begin function _ZL22rocblas_gemvtsm_kernelILb1ELi256EPK16rocblas_bfloat16PKfKPfEviiT2_lPKT1_lilSA_lilS7_lPT3_lil
	.p2align	8
	.type	_ZL22rocblas_gemvtsm_kernelILb1ELi256EPK16rocblas_bfloat16PKfKPfEviiT2_lPKT1_lilSA_lilS7_lPT3_lil,@function
_ZL22rocblas_gemvtsm_kernelILb1ELi256EPK16rocblas_bfloat16PKfKPfEviiT2_lPKT1_lilSA_lilS7_lPT3_lil: ; @_ZL22rocblas_gemvtsm_kernelILb1ELi256EPK16rocblas_bfloat16PKfKPfEviiT2_lPKT1_lilSA_lilS7_lPT3_lil
; %bb.0:
	s_mov_b32 s2, s15
	s_clause 0x1
	s_load_b256 s[12:19], s[0:1], 0x8
	s_load_b256 s[4:11], s[0:1], 0x58
	s_waitcnt lgkmcnt(0)
	s_mul_i32 s3, s2, s15
	s_mul_hi_u32 s15, s2, s14
	s_mul_i32 s14, s2, s14
	s_add_i32 s15, s15, s3
	s_mul_i32 s3, s2, s7
	s_lshl_b64 s[14:15], s[14:15], 2
	s_mul_hi_u32 s7, s2, s6
	s_add_u32 s12, s12, s14
	s_addc_u32 s13, s13, s15
	s_add_i32 s7, s7, s3
	s_mul_i32 s6, s2, s6
	s_delay_alu instid0(SALU_CYCLE_1) | instskip(NEXT) | instid1(SALU_CYCLE_1)
	s_lshl_b64 s[6:7], s[6:7], 2
	s_add_u32 s4, s4, s6
	s_addc_u32 s5, s5, s7
	s_load_b32 s21, s[12:13], 0x0
	s_load_b32 s20, s[4:5], 0x0
	s_waitcnt lgkmcnt(0)
	v_cmp_eq_f32_e64 s7, s21, 0
	v_cmp_eq_f32_e64 s3, s20, 1.0
	s_delay_alu instid0(VALU_DEP_1) | instskip(NEXT) | instid1(SALU_CYCLE_1)
	s_and_b32 s3, s7, s3
	s_and_b32 vcc_lo, exec_lo, s3
	s_mov_b32 s3, 0
	s_cbranch_vccnz .LBB688_62
; %bb.1:
	v_cmp_neq_f32_e64 s4, s21, 0
	s_mov_b64 s[14:15], 0
	s_and_b32 vcc_lo, exec_lo, s7
	s_mov_b64 s[12:13], 0
	s_cbranch_vccnz .LBB688_3
; %bb.2:
	s_lshl_b64 s[12:13], s[2:3], 3
	s_delay_alu instid0(SALU_CYCLE_1)
	s_add_u32 s12, s16, s12
	s_addc_u32 s13, s17, s13
	s_lshl_b64 s[16:17], s[18:19], 1
	s_load_b64 s[12:13], s[12:13], 0x0
	s_waitcnt lgkmcnt(0)
	s_add_u32 s12, s12, s16
	s_addc_u32 s13, s13, s17
.LBB688_3:
	s_and_not1_b32 vcc_lo, exec_lo, s4
	s_cbranch_vccnz .LBB688_5
; %bb.4:
	s_load_b128 s[16:19], s[0:1], 0x38
	s_lshl_b64 s[4:5], s[2:3], 3
	s_waitcnt lgkmcnt(0)
	s_add_u32 s4, s16, s4
	s_addc_u32 s5, s17, s5
	s_lshl_b64 s[14:15], s[18:19], 1
	s_load_b64 s[4:5], s[4:5], 0x0
	s_waitcnt lgkmcnt(0)
	s_add_u32 s14, s4, s14
	s_addc_u32 s15, s5, s15
.LBB688_5:
	s_lshl_b64 s[2:3], s[2:3], 3
	s_delay_alu instid0(SALU_CYCLE_1)
	s_add_u32 s2, s8, s2
	s_addc_u32 s3, s9, s3
	s_clause 0x1
	s_load_b64 s[4:5], s[0:1], 0x0
	s_load_b32 s6, s[0:1], 0x78
	s_load_b64 s[8:9], s[2:3], 0x0
	s_and_not1_b32 vcc_lo, exec_lo, s7
	s_mov_b32 s2, -1
	s_cbranch_vccnz .LBB688_20
; %bb.6:
	s_waitcnt lgkmcnt(0)
	s_cmp_gt_i32 s5, 0
	v_cmp_neq_f32_e64 s2, s20, 0
	s_cselect_b32 s16, -1, 0
	s_delay_alu instid0(SALU_CYCLE_1) | instskip(NEXT) | instid1(VALU_DEP_2)
	v_cndmask_b32_e64 v1, 0, 1, s16
	s_and_b32 vcc_lo, exec_lo, s2
	s_delay_alu instid0(VALU_DEP_1)
	v_cmp_ne_u32_e64 s2, 1, v1
	s_cbranch_vccnz .LBB688_13
; %bb.7:
	s_delay_alu instid0(VALU_DEP_1)
	s_and_b32 vcc_lo, exec_lo, s2
	s_cbranch_vccnz .LBB688_12
; %bb.8:
	v_mad_i64_i32 v[1:2], null, s6, v0, 0
	s_lshl_b64 s[2:3], s[10:11], 2
	s_ashr_i32 s7, s6, 31
	s_add_u32 s2, s8, s2
	s_addc_u32 s3, s9, s3
	v_mov_b32_e32 v3, 0
	s_delay_alu instid0(VALU_DEP_2) | instskip(NEXT) | instid1(VALU_DEP_1)
	v_lshlrev_b64 v[1:2], 2, v[1:2]
	v_add_co_u32 v1, vcc_lo, s2, v1
	s_delay_alu instid0(VALU_DEP_2)
	v_add_co_ci_u32_e32 v2, vcc_lo, s3, v2, vcc_lo
	s_lshl_b64 s[2:3], s[6:7], 10
	s_mov_b32 s7, 0
	s_branch .LBB688_10
.LBB688_9:                              ;   in Loop: Header=BB688_10 Depth=1
	s_or_b32 exec_lo, exec_lo, s17
	v_add_co_u32 v1, vcc_lo, v1, s2
	v_add_co_ci_u32_e32 v2, vcc_lo, s3, v2, vcc_lo
	s_addk_i32 s7, 0x100
	s_delay_alu instid0(SALU_CYCLE_1)
	s_cmp_ge_i32 s7, s5
	s_cbranch_scc1 .LBB688_12
.LBB688_10:                             ; =>This Inner Loop Header: Depth=1
	v_add_nc_u32_e32 v4, s7, v0
	s_mov_b32 s17, exec_lo
	s_delay_alu instid0(VALU_DEP_1)
	v_cmpx_gt_i32_e64 s5, v4
	s_cbranch_execz .LBB688_9
; %bb.11:                               ;   in Loop: Header=BB688_10 Depth=1
	global_store_b32 v[1:2], v3, off
	s_branch .LBB688_9
.LBB688_12:
	s_cbranch_execz .LBB688_14
	s_branch .LBB688_19
.LBB688_13:
.LBB688_14:
	s_and_not1_b32 vcc_lo, exec_lo, s16
	s_cbranch_vccnz .LBB688_19
; %bb.15:
	v_mad_i64_i32 v[1:2], null, s6, v0, 0
	s_lshl_b64 s[2:3], s[10:11], 2
	s_ashr_i32 s7, s6, 31
	s_add_u32 s2, s8, s2
	s_addc_u32 s3, s9, s3
	s_delay_alu instid0(VALU_DEP_1) | instskip(NEXT) | instid1(VALU_DEP_1)
	v_lshlrev_b64 v[1:2], 2, v[1:2]
	v_add_co_u32 v1, vcc_lo, s2, v1
	s_delay_alu instid0(VALU_DEP_2)
	v_add_co_ci_u32_e32 v2, vcc_lo, s3, v2, vcc_lo
	s_lshl_b64 s[2:3], s[6:7], 10
	s_mov_b32 s7, 0
	s_branch .LBB688_17
	.p2align	6
.LBB688_16:                             ;   in Loop: Header=BB688_17 Depth=1
	s_or_b32 exec_lo, exec_lo, s16
	v_add_co_u32 v1, vcc_lo, v1, s2
	v_add_co_ci_u32_e32 v2, vcc_lo, s3, v2, vcc_lo
	s_addk_i32 s7, 0x100
	s_delay_alu instid0(SALU_CYCLE_1)
	s_cmp_ge_i32 s7, s5
	s_cbranch_scc1 .LBB688_19
.LBB688_17:                             ; =>This Inner Loop Header: Depth=1
	v_add_nc_u32_e32 v3, s7, v0
	s_mov_b32 s16, exec_lo
	s_delay_alu instid0(VALU_DEP_1)
	v_cmpx_gt_i32_e64 s5, v3
	s_cbranch_execz .LBB688_16
; %bb.18:                               ;   in Loop: Header=BB688_17 Depth=1
	global_load_b32 v3, v[1:2], off
	s_waitcnt vmcnt(0)
	v_mul_f32_e32 v3, s20, v3
	global_store_b32 v[1:2], v3, off
	s_branch .LBB688_16
.LBB688_19:
	s_mov_b32 s2, 0
.LBB688_20:
	s_delay_alu instid0(SALU_CYCLE_1)
	s_and_not1_b32 vcc_lo, exec_lo, s2
	s_cbranch_vccnz .LBB688_62
; %bb.21:
	s_mov_b32 s2, exec_lo
	s_waitcnt lgkmcnt(0)
	v_cmpx_gt_i32_e64 s4, v0
	s_cbranch_execz .LBB688_27
; %bb.22:
	s_load_b32 s3, s[0:1], 0x48
	s_waitcnt lgkmcnt(0)
	v_mad_i64_i32 v[1:2], null, s3, v0, 0
	s_delay_alu instid0(VALU_DEP_1) | instskip(NEXT) | instid1(VALU_DEP_1)
	v_lshlrev_b64 v[1:2], 1, v[1:2]
	v_add_co_u32 v1, vcc_lo, s14, v1
	s_delay_alu instid0(VALU_DEP_2) | instskip(SKIP_3) | instid1(VALU_DEP_1)
	v_add_co_ci_u32_e32 v2, vcc_lo, s15, v2, vcc_lo
	flat_load_u16 v1, v[1:2]
	s_waitcnt vmcnt(0) lgkmcnt(0)
	v_lshlrev_b32_e32 v1, 16, v1
	v_mul_f32_e32 v1, s21, v1
	s_delay_alu instid0(VALU_DEP_1) | instskip(NEXT) | instid1(VALU_DEP_1)
	v_and_b32_e32 v2, 0x7f800000, v1
	v_cmp_ne_u32_e32 vcc_lo, 0x7f800000, v2
                                        ; implicit-def: $vgpr2
	s_and_saveexec_b32 s3, vcc_lo
	s_delay_alu instid0(SALU_CYCLE_1)
	s_xor_b32 s3, exec_lo, s3
; %bb.23:
	v_bfe_u32 v2, v1, 16, 1
	s_delay_alu instid0(VALU_DEP_1)
	v_add3_u32 v2, v1, v2, 0x7fff
                                        ; implicit-def: $vgpr1
; %bb.24:
	s_and_not1_saveexec_b32 s3, s3
; %bb.25:
	v_and_b32_e32 v2, 0xffff, v1
	v_or_b32_e32 v3, 0x10000, v1
	s_delay_alu instid0(VALU_DEP_2) | instskip(NEXT) | instid1(VALU_DEP_2)
	v_cmp_eq_u32_e32 vcc_lo, 0, v2
	v_cndmask_b32_e32 v2, v3, v1, vcc_lo
; %bb.26:
	s_or_b32 exec_lo, exec_lo, s3
	s_delay_alu instid0(VALU_DEP_1)
	v_and_b32_e32 v1, 0xffff0000, v2
	v_lshlrev_b32_e32 v2, 2, v0
	ds_store_b32 v2, v1
.LBB688_27:
	s_or_b32 exec_lo, exec_lo, s2
	s_cmp_lt_i32 s5, 1
	s_waitcnt lgkmcnt(0)
	s_waitcnt_vscnt null, 0x0
	s_barrier
	buffer_gl0_inv
	s_cbranch_scc1 .LBB688_62
; %bb.28:
	s_load_b32 s0, s[0:1], 0x28
	s_lshl_b64 s[2:3], s[10:11], 2
	s_delay_alu instid0(SALU_CYCLE_1)
	s_add_u32 s2, s8, s2
	s_addc_u32 s3, s9, s3
	s_ashr_i32 s7, s6, 31
	v_cmp_neq_f32_e64 s8, s20, 0
	s_waitcnt lgkmcnt(0)
	v_mad_i64_i32 v[1:2], null, s0, v0, 0
	s_ashr_i32 s1, s0, 31
	s_cmp_gt_i32 s4, 0
	s_cselect_b32 s9, -1, 0
	s_and_b32 s10, s4, 3
	s_cmp_gt_u32 s4, 3
	s_delay_alu instid0(VALU_DEP_1) | instskip(SKIP_3) | instid1(VALU_DEP_1)
	v_lshlrev_b64 v[1:2], 1, v[1:2]
	s_cselect_b32 s11, -1, 0
	s_and_b32 s4, s4, 0x7ffffffc
	s_cmp_lg_u32 s10, 0
	v_add_co_u32 v1, vcc_lo, s12, v1
	s_delay_alu instid0(VALU_DEP_2)
	v_add_co_ci_u32_e32 v2, vcc_lo, s13, v2, vcc_lo
	s_cselect_b32 s12, -1, 0
	s_mov_b32 s13, 0
	s_lshl_b64 s[0:1], s[0:1], 9
	s_branch .LBB688_31
.LBB688_29:                             ;   in Loop: Header=BB688_31 Depth=1
	s_set_inst_prefetch_distance 0x2
	v_add_co_u32 v3, vcc_lo, s2, v3
	v_add_co_ci_u32_e32 v4, vcc_lo, s3, v4, vcc_lo
	global_store_b32 v[3:4], v7, off
.LBB688_30:                             ;   in Loop: Header=BB688_31 Depth=1
	s_or_b32 exec_lo, exec_lo, s14
	v_add_co_u32 v1, vcc_lo, v1, s0
	v_add_co_ci_u32_e32 v2, vcc_lo, s1, v2, vcc_lo
	s_addk_i32 s13, 0x100
	s_delay_alu instid0(SALU_CYCLE_1)
	s_cmp_ge_i32 s13, s5
	s_cbranch_scc1 .LBB688_62
.LBB688_31:                             ; =>This Loop Header: Depth=1
                                        ;     Child Loop BB688_38 Depth 2
                                        ;     Child Loop BB688_58 Depth 2
	v_add_nc_u32_e32 v3, s13, v0
	s_mov_b32 s14, exec_lo
	s_delay_alu instid0(VALU_DEP_1)
	v_cmpx_gt_i32_e64 s5, v3
	s_cbranch_execz .LBB688_30
; %bb.32:                               ;   in Loop: Header=BB688_31 Depth=1
	v_mad_u64_u32 v[4:5], null, v3, s6, 0
	s_and_not1_b32 vcc_lo, exec_lo, s8
	s_delay_alu instid0(VALU_DEP_1) | instskip(NEXT) | instid1(VALU_DEP_1)
	v_mad_u64_u32 v[6:7], null, v3, s7, v[5:6]
	v_mov_b32_e32 v5, v6
	s_delay_alu instid0(VALU_DEP_1)
	v_lshlrev_b64 v[3:4], 2, v[4:5]
	s_cbranch_vccnz .LBB688_34
; %bb.33:                               ;   in Loop: Header=BB688_31 Depth=1
	s_delay_alu instid0(VALU_DEP_1) | instskip(NEXT) | instid1(VALU_DEP_2)
	v_add_co_u32 v5, vcc_lo, s2, v3
	v_add_co_ci_u32_e32 v6, vcc_lo, s3, v4, vcc_lo
	global_load_b32 v5, v[5:6], off
	s_waitcnt vmcnt(0)
	v_mul_f32_e32 v7, s20, v5
	s_and_not1_b32 vcc_lo, exec_lo, s9
	s_cbranch_vccz .LBB688_35
	s_branch .LBB688_29
.LBB688_34:                             ;   in Loop: Header=BB688_31 Depth=1
	v_mov_b32_e32 v7, 0
	s_and_not1_b32 vcc_lo, exec_lo, s9
	s_cbranch_vccnz .LBB688_29
.LBB688_35:                             ;   in Loop: Header=BB688_31 Depth=1
	s_and_not1_b32 vcc_lo, exec_lo, s11
	s_cbranch_vccnz .LBB688_54
; %bb.36:                               ;   in Loop: Header=BB688_31 Depth=1
	v_dual_mov_b32 v6, v2 :: v_dual_mov_b32 v5, v1
	s_mov_b32 s15, 0
	s_mov_b32 s16, 0
	s_branch .LBB688_38
.LBB688_37:                             ;   in Loop: Header=BB688_38 Depth=2
	s_or_b32 exec_lo, exec_lo, s17
	v_and_b32_e32 v9, 0xffff0000, v9
	v_and_b32_e32 v8, 0xffff0000, v8
	v_add_co_u32 v5, vcc_lo, v5, 8
	v_add_co_ci_u32_e32 v6, vcc_lo, 0, v6, vcc_lo
	s_delay_alu instid0(VALU_DEP_3) | instskip(SKIP_3) | instid1(VALU_DEP_1)
	v_dual_add_f32 v7, v7, v8 :: v_dual_and_b32 v8, 0xffff0000, v10
	s_add_i32 s16, s16, 4
	s_add_i32 s15, s15, 16
	s_cmp_eq_u32 s4, s16
	v_add_f32_e32 v7, v7, v9
	v_and_b32_e32 v9, 0xffff0000, v11
	s_delay_alu instid0(VALU_DEP_2) | instskip(NEXT) | instid1(VALU_DEP_1)
	v_add_f32_e32 v7, v7, v8
	v_add_f32_e32 v7, v7, v9
	s_cbranch_scc1 .LBB688_55
.LBB688_38:                             ;   Parent Loop BB688_31 Depth=1
                                        ; =>  This Inner Loop Header: Depth=2
	flat_load_u16 v8, v[5:6]
	s_waitcnt vmcnt(0) lgkmcnt(0)
	v_dual_mov_b32 v9, s15 :: v_dual_lshlrev_b32 v8, 16, v8
	ds_load_b32 v9, v9
	s_waitcnt lgkmcnt(0)
	v_mul_f32_e32 v9, v9, v8
	s_delay_alu instid0(VALU_DEP_1) | instskip(NEXT) | instid1(VALU_DEP_1)
	v_and_b32_e32 v8, 0x7f800000, v9
	v_cmp_ne_u32_e32 vcc_lo, 0x7f800000, v8
                                        ; implicit-def: $vgpr8
	s_and_saveexec_b32 s17, vcc_lo
	s_delay_alu instid0(SALU_CYCLE_1)
	s_xor_b32 s17, exec_lo, s17
; %bb.39:                               ;   in Loop: Header=BB688_38 Depth=2
	v_bfe_u32 v8, v9, 16, 1
	s_delay_alu instid0(VALU_DEP_1)
	v_add3_u32 v8, v9, v8, 0x7fff
                                        ; implicit-def: $vgpr9
; %bb.40:                               ;   in Loop: Header=BB688_38 Depth=2
	s_and_not1_saveexec_b32 s17, s17
; %bb.41:                               ;   in Loop: Header=BB688_38 Depth=2
	v_and_b32_e32 v8, 0xffff, v9
	v_or_b32_e32 v10, 0x10000, v9
	s_delay_alu instid0(VALU_DEP_2) | instskip(NEXT) | instid1(VALU_DEP_2)
	v_cmp_eq_u32_e32 vcc_lo, 0, v8
	v_cndmask_b32_e32 v8, v10, v9, vcc_lo
; %bb.42:                               ;   in Loop: Header=BB688_38 Depth=2
	s_or_b32 exec_lo, exec_lo, s17
	flat_load_u16 v9, v[5:6] offset:2
	s_waitcnt vmcnt(0) lgkmcnt(0)
	v_dual_mov_b32 v10, s15 :: v_dual_lshlrev_b32 v9, 16, v9
	ds_load_b32 v10, v10 offset:4
	s_waitcnt lgkmcnt(0)
	v_mul_f32_e32 v10, v10, v9
	s_delay_alu instid0(VALU_DEP_1) | instskip(NEXT) | instid1(VALU_DEP_1)
	v_and_b32_e32 v9, 0x7f800000, v10
	v_cmp_ne_u32_e32 vcc_lo, 0x7f800000, v9
                                        ; implicit-def: $vgpr9
	s_and_saveexec_b32 s17, vcc_lo
	s_delay_alu instid0(SALU_CYCLE_1)
	s_xor_b32 s17, exec_lo, s17
; %bb.43:                               ;   in Loop: Header=BB688_38 Depth=2
	v_bfe_u32 v9, v10, 16, 1
	s_delay_alu instid0(VALU_DEP_1)
	v_add3_u32 v9, v10, v9, 0x7fff
                                        ; implicit-def: $vgpr10
; %bb.44:                               ;   in Loop: Header=BB688_38 Depth=2
	s_and_not1_saveexec_b32 s17, s17
; %bb.45:                               ;   in Loop: Header=BB688_38 Depth=2
	v_and_b32_e32 v9, 0xffff, v10
	v_or_b32_e32 v11, 0x10000, v10
	s_delay_alu instid0(VALU_DEP_2) | instskip(NEXT) | instid1(VALU_DEP_2)
	v_cmp_eq_u32_e32 vcc_lo, 0, v9
	v_cndmask_b32_e32 v9, v11, v10, vcc_lo
; %bb.46:                               ;   in Loop: Header=BB688_38 Depth=2
	s_or_b32 exec_lo, exec_lo, s17
	flat_load_u16 v10, v[5:6] offset:4
	s_waitcnt vmcnt(0) lgkmcnt(0)
	v_dual_mov_b32 v11, s15 :: v_dual_lshlrev_b32 v10, 16, v10
	ds_load_b32 v11, v11 offset:8
	s_waitcnt lgkmcnt(0)
	v_mul_f32_e32 v11, v11, v10
	s_delay_alu instid0(VALU_DEP_1) | instskip(NEXT) | instid1(VALU_DEP_1)
	v_and_b32_e32 v10, 0x7f800000, v11
	v_cmp_ne_u32_e32 vcc_lo, 0x7f800000, v10
                                        ; implicit-def: $vgpr10
	s_and_saveexec_b32 s17, vcc_lo
	s_delay_alu instid0(SALU_CYCLE_1)
	s_xor_b32 s17, exec_lo, s17
; %bb.47:                               ;   in Loop: Header=BB688_38 Depth=2
	v_bfe_u32 v10, v11, 16, 1
	s_delay_alu instid0(VALU_DEP_1)
	v_add3_u32 v10, v11, v10, 0x7fff
                                        ; implicit-def: $vgpr11
; %bb.48:                               ;   in Loop: Header=BB688_38 Depth=2
	s_and_not1_saveexec_b32 s17, s17
; %bb.49:                               ;   in Loop: Header=BB688_38 Depth=2
	v_and_b32_e32 v10, 0xffff, v11
	v_or_b32_e32 v12, 0x10000, v11
	s_delay_alu instid0(VALU_DEP_2) | instskip(NEXT) | instid1(VALU_DEP_2)
	v_cmp_eq_u32_e32 vcc_lo, 0, v10
	v_cndmask_b32_e32 v10, v12, v11, vcc_lo
; %bb.50:                               ;   in Loop: Header=BB688_38 Depth=2
	s_or_b32 exec_lo, exec_lo, s17
	flat_load_u16 v11, v[5:6] offset:6
	s_waitcnt vmcnt(0) lgkmcnt(0)
	v_dual_mov_b32 v12, s15 :: v_dual_lshlrev_b32 v11, 16, v11
	ds_load_b32 v12, v12 offset:12
	s_waitcnt lgkmcnt(0)
	v_mul_f32_e32 v12, v12, v11
	s_delay_alu instid0(VALU_DEP_1) | instskip(NEXT) | instid1(VALU_DEP_1)
	v_and_b32_e32 v11, 0x7f800000, v12
	v_cmp_ne_u32_e32 vcc_lo, 0x7f800000, v11
                                        ; implicit-def: $vgpr11
	s_and_saveexec_b32 s17, vcc_lo
	s_delay_alu instid0(SALU_CYCLE_1)
	s_xor_b32 s17, exec_lo, s17
; %bb.51:                               ;   in Loop: Header=BB688_38 Depth=2
	v_bfe_u32 v11, v12, 16, 1
	s_delay_alu instid0(VALU_DEP_1)
	v_add3_u32 v11, v12, v11, 0x7fff
                                        ; implicit-def: $vgpr12
; %bb.52:                               ;   in Loop: Header=BB688_38 Depth=2
	s_and_not1_saveexec_b32 s17, s17
	s_cbranch_execz .LBB688_37
; %bb.53:                               ;   in Loop: Header=BB688_38 Depth=2
	v_and_b32_e32 v11, 0xffff, v12
	v_or_b32_e32 v13, 0x10000, v12
	s_delay_alu instid0(VALU_DEP_2) | instskip(NEXT) | instid1(VALU_DEP_2)
	v_cmp_eq_u32_e32 vcc_lo, 0, v11
	v_cndmask_b32_e32 v11, v13, v12, vcc_lo
	s_branch .LBB688_37
.LBB688_54:                             ;   in Loop: Header=BB688_31 Depth=1
	s_mov_b32 s15, 0
	s_and_not1_b32 vcc_lo, exec_lo, s12
	s_cbranch_vccz .LBB688_56
	s_branch .LBB688_29
.LBB688_55:                             ;   in Loop: Header=BB688_31 Depth=1
	s_mov_b32 s15, s4
	s_and_not1_b32 vcc_lo, exec_lo, s12
	s_cbranch_vccnz .LBB688_29
.LBB688_56:                             ;   in Loop: Header=BB688_31 Depth=1
	s_lshl_b32 s16, s15, 1
	s_lshl_b32 s15, s15, 2
	v_add_co_u32 v5, vcc_lo, v1, s16
	v_add_co_ci_u32_e32 v6, vcc_lo, 0, v2, vcc_lo
	s_mov_b32 s16, s10
	s_set_inst_prefetch_distance 0x1
	s_branch .LBB688_58
	.p2align	6
.LBB688_57:                             ;   in Loop: Header=BB688_58 Depth=2
	s_or_b32 exec_lo, exec_lo, s17
	s_delay_alu instid0(VALU_DEP_1) | instskip(SKIP_2) | instid1(VALU_DEP_3)
	v_and_b32_e32 v8, 0xffff0000, v9
	v_add_co_u32 v5, vcc_lo, v5, 2
	v_add_co_ci_u32_e32 v6, vcc_lo, 0, v6, vcc_lo
	v_add_f32_e32 v7, v7, v8
	s_add_i32 s16, s16, -1
	s_add_i32 s15, s15, 4
	s_cmp_lg_u32 s16, 0
	s_cbranch_scc0 .LBB688_29
.LBB688_58:                             ;   Parent Loop BB688_31 Depth=1
                                        ; =>  This Inner Loop Header: Depth=2
	flat_load_u16 v8, v[5:6]
	s_waitcnt vmcnt(0) lgkmcnt(0)
	v_dual_mov_b32 v9, s15 :: v_dual_lshlrev_b32 v8, 16, v8
	ds_load_b32 v9, v9
	s_waitcnt lgkmcnt(0)
	v_mul_f32_e32 v8, v9, v8
	s_delay_alu instid0(VALU_DEP_1) | instskip(NEXT) | instid1(VALU_DEP_1)
	v_and_b32_e32 v9, 0x7f800000, v8
	v_cmp_ne_u32_e32 vcc_lo, 0x7f800000, v9
                                        ; implicit-def: $vgpr9
	s_and_saveexec_b32 s17, vcc_lo
	s_delay_alu instid0(SALU_CYCLE_1)
	s_xor_b32 s17, exec_lo, s17
; %bb.59:                               ;   in Loop: Header=BB688_58 Depth=2
	v_bfe_u32 v9, v8, 16, 1
	s_delay_alu instid0(VALU_DEP_1)
	v_add3_u32 v9, v8, v9, 0x7fff
                                        ; implicit-def: $vgpr8
; %bb.60:                               ;   in Loop: Header=BB688_58 Depth=2
	s_and_not1_saveexec_b32 s17, s17
	s_cbranch_execz .LBB688_57
; %bb.61:                               ;   in Loop: Header=BB688_58 Depth=2
	v_and_b32_e32 v9, 0xffff, v8
	v_or_b32_e32 v10, 0x10000, v8
	s_delay_alu instid0(VALU_DEP_2) | instskip(NEXT) | instid1(VALU_DEP_2)
	v_cmp_eq_u32_e32 vcc_lo, 0, v9
	v_cndmask_b32_e32 v9, v10, v8, vcc_lo
	s_branch .LBB688_57
.LBB688_62:
	s_nop 0
	s_sendmsg sendmsg(MSG_DEALLOC_VGPRS)
	s_endpgm
	.section	.rodata,"a",@progbits
	.p2align	6, 0x0
	.amdhsa_kernel _ZL22rocblas_gemvtsm_kernelILb1ELi256EPK16rocblas_bfloat16PKfKPfEviiT2_lPKT1_lilSA_lilS7_lPT3_lil
		.amdhsa_group_segment_fixed_size 256
		.amdhsa_private_segment_fixed_size 0
		.amdhsa_kernarg_size 136
		.amdhsa_user_sgpr_count 15
		.amdhsa_user_sgpr_dispatch_ptr 0
		.amdhsa_user_sgpr_queue_ptr 0
		.amdhsa_user_sgpr_kernarg_segment_ptr 1
		.amdhsa_user_sgpr_dispatch_id 0
		.amdhsa_user_sgpr_private_segment_size 0
		.amdhsa_wavefront_size32 1
		.amdhsa_uses_dynamic_stack 0
		.amdhsa_enable_private_segment 0
		.amdhsa_system_sgpr_workgroup_id_x 1
		.amdhsa_system_sgpr_workgroup_id_y 0
		.amdhsa_system_sgpr_workgroup_id_z 0
		.amdhsa_system_sgpr_workgroup_info 0
		.amdhsa_system_vgpr_workitem_id 0
		.amdhsa_next_free_vgpr 14
		.amdhsa_next_free_sgpr 22
		.amdhsa_reserve_vcc 1
		.amdhsa_float_round_mode_32 0
		.amdhsa_float_round_mode_16_64 0
		.amdhsa_float_denorm_mode_32 3
		.amdhsa_float_denorm_mode_16_64 3
		.amdhsa_dx10_clamp 1
		.amdhsa_ieee_mode 1
		.amdhsa_fp16_overflow 0
		.amdhsa_workgroup_processor_mode 1
		.amdhsa_memory_ordered 1
		.amdhsa_forward_progress 0
		.amdhsa_shared_vgpr_count 0
		.amdhsa_exception_fp_ieee_invalid_op 0
		.amdhsa_exception_fp_denorm_src 0
		.amdhsa_exception_fp_ieee_div_zero 0
		.amdhsa_exception_fp_ieee_overflow 0
		.amdhsa_exception_fp_ieee_underflow 0
		.amdhsa_exception_fp_ieee_inexact 0
		.amdhsa_exception_int_div_zero 0
	.end_amdhsa_kernel
	.section	.text._ZL22rocblas_gemvtsm_kernelILb1ELi256EPK16rocblas_bfloat16PKfKPfEviiT2_lPKT1_lilSA_lilS7_lPT3_lil,"axG",@progbits,_ZL22rocblas_gemvtsm_kernelILb1ELi256EPK16rocblas_bfloat16PKfKPfEviiT2_lPKT1_lilSA_lilS7_lPT3_lil,comdat
.Lfunc_end688:
	.size	_ZL22rocblas_gemvtsm_kernelILb1ELi256EPK16rocblas_bfloat16PKfKPfEviiT2_lPKT1_lilSA_lilS7_lPT3_lil, .Lfunc_end688-_ZL22rocblas_gemvtsm_kernelILb1ELi256EPK16rocblas_bfloat16PKfKPfEviiT2_lPKT1_lilSA_lilS7_lPT3_lil
                                        ; -- End function
	.section	.AMDGPU.csdata,"",@progbits
; Kernel info:
; codeLenInByte = 2128
; NumSgprs: 24
; NumVgprs: 14
; ScratchSize: 0
; MemoryBound: 0
; FloatMode: 240
; IeeeMode: 1
; LDSByteSize: 256 bytes/workgroup (compile time only)
; SGPRBlocks: 2
; VGPRBlocks: 1
; NumSGPRsForWavesPerEU: 24
; NumVGPRsForWavesPerEU: 14
; Occupancy: 16
; WaveLimiterHint : 1
; COMPUTE_PGM_RSRC2:SCRATCH_EN: 0
; COMPUTE_PGM_RSRC2:USER_SGPR: 15
; COMPUTE_PGM_RSRC2:TRAP_HANDLER: 0
; COMPUTE_PGM_RSRC2:TGID_X_EN: 1
; COMPUTE_PGM_RSRC2:TGID_Y_EN: 0
; COMPUTE_PGM_RSRC2:TGID_Z_EN: 0
; COMPUTE_PGM_RSRC2:TIDIG_COMP_CNT: 0
	.section	.text._ZL22rocblas_gemvtsm_kernelILb1ELi256EPK16rocblas_bfloat16fKPfEviiT2_lPKT1_lilS8_lilS5_lPT3_lil,"axG",@progbits,_ZL22rocblas_gemvtsm_kernelILb1ELi256EPK16rocblas_bfloat16fKPfEviiT2_lPKT1_lilS8_lilS5_lPT3_lil,comdat
	.globl	_ZL22rocblas_gemvtsm_kernelILb1ELi256EPK16rocblas_bfloat16fKPfEviiT2_lPKT1_lilS8_lilS5_lPT3_lil ; -- Begin function _ZL22rocblas_gemvtsm_kernelILb1ELi256EPK16rocblas_bfloat16fKPfEviiT2_lPKT1_lilS8_lilS5_lPT3_lil
	.p2align	8
	.type	_ZL22rocblas_gemvtsm_kernelILb1ELi256EPK16rocblas_bfloat16fKPfEviiT2_lPKT1_lilS8_lilS5_lPT3_lil,@function
_ZL22rocblas_gemvtsm_kernelILb1ELi256EPK16rocblas_bfloat16fKPfEviiT2_lPKT1_lilS8_lilS5_lPT3_lil: ; @_ZL22rocblas_gemvtsm_kernelILb1ELi256EPK16rocblas_bfloat16fKPfEviiT2_lPKT1_lilS8_lilS5_lPT3_lil
; %bb.0:
	s_load_b128 s[4:7], s[0:1], 0x0
	s_waitcnt lgkmcnt(0)
	s_load_b32 s7, s[0:1], 0x58
	v_cmp_eq_f32_e64 s13, s6, 0
	s_waitcnt lgkmcnt(0)
	v_cmp_eq_f32_e64 s3, s7, 1.0
	s_delay_alu instid0(VALU_DEP_1) | instskip(NEXT) | instid1(SALU_CYCLE_1)
	s_and_b32 s3, s13, s3
	s_and_b32 vcc_lo, exec_lo, s3
	s_cbranch_vccnz .LBB689_65
; %bb.1:
	v_cmp_neq_f32_e64 s8, s6, 0
	s_mov_b32 s2, s15
	s_delay_alu instid0(VALU_DEP_1)
	s_and_b32 vcc_lo, exec_lo, s8
	s_cbranch_vccnz .LBB689_3
; %bb.2:
	s_mov_b32 s3, 0
	s_mov_b64 s[14:15], 0
	s_cbranch_execz .LBB689_4
	s_branch .LBB689_5
.LBB689_3:
	s_mov_b32 s3, -1
                                        ; implicit-def: $sgpr14_sgpr15
.LBB689_4:
	s_load_b128 s[16:19], s[0:1], 0x18
	s_mov_b32 s3, 0
	s_delay_alu instid0(SALU_CYCLE_1)
	s_lshl_b64 s[10:11], s[2:3], 3
	s_waitcnt lgkmcnt(0)
	s_add_u32 s10, s16, s10
	s_addc_u32 s11, s17, s11
	s_lshl_b64 s[14:15], s[18:19], 1
	s_load_b64 s[10:11], s[10:11], 0x0
	s_waitcnt lgkmcnt(0)
	s_add_u32 s14, s10, s14
	s_addc_u32 s15, s11, s15
.LBB689_5:
	s_and_not1_b32 vcc_lo, exec_lo, s8
	s_cbranch_vccnz .LBB689_7
; %bb.6:
	s_load_b128 s[8:11], s[0:1], 0x38
	s_lshl_b64 s[16:17], s[2:3], 3
	s_waitcnt lgkmcnt(0)
	s_add_u32 s8, s8, s16
	s_addc_u32 s9, s9, s17
	s_lshl_b64 s[10:11], s[10:11], 1
	s_load_b64 s[8:9], s[8:9], 0x0
	s_waitcnt lgkmcnt(0)
	s_add_u32 s16, s8, s10
	s_addc_u32 s17, s9, s11
	s_branch .LBB689_8
.LBB689_7:
	s_mov_b64 s[16:17], 0
.LBB689_8:
	s_clause 0x1
	s_load_b128 s[8:11], s[0:1], 0x68
	s_load_b32 s12, s[0:1], 0x78
	s_lshl_b64 s[2:3], s[2:3], 3
	s_waitcnt lgkmcnt(0)
	s_add_u32 s2, s8, s2
	s_addc_u32 s3, s9, s3
	s_and_not1_b32 vcc_lo, exec_lo, s13
	s_load_b64 s[8:9], s[2:3], 0x0
	s_mov_b32 s2, -1
	s_cbranch_vccnz .LBB689_23
; %bb.9:
	s_cmp_gt_i32 s5, 0
	v_cmp_neq_f32_e64 s2, s7, 0
	s_cselect_b32 s18, -1, 0
	s_delay_alu instid0(SALU_CYCLE_1) | instskip(NEXT) | instid1(VALU_DEP_2)
	v_cndmask_b32_e64 v1, 0, 1, s18
	s_and_b32 vcc_lo, exec_lo, s2
	s_delay_alu instid0(VALU_DEP_1)
	v_cmp_ne_u32_e64 s2, 1, v1
	s_cbranch_vccnz .LBB689_16
; %bb.10:
	s_delay_alu instid0(VALU_DEP_1)
	s_and_b32 vcc_lo, exec_lo, s2
	s_cbranch_vccnz .LBB689_15
; %bb.11:
	v_mad_i64_i32 v[1:2], null, s12, v0, 0
	s_lshl_b64 s[2:3], s[10:11], 2
	s_ashr_i32 s13, s12, 31
	s_waitcnt lgkmcnt(0)
	s_add_u32 s2, s8, s2
	s_addc_u32 s3, s9, s3
	v_mov_b32_e32 v3, 0
	s_delay_alu instid0(VALU_DEP_2) | instskip(NEXT) | instid1(VALU_DEP_1)
	v_lshlrev_b64 v[1:2], 2, v[1:2]
	v_add_co_u32 v1, vcc_lo, s2, v1
	s_delay_alu instid0(VALU_DEP_2)
	v_add_co_ci_u32_e32 v2, vcc_lo, s3, v2, vcc_lo
	s_lshl_b64 s[2:3], s[12:13], 10
	s_mov_b32 s13, 0
	s_branch .LBB689_13
.LBB689_12:                             ;   in Loop: Header=BB689_13 Depth=1
	s_or_b32 exec_lo, exec_lo, s19
	v_add_co_u32 v1, vcc_lo, v1, s2
	v_add_co_ci_u32_e32 v2, vcc_lo, s3, v2, vcc_lo
	s_addk_i32 s13, 0x100
	s_delay_alu instid0(SALU_CYCLE_1)
	s_cmp_ge_i32 s13, s5
	s_cbranch_scc1 .LBB689_15
.LBB689_13:                             ; =>This Inner Loop Header: Depth=1
	v_add_nc_u32_e32 v4, s13, v0
	s_mov_b32 s19, exec_lo
	s_delay_alu instid0(VALU_DEP_1)
	v_cmpx_gt_i32_e64 s5, v4
	s_cbranch_execz .LBB689_12
; %bb.14:                               ;   in Loop: Header=BB689_13 Depth=1
	global_store_b32 v[1:2], v3, off
	s_branch .LBB689_12
.LBB689_15:
	s_cbranch_execz .LBB689_17
	s_branch .LBB689_22
.LBB689_16:
.LBB689_17:
	s_and_not1_b32 vcc_lo, exec_lo, s18
	s_cbranch_vccnz .LBB689_22
; %bb.18:
	v_mad_i64_i32 v[1:2], null, s12, v0, 0
	s_lshl_b64 s[2:3], s[10:11], 2
	s_ashr_i32 s13, s12, 31
	s_waitcnt lgkmcnt(0)
	s_add_u32 s2, s8, s2
	s_addc_u32 s3, s9, s3
	s_delay_alu instid0(VALU_DEP_1) | instskip(NEXT) | instid1(VALU_DEP_1)
	v_lshlrev_b64 v[1:2], 2, v[1:2]
	v_add_co_u32 v1, vcc_lo, s2, v1
	s_delay_alu instid0(VALU_DEP_2)
	v_add_co_ci_u32_e32 v2, vcc_lo, s3, v2, vcc_lo
	s_lshl_b64 s[2:3], s[12:13], 10
	s_mov_b32 s13, 0
	s_branch .LBB689_20
	.p2align	6
.LBB689_19:                             ;   in Loop: Header=BB689_20 Depth=1
	s_or_b32 exec_lo, exec_lo, s18
	v_add_co_u32 v1, vcc_lo, v1, s2
	v_add_co_ci_u32_e32 v2, vcc_lo, s3, v2, vcc_lo
	s_addk_i32 s13, 0x100
	s_delay_alu instid0(SALU_CYCLE_1)
	s_cmp_ge_i32 s13, s5
	s_cbranch_scc1 .LBB689_22
.LBB689_20:                             ; =>This Inner Loop Header: Depth=1
	v_add_nc_u32_e32 v3, s13, v0
	s_mov_b32 s18, exec_lo
	s_delay_alu instid0(VALU_DEP_1)
	v_cmpx_gt_i32_e64 s5, v3
	s_cbranch_execz .LBB689_19
; %bb.21:                               ;   in Loop: Header=BB689_20 Depth=1
	global_load_b32 v3, v[1:2], off
	s_waitcnt vmcnt(0)
	v_mul_f32_e32 v3, s7, v3
	global_store_b32 v[1:2], v3, off
	s_branch .LBB689_19
.LBB689_22:
	s_mov_b32 s2, 0
.LBB689_23:
	s_delay_alu instid0(SALU_CYCLE_1)
	s_and_not1_b32 vcc_lo, exec_lo, s2
	s_cbranch_vccnz .LBB689_65
; %bb.24:
	s_mov_b32 s2, exec_lo
	v_cmpx_gt_i32_e64 s4, v0
	s_cbranch_execz .LBB689_30
; %bb.25:
	s_load_b32 s3, s[0:1], 0x48
	s_waitcnt lgkmcnt(0)
	v_mad_i64_i32 v[1:2], null, s3, v0, 0
	s_delay_alu instid0(VALU_DEP_1) | instskip(NEXT) | instid1(VALU_DEP_1)
	v_lshlrev_b64 v[1:2], 1, v[1:2]
	v_add_co_u32 v1, vcc_lo, s16, v1
	s_delay_alu instid0(VALU_DEP_2) | instskip(SKIP_3) | instid1(VALU_DEP_1)
	v_add_co_ci_u32_e32 v2, vcc_lo, s17, v2, vcc_lo
	flat_load_u16 v1, v[1:2]
	s_waitcnt vmcnt(0) lgkmcnt(0)
	v_lshlrev_b32_e32 v1, 16, v1
	v_mul_f32_e32 v1, s6, v1
	s_delay_alu instid0(VALU_DEP_1) | instskip(NEXT) | instid1(VALU_DEP_1)
	v_and_b32_e32 v2, 0x7f800000, v1
	v_cmp_ne_u32_e32 vcc_lo, 0x7f800000, v2
                                        ; implicit-def: $vgpr2
	s_and_saveexec_b32 s3, vcc_lo
	s_delay_alu instid0(SALU_CYCLE_1)
	s_xor_b32 s3, exec_lo, s3
; %bb.26:
	v_bfe_u32 v2, v1, 16, 1
	s_delay_alu instid0(VALU_DEP_1)
	v_add3_u32 v2, v1, v2, 0x7fff
                                        ; implicit-def: $vgpr1
; %bb.27:
	s_and_not1_saveexec_b32 s3, s3
; %bb.28:
	v_and_b32_e32 v2, 0xffff, v1
	v_or_b32_e32 v3, 0x10000, v1
	s_delay_alu instid0(VALU_DEP_2) | instskip(NEXT) | instid1(VALU_DEP_2)
	v_cmp_eq_u32_e32 vcc_lo, 0, v2
	v_cndmask_b32_e32 v2, v3, v1, vcc_lo
; %bb.29:
	s_or_b32 exec_lo, exec_lo, s3
	s_delay_alu instid0(VALU_DEP_1)
	v_and_b32_e32 v1, 0xffff0000, v2
	v_lshlrev_b32_e32 v2, 2, v0
	ds_store_b32 v2, v1
.LBB689_30:
	s_or_b32 exec_lo, exec_lo, s2
	s_cmp_lt_i32 s5, 1
	s_waitcnt lgkmcnt(0)
	s_waitcnt_vscnt null, 0x0
	s_barrier
	buffer_gl0_inv
	s_cbranch_scc1 .LBB689_65
; %bb.31:
	s_load_b32 s0, s[0:1], 0x28
	s_lshl_b64 s[2:3], s[10:11], 2
	s_delay_alu instid0(SALU_CYCLE_1)
	s_add_u32 s2, s8, s2
	s_addc_u32 s3, s9, s3
	s_ashr_i32 s6, s12, 31
	v_cmp_neq_f32_e64 s8, s7, 0
	s_waitcnt lgkmcnt(0)
	v_mad_i64_i32 v[1:2], null, s0, v0, 0
	s_ashr_i32 s1, s0, 31
	s_cmp_gt_i32 s4, 0
	s_cselect_b32 s9, -1, 0
	s_and_b32 s10, s4, 3
	s_cmp_gt_u32 s4, 3
	s_delay_alu instid0(VALU_DEP_1) | instskip(SKIP_4) | instid1(VALU_DEP_1)
	v_lshlrev_b64 v[1:2], 1, v[1:2]
	s_cselect_b32 s11, -1, 0
	s_and_b32 s4, s4, 0x7ffffffc
	s_cmp_lg_u32 s10, 0
	s_cselect_b32 s13, -1, 0
	v_add_co_u32 v1, vcc_lo, s14, v1
	v_add_co_ci_u32_e32 v2, vcc_lo, s15, v2, vcc_lo
	s_mov_b32 s14, 0
	s_lshl_b64 s[0:1], s[0:1], 9
	s_branch .LBB689_34
.LBB689_32:                             ;   in Loop: Header=BB689_34 Depth=1
	s_set_inst_prefetch_distance 0x2
	v_add_co_u32 v3, vcc_lo, s2, v3
	v_add_co_ci_u32_e32 v4, vcc_lo, s3, v4, vcc_lo
	global_store_b32 v[3:4], v7, off
.LBB689_33:                             ;   in Loop: Header=BB689_34 Depth=1
	s_or_b32 exec_lo, exec_lo, s15
	v_add_co_u32 v1, vcc_lo, v1, s0
	v_add_co_ci_u32_e32 v2, vcc_lo, s1, v2, vcc_lo
	s_addk_i32 s14, 0x100
	s_delay_alu instid0(SALU_CYCLE_1)
	s_cmp_ge_i32 s14, s5
	s_cbranch_scc1 .LBB689_65
.LBB689_34:                             ; =>This Loop Header: Depth=1
                                        ;     Child Loop BB689_41 Depth 2
                                        ;     Child Loop BB689_61 Depth 2
	v_add_nc_u32_e32 v3, s14, v0
	s_mov_b32 s15, exec_lo
	s_delay_alu instid0(VALU_DEP_1)
	v_cmpx_gt_i32_e64 s5, v3
	s_cbranch_execz .LBB689_33
; %bb.35:                               ;   in Loop: Header=BB689_34 Depth=1
	v_mad_u64_u32 v[4:5], null, v3, s12, 0
	s_and_not1_b32 vcc_lo, exec_lo, s8
	s_delay_alu instid0(VALU_DEP_1) | instskip(NEXT) | instid1(VALU_DEP_1)
	v_mad_u64_u32 v[6:7], null, v3, s6, v[5:6]
	v_mov_b32_e32 v5, v6
	s_delay_alu instid0(VALU_DEP_1)
	v_lshlrev_b64 v[3:4], 2, v[4:5]
	s_cbranch_vccnz .LBB689_37
; %bb.36:                               ;   in Loop: Header=BB689_34 Depth=1
	s_delay_alu instid0(VALU_DEP_1) | instskip(NEXT) | instid1(VALU_DEP_2)
	v_add_co_u32 v5, vcc_lo, s2, v3
	v_add_co_ci_u32_e32 v6, vcc_lo, s3, v4, vcc_lo
	global_load_b32 v5, v[5:6], off
	s_waitcnt vmcnt(0)
	v_mul_f32_e32 v7, s7, v5
	s_and_not1_b32 vcc_lo, exec_lo, s9
	s_cbranch_vccz .LBB689_38
	s_branch .LBB689_32
.LBB689_37:                             ;   in Loop: Header=BB689_34 Depth=1
	v_mov_b32_e32 v7, 0
	s_and_not1_b32 vcc_lo, exec_lo, s9
	s_cbranch_vccnz .LBB689_32
.LBB689_38:                             ;   in Loop: Header=BB689_34 Depth=1
	s_and_not1_b32 vcc_lo, exec_lo, s11
	s_cbranch_vccnz .LBB689_57
; %bb.39:                               ;   in Loop: Header=BB689_34 Depth=1
	v_dual_mov_b32 v6, v2 :: v_dual_mov_b32 v5, v1
	s_mov_b32 s16, 0
	s_mov_b32 s17, 0
	s_branch .LBB689_41
.LBB689_40:                             ;   in Loop: Header=BB689_41 Depth=2
	s_or_b32 exec_lo, exec_lo, s18
	v_and_b32_e32 v9, 0xffff0000, v9
	v_and_b32_e32 v8, 0xffff0000, v8
	v_add_co_u32 v5, vcc_lo, v5, 8
	v_add_co_ci_u32_e32 v6, vcc_lo, 0, v6, vcc_lo
	s_delay_alu instid0(VALU_DEP_3) | instskip(SKIP_3) | instid1(VALU_DEP_1)
	v_dual_add_f32 v7, v7, v8 :: v_dual_and_b32 v8, 0xffff0000, v10
	s_add_i32 s17, s17, 4
	s_add_i32 s16, s16, 16
	s_cmp_eq_u32 s4, s17
	v_add_f32_e32 v7, v7, v9
	v_and_b32_e32 v9, 0xffff0000, v11
	s_delay_alu instid0(VALU_DEP_2) | instskip(NEXT) | instid1(VALU_DEP_1)
	v_add_f32_e32 v7, v7, v8
	v_add_f32_e32 v7, v7, v9
	s_cbranch_scc1 .LBB689_58
.LBB689_41:                             ;   Parent Loop BB689_34 Depth=1
                                        ; =>  This Inner Loop Header: Depth=2
	flat_load_u16 v8, v[5:6]
	s_waitcnt vmcnt(0) lgkmcnt(0)
	v_dual_mov_b32 v9, s16 :: v_dual_lshlrev_b32 v8, 16, v8
	ds_load_b32 v9, v9
	s_waitcnt lgkmcnt(0)
	v_mul_f32_e32 v9, v9, v8
	s_delay_alu instid0(VALU_DEP_1) | instskip(NEXT) | instid1(VALU_DEP_1)
	v_and_b32_e32 v8, 0x7f800000, v9
	v_cmp_ne_u32_e32 vcc_lo, 0x7f800000, v8
                                        ; implicit-def: $vgpr8
	s_and_saveexec_b32 s18, vcc_lo
	s_delay_alu instid0(SALU_CYCLE_1)
	s_xor_b32 s18, exec_lo, s18
; %bb.42:                               ;   in Loop: Header=BB689_41 Depth=2
	v_bfe_u32 v8, v9, 16, 1
	s_delay_alu instid0(VALU_DEP_1)
	v_add3_u32 v8, v9, v8, 0x7fff
                                        ; implicit-def: $vgpr9
; %bb.43:                               ;   in Loop: Header=BB689_41 Depth=2
	s_and_not1_saveexec_b32 s18, s18
; %bb.44:                               ;   in Loop: Header=BB689_41 Depth=2
	v_and_b32_e32 v8, 0xffff, v9
	v_or_b32_e32 v10, 0x10000, v9
	s_delay_alu instid0(VALU_DEP_2) | instskip(NEXT) | instid1(VALU_DEP_2)
	v_cmp_eq_u32_e32 vcc_lo, 0, v8
	v_cndmask_b32_e32 v8, v10, v9, vcc_lo
; %bb.45:                               ;   in Loop: Header=BB689_41 Depth=2
	s_or_b32 exec_lo, exec_lo, s18
	flat_load_u16 v9, v[5:6] offset:2
	s_waitcnt vmcnt(0) lgkmcnt(0)
	v_dual_mov_b32 v10, s16 :: v_dual_lshlrev_b32 v9, 16, v9
	ds_load_b32 v10, v10 offset:4
	s_waitcnt lgkmcnt(0)
	v_mul_f32_e32 v10, v10, v9
	s_delay_alu instid0(VALU_DEP_1) | instskip(NEXT) | instid1(VALU_DEP_1)
	v_and_b32_e32 v9, 0x7f800000, v10
	v_cmp_ne_u32_e32 vcc_lo, 0x7f800000, v9
                                        ; implicit-def: $vgpr9
	s_and_saveexec_b32 s18, vcc_lo
	s_delay_alu instid0(SALU_CYCLE_1)
	s_xor_b32 s18, exec_lo, s18
; %bb.46:                               ;   in Loop: Header=BB689_41 Depth=2
	v_bfe_u32 v9, v10, 16, 1
	s_delay_alu instid0(VALU_DEP_1)
	v_add3_u32 v9, v10, v9, 0x7fff
                                        ; implicit-def: $vgpr10
; %bb.47:                               ;   in Loop: Header=BB689_41 Depth=2
	s_and_not1_saveexec_b32 s18, s18
; %bb.48:                               ;   in Loop: Header=BB689_41 Depth=2
	v_and_b32_e32 v9, 0xffff, v10
	v_or_b32_e32 v11, 0x10000, v10
	s_delay_alu instid0(VALU_DEP_2) | instskip(NEXT) | instid1(VALU_DEP_2)
	v_cmp_eq_u32_e32 vcc_lo, 0, v9
	v_cndmask_b32_e32 v9, v11, v10, vcc_lo
; %bb.49:                               ;   in Loop: Header=BB689_41 Depth=2
	s_or_b32 exec_lo, exec_lo, s18
	flat_load_u16 v10, v[5:6] offset:4
	s_waitcnt vmcnt(0) lgkmcnt(0)
	v_dual_mov_b32 v11, s16 :: v_dual_lshlrev_b32 v10, 16, v10
	ds_load_b32 v11, v11 offset:8
	s_waitcnt lgkmcnt(0)
	v_mul_f32_e32 v11, v11, v10
	s_delay_alu instid0(VALU_DEP_1) | instskip(NEXT) | instid1(VALU_DEP_1)
	v_and_b32_e32 v10, 0x7f800000, v11
	v_cmp_ne_u32_e32 vcc_lo, 0x7f800000, v10
                                        ; implicit-def: $vgpr10
	s_and_saveexec_b32 s18, vcc_lo
	s_delay_alu instid0(SALU_CYCLE_1)
	s_xor_b32 s18, exec_lo, s18
; %bb.50:                               ;   in Loop: Header=BB689_41 Depth=2
	v_bfe_u32 v10, v11, 16, 1
	s_delay_alu instid0(VALU_DEP_1)
	v_add3_u32 v10, v11, v10, 0x7fff
                                        ; implicit-def: $vgpr11
; %bb.51:                               ;   in Loop: Header=BB689_41 Depth=2
	s_and_not1_saveexec_b32 s18, s18
; %bb.52:                               ;   in Loop: Header=BB689_41 Depth=2
	v_and_b32_e32 v10, 0xffff, v11
	v_or_b32_e32 v12, 0x10000, v11
	s_delay_alu instid0(VALU_DEP_2) | instskip(NEXT) | instid1(VALU_DEP_2)
	v_cmp_eq_u32_e32 vcc_lo, 0, v10
	v_cndmask_b32_e32 v10, v12, v11, vcc_lo
; %bb.53:                               ;   in Loop: Header=BB689_41 Depth=2
	s_or_b32 exec_lo, exec_lo, s18
	flat_load_u16 v11, v[5:6] offset:6
	s_waitcnt vmcnt(0) lgkmcnt(0)
	v_dual_mov_b32 v12, s16 :: v_dual_lshlrev_b32 v11, 16, v11
	ds_load_b32 v12, v12 offset:12
	s_waitcnt lgkmcnt(0)
	v_mul_f32_e32 v12, v12, v11
	s_delay_alu instid0(VALU_DEP_1) | instskip(NEXT) | instid1(VALU_DEP_1)
	v_and_b32_e32 v11, 0x7f800000, v12
	v_cmp_ne_u32_e32 vcc_lo, 0x7f800000, v11
                                        ; implicit-def: $vgpr11
	s_and_saveexec_b32 s18, vcc_lo
	s_delay_alu instid0(SALU_CYCLE_1)
	s_xor_b32 s18, exec_lo, s18
; %bb.54:                               ;   in Loop: Header=BB689_41 Depth=2
	v_bfe_u32 v11, v12, 16, 1
	s_delay_alu instid0(VALU_DEP_1)
	v_add3_u32 v11, v12, v11, 0x7fff
                                        ; implicit-def: $vgpr12
; %bb.55:                               ;   in Loop: Header=BB689_41 Depth=2
	s_and_not1_saveexec_b32 s18, s18
	s_cbranch_execz .LBB689_40
; %bb.56:                               ;   in Loop: Header=BB689_41 Depth=2
	v_and_b32_e32 v11, 0xffff, v12
	v_or_b32_e32 v13, 0x10000, v12
	s_delay_alu instid0(VALU_DEP_2) | instskip(NEXT) | instid1(VALU_DEP_2)
	v_cmp_eq_u32_e32 vcc_lo, 0, v11
	v_cndmask_b32_e32 v11, v13, v12, vcc_lo
	s_branch .LBB689_40
.LBB689_57:                             ;   in Loop: Header=BB689_34 Depth=1
	s_mov_b32 s16, 0
	s_and_not1_b32 vcc_lo, exec_lo, s13
	s_cbranch_vccz .LBB689_59
	s_branch .LBB689_32
.LBB689_58:                             ;   in Loop: Header=BB689_34 Depth=1
	s_mov_b32 s16, s4
	s_and_not1_b32 vcc_lo, exec_lo, s13
	s_cbranch_vccnz .LBB689_32
.LBB689_59:                             ;   in Loop: Header=BB689_34 Depth=1
	s_lshl_b32 s17, s16, 1
	s_lshl_b32 s16, s16, 2
	v_add_co_u32 v5, vcc_lo, v1, s17
	v_add_co_ci_u32_e32 v6, vcc_lo, 0, v2, vcc_lo
	s_mov_b32 s17, s10
	s_set_inst_prefetch_distance 0x1
	s_branch .LBB689_61
	.p2align	6
.LBB689_60:                             ;   in Loop: Header=BB689_61 Depth=2
	s_or_b32 exec_lo, exec_lo, s18
	s_delay_alu instid0(VALU_DEP_1) | instskip(SKIP_2) | instid1(VALU_DEP_3)
	v_and_b32_e32 v8, 0xffff0000, v9
	v_add_co_u32 v5, vcc_lo, v5, 2
	v_add_co_ci_u32_e32 v6, vcc_lo, 0, v6, vcc_lo
	v_add_f32_e32 v7, v7, v8
	s_add_i32 s17, s17, -1
	s_add_i32 s16, s16, 4
	s_cmp_lg_u32 s17, 0
	s_cbranch_scc0 .LBB689_32
.LBB689_61:                             ;   Parent Loop BB689_34 Depth=1
                                        ; =>  This Inner Loop Header: Depth=2
	flat_load_u16 v8, v[5:6]
	s_waitcnt vmcnt(0) lgkmcnt(0)
	v_dual_mov_b32 v9, s16 :: v_dual_lshlrev_b32 v8, 16, v8
	ds_load_b32 v9, v9
	s_waitcnt lgkmcnt(0)
	v_mul_f32_e32 v8, v9, v8
	s_delay_alu instid0(VALU_DEP_1) | instskip(NEXT) | instid1(VALU_DEP_1)
	v_and_b32_e32 v9, 0x7f800000, v8
	v_cmp_ne_u32_e32 vcc_lo, 0x7f800000, v9
                                        ; implicit-def: $vgpr9
	s_and_saveexec_b32 s18, vcc_lo
	s_delay_alu instid0(SALU_CYCLE_1)
	s_xor_b32 s18, exec_lo, s18
; %bb.62:                               ;   in Loop: Header=BB689_61 Depth=2
	v_bfe_u32 v9, v8, 16, 1
	s_delay_alu instid0(VALU_DEP_1)
	v_add3_u32 v9, v8, v9, 0x7fff
                                        ; implicit-def: $vgpr8
; %bb.63:                               ;   in Loop: Header=BB689_61 Depth=2
	s_and_not1_saveexec_b32 s18, s18
	s_cbranch_execz .LBB689_60
; %bb.64:                               ;   in Loop: Header=BB689_61 Depth=2
	v_and_b32_e32 v9, 0xffff, v8
	v_or_b32_e32 v10, 0x10000, v8
	s_delay_alu instid0(VALU_DEP_2) | instskip(NEXT) | instid1(VALU_DEP_2)
	v_cmp_eq_u32_e32 vcc_lo, 0, v9
	v_cndmask_b32_e32 v9, v10, v8, vcc_lo
	s_branch .LBB689_60
.LBB689_65:
	s_nop 0
	s_sendmsg sendmsg(MSG_DEALLOC_VGPRS)
	s_endpgm
	.section	.rodata,"a",@progbits
	.p2align	6, 0x0
	.amdhsa_kernel _ZL22rocblas_gemvtsm_kernelILb1ELi256EPK16rocblas_bfloat16fKPfEviiT2_lPKT1_lilS8_lilS5_lPT3_lil
		.amdhsa_group_segment_fixed_size 256
		.amdhsa_private_segment_fixed_size 0
		.amdhsa_kernarg_size 136
		.amdhsa_user_sgpr_count 15
		.amdhsa_user_sgpr_dispatch_ptr 0
		.amdhsa_user_sgpr_queue_ptr 0
		.amdhsa_user_sgpr_kernarg_segment_ptr 1
		.amdhsa_user_sgpr_dispatch_id 0
		.amdhsa_user_sgpr_private_segment_size 0
		.amdhsa_wavefront_size32 1
		.amdhsa_uses_dynamic_stack 0
		.amdhsa_enable_private_segment 0
		.amdhsa_system_sgpr_workgroup_id_x 1
		.amdhsa_system_sgpr_workgroup_id_y 0
		.amdhsa_system_sgpr_workgroup_id_z 0
		.amdhsa_system_sgpr_workgroup_info 0
		.amdhsa_system_vgpr_workitem_id 0
		.amdhsa_next_free_vgpr 14
		.amdhsa_next_free_sgpr 20
		.amdhsa_reserve_vcc 1
		.amdhsa_float_round_mode_32 0
		.amdhsa_float_round_mode_16_64 0
		.amdhsa_float_denorm_mode_32 3
		.amdhsa_float_denorm_mode_16_64 3
		.amdhsa_dx10_clamp 1
		.amdhsa_ieee_mode 1
		.amdhsa_fp16_overflow 0
		.amdhsa_workgroup_processor_mode 1
		.amdhsa_memory_ordered 1
		.amdhsa_forward_progress 0
		.amdhsa_shared_vgpr_count 0
		.amdhsa_exception_fp_ieee_invalid_op 0
		.amdhsa_exception_fp_denorm_src 0
		.amdhsa_exception_fp_ieee_div_zero 0
		.amdhsa_exception_fp_ieee_overflow 0
		.amdhsa_exception_fp_ieee_underflow 0
		.amdhsa_exception_fp_ieee_inexact 0
		.amdhsa_exception_int_div_zero 0
	.end_amdhsa_kernel
	.section	.text._ZL22rocblas_gemvtsm_kernelILb1ELi256EPK16rocblas_bfloat16fKPfEviiT2_lPKT1_lilS8_lilS5_lPT3_lil,"axG",@progbits,_ZL22rocblas_gemvtsm_kernelILb1ELi256EPK16rocblas_bfloat16fKPfEviiT2_lPKT1_lilS8_lilS5_lPT3_lil,comdat
.Lfunc_end689:
	.size	_ZL22rocblas_gemvtsm_kernelILb1ELi256EPK16rocblas_bfloat16fKPfEviiT2_lPKT1_lilS8_lilS5_lPT3_lil, .Lfunc_end689-_ZL22rocblas_gemvtsm_kernelILb1ELi256EPK16rocblas_bfloat16fKPfEviiT2_lPKT1_lilS8_lilS5_lPT3_lil
                                        ; -- End function
	.section	.AMDGPU.csdata,"",@progbits
; Kernel info:
; codeLenInByte = 2080
; NumSgprs: 22
; NumVgprs: 14
; ScratchSize: 0
; MemoryBound: 0
; FloatMode: 240
; IeeeMode: 1
; LDSByteSize: 256 bytes/workgroup (compile time only)
; SGPRBlocks: 2
; VGPRBlocks: 1
; NumSGPRsForWavesPerEU: 22
; NumVGPRsForWavesPerEU: 14
; Occupancy: 16
; WaveLimiterHint : 1
; COMPUTE_PGM_RSRC2:SCRATCH_EN: 0
; COMPUTE_PGM_RSRC2:USER_SGPR: 15
; COMPUTE_PGM_RSRC2:TRAP_HANDLER: 0
; COMPUTE_PGM_RSRC2:TGID_X_EN: 1
; COMPUTE_PGM_RSRC2:TGID_Y_EN: 0
; COMPUTE_PGM_RSRC2:TGID_Z_EN: 0
; COMPUTE_PGM_RSRC2:TIDIG_COMP_CNT: 0
	.section	.text._ZL20rocblas_gemvt_kernelILb1ELi256EPK16rocblas_bfloat16PKfKPfEviiT2_lPKT1_lilSA_lilS7_lPT3_lili,"axG",@progbits,_ZL20rocblas_gemvt_kernelILb1ELi256EPK16rocblas_bfloat16PKfKPfEviiT2_lPKT1_lilSA_lilS7_lPT3_lili,comdat
	.globl	_ZL20rocblas_gemvt_kernelILb1ELi256EPK16rocblas_bfloat16PKfKPfEviiT2_lPKT1_lilSA_lilS7_lPT3_lili ; -- Begin function _ZL20rocblas_gemvt_kernelILb1ELi256EPK16rocblas_bfloat16PKfKPfEviiT2_lPKT1_lilSA_lilS7_lPT3_lili
	.p2align	8
	.type	_ZL20rocblas_gemvt_kernelILb1ELi256EPK16rocblas_bfloat16PKfKPfEviiT2_lPKT1_lilSA_lilS7_lPT3_lili,@function
_ZL20rocblas_gemvt_kernelILb1ELi256EPK16rocblas_bfloat16PKfKPfEviiT2_lPKT1_lilSA_lilS7_lPT3_lili: ; @_ZL20rocblas_gemvt_kernelILb1ELi256EPK16rocblas_bfloat16PKfKPfEviiT2_lPKT1_lilSA_lilS7_lPT3_lili
; %bb.0:
	s_clause 0x1
	s_load_b256 s[16:23], s[0:1], 0x8
	s_load_b256 s[4:11], s[0:1], 0x58
	s_waitcnt lgkmcnt(0)
	s_mul_i32 s3, s15, s19
	s_mul_hi_u32 s13, s15, s18
	s_mul_i32 s12, s15, s18
	s_add_i32 s13, s13, s3
	s_mul_i32 s3, s15, s7
	s_lshl_b64 s[12:13], s[12:13], 2
	s_mul_hi_u32 s7, s15, s6
	s_add_u32 s12, s16, s12
	s_addc_u32 s13, s17, s13
	s_add_i32 s7, s7, s3
	s_mul_i32 s6, s15, s6
	s_delay_alu instid0(SALU_CYCLE_1) | instskip(NEXT) | instid1(SALU_CYCLE_1)
	s_lshl_b64 s[6:7], s[6:7], 2
	s_add_u32 s4, s4, s6
	s_addc_u32 s5, s5, s7
	s_load_b32 s13, s[12:13], 0x0
	s_load_b32 s12, s[4:5], 0x0
	s_waitcnt lgkmcnt(0)
	v_cmp_eq_f32_e64 s16, s13, 0
	v_cmp_eq_f32_e64 s3, s12, 1.0
	s_delay_alu instid0(VALU_DEP_1) | instskip(NEXT) | instid1(SALU_CYCLE_1)
	s_and_b32 s3, s16, s3
	s_and_b32 vcc_lo, exec_lo, s3
	s_mov_b32 s3, 0
	s_cbranch_vccnz .LBB690_48
; %bb.1:
	s_mov_b32 s2, s15
	v_cmp_neq_f32_e64 s15, s13, 0
	s_mov_b64 s[4:5], 0
	s_and_b32 vcc_lo, exec_lo, s16
	s_mov_b64 s[6:7], 0
	s_cbranch_vccnz .LBB690_3
; %bb.2:
	s_lshl_b64 s[6:7], s[2:3], 3
	s_delay_alu instid0(SALU_CYCLE_1)
	s_add_u32 s6, s20, s6
	s_addc_u32 s7, s21, s7
	s_lshl_b64 s[18:19], s[22:23], 1
	s_load_b64 s[6:7], s[6:7], 0x0
	s_waitcnt lgkmcnt(0)
	s_add_u32 s6, s6, s18
	s_addc_u32 s7, s7, s19
.LBB690_3:
	s_and_not1_b32 vcc_lo, exec_lo, s15
	s_cbranch_vccnz .LBB690_5
; %bb.4:
	s_load_b128 s[20:23], s[0:1], 0x38
	s_lshl_b64 s[4:5], s[2:3], 3
	s_waitcnt lgkmcnt(0)
	s_add_u32 s4, s20, s4
	s_addc_u32 s5, s21, s5
	s_lshl_b64 s[18:19], s[22:23], 1
	s_load_b64 s[4:5], s[4:5], 0x0
	s_waitcnt lgkmcnt(0)
	s_add_u32 s4, s4, s18
	s_addc_u32 s5, s5, s19
.LBB690_5:
	s_lshl_b64 s[2:3], s[2:3], 3
	s_delay_alu instid0(SALU_CYCLE_1)
	s_add_u32 s2, s8, s2
	s_addc_u32 s3, s9, s3
	s_lshl_b64 s[10:11], s[10:11], 2
	s_load_b64 s[8:9], s[2:3], 0x0
	s_load_b32 s15, s[0:1], 0x78
	v_cmp_eq_u32_e64 s2, 0, v0
	s_waitcnt lgkmcnt(0)
	s_add_u32 s10, s8, s10
	s_addc_u32 s11, s9, s11
	s_and_not1_b32 vcc_lo, exec_lo, s16
	s_cbranch_vccnz .LBB690_10
; %bb.6:
	s_mov_b32 s3, 0
	s_mov_b32 s16, 0
                                        ; implicit-def: $vgpr1
                                        ; implicit-def: $sgpr8_sgpr9
	s_and_saveexec_b32 s17, s2
	s_cbranch_execz .LBB690_11
; %bb.7:
	v_cmp_eq_f32_e64 s2, s12, 0
	v_mov_b32_e32 v1, 0
	s_mul_hi_i32 s9, s15, s14
	s_mul_i32 s8, s15, s14
	s_delay_alu instid0(VALU_DEP_2)
	s_and_b32 vcc_lo, exec_lo, s2
	s_cbranch_vccnz .LBB690_9
; %bb.8:
	s_lshl_b64 s[18:19], s[8:9], 2
	s_delay_alu instid0(SALU_CYCLE_1)
	s_add_u32 s18, s10, s18
	s_addc_u32 s19, s11, s19
	s_load_b32 s2, s[18:19], 0x0
	s_waitcnt lgkmcnt(0)
	v_mul_f32_e64 v1, s12, s2
.LBB690_9:
	s_mov_b32 s16, exec_lo
	s_or_b32 exec_lo, exec_lo, s17
	s_delay_alu instid0(SALU_CYCLE_1)
	s_and_b32 vcc_lo, exec_lo, s3
	s_cbranch_vccnz .LBB690_12
	s_branch .LBB690_46
.LBB690_10:
	s_mov_b32 s16, 0
                                        ; implicit-def: $vgpr1
                                        ; implicit-def: $sgpr8_sgpr9
	s_cbranch_execnz .LBB690_12
	s_branch .LBB690_46
.LBB690_11:
	s_or_b32 exec_lo, exec_lo, s17
	s_delay_alu instid0(SALU_CYCLE_1)
	s_and_b32 vcc_lo, exec_lo, s3
	s_cbranch_vccz .LBB690_46
.LBB690_12:
	s_clause 0x2
	s_load_b32 s2, s[0:1], 0x28
	s_load_b32 s3, s[0:1], 0x0
	;; [unrolled: 1-line block ×3, first 2 shown]
	v_mov_b32_e32 v7, 0
	s_waitcnt lgkmcnt(0)
	s_mul_hi_i32 s9, s2, s14
	v_cmp_gt_i32_e32 vcc_lo, s3, v0
	s_mul_i32 s8, s2, s14
	s_delay_alu instid0(SALU_CYCLE_1) | instskip(NEXT) | instid1(SALU_CYCLE_1)
	s_lshl_b64 s[8:9], s[8:9], 1
	s_add_u32 s1, s8, s6
	v_cndmask_b32_e32 v1, 0, v0, vcc_lo
	s_addc_u32 s2, s9, s7
	s_ashr_i32 s6, s3, 31
	s_mov_b32 s8, 0
	s_lshr_b32 s6, s6, 24
	v_lshlrev_b32_e32 v1, 1, v1
	s_add_i32 s6, s3, s6
	s_delay_alu instid0(VALU_DEP_1) | instskip(NEXT) | instid1(VALU_DEP_1)
	v_add_co_u32 v1, s1, s1, v1
	v_add_co_ci_u32_e64 v2, null, s2, 0, s1
	s_and_b32 s2, s6, 0xffffff00
	s_cmpk_lt_i32 s3, 0x100
	s_cbranch_scc1 .LBB690_19
; %bb.13:
	v_mad_i64_i32 v[3:4], null, s0, v0, 0
	v_dual_mov_b32 v7, 0 :: v_dual_mov_b32 v6, v2
	v_mov_b32_e32 v5, v1
	s_ashr_i32 s1, s0, 31
	s_delay_alu instid0(SALU_CYCLE_1) | instskip(NEXT) | instid1(VALU_DEP_3)
	s_lshl_b64 s[6:7], s[0:1], 9
	v_lshlrev_b64 v[3:4], 1, v[3:4]
	s_delay_alu instid0(VALU_DEP_1) | instskip(NEXT) | instid1(VALU_DEP_2)
	v_add_co_u32 v3, vcc_lo, s4, v3
	v_add_co_ci_u32_e32 v4, vcc_lo, s5, v4, vcc_lo
	s_set_inst_prefetch_distance 0x1
	s_branch .LBB690_15
	.p2align	6
.LBB690_14:                             ;   in Loop: Header=BB690_15 Depth=1
	s_or_b32 exec_lo, exec_lo, s1
	s_delay_alu instid0(VALU_DEP_1) | instskip(SKIP_3) | instid1(VALU_DEP_4)
	v_and_b32_e32 v8, 0xffff0000, v9
	v_add_co_u32 v3, vcc_lo, v3, s6
	v_add_co_ci_u32_e32 v4, vcc_lo, s7, v4, vcc_lo
	v_add_co_u32 v5, vcc_lo, 0x200, v5
	v_add_f32_e32 v7, v7, v8
	v_add_co_ci_u32_e32 v6, vcc_lo, 0, v6, vcc_lo
	s_addk_i32 s8, 0x100
	s_delay_alu instid0(SALU_CYCLE_1)
	s_cmp_ge_i32 s8, s2
	s_cbranch_scc1 .LBB690_19
.LBB690_15:                             ; =>This Inner Loop Header: Depth=1
	flat_load_u16 v8, v[3:4]
	flat_load_u16 v9, v[5:6]
	s_waitcnt vmcnt(1) lgkmcnt(1)
	v_lshlrev_b32_e32 v8, 16, v8
	s_waitcnt vmcnt(0) lgkmcnt(0)
	v_lshlrev_b32_e32 v9, 16, v9
	s_delay_alu instid0(VALU_DEP_1) | instskip(NEXT) | instid1(VALU_DEP_1)
	v_mul_f32_e32 v8, v9, v8
	v_and_b32_e32 v9, 0x7f800000, v8
	s_delay_alu instid0(VALU_DEP_1) | instskip(SKIP_1) | instid1(SALU_CYCLE_1)
	v_cmp_ne_u32_e32 vcc_lo, 0x7f800000, v9
                                        ; implicit-def: $vgpr9
	s_and_saveexec_b32 s1, vcc_lo
	s_xor_b32 s1, exec_lo, s1
; %bb.16:                               ;   in Loop: Header=BB690_15 Depth=1
	v_bfe_u32 v9, v8, 16, 1
	s_delay_alu instid0(VALU_DEP_1)
	v_add3_u32 v9, v8, v9, 0x7fff
                                        ; implicit-def: $vgpr8
; %bb.17:                               ;   in Loop: Header=BB690_15 Depth=1
	s_and_not1_saveexec_b32 s1, s1
	s_cbranch_execz .LBB690_14
; %bb.18:                               ;   in Loop: Header=BB690_15 Depth=1
	v_and_b32_e32 v9, 0xffff, v8
	v_or_b32_e32 v10, 0x10000, v8
	s_delay_alu instid0(VALU_DEP_2) | instskip(NEXT) | instid1(VALU_DEP_2)
	v_cmp_eq_u32_e32 vcc_lo, 0, v9
	v_cndmask_b32_e32 v9, v10, v8, vcc_lo
	s_branch .LBB690_14
.LBB690_19:
	s_set_inst_prefetch_distance 0x2
	v_add_nc_u32_e32 v3, s2, v0
	s_mov_b32 s1, exec_lo
	s_delay_alu instid0(VALU_DEP_1)
	v_cmpx_gt_i32_e64 s3, v3
	s_cbranch_execz .LBB690_25
; %bb.20:
	v_mad_i64_i32 v[4:5], null, s0, v3, 0
	s_ashr_i32 s3, s2, 31
	s_delay_alu instid0(SALU_CYCLE_1) | instskip(NEXT) | instid1(VALU_DEP_1)
	s_lshl_b64 s[2:3], s[2:3], 1
	v_lshlrev_b64 v[3:4], 1, v[4:5]
	s_delay_alu instid0(VALU_DEP_1) | instskip(NEXT) | instid1(VALU_DEP_2)
	v_add_co_u32 v3, vcc_lo, s4, v3
	v_add_co_ci_u32_e32 v4, vcc_lo, s5, v4, vcc_lo
	v_add_co_u32 v1, vcc_lo, v1, s2
	v_add_co_ci_u32_e32 v2, vcc_lo, s3, v2, vcc_lo
	flat_load_u16 v3, v[3:4]
	flat_load_u16 v1, v[1:2]
	s_waitcnt vmcnt(1) lgkmcnt(1)
	v_lshlrev_b32_e32 v2, 16, v3
	s_waitcnt vmcnt(0) lgkmcnt(0)
	v_lshlrev_b32_e32 v1, 16, v1
	s_delay_alu instid0(VALU_DEP_1) | instskip(NEXT) | instid1(VALU_DEP_1)
	v_mul_f32_e32 v1, v1, v2
	v_and_b32_e32 v2, 0x7f800000, v1
	s_delay_alu instid0(VALU_DEP_1) | instskip(SKIP_1) | instid1(SALU_CYCLE_1)
	v_cmp_ne_u32_e32 vcc_lo, 0x7f800000, v2
                                        ; implicit-def: $vgpr2
	s_and_saveexec_b32 s0, vcc_lo
	s_xor_b32 s0, exec_lo, s0
; %bb.21:
	v_bfe_u32 v2, v1, 16, 1
	s_delay_alu instid0(VALU_DEP_1)
	v_add3_u32 v2, v1, v2, 0x7fff
                                        ; implicit-def: $vgpr1
; %bb.22:
	s_and_not1_saveexec_b32 s0, s0
; %bb.23:
	v_and_b32_e32 v2, 0xffff, v1
	v_or_b32_e32 v3, 0x10000, v1
	s_delay_alu instid0(VALU_DEP_2) | instskip(NEXT) | instid1(VALU_DEP_2)
	v_cmp_eq_u32_e32 vcc_lo, 0, v2
	v_cndmask_b32_e32 v2, v3, v1, vcc_lo
; %bb.24:
	s_or_b32 exec_lo, exec_lo, s0
	s_delay_alu instid0(VALU_DEP_1) | instskip(NEXT) | instid1(VALU_DEP_1)
	v_and_b32_e32 v1, 0xffff0000, v2
	v_add_f32_e32 v7, v7, v1
.LBB690_25:
	s_or_b32 exec_lo, exec_lo, s1
	v_lshlrev_b32_e32 v1, 2, v0
	s_mov_b32 s0, exec_lo
	ds_store_b32 v1, v7
	s_waitcnt lgkmcnt(0)
	s_barrier
	buffer_gl0_inv
	v_cmpx_gt_u32_e32 0x80, v0
	s_cbranch_execz .LBB690_27
; %bb.26:
	ds_load_2addr_stride64_b32 v[2:3], v1 offset1:2
	s_waitcnt lgkmcnt(0)
	v_add_f32_e32 v2, v3, v2
	ds_store_b32 v1, v2
.LBB690_27:
	s_or_b32 exec_lo, exec_lo, s0
	s_delay_alu instid0(SALU_CYCLE_1)
	s_mov_b32 s0, exec_lo
	s_waitcnt lgkmcnt(0)
	s_barrier
	buffer_gl0_inv
	v_cmpx_gt_u32_e32 64, v0
	s_cbranch_execz .LBB690_29
; %bb.28:
	ds_load_2addr_stride64_b32 v[2:3], v1 offset1:1
	s_waitcnt lgkmcnt(0)
	v_add_f32_e32 v2, v3, v2
	ds_store_b32 v1, v2
.LBB690_29:
	s_or_b32 exec_lo, exec_lo, s0
	s_delay_alu instid0(SALU_CYCLE_1)
	s_mov_b32 s0, exec_lo
	s_waitcnt lgkmcnt(0)
	s_barrier
	buffer_gl0_inv
	v_cmpx_gt_u32_e32 32, v0
	s_cbranch_execz .LBB690_31
; %bb.30:
	ds_load_2addr_b32 v[2:3], v1 offset1:32
	s_waitcnt lgkmcnt(0)
	v_add_f32_e32 v2, v3, v2
	ds_store_b32 v1, v2
.LBB690_31:
	s_or_b32 exec_lo, exec_lo, s0
	s_delay_alu instid0(SALU_CYCLE_1)
	s_mov_b32 s0, exec_lo
	s_waitcnt lgkmcnt(0)
	s_barrier
	buffer_gl0_inv
	v_cmpx_gt_u32_e32 16, v0
	s_cbranch_execz .LBB690_33
; %bb.32:
	ds_load_2addr_b32 v[2:3], v1 offset1:16
	s_waitcnt lgkmcnt(0)
	v_add_f32_e32 v2, v3, v2
	ds_store_b32 v1, v2
.LBB690_33:
	;; [unrolled: 14-line block ×5, first 2 shown]
	s_or_b32 exec_lo, exec_lo, s0
	v_cmp_eq_u32_e32 vcc_lo, 0, v0
	s_waitcnt lgkmcnt(0)
	s_barrier
	buffer_gl0_inv
	s_and_saveexec_b32 s0, vcc_lo
	s_cbranch_execz .LBB690_41
; %bb.40:
	v_mov_b32_e32 v2, 0
	ds_load_b64 v[0:1], v2
	s_waitcnt lgkmcnt(0)
	v_add_f32_e32 v0, v1, v0
	ds_store_b32 v2, v0
.LBB690_41:
	s_or_b32 exec_lo, exec_lo, s0
	s_waitcnt lgkmcnt(0)
	s_barrier
	buffer_gl0_inv
                                        ; implicit-def: $vgpr1
                                        ; implicit-def: $sgpr8_sgpr9
	s_and_saveexec_b32 s0, vcc_lo
	s_cbranch_execz .LBB690_45
; %bb.42:
	v_mov_b32_e32 v0, 0
	v_cmp_eq_f32_e64 s1, s12, 0
	s_mul_hi_i32 s9, s15, s14
	s_mul_i32 s8, s15, s14
	ds_load_b32 v0, v0
	s_and_b32 vcc_lo, exec_lo, s1
	s_waitcnt lgkmcnt(0)
	v_mul_f32_e32 v1, s13, v0
	s_cbranch_vccnz .LBB690_44
; %bb.43:
	s_lshl_b64 s[2:3], s[8:9], 2
	s_delay_alu instid0(SALU_CYCLE_1)
	s_add_u32 s2, s10, s2
	s_addc_u32 s3, s11, s3
	s_load_b32 s1, s[2:3], 0x0
	s_waitcnt lgkmcnt(0)
	v_fmac_f32_e64 v1, s12, s1
.LBB690_44:
	s_or_b32 s16, s16, exec_lo
.LBB690_45:
	s_or_b32 exec_lo, exec_lo, s0
.LBB690_46:
	s_and_saveexec_b32 s0, s16
	s_cbranch_execz .LBB690_48
; %bb.47:
	s_lshl_b64 s[0:1], s[8:9], 2
	v_mov_b32_e32 v0, 0
	s_add_u32 s0, s10, s0
	s_addc_u32 s1, s11, s1
	global_store_b32 v0, v1, s[0:1]
.LBB690_48:
	s_nop 0
	s_sendmsg sendmsg(MSG_DEALLOC_VGPRS)
	s_endpgm
	.section	.rodata,"a",@progbits
	.p2align	6, 0x0
	.amdhsa_kernel _ZL20rocblas_gemvt_kernelILb1ELi256EPK16rocblas_bfloat16PKfKPfEviiT2_lPKT1_lilSA_lilS7_lPT3_lili
		.amdhsa_group_segment_fixed_size 1024
		.amdhsa_private_segment_fixed_size 0
		.amdhsa_kernarg_size 140
		.amdhsa_user_sgpr_count 14
		.amdhsa_user_sgpr_dispatch_ptr 0
		.amdhsa_user_sgpr_queue_ptr 0
		.amdhsa_user_sgpr_kernarg_segment_ptr 1
		.amdhsa_user_sgpr_dispatch_id 0
		.amdhsa_user_sgpr_private_segment_size 0
		.amdhsa_wavefront_size32 1
		.amdhsa_uses_dynamic_stack 0
		.amdhsa_enable_private_segment 0
		.amdhsa_system_sgpr_workgroup_id_x 1
		.amdhsa_system_sgpr_workgroup_id_y 0
		.amdhsa_system_sgpr_workgroup_id_z 1
		.amdhsa_system_sgpr_workgroup_info 0
		.amdhsa_system_vgpr_workitem_id 0
		.amdhsa_next_free_vgpr 11
		.amdhsa_next_free_sgpr 24
		.amdhsa_reserve_vcc 1
		.amdhsa_float_round_mode_32 0
		.amdhsa_float_round_mode_16_64 0
		.amdhsa_float_denorm_mode_32 3
		.amdhsa_float_denorm_mode_16_64 3
		.amdhsa_dx10_clamp 1
		.amdhsa_ieee_mode 1
		.amdhsa_fp16_overflow 0
		.amdhsa_workgroup_processor_mode 1
		.amdhsa_memory_ordered 1
		.amdhsa_forward_progress 0
		.amdhsa_shared_vgpr_count 0
		.amdhsa_exception_fp_ieee_invalid_op 0
		.amdhsa_exception_fp_denorm_src 0
		.amdhsa_exception_fp_ieee_div_zero 0
		.amdhsa_exception_fp_ieee_overflow 0
		.amdhsa_exception_fp_ieee_underflow 0
		.amdhsa_exception_fp_ieee_inexact 0
		.amdhsa_exception_int_div_zero 0
	.end_amdhsa_kernel
	.section	.text._ZL20rocblas_gemvt_kernelILb1ELi256EPK16rocblas_bfloat16PKfKPfEviiT2_lPKT1_lilSA_lilS7_lPT3_lili,"axG",@progbits,_ZL20rocblas_gemvt_kernelILb1ELi256EPK16rocblas_bfloat16PKfKPfEviiT2_lPKT1_lilSA_lilS7_lPT3_lili,comdat
.Lfunc_end690:
	.size	_ZL20rocblas_gemvt_kernelILb1ELi256EPK16rocblas_bfloat16PKfKPfEviiT2_lPKT1_lilSA_lilS7_lPT3_lili, .Lfunc_end690-_ZL20rocblas_gemvt_kernelILb1ELi256EPK16rocblas_bfloat16PKfKPfEviiT2_lPKT1_lilSA_lilS7_lPT3_lili
                                        ; -- End function
	.section	.AMDGPU.csdata,"",@progbits
; Kernel info:
; codeLenInByte = 1728
; NumSgprs: 26
; NumVgprs: 11
; ScratchSize: 0
; MemoryBound: 0
; FloatMode: 240
; IeeeMode: 1
; LDSByteSize: 1024 bytes/workgroup (compile time only)
; SGPRBlocks: 3
; VGPRBlocks: 1
; NumSGPRsForWavesPerEU: 26
; NumVGPRsForWavesPerEU: 11
; Occupancy: 16
; WaveLimiterHint : 1
; COMPUTE_PGM_RSRC2:SCRATCH_EN: 0
; COMPUTE_PGM_RSRC2:USER_SGPR: 14
; COMPUTE_PGM_RSRC2:TRAP_HANDLER: 0
; COMPUTE_PGM_RSRC2:TGID_X_EN: 1
; COMPUTE_PGM_RSRC2:TGID_Y_EN: 0
; COMPUTE_PGM_RSRC2:TGID_Z_EN: 1
; COMPUTE_PGM_RSRC2:TIDIG_COMP_CNT: 0
	.section	.text._ZL20rocblas_gemvt_kernelILb1ELi256EPK16rocblas_bfloat16fKPfEviiT2_lPKT1_lilS8_lilS5_lPT3_lili,"axG",@progbits,_ZL20rocblas_gemvt_kernelILb1ELi256EPK16rocblas_bfloat16fKPfEviiT2_lPKT1_lilS8_lilS5_lPT3_lili,comdat
	.globl	_ZL20rocblas_gemvt_kernelILb1ELi256EPK16rocblas_bfloat16fKPfEviiT2_lPKT1_lilS8_lilS5_lPT3_lili ; -- Begin function _ZL20rocblas_gemvt_kernelILb1ELi256EPK16rocblas_bfloat16fKPfEviiT2_lPKT1_lilS8_lilS5_lPT3_lili
	.p2align	8
	.type	_ZL20rocblas_gemvt_kernelILb1ELi256EPK16rocblas_bfloat16fKPfEviiT2_lPKT1_lilS8_lilS5_lPT3_lili,@function
_ZL20rocblas_gemvt_kernelILb1ELi256EPK16rocblas_bfloat16fKPfEviiT2_lPKT1_lilS8_lilS5_lPT3_lili: ; @_ZL20rocblas_gemvt_kernelILb1ELi256EPK16rocblas_bfloat16fKPfEviiT2_lPKT1_lilS8_lilS5_lPT3_lili
; %bb.0:
	s_clause 0x1
	s_load_b32 s11, s[0:1], 0x8
	s_load_b32 s10, s[0:1], 0x58
	s_waitcnt lgkmcnt(0)
	v_cmp_eq_f32_e64 s8, s11, 0
	v_cmp_eq_f32_e64 s3, s10, 1.0
	s_delay_alu instid0(VALU_DEP_1) | instskip(NEXT) | instid1(SALU_CYCLE_1)
	s_and_b32 s3, s8, s3
	s_and_b32 vcc_lo, exec_lo, s3
	s_cbranch_vccnz .LBB691_51
; %bb.1:
	v_cmp_neq_f32_e64 s4, s11, 0
	s_mov_b32 s2, s15
	s_delay_alu instid0(VALU_DEP_1)
	s_and_b32 vcc_lo, exec_lo, s4
	s_cbranch_vccnz .LBB691_3
; %bb.2:
	s_mov_b32 s3, 0
	s_mov_b64 s[6:7], 0
	s_cbranch_execz .LBB691_4
	s_branch .LBB691_5
.LBB691_3:
	s_mov_b32 s3, -1
                                        ; implicit-def: $sgpr6_sgpr7
.LBB691_4:
	s_load_b128 s[16:19], s[0:1], 0x18
	s_mov_b32 s3, 0
	s_delay_alu instid0(SALU_CYCLE_1)
	s_lshl_b64 s[6:7], s[2:3], 3
	s_waitcnt lgkmcnt(0)
	s_add_u32 s6, s16, s6
	s_addc_u32 s7, s17, s7
	s_lshl_b64 s[12:13], s[18:19], 1
	s_load_b64 s[6:7], s[6:7], 0x0
	s_waitcnt lgkmcnt(0)
	s_add_u32 s6, s6, s12
	s_addc_u32 s7, s7, s13
.LBB691_5:
	s_and_not1_b32 vcc_lo, exec_lo, s4
	s_cbranch_vccnz .LBB691_7
; %bb.6:
	s_load_b128 s[16:19], s[0:1], 0x38
	s_lshl_b64 s[4:5], s[2:3], 3
	s_waitcnt lgkmcnt(0)
	s_add_u32 s4, s16, s4
	s_addc_u32 s5, s17, s5
	s_lshl_b64 s[12:13], s[18:19], 1
	s_load_b64 s[4:5], s[4:5], 0x0
	s_waitcnt lgkmcnt(0)
	s_add_u32 s4, s4, s12
	s_addc_u32 s5, s5, s13
	s_branch .LBB691_8
.LBB691_7:
	s_mov_b64 s[4:5], 0
.LBB691_8:
	s_clause 0x1
	s_load_b128 s[16:19], s[0:1], 0x68
	s_load_b32 s15, s[0:1], 0x78
	s_lshl_b64 s[2:3], s[2:3], 3
	s_waitcnt lgkmcnt(0)
	s_add_u32 s2, s16, s2
	s_addc_u32 s3, s17, s3
	s_lshl_b64 s[16:17], s[18:19], 2
	s_load_b64 s[12:13], s[2:3], 0x0
	v_cmp_eq_u32_e64 s2, 0, v0
	s_waitcnt lgkmcnt(0)
	s_add_u32 s12, s12, s16
	s_addc_u32 s13, s13, s17
	s_and_not1_b32 vcc_lo, exec_lo, s8
	s_cbranch_vccnz .LBB691_13
; %bb.9:
	s_mov_b32 s3, 0
	s_mov_b32 s16, 0
                                        ; implicit-def: $vgpr1
                                        ; implicit-def: $sgpr8_sgpr9
	s_and_saveexec_b32 s17, s2
	s_cbranch_execz .LBB691_14
; %bb.10:
	v_cmp_eq_f32_e64 s2, s10, 0
	v_mov_b32_e32 v1, 0
	s_mul_hi_i32 s9, s15, s14
	s_mul_i32 s8, s15, s14
	s_delay_alu instid0(VALU_DEP_2)
	s_and_b32 vcc_lo, exec_lo, s2
	s_cbranch_vccnz .LBB691_12
; %bb.11:
	s_lshl_b64 s[18:19], s[8:9], 2
	s_delay_alu instid0(SALU_CYCLE_1)
	s_add_u32 s18, s12, s18
	s_addc_u32 s19, s13, s19
	s_load_b32 s2, s[18:19], 0x0
	s_waitcnt lgkmcnt(0)
	v_mul_f32_e64 v1, s2, s10
.LBB691_12:
	s_mov_b32 s16, exec_lo
	s_or_b32 exec_lo, exec_lo, s17
	s_delay_alu instid0(SALU_CYCLE_1)
	s_and_b32 vcc_lo, exec_lo, s3
	s_cbranch_vccnz .LBB691_15
	s_branch .LBB691_49
.LBB691_13:
	s_mov_b32 s16, 0
                                        ; implicit-def: $vgpr1
                                        ; implicit-def: $sgpr8_sgpr9
	s_cbranch_execnz .LBB691_15
	s_branch .LBB691_49
.LBB691_14:
	s_or_b32 exec_lo, exec_lo, s17
	s_delay_alu instid0(SALU_CYCLE_1)
	s_and_b32 vcc_lo, exec_lo, s3
	s_cbranch_vccz .LBB691_49
.LBB691_15:
	s_clause 0x2
	s_load_b32 s2, s[0:1], 0x28
	s_load_b32 s3, s[0:1], 0x0
	;; [unrolled: 1-line block ×3, first 2 shown]
	v_mov_b32_e32 v7, 0
	s_waitcnt lgkmcnt(0)
	s_mul_hi_i32 s9, s2, s14
	v_cmp_gt_i32_e32 vcc_lo, s3, v0
	s_mul_i32 s8, s2, s14
	s_delay_alu instid0(SALU_CYCLE_1) | instskip(NEXT) | instid1(SALU_CYCLE_1)
	s_lshl_b64 s[8:9], s[8:9], 1
	s_add_u32 s1, s8, s6
	v_cndmask_b32_e32 v1, 0, v0, vcc_lo
	s_addc_u32 s2, s9, s7
	s_ashr_i32 s6, s3, 31
	s_mov_b32 s8, 0
	s_lshr_b32 s6, s6, 24
	v_lshlrev_b32_e32 v1, 1, v1
	s_add_i32 s6, s3, s6
	s_delay_alu instid0(VALU_DEP_1) | instskip(NEXT) | instid1(VALU_DEP_1)
	v_add_co_u32 v1, s1, s1, v1
	v_add_co_ci_u32_e64 v2, null, s2, 0, s1
	s_and_b32 s2, s6, 0xffffff00
	s_cmpk_lt_i32 s3, 0x100
	s_cbranch_scc1 .LBB691_22
; %bb.16:
	v_mad_i64_i32 v[3:4], null, s0, v0, 0
	v_dual_mov_b32 v7, 0 :: v_dual_mov_b32 v6, v2
	v_mov_b32_e32 v5, v1
	s_ashr_i32 s1, s0, 31
	s_delay_alu instid0(SALU_CYCLE_1) | instskip(NEXT) | instid1(VALU_DEP_3)
	s_lshl_b64 s[6:7], s[0:1], 9
	v_lshlrev_b64 v[3:4], 1, v[3:4]
	s_delay_alu instid0(VALU_DEP_1) | instskip(NEXT) | instid1(VALU_DEP_2)
	v_add_co_u32 v3, vcc_lo, s4, v3
	v_add_co_ci_u32_e32 v4, vcc_lo, s5, v4, vcc_lo
	s_set_inst_prefetch_distance 0x1
	s_branch .LBB691_18
	.p2align	6
.LBB691_17:                             ;   in Loop: Header=BB691_18 Depth=1
	s_or_b32 exec_lo, exec_lo, s1
	s_delay_alu instid0(VALU_DEP_1) | instskip(SKIP_3) | instid1(VALU_DEP_4)
	v_and_b32_e32 v8, 0xffff0000, v9
	v_add_co_u32 v3, vcc_lo, v3, s6
	v_add_co_ci_u32_e32 v4, vcc_lo, s7, v4, vcc_lo
	v_add_co_u32 v5, vcc_lo, 0x200, v5
	v_add_f32_e32 v7, v7, v8
	v_add_co_ci_u32_e32 v6, vcc_lo, 0, v6, vcc_lo
	s_addk_i32 s8, 0x100
	s_delay_alu instid0(SALU_CYCLE_1)
	s_cmp_ge_i32 s8, s2
	s_cbranch_scc1 .LBB691_22
.LBB691_18:                             ; =>This Inner Loop Header: Depth=1
	flat_load_u16 v8, v[3:4]
	flat_load_u16 v9, v[5:6]
	s_waitcnt vmcnt(1) lgkmcnt(1)
	v_lshlrev_b32_e32 v8, 16, v8
	s_waitcnt vmcnt(0) lgkmcnt(0)
	v_lshlrev_b32_e32 v9, 16, v9
	s_delay_alu instid0(VALU_DEP_1) | instskip(NEXT) | instid1(VALU_DEP_1)
	v_mul_f32_e32 v8, v9, v8
	v_and_b32_e32 v9, 0x7f800000, v8
	s_delay_alu instid0(VALU_DEP_1) | instskip(SKIP_1) | instid1(SALU_CYCLE_1)
	v_cmp_ne_u32_e32 vcc_lo, 0x7f800000, v9
                                        ; implicit-def: $vgpr9
	s_and_saveexec_b32 s1, vcc_lo
	s_xor_b32 s1, exec_lo, s1
; %bb.19:                               ;   in Loop: Header=BB691_18 Depth=1
	v_bfe_u32 v9, v8, 16, 1
	s_delay_alu instid0(VALU_DEP_1)
	v_add3_u32 v9, v8, v9, 0x7fff
                                        ; implicit-def: $vgpr8
; %bb.20:                               ;   in Loop: Header=BB691_18 Depth=1
	s_and_not1_saveexec_b32 s1, s1
	s_cbranch_execz .LBB691_17
; %bb.21:                               ;   in Loop: Header=BB691_18 Depth=1
	v_and_b32_e32 v9, 0xffff, v8
	v_or_b32_e32 v10, 0x10000, v8
	s_delay_alu instid0(VALU_DEP_2) | instskip(NEXT) | instid1(VALU_DEP_2)
	v_cmp_eq_u32_e32 vcc_lo, 0, v9
	v_cndmask_b32_e32 v9, v10, v8, vcc_lo
	s_branch .LBB691_17
.LBB691_22:
	s_set_inst_prefetch_distance 0x2
	v_add_nc_u32_e32 v3, s2, v0
	s_mov_b32 s1, exec_lo
	s_delay_alu instid0(VALU_DEP_1)
	v_cmpx_gt_i32_e64 s3, v3
	s_cbranch_execz .LBB691_28
; %bb.23:
	v_mad_i64_i32 v[4:5], null, s0, v3, 0
	s_ashr_i32 s3, s2, 31
	s_delay_alu instid0(SALU_CYCLE_1) | instskip(NEXT) | instid1(VALU_DEP_1)
	s_lshl_b64 s[2:3], s[2:3], 1
	v_lshlrev_b64 v[3:4], 1, v[4:5]
	s_delay_alu instid0(VALU_DEP_1) | instskip(NEXT) | instid1(VALU_DEP_2)
	v_add_co_u32 v3, vcc_lo, s4, v3
	v_add_co_ci_u32_e32 v4, vcc_lo, s5, v4, vcc_lo
	v_add_co_u32 v1, vcc_lo, v1, s2
	v_add_co_ci_u32_e32 v2, vcc_lo, s3, v2, vcc_lo
	flat_load_u16 v3, v[3:4]
	flat_load_u16 v1, v[1:2]
	s_waitcnt vmcnt(1) lgkmcnt(1)
	v_lshlrev_b32_e32 v2, 16, v3
	s_waitcnt vmcnt(0) lgkmcnt(0)
	v_lshlrev_b32_e32 v1, 16, v1
	s_delay_alu instid0(VALU_DEP_1) | instskip(NEXT) | instid1(VALU_DEP_1)
	v_mul_f32_e32 v1, v1, v2
	v_and_b32_e32 v2, 0x7f800000, v1
	s_delay_alu instid0(VALU_DEP_1) | instskip(SKIP_1) | instid1(SALU_CYCLE_1)
	v_cmp_ne_u32_e32 vcc_lo, 0x7f800000, v2
                                        ; implicit-def: $vgpr2
	s_and_saveexec_b32 s0, vcc_lo
	s_xor_b32 s0, exec_lo, s0
; %bb.24:
	v_bfe_u32 v2, v1, 16, 1
	s_delay_alu instid0(VALU_DEP_1)
	v_add3_u32 v2, v1, v2, 0x7fff
                                        ; implicit-def: $vgpr1
; %bb.25:
	s_and_not1_saveexec_b32 s0, s0
; %bb.26:
	v_and_b32_e32 v2, 0xffff, v1
	v_or_b32_e32 v3, 0x10000, v1
	s_delay_alu instid0(VALU_DEP_2) | instskip(NEXT) | instid1(VALU_DEP_2)
	v_cmp_eq_u32_e32 vcc_lo, 0, v2
	v_cndmask_b32_e32 v2, v3, v1, vcc_lo
; %bb.27:
	s_or_b32 exec_lo, exec_lo, s0
	s_delay_alu instid0(VALU_DEP_1) | instskip(NEXT) | instid1(VALU_DEP_1)
	v_and_b32_e32 v1, 0xffff0000, v2
	v_add_f32_e32 v7, v7, v1
.LBB691_28:
	s_or_b32 exec_lo, exec_lo, s1
	v_lshlrev_b32_e32 v1, 2, v0
	s_mov_b32 s0, exec_lo
	ds_store_b32 v1, v7
	s_waitcnt lgkmcnt(0)
	s_barrier
	buffer_gl0_inv
	v_cmpx_gt_u32_e32 0x80, v0
	s_cbranch_execz .LBB691_30
; %bb.29:
	ds_load_2addr_stride64_b32 v[2:3], v1 offset1:2
	s_waitcnt lgkmcnt(0)
	v_add_f32_e32 v2, v3, v2
	ds_store_b32 v1, v2
.LBB691_30:
	s_or_b32 exec_lo, exec_lo, s0
	s_delay_alu instid0(SALU_CYCLE_1)
	s_mov_b32 s0, exec_lo
	s_waitcnt lgkmcnt(0)
	s_barrier
	buffer_gl0_inv
	v_cmpx_gt_u32_e32 64, v0
	s_cbranch_execz .LBB691_32
; %bb.31:
	ds_load_2addr_stride64_b32 v[2:3], v1 offset1:1
	s_waitcnt lgkmcnt(0)
	v_add_f32_e32 v2, v3, v2
	ds_store_b32 v1, v2
.LBB691_32:
	s_or_b32 exec_lo, exec_lo, s0
	s_delay_alu instid0(SALU_CYCLE_1)
	s_mov_b32 s0, exec_lo
	s_waitcnt lgkmcnt(0)
	s_barrier
	buffer_gl0_inv
	v_cmpx_gt_u32_e32 32, v0
	s_cbranch_execz .LBB691_34
; %bb.33:
	ds_load_2addr_b32 v[2:3], v1 offset1:32
	s_waitcnt lgkmcnt(0)
	v_add_f32_e32 v2, v3, v2
	ds_store_b32 v1, v2
.LBB691_34:
	s_or_b32 exec_lo, exec_lo, s0
	s_delay_alu instid0(SALU_CYCLE_1)
	s_mov_b32 s0, exec_lo
	s_waitcnt lgkmcnt(0)
	s_barrier
	buffer_gl0_inv
	v_cmpx_gt_u32_e32 16, v0
	s_cbranch_execz .LBB691_36
; %bb.35:
	ds_load_2addr_b32 v[2:3], v1 offset1:16
	s_waitcnt lgkmcnt(0)
	v_add_f32_e32 v2, v3, v2
	ds_store_b32 v1, v2
.LBB691_36:
	;; [unrolled: 14-line block ×5, first 2 shown]
	s_or_b32 exec_lo, exec_lo, s0
	v_cmp_eq_u32_e32 vcc_lo, 0, v0
	s_waitcnt lgkmcnt(0)
	s_barrier
	buffer_gl0_inv
	s_and_saveexec_b32 s0, vcc_lo
	s_cbranch_execz .LBB691_44
; %bb.43:
	v_mov_b32_e32 v2, 0
	ds_load_b64 v[0:1], v2
	s_waitcnt lgkmcnt(0)
	v_add_f32_e32 v0, v1, v0
	ds_store_b32 v2, v0
.LBB691_44:
	s_or_b32 exec_lo, exec_lo, s0
	s_waitcnt lgkmcnt(0)
	s_barrier
	buffer_gl0_inv
                                        ; implicit-def: $vgpr1
                                        ; implicit-def: $sgpr8_sgpr9
	s_and_saveexec_b32 s0, vcc_lo
	s_cbranch_execz .LBB691_48
; %bb.45:
	v_mov_b32_e32 v0, 0
	v_cmp_eq_f32_e64 s1, s10, 0
	s_mul_hi_i32 s9, s15, s14
	s_mul_i32 s8, s15, s14
	ds_load_b32 v0, v0
	s_and_b32 vcc_lo, exec_lo, s1
	s_waitcnt lgkmcnt(0)
	v_mul_f32_e32 v1, s11, v0
	s_cbranch_vccnz .LBB691_47
; %bb.46:
	s_lshl_b64 s[2:3], s[8:9], 2
	s_delay_alu instid0(SALU_CYCLE_1)
	s_add_u32 s2, s12, s2
	s_addc_u32 s3, s13, s3
	s_load_b32 s1, s[2:3], 0x0
	s_waitcnt lgkmcnt(0)
	v_fmac_f32_e64 v1, s1, s10
.LBB691_47:
	s_or_b32 s16, s16, exec_lo
.LBB691_48:
	s_or_b32 exec_lo, exec_lo, s0
.LBB691_49:
	s_and_saveexec_b32 s0, s16
	s_cbranch_execz .LBB691_51
; %bb.50:
	s_lshl_b64 s[0:1], s[8:9], 2
	v_mov_b32_e32 v0, 0
	s_add_u32 s0, s12, s0
	s_addc_u32 s1, s13, s1
	global_store_b32 v0, v1, s[0:1]
.LBB691_51:
	s_nop 0
	s_sendmsg sendmsg(MSG_DEALLOC_VGPRS)
	s_endpgm
	.section	.rodata,"a",@progbits
	.p2align	6, 0x0
	.amdhsa_kernel _ZL20rocblas_gemvt_kernelILb1ELi256EPK16rocblas_bfloat16fKPfEviiT2_lPKT1_lilS8_lilS5_lPT3_lili
		.amdhsa_group_segment_fixed_size 1024
		.amdhsa_private_segment_fixed_size 0
		.amdhsa_kernarg_size 140
		.amdhsa_user_sgpr_count 14
		.amdhsa_user_sgpr_dispatch_ptr 0
		.amdhsa_user_sgpr_queue_ptr 0
		.amdhsa_user_sgpr_kernarg_segment_ptr 1
		.amdhsa_user_sgpr_dispatch_id 0
		.amdhsa_user_sgpr_private_segment_size 0
		.amdhsa_wavefront_size32 1
		.amdhsa_uses_dynamic_stack 0
		.amdhsa_enable_private_segment 0
		.amdhsa_system_sgpr_workgroup_id_x 1
		.amdhsa_system_sgpr_workgroup_id_y 0
		.amdhsa_system_sgpr_workgroup_id_z 1
		.amdhsa_system_sgpr_workgroup_info 0
		.amdhsa_system_vgpr_workitem_id 0
		.amdhsa_next_free_vgpr 11
		.amdhsa_next_free_sgpr 20
		.amdhsa_reserve_vcc 1
		.amdhsa_float_round_mode_32 0
		.amdhsa_float_round_mode_16_64 0
		.amdhsa_float_denorm_mode_32 3
		.amdhsa_float_denorm_mode_16_64 3
		.amdhsa_dx10_clamp 1
		.amdhsa_ieee_mode 1
		.amdhsa_fp16_overflow 0
		.amdhsa_workgroup_processor_mode 1
		.amdhsa_memory_ordered 1
		.amdhsa_forward_progress 0
		.amdhsa_shared_vgpr_count 0
		.amdhsa_exception_fp_ieee_invalid_op 0
		.amdhsa_exception_fp_denorm_src 0
		.amdhsa_exception_fp_ieee_div_zero 0
		.amdhsa_exception_fp_ieee_overflow 0
		.amdhsa_exception_fp_ieee_underflow 0
		.amdhsa_exception_fp_ieee_inexact 0
		.amdhsa_exception_int_div_zero 0
	.end_amdhsa_kernel
	.section	.text._ZL20rocblas_gemvt_kernelILb1ELi256EPK16rocblas_bfloat16fKPfEviiT2_lPKT1_lilS8_lilS5_lPT3_lili,"axG",@progbits,_ZL20rocblas_gemvt_kernelILb1ELi256EPK16rocblas_bfloat16fKPfEviiT2_lPKT1_lilS8_lilS5_lPT3_lili,comdat
.Lfunc_end691:
	.size	_ZL20rocblas_gemvt_kernelILb1ELi256EPK16rocblas_bfloat16fKPfEviiT2_lPKT1_lilS8_lilS5_lPT3_lili, .Lfunc_end691-_ZL20rocblas_gemvt_kernelILb1ELi256EPK16rocblas_bfloat16fKPfEviiT2_lPKT1_lilS8_lilS5_lPT3_lili
                                        ; -- End function
	.section	.AMDGPU.csdata,"",@progbits
; Kernel info:
; codeLenInByte = 1696
; NumSgprs: 22
; NumVgprs: 11
; ScratchSize: 0
; MemoryBound: 0
; FloatMode: 240
; IeeeMode: 1
; LDSByteSize: 1024 bytes/workgroup (compile time only)
; SGPRBlocks: 2
; VGPRBlocks: 1
; NumSGPRsForWavesPerEU: 22
; NumVGPRsForWavesPerEU: 11
; Occupancy: 16
; WaveLimiterHint : 1
; COMPUTE_PGM_RSRC2:SCRATCH_EN: 0
; COMPUTE_PGM_RSRC2:USER_SGPR: 14
; COMPUTE_PGM_RSRC2:TRAP_HANDLER: 0
; COMPUTE_PGM_RSRC2:TGID_X_EN: 1
; COMPUTE_PGM_RSRC2:TGID_Y_EN: 0
; COMPUTE_PGM_RSRC2:TGID_Z_EN: 1
; COMPUTE_PGM_RSRC2:TIDIG_COMP_CNT: 0
	.section	.text._ZL32rocblas_gemvt_warp_reduce_kernelILb1ELi1024EiPK16rocblas_bfloat16PKfKPfEviiT3_lPKT2_lT1_lSA_lSB_lS7_lPT4_lSB_li,"axG",@progbits,_ZL32rocblas_gemvt_warp_reduce_kernelILb1ELi1024EiPK16rocblas_bfloat16PKfKPfEviiT3_lPKT2_lT1_lSA_lSB_lS7_lPT4_lSB_li,comdat
	.globl	_ZL32rocblas_gemvt_warp_reduce_kernelILb1ELi1024EiPK16rocblas_bfloat16PKfKPfEviiT3_lPKT2_lT1_lSA_lSB_lS7_lPT4_lSB_li ; -- Begin function _ZL32rocblas_gemvt_warp_reduce_kernelILb1ELi1024EiPK16rocblas_bfloat16PKfKPfEviiT3_lPKT2_lT1_lSA_lSB_lS7_lPT4_lSB_li
	.p2align	8
	.type	_ZL32rocblas_gemvt_warp_reduce_kernelILb1ELi1024EiPK16rocblas_bfloat16PKfKPfEviiT3_lPKT2_lT1_lSA_lSB_lS7_lPT4_lSB_li,@function
_ZL32rocblas_gemvt_warp_reduce_kernelILb1ELi1024EiPK16rocblas_bfloat16PKfKPfEviiT3_lPKT2_lT1_lSA_lSB_lS7_lPT4_lSB_li: ; @_ZL32rocblas_gemvt_warp_reduce_kernelILb1ELi1024EiPK16rocblas_bfloat16PKfKPfEviiT3_lPKT2_lT1_lSA_lSB_lS7_lPT4_lSB_li
; %bb.0:
	s_clause 0x1
	s_load_b256 s[16:23], s[0:1], 0x8
	s_load_b256 s[4:11], s[0:1], 0x58
	s_mov_b32 s2, s15
	s_waitcnt lgkmcnt(0)
	s_mul_i32 s3, s15, s19
	s_mul_hi_u32 s13, s15, s18
	s_mul_i32 s12, s15, s18
	s_add_i32 s13, s13, s3
	s_mul_i32 s3, s15, s7
	s_lshl_b64 s[12:13], s[12:13], 2
	s_mul_hi_u32 s7, s15, s6
	s_add_u32 s12, s16, s12
	s_addc_u32 s13, s17, s13
	s_add_i32 s7, s7, s3
	s_mul_i32 s6, s15, s6
	s_delay_alu instid0(SALU_CYCLE_1) | instskip(NEXT) | instid1(SALU_CYCLE_1)
	s_lshl_b64 s[6:7], s[6:7], 2
	s_add_u32 s4, s4, s6
	s_addc_u32 s5, s5, s7
	s_load_b32 s13, s[12:13], 0x0
	s_load_b32 s12, s[4:5], 0x0
	s_waitcnt lgkmcnt(0)
	v_cmp_eq_f32_e64 s15, s13, 0
	v_cmp_eq_f32_e64 s3, s12, 1.0
	s_delay_alu instid0(VALU_DEP_1) | instskip(NEXT) | instid1(SALU_CYCLE_1)
	s_and_b32 s3, s15, s3
	s_and_b32 vcc_lo, exec_lo, s3
	s_mov_b32 s3, 0
	s_cbranch_vccnz .LBB692_41
; %bb.1:
	v_cmp_neq_f32_e64 s16, s13, 0
	s_mov_b64 s[4:5], 0
	s_and_b32 vcc_lo, exec_lo, s15
	s_mov_b64 s[6:7], 0
	s_cbranch_vccnz .LBB692_3
; %bb.2:
	s_lshl_b64 s[6:7], s[2:3], 3
	s_delay_alu instid0(SALU_CYCLE_1)
	s_add_u32 s6, s20, s6
	s_addc_u32 s7, s21, s7
	s_lshl_b64 s[18:19], s[22:23], 1
	s_load_b64 s[6:7], s[6:7], 0x0
	s_waitcnt lgkmcnt(0)
	s_add_u32 s6, s6, s18
	s_addc_u32 s7, s7, s19
.LBB692_3:
	s_and_not1_b32 vcc_lo, exec_lo, s16
	s_cbranch_vccnz .LBB692_5
; %bb.4:
	s_load_b128 s[16:19], s[0:1], 0x38
	s_lshl_b64 s[4:5], s[2:3], 3
	s_waitcnt lgkmcnt(0)
	s_add_u32 s4, s16, s4
	s_addc_u32 s5, s17, s5
	s_lshl_b64 s[16:17], s[18:19], 1
	s_load_b64 s[4:5], s[4:5], 0x0
	s_waitcnt lgkmcnt(0)
	s_add_u32 s4, s4, s16
	s_addc_u32 s5, s5, s17
.LBB692_5:
	s_lshl_b64 s[2:3], s[2:3], 3
	s_delay_alu instid0(SALU_CYCLE_1)
	s_add_u32 s2, s8, s2
	s_addc_u32 s3, s9, s3
	s_lshl_b64 s[10:11], s[10:11], 2
	s_load_b64 s[8:9], s[2:3], 0x0
	s_load_b32 s16, s[0:1], 0x78
	v_cmp_eq_u32_e64 s2, 0, v0
	s_waitcnt lgkmcnt(0)
	s_add_u32 s10, s8, s10
	s_addc_u32 s11, s9, s11
	s_and_not1_b32 vcc_lo, exec_lo, s15
	s_cbranch_vccnz .LBB692_10
; %bb.6:
	s_mov_b32 s3, 0
	s_mov_b32 s15, 0
                                        ; implicit-def: $vgpr1
                                        ; implicit-def: $sgpr8_sgpr9
	s_and_saveexec_b32 s17, s2
	s_cbranch_execz .LBB692_11
; %bb.7:
	v_cmp_eq_f32_e64 s2, s12, 0
	v_mov_b32_e32 v1, 0
	s_mul_i32 s8, s14, s16
	s_delay_alu instid0(SALU_CYCLE_1) | instskip(NEXT) | instid1(VALU_DEP_2)
	s_ashr_i32 s9, s8, 31
	s_and_b32 vcc_lo, exec_lo, s2
	s_cbranch_vccnz .LBB692_9
; %bb.8:
	s_lshl_b64 s[18:19], s[8:9], 2
	s_delay_alu instid0(SALU_CYCLE_1)
	s_add_u32 s18, s10, s18
	s_addc_u32 s19, s11, s19
	s_load_b32 s2, s[18:19], 0x0
	s_waitcnt lgkmcnt(0)
	v_mul_f32_e64 v1, s12, s2
.LBB692_9:
	s_mov_b32 s15, exec_lo
	s_or_b32 exec_lo, exec_lo, s17
	s_delay_alu instid0(SALU_CYCLE_1)
	s_and_b32 vcc_lo, exec_lo, s3
	s_cbranch_vccnz .LBB692_12
	s_branch .LBB692_39
.LBB692_10:
	s_mov_b32 s15, 0
                                        ; implicit-def: $vgpr1
                                        ; implicit-def: $sgpr8_sgpr9
	s_cbranch_execnz .LBB692_12
	s_branch .LBB692_39
.LBB692_11:
	s_or_b32 exec_lo, exec_lo, s17
	s_delay_alu instid0(SALU_CYCLE_1)
	s_and_b32 vcc_lo, exec_lo, s3
	s_cbranch_vccz .LBB692_39
.LBB692_12:
	s_clause 0x2
	s_load_b32 s2, s[0:1], 0x28
	s_load_b32 s3, s[0:1], 0x0
	;; [unrolled: 1-line block ×3, first 2 shown]
	v_mov_b32_e32 v7, 0
	s_waitcnt lgkmcnt(0)
	s_mul_i32 s8, s14, s2
	v_cmp_gt_i32_e32 vcc_lo, s3, v0
	s_ashr_i32 s9, s8, 31
	s_delay_alu instid0(SALU_CYCLE_1)
	s_lshl_b64 s[8:9], s[8:9], 1
	v_cndmask_b32_e32 v1, 0, v0, vcc_lo
	s_add_u32 s0, s8, s6
	s_addc_u32 s6, s9, s7
	s_ashr_i32 s2, s3, 31
	s_mov_b32 s7, 0
	v_lshlrev_b32_e32 v1, 1, v1
	s_lshr_b32 s2, s2, 22
	s_delay_alu instid0(SALU_CYCLE_1) | instskip(NEXT) | instid1(SALU_CYCLE_1)
	s_add_i32 s2, s3, s2
	s_and_b32 s2, s2, 0xfffffc00
	s_delay_alu instid0(VALU_DEP_1) | instskip(NEXT) | instid1(VALU_DEP_1)
	v_add_co_u32 v1, s0, s0, v1
	v_add_co_ci_u32_e64 v2, null, s6, 0, s0
	s_mov_b32 s6, exec_lo
	v_cmpx_gt_i32_e64 s2, v0
	s_cbranch_execz .LBB692_20
; %bb.13:
	v_mul_lo_u32 v3, v0, s1
	v_dual_mov_b32 v7, 0 :: v_dual_mov_b32 v6, v2
	v_dual_mov_b32 v5, v1 :: v_dual_mov_b32 v8, v0
	s_lshl_b32 s8, s1, 10
	s_branch .LBB692_15
.LBB692_14:                             ;   in Loop: Header=BB692_15 Depth=1
	s_or_b32 exec_lo, exec_lo, s0
	v_add_nc_u32_e32 v8, 0x400, v8
	s_delay_alu instid0(VALU_DEP_2) | instskip(SKIP_2) | instid1(VALU_DEP_4)
	v_and_b32_e32 v4, 0xffff0000, v9
	v_add_co_u32 v5, s0, 0x800, v5
	v_add_nc_u32_e32 v3, s8, v3
	v_cmp_le_i32_e32 vcc_lo, s2, v8
	s_delay_alu instid0(VALU_DEP_4) | instskip(SKIP_2) | instid1(SALU_CYCLE_1)
	v_add_f32_e32 v7, v7, v4
	v_add_co_ci_u32_e64 v6, s0, 0, v6, s0
	s_or_b32 s7, vcc_lo, s7
	s_and_not1_b32 exec_lo, exec_lo, s7
	s_cbranch_execz .LBB692_19
.LBB692_15:                             ; =>This Inner Loop Header: Depth=1
	s_delay_alu instid0(VALU_DEP_3) | instskip(NEXT) | instid1(VALU_DEP_1)
	v_ashrrev_i32_e32 v4, 31, v3
	v_lshlrev_b64 v[9:10], 1, v[3:4]
	s_delay_alu instid0(VALU_DEP_1) | instskip(NEXT) | instid1(VALU_DEP_2)
	v_add_co_u32 v9, vcc_lo, s4, v9
	v_add_co_ci_u32_e32 v10, vcc_lo, s5, v10, vcc_lo
	flat_load_u16 v4, v[5:6]
	flat_load_u16 v9, v[9:10]
	s_waitcnt vmcnt(1) lgkmcnt(1)
	v_lshlrev_b32_e32 v4, 16, v4
	s_waitcnt vmcnt(0) lgkmcnt(0)
	v_lshlrev_b32_e32 v9, 16, v9
	s_delay_alu instid0(VALU_DEP_1) | instskip(NEXT) | instid1(VALU_DEP_1)
	v_mul_f32_e32 v4, v4, v9
	v_and_b32_e32 v9, 0x7f800000, v4
	s_delay_alu instid0(VALU_DEP_1) | instskip(SKIP_1) | instid1(SALU_CYCLE_1)
	v_cmp_ne_u32_e32 vcc_lo, 0x7f800000, v9
                                        ; implicit-def: $vgpr9
	s_and_saveexec_b32 s0, vcc_lo
	s_xor_b32 s0, exec_lo, s0
; %bb.16:                               ;   in Loop: Header=BB692_15 Depth=1
	v_bfe_u32 v9, v4, 16, 1
	s_delay_alu instid0(VALU_DEP_1)
	v_add3_u32 v9, v4, v9, 0x7fff
                                        ; implicit-def: $vgpr4
; %bb.17:                               ;   in Loop: Header=BB692_15 Depth=1
	s_and_not1_saveexec_b32 s0, s0
	s_cbranch_execz .LBB692_14
; %bb.18:                               ;   in Loop: Header=BB692_15 Depth=1
	v_and_b32_e32 v9, 0xffff, v4
	v_or_b32_e32 v10, 0x10000, v4
	s_delay_alu instid0(VALU_DEP_2) | instskip(NEXT) | instid1(VALU_DEP_2)
	v_cmp_eq_u32_e32 vcc_lo, 0, v9
	v_cndmask_b32_e32 v9, v10, v4, vcc_lo
	s_branch .LBB692_14
.LBB692_19:
	s_or_b32 exec_lo, exec_lo, s7
.LBB692_20:
	s_delay_alu instid0(SALU_CYCLE_1) | instskip(SKIP_2) | instid1(VALU_DEP_1)
	s_or_b32 exec_lo, exec_lo, s6
	v_or_b32_e32 v3, s2, v0
	s_mov_b32 s0, exec_lo
	v_cmpx_gt_i32_e64 s3, v3
	s_cbranch_execz .LBB692_26
; %bb.21:
	v_mul_lo_u32 v3, v3, s1
	s_ashr_i32 s3, s2, 31
	s_delay_alu instid0(SALU_CYCLE_1) | instskip(NEXT) | instid1(VALU_DEP_1)
	s_lshl_b64 s[2:3], s[2:3], 1
	v_ashrrev_i32_e32 v4, 31, v3
	s_delay_alu instid0(VALU_DEP_1) | instskip(NEXT) | instid1(VALU_DEP_1)
	v_lshlrev_b64 v[3:4], 1, v[3:4]
	v_add_co_u32 v3, vcc_lo, s4, v3
	s_delay_alu instid0(VALU_DEP_2)
	v_add_co_ci_u32_e32 v4, vcc_lo, s5, v4, vcc_lo
	v_add_co_u32 v1, vcc_lo, v1, s2
	v_add_co_ci_u32_e32 v2, vcc_lo, s3, v2, vcc_lo
	flat_load_u16 v3, v[3:4]
	flat_load_u16 v1, v[1:2]
	s_waitcnt vmcnt(1) lgkmcnt(1)
	v_lshlrev_b32_e32 v2, 16, v3
	s_waitcnt vmcnt(0) lgkmcnt(0)
	v_lshlrev_b32_e32 v1, 16, v1
	s_delay_alu instid0(VALU_DEP_1) | instskip(NEXT) | instid1(VALU_DEP_1)
	v_mul_f32_e32 v1, v1, v2
	v_and_b32_e32 v2, 0x7f800000, v1
	s_delay_alu instid0(VALU_DEP_1) | instskip(SKIP_1) | instid1(SALU_CYCLE_1)
	v_cmp_ne_u32_e32 vcc_lo, 0x7f800000, v2
                                        ; implicit-def: $vgpr2
	s_and_saveexec_b32 s1, vcc_lo
	s_xor_b32 s1, exec_lo, s1
; %bb.22:
	v_bfe_u32 v2, v1, 16, 1
	s_delay_alu instid0(VALU_DEP_1)
	v_add3_u32 v2, v1, v2, 0x7fff
                                        ; implicit-def: $vgpr1
; %bb.23:
	s_and_not1_saveexec_b32 s1, s1
; %bb.24:
	v_and_b32_e32 v2, 0xffff, v1
	v_or_b32_e32 v3, 0x10000, v1
	s_delay_alu instid0(VALU_DEP_2) | instskip(NEXT) | instid1(VALU_DEP_2)
	v_cmp_eq_u32_e32 vcc_lo, 0, v2
	v_cndmask_b32_e32 v2, v3, v1, vcc_lo
; %bb.25:
	s_or_b32 exec_lo, exec_lo, s1
	s_delay_alu instid0(VALU_DEP_1) | instskip(NEXT) | instid1(VALU_DEP_1)
	v_and_b32_e32 v1, 0xffff0000, v2
	v_add_f32_e32 v7, v7, v1
.LBB692_26:
	s_or_b32 exec_lo, exec_lo, s0
	v_and_b32_e32 v6, 31, v0
	v_cmp_gt_u32_e32 vcc_lo, 32, v0
	s_delay_alu instid0(VALU_DEP_2)
	v_lshlrev_b32_e32 v1, 2, v6
	s_and_saveexec_b32 s0, vcc_lo
	s_cbranch_execz .LBB692_28
; %bb.27:
	v_mov_b32_e32 v2, 0
	ds_store_b32 v1, v2
.LBB692_28:
	s_or_b32 exec_lo, exec_lo, s0
	v_mbcnt_lo_u32_b32 v8, -1, 0
	s_mov_b32 s1, exec_lo
	s_waitcnt lgkmcnt(0)
	s_barrier
	buffer_gl0_inv
	v_cmp_gt_u32_e64 s0, 16, v8
	s_delay_alu instid0(VALU_DEP_1) | instskip(SKIP_1) | instid1(VALU_DEP_2)
	v_cndmask_b32_e64 v2, 0, 1, s0
	v_cmp_gt_u32_e64 s0, 24, v8
	v_lshlrev_b32_e32 v2, 4, v2
	s_delay_alu instid0(VALU_DEP_2) | instskip(SKIP_1) | instid1(VALU_DEP_3)
	v_cndmask_b32_e64 v3, 0, 1, s0
	v_cmp_gt_u32_e64 s0, 28, v8
	v_add_lshl_u32 v2, v2, v8, 2
	s_delay_alu instid0(VALU_DEP_3)
	v_lshlrev_b32_e32 v3, 3, v3
	ds_bpermute_b32 v4, v2, v7
	v_add_lshl_u32 v3, v3, v8, 2
	s_waitcnt lgkmcnt(0)
	v_add_f32_e32 v5, v7, v4
	v_cndmask_b32_e64 v4, 0, 1, s0
	v_cmp_gt_u32_e64 s0, 30, v8
	ds_bpermute_b32 v7, v3, v5
	s_waitcnt lgkmcnt(0)
	v_dual_add_f32 v7, v5, v7 :: v_dual_lshlrev_b32 v4, 2, v4
	s_delay_alu instid0(VALU_DEP_1)
	v_add_lshl_u32 v4, v4, v8, 2
	v_cndmask_b32_e64 v5, 0, 1, s0
	v_cmp_ne_u32_e64 s0, 31, v8
	ds_bpermute_b32 v9, v4, v7
	v_lshlrev_b32_e32 v5, 1, v5
	v_add_co_ci_u32_e64 v10, s0, 0, v8, s0
	s_delay_alu instid0(VALU_DEP_2)
	v_add_lshl_u32 v5, v5, v8, 2
	s_waitcnt lgkmcnt(0)
	v_add_f32_e32 v7, v7, v9
	ds_bpermute_b32 v9, v5, v7
	s_waitcnt lgkmcnt(0)
	v_dual_add_f32 v8, v7, v9 :: v_dual_lshlrev_b32 v7, 2, v10
	ds_bpermute_b32 v9, v7, v8
	v_cmpx_eq_u32_e32 0, v6
	s_cbranch_execz .LBB692_30
; %bb.29:
	v_lshrrev_b32_e32 v6, 3, v0
	s_waitcnt lgkmcnt(0)
	v_add_f32_e32 v8, v8, v9
	s_delay_alu instid0(VALU_DEP_2)
	v_and_b32_e32 v6, 0x7c, v6
	ds_store_b32 v6, v8
.LBB692_30:
	s_or_b32 exec_lo, exec_lo, s1
	v_mov_b32_e32 v6, 0
	s_waitcnt lgkmcnt(0)
	s_barrier
	buffer_gl0_inv
	s_and_saveexec_b32 s0, vcc_lo
	s_cbranch_execz .LBB692_32
; %bb.31:
	ds_load_b32 v6, v1
.LBB692_32:
	s_or_b32 exec_lo, exec_lo, s0
	s_and_saveexec_b32 s0, vcc_lo
	s_cbranch_execz .LBB692_34
; %bb.33:
	s_waitcnt lgkmcnt(0)
	ds_bpermute_b32 v1, v2, v6
	s_waitcnt lgkmcnt(0)
	v_add_f32_e32 v1, v6, v1
	ds_bpermute_b32 v2, v3, v1
	s_waitcnt lgkmcnt(0)
	v_add_f32_e32 v1, v1, v2
	;; [unrolled: 3-line block ×5, first 2 shown]
.LBB692_34:
	s_or_b32 exec_lo, exec_lo, s0
	s_delay_alu instid0(SALU_CYCLE_1)
	s_mov_b32 s0, exec_lo
                                        ; implicit-def: $vgpr1
                                        ; implicit-def: $sgpr8_sgpr9
	v_cmpx_eq_u32_e32 0, v0
	s_cbranch_execz .LBB692_38
; %bb.35:
	v_cmp_eq_f32_e64 s1, s12, 0
	s_waitcnt lgkmcnt(0)
	v_mul_f32_e32 v1, s13, v6
	s_mul_i32 s8, s14, s16
	s_delay_alu instid0(SALU_CYCLE_1)
	s_ashr_i32 s9, s8, 31
	s_and_b32 vcc_lo, exec_lo, s1
	s_cbranch_vccnz .LBB692_37
; %bb.36:
	s_lshl_b64 s[2:3], s[8:9], 2
	s_delay_alu instid0(SALU_CYCLE_1)
	s_add_u32 s2, s10, s2
	s_addc_u32 s3, s11, s3
	s_load_b32 s1, s[2:3], 0x0
	s_waitcnt lgkmcnt(0)
	v_fmac_f32_e64 v1, s12, s1
.LBB692_37:
	s_or_b32 s15, s15, exec_lo
.LBB692_38:
	s_or_b32 exec_lo, exec_lo, s0
.LBB692_39:
	s_and_saveexec_b32 s0, s15
	s_cbranch_execz .LBB692_41
; %bb.40:
	s_lshl_b64 s[0:1], s[8:9], 2
	v_mov_b32_e32 v0, 0
	s_add_u32 s0, s10, s0
	s_addc_u32 s1, s11, s1
	global_store_b32 v0, v1, s[0:1]
.LBB692_41:
	s_nop 0
	s_sendmsg sendmsg(MSG_DEALLOC_VGPRS)
	s_endpgm
	.section	.rodata,"a",@progbits
	.p2align	6, 0x0
	.amdhsa_kernel _ZL32rocblas_gemvt_warp_reduce_kernelILb1ELi1024EiPK16rocblas_bfloat16PKfKPfEviiT3_lPKT2_lT1_lSA_lSB_lS7_lPT4_lSB_li
		.amdhsa_group_segment_fixed_size 128
		.amdhsa_private_segment_fixed_size 0
		.amdhsa_kernarg_size 140
		.amdhsa_user_sgpr_count 14
		.amdhsa_user_sgpr_dispatch_ptr 0
		.amdhsa_user_sgpr_queue_ptr 0
		.amdhsa_user_sgpr_kernarg_segment_ptr 1
		.amdhsa_user_sgpr_dispatch_id 0
		.amdhsa_user_sgpr_private_segment_size 0
		.amdhsa_wavefront_size32 1
		.amdhsa_uses_dynamic_stack 0
		.amdhsa_enable_private_segment 0
		.amdhsa_system_sgpr_workgroup_id_x 1
		.amdhsa_system_sgpr_workgroup_id_y 0
		.amdhsa_system_sgpr_workgroup_id_z 1
		.amdhsa_system_sgpr_workgroup_info 0
		.amdhsa_system_vgpr_workitem_id 0
		.amdhsa_next_free_vgpr 11
		.amdhsa_next_free_sgpr 24
		.amdhsa_reserve_vcc 1
		.amdhsa_float_round_mode_32 0
		.amdhsa_float_round_mode_16_64 0
		.amdhsa_float_denorm_mode_32 3
		.amdhsa_float_denorm_mode_16_64 3
		.amdhsa_dx10_clamp 1
		.amdhsa_ieee_mode 1
		.amdhsa_fp16_overflow 0
		.amdhsa_workgroup_processor_mode 1
		.amdhsa_memory_ordered 1
		.amdhsa_forward_progress 0
		.amdhsa_shared_vgpr_count 0
		.amdhsa_exception_fp_ieee_invalid_op 0
		.amdhsa_exception_fp_denorm_src 0
		.amdhsa_exception_fp_ieee_div_zero 0
		.amdhsa_exception_fp_ieee_overflow 0
		.amdhsa_exception_fp_ieee_underflow 0
		.amdhsa_exception_fp_ieee_inexact 0
		.amdhsa_exception_int_div_zero 0
	.end_amdhsa_kernel
	.section	.text._ZL32rocblas_gemvt_warp_reduce_kernelILb1ELi1024EiPK16rocblas_bfloat16PKfKPfEviiT3_lPKT2_lT1_lSA_lSB_lS7_lPT4_lSB_li,"axG",@progbits,_ZL32rocblas_gemvt_warp_reduce_kernelILb1ELi1024EiPK16rocblas_bfloat16PKfKPfEviiT3_lPKT2_lT1_lSA_lSB_lS7_lPT4_lSB_li,comdat
.Lfunc_end692:
	.size	_ZL32rocblas_gemvt_warp_reduce_kernelILb1ELi1024EiPK16rocblas_bfloat16PKfKPfEviiT3_lPKT2_lT1_lSA_lSB_lS7_lPT4_lSB_li, .Lfunc_end692-_ZL32rocblas_gemvt_warp_reduce_kernelILb1ELi1024EiPK16rocblas_bfloat16PKfKPfEviiT3_lPKT2_lT1_lSA_lSB_lS7_lPT4_lSB_li
                                        ; -- End function
	.section	.AMDGPU.csdata,"",@progbits
; Kernel info:
; codeLenInByte = 1724
; NumSgprs: 26
; NumVgprs: 11
; ScratchSize: 0
; MemoryBound: 0
; FloatMode: 240
; IeeeMode: 1
; LDSByteSize: 128 bytes/workgroup (compile time only)
; SGPRBlocks: 3
; VGPRBlocks: 1
; NumSGPRsForWavesPerEU: 26
; NumVGPRsForWavesPerEU: 11
; Occupancy: 16
; WaveLimiterHint : 1
; COMPUTE_PGM_RSRC2:SCRATCH_EN: 0
; COMPUTE_PGM_RSRC2:USER_SGPR: 14
; COMPUTE_PGM_RSRC2:TRAP_HANDLER: 0
; COMPUTE_PGM_RSRC2:TGID_X_EN: 1
; COMPUTE_PGM_RSRC2:TGID_Y_EN: 0
; COMPUTE_PGM_RSRC2:TGID_Z_EN: 1
; COMPUTE_PGM_RSRC2:TIDIG_COMP_CNT: 0
	.section	.text._ZL32rocblas_gemvt_warp_reduce_kernelILb1ELi1024ElPK16rocblas_bfloat16PKfKPfEviiT3_lPKT2_lT1_lSA_lSB_lS7_lPT4_lSB_li,"axG",@progbits,_ZL32rocblas_gemvt_warp_reduce_kernelILb1ELi1024ElPK16rocblas_bfloat16PKfKPfEviiT3_lPKT2_lT1_lSA_lSB_lS7_lPT4_lSB_li,comdat
	.globl	_ZL32rocblas_gemvt_warp_reduce_kernelILb1ELi1024ElPK16rocblas_bfloat16PKfKPfEviiT3_lPKT2_lT1_lSA_lSB_lS7_lPT4_lSB_li ; -- Begin function _ZL32rocblas_gemvt_warp_reduce_kernelILb1ELi1024ElPK16rocblas_bfloat16PKfKPfEviiT3_lPKT2_lT1_lSA_lSB_lS7_lPT4_lSB_li
	.p2align	8
	.type	_ZL32rocblas_gemvt_warp_reduce_kernelILb1ELi1024ElPK16rocblas_bfloat16PKfKPfEviiT3_lPKT2_lT1_lSA_lSB_lS7_lPT4_lSB_li,@function
_ZL32rocblas_gemvt_warp_reduce_kernelILb1ELi1024ElPK16rocblas_bfloat16PKfKPfEviiT3_lPKT2_lT1_lSA_lSB_lS7_lPT4_lSB_li: ; @_ZL32rocblas_gemvt_warp_reduce_kernelILb1ELi1024ElPK16rocblas_bfloat16PKfKPfEviiT3_lPKT2_lT1_lSA_lSB_lS7_lPT4_lSB_li
; %bb.0:
	s_clause 0x1
	s_load_b256 s[16:23], s[0:1], 0x8
	s_load_b256 s[4:11], s[0:1], 0x58
	s_mov_b32 s2, s15
	s_waitcnt lgkmcnt(0)
	s_mul_i32 s3, s15, s19
	s_mul_hi_u32 s13, s15, s18
	s_mul_i32 s12, s15, s18
	s_add_i32 s13, s13, s3
	s_mul_i32 s3, s15, s7
	s_lshl_b64 s[12:13], s[12:13], 2
	s_mul_hi_u32 s7, s15, s6
	s_add_u32 s12, s16, s12
	s_addc_u32 s13, s17, s13
	s_add_i32 s7, s7, s3
	s_mul_i32 s6, s15, s6
	s_delay_alu instid0(SALU_CYCLE_1) | instskip(NEXT) | instid1(SALU_CYCLE_1)
	s_lshl_b64 s[6:7], s[6:7], 2
	s_add_u32 s4, s4, s6
	s_addc_u32 s5, s5, s7
	s_load_b32 s28, s[12:13], 0x0
	s_load_b32 s15, s[4:5], 0x0
	s_waitcnt lgkmcnt(0)
	v_cmp_eq_f32_e64 s29, s28, 0
	v_cmp_eq_f32_e64 s3, s15, 1.0
	s_delay_alu instid0(VALU_DEP_1) | instskip(NEXT) | instid1(SALU_CYCLE_1)
	s_and_b32 s3, s29, s3
	s_and_b32 vcc_lo, exec_lo, s3
	s_mov_b32 s3, 0
	s_cbranch_vccnz .LBB693_41
; %bb.1:
	s_clause 0x1
	s_load_b64 s[24:25], s[0:1], 0x28
	s_load_b64 s[12:13], s[0:1], 0x78
	v_cmp_neq_f32_e64 s30, s28, 0
	s_mov_b64 s[16:17], 0
	s_and_b32 vcc_lo, exec_lo, s29
	s_mov_b64 s[26:27], 0
	s_cbranch_vccnz .LBB693_3
; %bb.2:
	s_lshl_b64 s[4:5], s[2:3], 3
	s_delay_alu instid0(SALU_CYCLE_1)
	s_add_u32 s4, s20, s4
	s_addc_u32 s5, s21, s5
	s_lshl_b64 s[6:7], s[22:23], 1
	s_load_b64 s[4:5], s[4:5], 0x0
	s_waitcnt lgkmcnt(0)
	s_add_u32 s26, s4, s6
	s_addc_u32 s27, s5, s7
.LBB693_3:
	s_clause 0x1
	s_load_b128 s[4:7], s[0:1], 0x38
	s_load_b64 s[18:19], s[0:1], 0x48
	s_and_not1_b32 vcc_lo, exec_lo, s30
	s_cbranch_vccnz .LBB693_5
; %bb.4:
	s_lshl_b64 s[16:17], s[2:3], 3
	s_waitcnt lgkmcnt(0)
	s_add_u32 s4, s4, s16
	s_addc_u32 s5, s5, s17
	s_lshl_b64 s[6:7], s[6:7], 1
	s_load_b64 s[4:5], s[4:5], 0x0
	s_waitcnt lgkmcnt(0)
	s_add_u32 s16, s4, s6
	s_addc_u32 s17, s5, s7
.LBB693_5:
	s_lshl_b64 s[2:3], s[2:3], 3
	s_delay_alu instid0(SALU_CYCLE_1)
	s_add_u32 s2, s8, s2
	s_addc_u32 s3, s9, s3
	s_waitcnt lgkmcnt(0)
	s_lshl_b64 s[6:7], s[10:11], 2
	s_load_b64 s[4:5], s[2:3], 0x0
	v_cmp_eq_u32_e64 s2, 0, v0
	s_waitcnt lgkmcnt(0)
	s_add_u32 s6, s4, s6
	s_addc_u32 s7, s5, s7
	s_and_not1_b32 vcc_lo, exec_lo, s29
	s_cbranch_vccnz .LBB693_10
; %bb.6:
	s_mov_b32 s3, 0
	s_mov_b32 s8, 0
                                        ; implicit-def: $vgpr1
                                        ; implicit-def: $sgpr4_sgpr5
	s_and_saveexec_b32 s9, s2
	s_cbranch_execz .LBB693_11
; %bb.7:
	v_cmp_eq_f32_e64 s2, s15, 0
	s_mul_i32 s4, s14, s13
	s_mul_hi_u32 s5, s14, s12
	s_ashr_i32 s8, s14, 31
	v_mov_b32_e32 v1, 0
	s_add_i32 s4, s5, s4
	s_mul_i32 s8, s8, s12
	s_and_b32 vcc_lo, exec_lo, s2
	s_add_i32 s5, s4, s8
	s_mul_i32 s4, s14, s12
	s_cbranch_vccnz .LBB693_9
; %bb.8:
	s_lshl_b64 s[10:11], s[4:5], 2
	s_delay_alu instid0(SALU_CYCLE_1)
	s_add_u32 s10, s6, s10
	s_addc_u32 s11, s7, s11
	s_load_b32 s2, s[10:11], 0x0
	s_waitcnt lgkmcnt(0)
	v_mul_f32_e64 v1, s15, s2
.LBB693_9:
	s_mov_b32 s8, exec_lo
	s_or_b32 exec_lo, exec_lo, s9
	s_delay_alu instid0(SALU_CYCLE_1)
	s_and_b32 vcc_lo, exec_lo, s3
	s_cbranch_vccnz .LBB693_12
	s_branch .LBB693_39
.LBB693_10:
	s_mov_b32 s8, 0
                                        ; implicit-def: $vgpr1
                                        ; implicit-def: $sgpr4_sgpr5
	s_cbranch_execnz .LBB693_12
	s_branch .LBB693_39
.LBB693_11:
	s_or_b32 exec_lo, exec_lo, s9
	s_delay_alu instid0(SALU_CYCLE_1)
	s_and_b32 vcc_lo, exec_lo, s3
	s_cbranch_vccz .LBB693_39
.LBB693_12:
	s_load_b32 s3, s[0:1], 0x0
	s_mul_i32 s0, s14, s25
	s_mul_hi_u32 s2, s14, s24
	s_ashr_i32 s1, s14, 31
	s_add_i32 s0, s2, s0
	s_mul_i32 s2, s1, s24
	s_mul_i32 s4, s14, s24
	s_add_i32 s5, s0, s2
	v_mov_b32_e32 v7, 0
	s_lshl_b64 s[4:5], s[4:5], 1
	s_mov_b32 s10, 0
	s_add_u32 s0, s4, s26
	s_addc_u32 s4, s5, s27
	s_mov_b32 s9, exec_lo
	s_waitcnt lgkmcnt(0)
	v_cmp_gt_i32_e32 vcc_lo, s3, v0
	s_ashr_i32 s2, s3, 31
	s_delay_alu instid0(SALU_CYCLE_1) | instskip(NEXT) | instid1(SALU_CYCLE_1)
	s_lshr_b32 s2, s2, 22
	s_add_i32 s2, s3, s2
	v_cndmask_b32_e32 v1, 0, v0, vcc_lo
	s_and_b32 s2, s2, 0xfffffc00
	s_delay_alu instid0(VALU_DEP_1) | instskip(NEXT) | instid1(VALU_DEP_1)
	v_lshlrev_b32_e32 v1, 1, v1
	v_add_co_u32 v1, s0, s0, v1
	s_delay_alu instid0(VALU_DEP_1)
	v_add_co_ci_u32_e64 v2, null, s4, 0, s0
	v_cmpx_gt_i32_e64 s2, v0
	s_cbranch_execz .LBB693_20
; %bb.13:
	v_mad_u64_u32 v[3:4], null, s18, v0, 0
	v_mov_b32_e32 v8, v0
	s_lshl_b64 s[4:5], s[18:19], 11
	v_mov_b32_e32 v7, 0
	s_delay_alu instid0(VALU_DEP_3) | instskip(NEXT) | instid1(VALU_DEP_1)
	v_mad_u64_u32 v[5:6], null, s19, v0, v[4:5]
	v_mov_b32_e32 v4, v5
	s_delay_alu instid0(VALU_DEP_1) | instskip(SKIP_1) | instid1(VALU_DEP_2)
	v_lshlrev_b64 v[5:6], 1, v[3:4]
	v_dual_mov_b32 v4, v2 :: v_dual_mov_b32 v3, v1
	v_add_co_u32 v5, vcc_lo, s16, v5
	s_delay_alu instid0(VALU_DEP_3)
	v_add_co_ci_u32_e32 v6, vcc_lo, s17, v6, vcc_lo
	s_set_inst_prefetch_distance 0x1
	s_branch .LBB693_15
	.p2align	6
.LBB693_14:                             ;   in Loop: Header=BB693_15 Depth=1
	s_or_b32 exec_lo, exec_lo, s0
	s_delay_alu instid0(VALU_DEP_1) | instskip(SKIP_3) | instid1(VALU_DEP_4)
	v_and_b32_e32 v9, 0xffff0000, v10
	v_add_nc_u32_e32 v8, 0x400, v8
	v_add_co_u32 v3, vcc_lo, 0x800, v3
	v_add_co_ci_u32_e32 v4, vcc_lo, 0, v4, vcc_lo
	v_add_f32_e32 v7, v7, v9
	s_delay_alu instid0(VALU_DEP_4) | instskip(SKIP_1) | instid1(VALU_DEP_1)
	v_cmp_le_i32_e32 vcc_lo, s2, v8
	v_add_co_u32 v5, s0, v5, s4
	v_add_co_ci_u32_e64 v6, s0, s5, v6, s0
	s_or_b32 s10, vcc_lo, s10
	s_delay_alu instid0(SALU_CYCLE_1)
	s_and_not1_b32 exec_lo, exec_lo, s10
	s_cbranch_execz .LBB693_19
.LBB693_15:                             ; =>This Inner Loop Header: Depth=1
	flat_load_u16 v9, v[5:6]
	flat_load_u16 v10, v[3:4]
	s_waitcnt vmcnt(1) lgkmcnt(1)
	v_lshlrev_b32_e32 v9, 16, v9
	s_waitcnt vmcnt(0) lgkmcnt(0)
	v_lshlrev_b32_e32 v10, 16, v10
	s_delay_alu instid0(VALU_DEP_1) | instskip(NEXT) | instid1(VALU_DEP_1)
	v_mul_f32_e32 v9, v10, v9
	v_and_b32_e32 v10, 0x7f800000, v9
	s_delay_alu instid0(VALU_DEP_1) | instskip(SKIP_1) | instid1(SALU_CYCLE_1)
	v_cmp_ne_u32_e32 vcc_lo, 0x7f800000, v10
                                        ; implicit-def: $vgpr10
	s_and_saveexec_b32 s0, vcc_lo
	s_xor_b32 s0, exec_lo, s0
; %bb.16:                               ;   in Loop: Header=BB693_15 Depth=1
	v_bfe_u32 v10, v9, 16, 1
	s_delay_alu instid0(VALU_DEP_1)
	v_add3_u32 v10, v9, v10, 0x7fff
                                        ; implicit-def: $vgpr9
; %bb.17:                               ;   in Loop: Header=BB693_15 Depth=1
	s_and_not1_saveexec_b32 s0, s0
	s_cbranch_execz .LBB693_14
; %bb.18:                               ;   in Loop: Header=BB693_15 Depth=1
	v_and_b32_e32 v10, 0xffff, v9
	v_or_b32_e32 v11, 0x10000, v9
	s_delay_alu instid0(VALU_DEP_2) | instskip(NEXT) | instid1(VALU_DEP_2)
	v_cmp_eq_u32_e32 vcc_lo, 0, v10
	v_cndmask_b32_e32 v10, v11, v9, vcc_lo
	s_branch .LBB693_14
.LBB693_19:
	s_set_inst_prefetch_distance 0x2
	s_or_b32 exec_lo, exec_lo, s10
.LBB693_20:
	s_delay_alu instid0(SALU_CYCLE_1) | instskip(SKIP_2) | instid1(VALU_DEP_1)
	s_or_b32 exec_lo, exec_lo, s9
	v_or_b32_e32 v3, s2, v0
	s_mov_b32 s0, exec_lo
	v_cmpx_gt_i32_e64 s3, v3
	s_cbranch_execz .LBB693_26
; %bb.21:
	v_ashrrev_i32_e32 v6, 31, v3
	v_mul_lo_u32 v8, v3, s19
	v_mad_u64_u32 v[4:5], null, v3, s18, 0
	s_ashr_i32 s3, s2, 31
	s_delay_alu instid0(VALU_DEP_3) | instskip(SKIP_1) | instid1(VALU_DEP_1)
	v_mul_lo_u32 v3, v6, s18
	s_lshl_b64 s[2:3], s[2:3], 1
	v_add3_u32 v5, v5, v8, v3
	s_delay_alu instid0(VALU_DEP_1) | instskip(NEXT) | instid1(VALU_DEP_1)
	v_lshlrev_b64 v[3:4], 1, v[4:5]
	v_add_co_u32 v3, vcc_lo, s16, v3
	s_delay_alu instid0(VALU_DEP_2)
	v_add_co_ci_u32_e32 v4, vcc_lo, s17, v4, vcc_lo
	v_add_co_u32 v1, vcc_lo, v1, s2
	v_add_co_ci_u32_e32 v2, vcc_lo, s3, v2, vcc_lo
	flat_load_u16 v3, v[3:4]
	flat_load_u16 v1, v[1:2]
	s_waitcnt vmcnt(1) lgkmcnt(1)
	v_lshlrev_b32_e32 v2, 16, v3
	s_waitcnt vmcnt(0) lgkmcnt(0)
	v_lshlrev_b32_e32 v1, 16, v1
	s_delay_alu instid0(VALU_DEP_1) | instskip(NEXT) | instid1(VALU_DEP_1)
	v_mul_f32_e32 v1, v1, v2
	v_and_b32_e32 v2, 0x7f800000, v1
	s_delay_alu instid0(VALU_DEP_1) | instskip(SKIP_1) | instid1(SALU_CYCLE_1)
	v_cmp_ne_u32_e32 vcc_lo, 0x7f800000, v2
                                        ; implicit-def: $vgpr2
	s_and_saveexec_b32 s2, vcc_lo
	s_xor_b32 s2, exec_lo, s2
; %bb.22:
	v_bfe_u32 v2, v1, 16, 1
	s_delay_alu instid0(VALU_DEP_1)
	v_add3_u32 v2, v1, v2, 0x7fff
                                        ; implicit-def: $vgpr1
; %bb.23:
	s_and_not1_saveexec_b32 s2, s2
; %bb.24:
	v_and_b32_e32 v2, 0xffff, v1
	v_or_b32_e32 v3, 0x10000, v1
	s_delay_alu instid0(VALU_DEP_2) | instskip(NEXT) | instid1(VALU_DEP_2)
	v_cmp_eq_u32_e32 vcc_lo, 0, v2
	v_cndmask_b32_e32 v2, v3, v1, vcc_lo
; %bb.25:
	s_or_b32 exec_lo, exec_lo, s2
	s_delay_alu instid0(VALU_DEP_1) | instskip(NEXT) | instid1(VALU_DEP_1)
	v_and_b32_e32 v1, 0xffff0000, v2
	v_add_f32_e32 v7, v7, v1
.LBB693_26:
	s_or_b32 exec_lo, exec_lo, s0
	v_and_b32_e32 v6, 31, v0
	v_cmp_gt_u32_e32 vcc_lo, 32, v0
	s_delay_alu instid0(VALU_DEP_2)
	v_lshlrev_b32_e32 v1, 2, v6
	s_and_saveexec_b32 s0, vcc_lo
	s_cbranch_execz .LBB693_28
; %bb.27:
	v_mov_b32_e32 v2, 0
	ds_store_b32 v1, v2
.LBB693_28:
	s_or_b32 exec_lo, exec_lo, s0
	v_mbcnt_lo_u32_b32 v8, -1, 0
	s_mov_b32 s2, exec_lo
	s_waitcnt lgkmcnt(0)
	s_barrier
	buffer_gl0_inv
	v_cmp_gt_u32_e64 s0, 16, v8
	s_delay_alu instid0(VALU_DEP_1) | instskip(SKIP_1) | instid1(VALU_DEP_2)
	v_cndmask_b32_e64 v2, 0, 1, s0
	v_cmp_gt_u32_e64 s0, 24, v8
	v_lshlrev_b32_e32 v2, 4, v2
	s_delay_alu instid0(VALU_DEP_2) | instskip(SKIP_1) | instid1(VALU_DEP_3)
	v_cndmask_b32_e64 v3, 0, 1, s0
	v_cmp_gt_u32_e64 s0, 28, v8
	v_add_lshl_u32 v2, v2, v8, 2
	s_delay_alu instid0(VALU_DEP_3)
	v_lshlrev_b32_e32 v3, 3, v3
	ds_bpermute_b32 v4, v2, v7
	v_add_lshl_u32 v3, v3, v8, 2
	s_waitcnt lgkmcnt(0)
	v_add_f32_e32 v5, v7, v4
	v_cndmask_b32_e64 v4, 0, 1, s0
	v_cmp_gt_u32_e64 s0, 30, v8
	ds_bpermute_b32 v7, v3, v5
	s_waitcnt lgkmcnt(0)
	v_dual_add_f32 v7, v5, v7 :: v_dual_lshlrev_b32 v4, 2, v4
	s_delay_alu instid0(VALU_DEP_1)
	v_add_lshl_u32 v4, v4, v8, 2
	v_cndmask_b32_e64 v5, 0, 1, s0
	v_cmp_ne_u32_e64 s0, 31, v8
	ds_bpermute_b32 v9, v4, v7
	v_lshlrev_b32_e32 v5, 1, v5
	v_add_co_ci_u32_e64 v10, s0, 0, v8, s0
	s_delay_alu instid0(VALU_DEP_2)
	v_add_lshl_u32 v5, v5, v8, 2
	s_waitcnt lgkmcnt(0)
	v_add_f32_e32 v7, v7, v9
	ds_bpermute_b32 v9, v5, v7
	s_waitcnt lgkmcnt(0)
	v_dual_add_f32 v8, v7, v9 :: v_dual_lshlrev_b32 v7, 2, v10
	ds_bpermute_b32 v9, v7, v8
	v_cmpx_eq_u32_e32 0, v6
	s_cbranch_execz .LBB693_30
; %bb.29:
	v_lshrrev_b32_e32 v6, 3, v0
	s_waitcnt lgkmcnt(0)
	v_add_f32_e32 v8, v8, v9
	s_delay_alu instid0(VALU_DEP_2)
	v_and_b32_e32 v6, 0x7c, v6
	ds_store_b32 v6, v8
.LBB693_30:
	s_or_b32 exec_lo, exec_lo, s2
	v_mov_b32_e32 v6, 0
	s_waitcnt lgkmcnt(0)
	s_barrier
	buffer_gl0_inv
	s_and_saveexec_b32 s0, vcc_lo
	s_cbranch_execz .LBB693_32
; %bb.31:
	ds_load_b32 v6, v1
.LBB693_32:
	s_or_b32 exec_lo, exec_lo, s0
	s_and_saveexec_b32 s0, vcc_lo
	s_cbranch_execz .LBB693_34
; %bb.33:
	s_waitcnt lgkmcnt(0)
	ds_bpermute_b32 v1, v2, v6
	s_waitcnt lgkmcnt(0)
	v_add_f32_e32 v1, v6, v1
	ds_bpermute_b32 v2, v3, v1
	s_waitcnt lgkmcnt(0)
	v_add_f32_e32 v1, v1, v2
	;; [unrolled: 3-line block ×5, first 2 shown]
.LBB693_34:
	s_or_b32 exec_lo, exec_lo, s0
	s_delay_alu instid0(SALU_CYCLE_1)
	s_mov_b32 s0, exec_lo
                                        ; implicit-def: $vgpr1
                                        ; implicit-def: $sgpr4_sgpr5
	v_cmpx_eq_u32_e32 0, v0
	s_cbranch_execz .LBB693_38
; %bb.35:
	v_cmp_eq_f32_e64 s4, s15, 0
	s_mul_i32 s2, s14, s13
	s_mul_hi_u32 s3, s14, s12
	s_waitcnt lgkmcnt(0)
	v_mul_f32_e32 v1, s28, v6
	s_add_i32 s2, s3, s2
	s_mul_i32 s1, s1, s12
	s_and_b32 vcc_lo, exec_lo, s4
	s_add_i32 s5, s2, s1
	s_mul_i32 s4, s14, s12
	s_cbranch_vccnz .LBB693_37
; %bb.36:
	s_lshl_b64 s[2:3], s[4:5], 2
	s_delay_alu instid0(SALU_CYCLE_1)
	s_add_u32 s2, s6, s2
	s_addc_u32 s3, s7, s3
	s_load_b32 s1, s[2:3], 0x0
	s_waitcnt lgkmcnt(0)
	v_fmac_f32_e64 v1, s15, s1
.LBB693_37:
	s_or_b32 s8, s8, exec_lo
.LBB693_38:
	s_or_b32 exec_lo, exec_lo, s0
.LBB693_39:
	s_and_saveexec_b32 s0, s8
	s_cbranch_execz .LBB693_41
; %bb.40:
	s_lshl_b64 s[0:1], s[4:5], 2
	v_mov_b32_e32 v0, 0
	s_add_u32 s0, s6, s0
	s_addc_u32 s1, s7, s1
	global_store_b32 v0, v1, s[0:1]
.LBB693_41:
	s_nop 0
	s_sendmsg sendmsg(MSG_DEALLOC_VGPRS)
	s_endpgm
	.section	.rodata,"a",@progbits
	.p2align	6, 0x0
	.amdhsa_kernel _ZL32rocblas_gemvt_warp_reduce_kernelILb1ELi1024ElPK16rocblas_bfloat16PKfKPfEviiT3_lPKT2_lT1_lSA_lSB_lS7_lPT4_lSB_li
		.amdhsa_group_segment_fixed_size 128
		.amdhsa_private_segment_fixed_size 0
		.amdhsa_kernarg_size 140
		.amdhsa_user_sgpr_count 14
		.amdhsa_user_sgpr_dispatch_ptr 0
		.amdhsa_user_sgpr_queue_ptr 0
		.amdhsa_user_sgpr_kernarg_segment_ptr 1
		.amdhsa_user_sgpr_dispatch_id 0
		.amdhsa_user_sgpr_private_segment_size 0
		.amdhsa_wavefront_size32 1
		.amdhsa_uses_dynamic_stack 0
		.amdhsa_enable_private_segment 0
		.amdhsa_system_sgpr_workgroup_id_x 1
		.amdhsa_system_sgpr_workgroup_id_y 0
		.amdhsa_system_sgpr_workgroup_id_z 1
		.amdhsa_system_sgpr_workgroup_info 0
		.amdhsa_system_vgpr_workitem_id 0
		.amdhsa_next_free_vgpr 12
		.amdhsa_next_free_sgpr 31
		.amdhsa_reserve_vcc 1
		.amdhsa_float_round_mode_32 0
		.amdhsa_float_round_mode_16_64 0
		.amdhsa_float_denorm_mode_32 3
		.amdhsa_float_denorm_mode_16_64 3
		.amdhsa_dx10_clamp 1
		.amdhsa_ieee_mode 1
		.amdhsa_fp16_overflow 0
		.amdhsa_workgroup_processor_mode 1
		.amdhsa_memory_ordered 1
		.amdhsa_forward_progress 0
		.amdhsa_shared_vgpr_count 0
		.amdhsa_exception_fp_ieee_invalid_op 0
		.amdhsa_exception_fp_denorm_src 0
		.amdhsa_exception_fp_ieee_div_zero 0
		.amdhsa_exception_fp_ieee_overflow 0
		.amdhsa_exception_fp_ieee_underflow 0
		.amdhsa_exception_fp_ieee_inexact 0
		.amdhsa_exception_int_div_zero 0
	.end_amdhsa_kernel
	.section	.text._ZL32rocblas_gemvt_warp_reduce_kernelILb1ELi1024ElPK16rocblas_bfloat16PKfKPfEviiT3_lPKT2_lT1_lSA_lSB_lS7_lPT4_lSB_li,"axG",@progbits,_ZL32rocblas_gemvt_warp_reduce_kernelILb1ELi1024ElPK16rocblas_bfloat16PKfKPfEviiT3_lPKT2_lT1_lSA_lSB_lS7_lPT4_lSB_li,comdat
.Lfunc_end693:
	.size	_ZL32rocblas_gemvt_warp_reduce_kernelILb1ELi1024ElPK16rocblas_bfloat16PKfKPfEviiT3_lPKT2_lT1_lSA_lSB_lS7_lPT4_lSB_li, .Lfunc_end693-_ZL32rocblas_gemvt_warp_reduce_kernelILb1ELi1024ElPK16rocblas_bfloat16PKfKPfEviiT3_lPKT2_lT1_lSA_lSB_lS7_lPT4_lSB_li
                                        ; -- End function
	.section	.AMDGPU.csdata,"",@progbits
; Kernel info:
; codeLenInByte = 1836
; NumSgprs: 33
; NumVgprs: 12
; ScratchSize: 0
; MemoryBound: 0
; FloatMode: 240
; IeeeMode: 1
; LDSByteSize: 128 bytes/workgroup (compile time only)
; SGPRBlocks: 4
; VGPRBlocks: 1
; NumSGPRsForWavesPerEU: 33
; NumVGPRsForWavesPerEU: 12
; Occupancy: 16
; WaveLimiterHint : 1
; COMPUTE_PGM_RSRC2:SCRATCH_EN: 0
; COMPUTE_PGM_RSRC2:USER_SGPR: 14
; COMPUTE_PGM_RSRC2:TRAP_HANDLER: 0
; COMPUTE_PGM_RSRC2:TGID_X_EN: 1
; COMPUTE_PGM_RSRC2:TGID_Y_EN: 0
; COMPUTE_PGM_RSRC2:TGID_Z_EN: 1
; COMPUTE_PGM_RSRC2:TIDIG_COMP_CNT: 0
	.section	.text._ZL32rocblas_gemvt_warp_reduce_kernelILb1ELi1024EiPK16rocblas_bfloat16fKPfEviiT3_lPKT2_lT1_lS8_lS9_lS5_lPT4_lS9_li,"axG",@progbits,_ZL32rocblas_gemvt_warp_reduce_kernelILb1ELi1024EiPK16rocblas_bfloat16fKPfEviiT3_lPKT2_lT1_lS8_lS9_lS5_lPT4_lS9_li,comdat
	.globl	_ZL32rocblas_gemvt_warp_reduce_kernelILb1ELi1024EiPK16rocblas_bfloat16fKPfEviiT3_lPKT2_lT1_lS8_lS9_lS5_lPT4_lS9_li ; -- Begin function _ZL32rocblas_gemvt_warp_reduce_kernelILb1ELi1024EiPK16rocblas_bfloat16fKPfEviiT3_lPKT2_lT1_lS8_lS9_lS5_lPT4_lS9_li
	.p2align	8
	.type	_ZL32rocblas_gemvt_warp_reduce_kernelILb1ELi1024EiPK16rocblas_bfloat16fKPfEviiT3_lPKT2_lT1_lS8_lS9_lS5_lPT4_lS9_li,@function
_ZL32rocblas_gemvt_warp_reduce_kernelILb1ELi1024EiPK16rocblas_bfloat16fKPfEviiT3_lPKT2_lT1_lS8_lS9_lS5_lPT4_lS9_li: ; @_ZL32rocblas_gemvt_warp_reduce_kernelILb1ELi1024EiPK16rocblas_bfloat16fKPfEviiT3_lPKT2_lT1_lS8_lS9_lS5_lPT4_lS9_li
; %bb.0:
	s_clause 0x1
	s_load_b32 s11, s[0:1], 0x8
	s_load_b32 s10, s[0:1], 0x58
	s_waitcnt lgkmcnt(0)
	v_cmp_eq_f32_e64 s8, s11, 0
	v_cmp_eq_f32_e64 s3, s10, 1.0
	s_delay_alu instid0(VALU_DEP_1) | instskip(NEXT) | instid1(SALU_CYCLE_1)
	s_and_b32 s3, s8, s3
	s_and_b32 vcc_lo, exec_lo, s3
	s_cbranch_vccnz .LBB694_44
; %bb.1:
	v_cmp_neq_f32_e64 s4, s11, 0
	s_mov_b32 s2, s15
	s_delay_alu instid0(VALU_DEP_1)
	s_and_b32 vcc_lo, exec_lo, s4
	s_cbranch_vccnz .LBB694_3
; %bb.2:
	s_mov_b32 s3, 0
	s_mov_b64 s[6:7], 0
	s_cbranch_execz .LBB694_4
	s_branch .LBB694_5
.LBB694_3:
	s_mov_b32 s3, -1
                                        ; implicit-def: $sgpr6_sgpr7
.LBB694_4:
	s_load_b128 s[16:19], s[0:1], 0x18
	s_mov_b32 s3, 0
	s_delay_alu instid0(SALU_CYCLE_1)
	s_lshl_b64 s[6:7], s[2:3], 3
	s_waitcnt lgkmcnt(0)
	s_add_u32 s6, s16, s6
	s_addc_u32 s7, s17, s7
	s_lshl_b64 s[12:13], s[18:19], 1
	s_load_b64 s[6:7], s[6:7], 0x0
	s_waitcnt lgkmcnt(0)
	s_add_u32 s6, s6, s12
	s_addc_u32 s7, s7, s13
.LBB694_5:
	s_and_not1_b32 vcc_lo, exec_lo, s4
	s_cbranch_vccnz .LBB694_7
; %bb.6:
	s_load_b128 s[16:19], s[0:1], 0x38
	s_lshl_b64 s[4:5], s[2:3], 3
	s_waitcnt lgkmcnt(0)
	s_add_u32 s4, s16, s4
	s_addc_u32 s5, s17, s5
	s_lshl_b64 s[12:13], s[18:19], 1
	s_load_b64 s[4:5], s[4:5], 0x0
	s_waitcnt lgkmcnt(0)
	s_add_u32 s4, s4, s12
	s_addc_u32 s5, s5, s13
	s_branch .LBB694_8
.LBB694_7:
	s_mov_b64 s[4:5], 0
.LBB694_8:
	s_clause 0x1
	s_load_b128 s[16:19], s[0:1], 0x68
	s_load_b32 s15, s[0:1], 0x78
	s_lshl_b64 s[2:3], s[2:3], 3
	s_waitcnt lgkmcnt(0)
	s_add_u32 s2, s16, s2
	s_addc_u32 s3, s17, s3
	s_lshl_b64 s[16:17], s[18:19], 2
	s_load_b64 s[12:13], s[2:3], 0x0
	v_cmp_eq_u32_e64 s2, 0, v0
	s_waitcnt lgkmcnt(0)
	s_add_u32 s12, s12, s16
	s_addc_u32 s13, s13, s17
	s_and_not1_b32 vcc_lo, exec_lo, s8
	s_cbranch_vccnz .LBB694_13
; %bb.9:
	s_mov_b32 s3, 0
	s_mov_b32 s16, 0
                                        ; implicit-def: $vgpr1
                                        ; implicit-def: $sgpr8_sgpr9
	s_and_saveexec_b32 s17, s2
	s_cbranch_execz .LBB694_14
; %bb.10:
	v_cmp_eq_f32_e64 s2, s10, 0
	v_mov_b32_e32 v1, 0
	s_mul_i32 s8, s14, s15
	s_delay_alu instid0(SALU_CYCLE_1) | instskip(NEXT) | instid1(VALU_DEP_2)
	s_ashr_i32 s9, s8, 31
	s_and_b32 vcc_lo, exec_lo, s2
	s_cbranch_vccnz .LBB694_12
; %bb.11:
	s_lshl_b64 s[18:19], s[8:9], 2
	s_delay_alu instid0(SALU_CYCLE_1)
	s_add_u32 s18, s12, s18
	s_addc_u32 s19, s13, s19
	s_load_b32 s2, s[18:19], 0x0
	s_waitcnt lgkmcnt(0)
	v_mul_f32_e64 v1, s2, s10
.LBB694_12:
	s_mov_b32 s16, exec_lo
	s_or_b32 exec_lo, exec_lo, s17
	s_delay_alu instid0(SALU_CYCLE_1)
	s_and_b32 vcc_lo, exec_lo, s3
	s_cbranch_vccnz .LBB694_15
	s_branch .LBB694_42
.LBB694_13:
	s_mov_b32 s16, 0
                                        ; implicit-def: $vgpr1
                                        ; implicit-def: $sgpr8_sgpr9
	s_cbranch_execnz .LBB694_15
	s_branch .LBB694_42
.LBB694_14:
	s_or_b32 exec_lo, exec_lo, s17
	s_delay_alu instid0(SALU_CYCLE_1)
	s_and_b32 vcc_lo, exec_lo, s3
	s_cbranch_vccz .LBB694_42
.LBB694_15:
	s_clause 0x2
	s_load_b32 s2, s[0:1], 0x28
	s_load_b32 s3, s[0:1], 0x0
	;; [unrolled: 1-line block ×3, first 2 shown]
	v_mov_b32_e32 v7, 0
	s_waitcnt lgkmcnt(0)
	s_mul_i32 s8, s14, s2
	v_cmp_gt_i32_e32 vcc_lo, s3, v0
	s_ashr_i32 s9, s8, 31
	s_delay_alu instid0(SALU_CYCLE_1)
	s_lshl_b64 s[8:9], s[8:9], 1
	v_cndmask_b32_e32 v1, 0, v0, vcc_lo
	s_add_u32 s0, s8, s6
	s_addc_u32 s6, s9, s7
	s_ashr_i32 s2, s3, 31
	s_mov_b32 s7, 0
	v_lshlrev_b32_e32 v1, 1, v1
	s_lshr_b32 s2, s2, 22
	s_delay_alu instid0(SALU_CYCLE_1) | instskip(NEXT) | instid1(SALU_CYCLE_1)
	s_add_i32 s2, s3, s2
	s_and_b32 s2, s2, 0xfffffc00
	s_delay_alu instid0(VALU_DEP_1) | instskip(NEXT) | instid1(VALU_DEP_1)
	v_add_co_u32 v1, s0, s0, v1
	v_add_co_ci_u32_e64 v2, null, s6, 0, s0
	s_mov_b32 s6, exec_lo
	v_cmpx_gt_i32_e64 s2, v0
	s_cbranch_execz .LBB694_23
; %bb.16:
	v_mul_lo_u32 v3, v0, s1
	v_dual_mov_b32 v7, 0 :: v_dual_mov_b32 v6, v2
	v_dual_mov_b32 v5, v1 :: v_dual_mov_b32 v8, v0
	s_lshl_b32 s8, s1, 10
	s_branch .LBB694_18
.LBB694_17:                             ;   in Loop: Header=BB694_18 Depth=1
	s_or_b32 exec_lo, exec_lo, s0
	v_add_nc_u32_e32 v8, 0x400, v8
	s_delay_alu instid0(VALU_DEP_2) | instskip(SKIP_2) | instid1(VALU_DEP_4)
	v_and_b32_e32 v4, 0xffff0000, v9
	v_add_co_u32 v5, s0, 0x800, v5
	v_add_nc_u32_e32 v3, s8, v3
	v_cmp_le_i32_e32 vcc_lo, s2, v8
	s_delay_alu instid0(VALU_DEP_4) | instskip(SKIP_2) | instid1(SALU_CYCLE_1)
	v_add_f32_e32 v7, v7, v4
	v_add_co_ci_u32_e64 v6, s0, 0, v6, s0
	s_or_b32 s7, vcc_lo, s7
	s_and_not1_b32 exec_lo, exec_lo, s7
	s_cbranch_execz .LBB694_22
.LBB694_18:                             ; =>This Inner Loop Header: Depth=1
	s_delay_alu instid0(VALU_DEP_3) | instskip(NEXT) | instid1(VALU_DEP_1)
	v_ashrrev_i32_e32 v4, 31, v3
	v_lshlrev_b64 v[9:10], 1, v[3:4]
	s_delay_alu instid0(VALU_DEP_1) | instskip(NEXT) | instid1(VALU_DEP_2)
	v_add_co_u32 v9, vcc_lo, s4, v9
	v_add_co_ci_u32_e32 v10, vcc_lo, s5, v10, vcc_lo
	flat_load_u16 v4, v[5:6]
	flat_load_u16 v9, v[9:10]
	s_waitcnt vmcnt(1) lgkmcnt(1)
	v_lshlrev_b32_e32 v4, 16, v4
	s_waitcnt vmcnt(0) lgkmcnt(0)
	v_lshlrev_b32_e32 v9, 16, v9
	s_delay_alu instid0(VALU_DEP_1) | instskip(NEXT) | instid1(VALU_DEP_1)
	v_mul_f32_e32 v4, v4, v9
	v_and_b32_e32 v9, 0x7f800000, v4
	s_delay_alu instid0(VALU_DEP_1) | instskip(SKIP_1) | instid1(SALU_CYCLE_1)
	v_cmp_ne_u32_e32 vcc_lo, 0x7f800000, v9
                                        ; implicit-def: $vgpr9
	s_and_saveexec_b32 s0, vcc_lo
	s_xor_b32 s0, exec_lo, s0
; %bb.19:                               ;   in Loop: Header=BB694_18 Depth=1
	v_bfe_u32 v9, v4, 16, 1
	s_delay_alu instid0(VALU_DEP_1)
	v_add3_u32 v9, v4, v9, 0x7fff
                                        ; implicit-def: $vgpr4
; %bb.20:                               ;   in Loop: Header=BB694_18 Depth=1
	s_and_not1_saveexec_b32 s0, s0
	s_cbranch_execz .LBB694_17
; %bb.21:                               ;   in Loop: Header=BB694_18 Depth=1
	v_and_b32_e32 v9, 0xffff, v4
	v_or_b32_e32 v10, 0x10000, v4
	s_delay_alu instid0(VALU_DEP_2) | instskip(NEXT) | instid1(VALU_DEP_2)
	v_cmp_eq_u32_e32 vcc_lo, 0, v9
	v_cndmask_b32_e32 v9, v10, v4, vcc_lo
	s_branch .LBB694_17
.LBB694_22:
	s_or_b32 exec_lo, exec_lo, s7
.LBB694_23:
	s_delay_alu instid0(SALU_CYCLE_1) | instskip(SKIP_2) | instid1(VALU_DEP_1)
	s_or_b32 exec_lo, exec_lo, s6
	v_or_b32_e32 v3, s2, v0
	s_mov_b32 s0, exec_lo
	v_cmpx_gt_i32_e64 s3, v3
	s_cbranch_execz .LBB694_29
; %bb.24:
	v_mul_lo_u32 v3, v3, s1
	s_ashr_i32 s3, s2, 31
	s_delay_alu instid0(SALU_CYCLE_1) | instskip(NEXT) | instid1(VALU_DEP_1)
	s_lshl_b64 s[2:3], s[2:3], 1
	v_ashrrev_i32_e32 v4, 31, v3
	s_delay_alu instid0(VALU_DEP_1) | instskip(NEXT) | instid1(VALU_DEP_1)
	v_lshlrev_b64 v[3:4], 1, v[3:4]
	v_add_co_u32 v3, vcc_lo, s4, v3
	s_delay_alu instid0(VALU_DEP_2)
	v_add_co_ci_u32_e32 v4, vcc_lo, s5, v4, vcc_lo
	v_add_co_u32 v1, vcc_lo, v1, s2
	v_add_co_ci_u32_e32 v2, vcc_lo, s3, v2, vcc_lo
	flat_load_u16 v3, v[3:4]
	flat_load_u16 v1, v[1:2]
	s_waitcnt vmcnt(1) lgkmcnt(1)
	v_lshlrev_b32_e32 v2, 16, v3
	s_waitcnt vmcnt(0) lgkmcnt(0)
	v_lshlrev_b32_e32 v1, 16, v1
	s_delay_alu instid0(VALU_DEP_1) | instskip(NEXT) | instid1(VALU_DEP_1)
	v_mul_f32_e32 v1, v1, v2
	v_and_b32_e32 v2, 0x7f800000, v1
	s_delay_alu instid0(VALU_DEP_1) | instskip(SKIP_1) | instid1(SALU_CYCLE_1)
	v_cmp_ne_u32_e32 vcc_lo, 0x7f800000, v2
                                        ; implicit-def: $vgpr2
	s_and_saveexec_b32 s1, vcc_lo
	s_xor_b32 s1, exec_lo, s1
; %bb.25:
	v_bfe_u32 v2, v1, 16, 1
	s_delay_alu instid0(VALU_DEP_1)
	v_add3_u32 v2, v1, v2, 0x7fff
                                        ; implicit-def: $vgpr1
; %bb.26:
	s_and_not1_saveexec_b32 s1, s1
; %bb.27:
	v_and_b32_e32 v2, 0xffff, v1
	v_or_b32_e32 v3, 0x10000, v1
	s_delay_alu instid0(VALU_DEP_2) | instskip(NEXT) | instid1(VALU_DEP_2)
	v_cmp_eq_u32_e32 vcc_lo, 0, v2
	v_cndmask_b32_e32 v2, v3, v1, vcc_lo
; %bb.28:
	s_or_b32 exec_lo, exec_lo, s1
	s_delay_alu instid0(VALU_DEP_1) | instskip(NEXT) | instid1(VALU_DEP_1)
	v_and_b32_e32 v1, 0xffff0000, v2
	v_add_f32_e32 v7, v7, v1
.LBB694_29:
	s_or_b32 exec_lo, exec_lo, s0
	v_and_b32_e32 v6, 31, v0
	v_cmp_gt_u32_e32 vcc_lo, 32, v0
	s_delay_alu instid0(VALU_DEP_2)
	v_lshlrev_b32_e32 v1, 2, v6
	s_and_saveexec_b32 s0, vcc_lo
	s_cbranch_execz .LBB694_31
; %bb.30:
	v_mov_b32_e32 v2, 0
	ds_store_b32 v1, v2
.LBB694_31:
	s_or_b32 exec_lo, exec_lo, s0
	v_mbcnt_lo_u32_b32 v8, -1, 0
	s_mov_b32 s1, exec_lo
	s_waitcnt lgkmcnt(0)
	s_barrier
	buffer_gl0_inv
	v_cmp_gt_u32_e64 s0, 16, v8
	s_delay_alu instid0(VALU_DEP_1) | instskip(SKIP_1) | instid1(VALU_DEP_2)
	v_cndmask_b32_e64 v2, 0, 1, s0
	v_cmp_gt_u32_e64 s0, 24, v8
	v_lshlrev_b32_e32 v2, 4, v2
	s_delay_alu instid0(VALU_DEP_2) | instskip(SKIP_1) | instid1(VALU_DEP_3)
	v_cndmask_b32_e64 v3, 0, 1, s0
	v_cmp_gt_u32_e64 s0, 28, v8
	v_add_lshl_u32 v2, v2, v8, 2
	s_delay_alu instid0(VALU_DEP_3)
	v_lshlrev_b32_e32 v3, 3, v3
	ds_bpermute_b32 v4, v2, v7
	v_add_lshl_u32 v3, v3, v8, 2
	s_waitcnt lgkmcnt(0)
	v_add_f32_e32 v5, v7, v4
	v_cndmask_b32_e64 v4, 0, 1, s0
	v_cmp_gt_u32_e64 s0, 30, v8
	ds_bpermute_b32 v7, v3, v5
	s_waitcnt lgkmcnt(0)
	v_dual_add_f32 v7, v5, v7 :: v_dual_lshlrev_b32 v4, 2, v4
	s_delay_alu instid0(VALU_DEP_1)
	v_add_lshl_u32 v4, v4, v8, 2
	v_cndmask_b32_e64 v5, 0, 1, s0
	v_cmp_ne_u32_e64 s0, 31, v8
	ds_bpermute_b32 v9, v4, v7
	v_lshlrev_b32_e32 v5, 1, v5
	v_add_co_ci_u32_e64 v10, s0, 0, v8, s0
	s_delay_alu instid0(VALU_DEP_2)
	v_add_lshl_u32 v5, v5, v8, 2
	s_waitcnt lgkmcnt(0)
	v_add_f32_e32 v7, v7, v9
	ds_bpermute_b32 v9, v5, v7
	s_waitcnt lgkmcnt(0)
	v_dual_add_f32 v8, v7, v9 :: v_dual_lshlrev_b32 v7, 2, v10
	ds_bpermute_b32 v9, v7, v8
	v_cmpx_eq_u32_e32 0, v6
	s_cbranch_execz .LBB694_33
; %bb.32:
	v_lshrrev_b32_e32 v6, 3, v0
	s_waitcnt lgkmcnt(0)
	v_add_f32_e32 v8, v8, v9
	s_delay_alu instid0(VALU_DEP_2)
	v_and_b32_e32 v6, 0x7c, v6
	ds_store_b32 v6, v8
.LBB694_33:
	s_or_b32 exec_lo, exec_lo, s1
	v_mov_b32_e32 v6, 0
	s_waitcnt lgkmcnt(0)
	s_barrier
	buffer_gl0_inv
	s_and_saveexec_b32 s0, vcc_lo
	s_cbranch_execz .LBB694_35
; %bb.34:
	ds_load_b32 v6, v1
.LBB694_35:
	s_or_b32 exec_lo, exec_lo, s0
	s_and_saveexec_b32 s0, vcc_lo
	s_cbranch_execz .LBB694_37
; %bb.36:
	s_waitcnt lgkmcnt(0)
	ds_bpermute_b32 v1, v2, v6
	s_waitcnt lgkmcnt(0)
	v_add_f32_e32 v1, v6, v1
	ds_bpermute_b32 v2, v3, v1
	s_waitcnt lgkmcnt(0)
	v_add_f32_e32 v1, v1, v2
	;; [unrolled: 3-line block ×5, first 2 shown]
.LBB694_37:
	s_or_b32 exec_lo, exec_lo, s0
	s_delay_alu instid0(SALU_CYCLE_1)
	s_mov_b32 s0, exec_lo
                                        ; implicit-def: $vgpr1
                                        ; implicit-def: $sgpr8_sgpr9
	v_cmpx_eq_u32_e32 0, v0
	s_cbranch_execz .LBB694_41
; %bb.38:
	v_cmp_eq_f32_e64 s1, s10, 0
	s_waitcnt lgkmcnt(0)
	v_mul_f32_e32 v1, s11, v6
	s_mul_i32 s8, s14, s15
	s_delay_alu instid0(SALU_CYCLE_1)
	s_ashr_i32 s9, s8, 31
	s_and_b32 vcc_lo, exec_lo, s1
	s_cbranch_vccnz .LBB694_40
; %bb.39:
	s_lshl_b64 s[2:3], s[8:9], 2
	s_delay_alu instid0(SALU_CYCLE_1)
	s_add_u32 s2, s12, s2
	s_addc_u32 s3, s13, s3
	s_load_b32 s1, s[2:3], 0x0
	s_waitcnt lgkmcnt(0)
	v_fmac_f32_e64 v1, s1, s10
.LBB694_40:
	s_or_b32 s16, s16, exec_lo
.LBB694_41:
	s_or_b32 exec_lo, exec_lo, s0
.LBB694_42:
	s_and_saveexec_b32 s0, s16
	s_cbranch_execz .LBB694_44
; %bb.43:
	s_lshl_b64 s[0:1], s[8:9], 2
	v_mov_b32_e32 v0, 0
	s_add_u32 s0, s12, s0
	s_addc_u32 s1, s13, s1
	global_store_b32 v0, v1, s[0:1]
.LBB694_44:
	s_nop 0
	s_sendmsg sendmsg(MSG_DEALLOC_VGPRS)
	s_endpgm
	.section	.rodata,"a",@progbits
	.p2align	6, 0x0
	.amdhsa_kernel _ZL32rocblas_gemvt_warp_reduce_kernelILb1ELi1024EiPK16rocblas_bfloat16fKPfEviiT3_lPKT2_lT1_lS8_lS9_lS5_lPT4_lS9_li
		.amdhsa_group_segment_fixed_size 128
		.amdhsa_private_segment_fixed_size 0
		.amdhsa_kernarg_size 140
		.amdhsa_user_sgpr_count 14
		.amdhsa_user_sgpr_dispatch_ptr 0
		.amdhsa_user_sgpr_queue_ptr 0
		.amdhsa_user_sgpr_kernarg_segment_ptr 1
		.amdhsa_user_sgpr_dispatch_id 0
		.amdhsa_user_sgpr_private_segment_size 0
		.amdhsa_wavefront_size32 1
		.amdhsa_uses_dynamic_stack 0
		.amdhsa_enable_private_segment 0
		.amdhsa_system_sgpr_workgroup_id_x 1
		.amdhsa_system_sgpr_workgroup_id_y 0
		.amdhsa_system_sgpr_workgroup_id_z 1
		.amdhsa_system_sgpr_workgroup_info 0
		.amdhsa_system_vgpr_workitem_id 0
		.amdhsa_next_free_vgpr 11
		.amdhsa_next_free_sgpr 20
		.amdhsa_reserve_vcc 1
		.amdhsa_float_round_mode_32 0
		.amdhsa_float_round_mode_16_64 0
		.amdhsa_float_denorm_mode_32 3
		.amdhsa_float_denorm_mode_16_64 3
		.amdhsa_dx10_clamp 1
		.amdhsa_ieee_mode 1
		.amdhsa_fp16_overflow 0
		.amdhsa_workgroup_processor_mode 1
		.amdhsa_memory_ordered 1
		.amdhsa_forward_progress 0
		.amdhsa_shared_vgpr_count 0
		.amdhsa_exception_fp_ieee_invalid_op 0
		.amdhsa_exception_fp_denorm_src 0
		.amdhsa_exception_fp_ieee_div_zero 0
		.amdhsa_exception_fp_ieee_overflow 0
		.amdhsa_exception_fp_ieee_underflow 0
		.amdhsa_exception_fp_ieee_inexact 0
		.amdhsa_exception_int_div_zero 0
	.end_amdhsa_kernel
	.section	.text._ZL32rocblas_gemvt_warp_reduce_kernelILb1ELi1024EiPK16rocblas_bfloat16fKPfEviiT3_lPKT2_lT1_lS8_lS9_lS5_lPT4_lS9_li,"axG",@progbits,_ZL32rocblas_gemvt_warp_reduce_kernelILb1ELi1024EiPK16rocblas_bfloat16fKPfEviiT3_lPKT2_lT1_lS8_lS9_lS5_lPT4_lS9_li,comdat
.Lfunc_end694:
	.size	_ZL32rocblas_gemvt_warp_reduce_kernelILb1ELi1024EiPK16rocblas_bfloat16fKPfEviiT3_lPKT2_lT1_lS8_lS9_lS5_lPT4_lS9_li, .Lfunc_end694-_ZL32rocblas_gemvt_warp_reduce_kernelILb1ELi1024EiPK16rocblas_bfloat16fKPfEviiT3_lPKT2_lT1_lS8_lS9_lS5_lPT4_lS9_li
                                        ; -- End function
	.section	.AMDGPU.csdata,"",@progbits
; Kernel info:
; codeLenInByte = 1692
; NumSgprs: 22
; NumVgprs: 11
; ScratchSize: 0
; MemoryBound: 0
; FloatMode: 240
; IeeeMode: 1
; LDSByteSize: 128 bytes/workgroup (compile time only)
; SGPRBlocks: 2
; VGPRBlocks: 1
; NumSGPRsForWavesPerEU: 22
; NumVGPRsForWavesPerEU: 11
; Occupancy: 16
; WaveLimiterHint : 1
; COMPUTE_PGM_RSRC2:SCRATCH_EN: 0
; COMPUTE_PGM_RSRC2:USER_SGPR: 14
; COMPUTE_PGM_RSRC2:TRAP_HANDLER: 0
; COMPUTE_PGM_RSRC2:TGID_X_EN: 1
; COMPUTE_PGM_RSRC2:TGID_Y_EN: 0
; COMPUTE_PGM_RSRC2:TGID_Z_EN: 1
; COMPUTE_PGM_RSRC2:TIDIG_COMP_CNT: 0
	.section	.text._ZL32rocblas_gemvt_warp_reduce_kernelILb1ELi1024ElPK16rocblas_bfloat16fKPfEviiT3_lPKT2_lT1_lS8_lS9_lS5_lPT4_lS9_li,"axG",@progbits,_ZL32rocblas_gemvt_warp_reduce_kernelILb1ELi1024ElPK16rocblas_bfloat16fKPfEviiT3_lPKT2_lT1_lS8_lS9_lS5_lPT4_lS9_li,comdat
	.globl	_ZL32rocblas_gemvt_warp_reduce_kernelILb1ELi1024ElPK16rocblas_bfloat16fKPfEviiT3_lPKT2_lT1_lS8_lS9_lS5_lPT4_lS9_li ; -- Begin function _ZL32rocblas_gemvt_warp_reduce_kernelILb1ELi1024ElPK16rocblas_bfloat16fKPfEviiT3_lPKT2_lT1_lS8_lS9_lS5_lPT4_lS9_li
	.p2align	8
	.type	_ZL32rocblas_gemvt_warp_reduce_kernelILb1ELi1024ElPK16rocblas_bfloat16fKPfEviiT3_lPKT2_lT1_lS8_lS9_lS5_lPT4_lS9_li,@function
_ZL32rocblas_gemvt_warp_reduce_kernelILb1ELi1024ElPK16rocblas_bfloat16fKPfEviiT3_lPKT2_lT1_lS8_lS9_lS5_lPT4_lS9_li: ; @_ZL32rocblas_gemvt_warp_reduce_kernelILb1ELi1024ElPK16rocblas_bfloat16fKPfEviiT3_lPKT2_lT1_lS8_lS9_lS5_lPT4_lS9_li
; %bb.0:
	s_mov_b32 s2, s15
	s_clause 0x1
	s_load_b32 s18, s[0:1], 0x8
	s_load_b32 s15, s[0:1], 0x58
	s_waitcnt lgkmcnt(0)
	v_cmp_eq_f32_e64 s16, s18, 0
	v_cmp_eq_f32_e64 s3, s15, 1.0
	s_delay_alu instid0(VALU_DEP_1) | instskip(NEXT) | instid1(SALU_CYCLE_1)
	s_and_b32 s3, s16, s3
	s_and_b32 vcc_lo, exec_lo, s3
	s_cbranch_vccnz .LBB695_44
; %bb.1:
	s_clause 0x1
	s_load_b128 s[4:7], s[0:1], 0x18
	s_load_b64 s[10:11], s[0:1], 0x28
	v_cmp_neq_f32_e64 s17, s18, 0
	s_delay_alu instid0(VALU_DEP_1)
	s_and_b32 vcc_lo, exec_lo, s17
	s_cbranch_vccnz .LBB695_3
; %bb.2:
	s_mov_b32 s3, 0
	s_mov_b64 s[12:13], 0
	s_cbranch_execz .LBB695_4
	s_branch .LBB695_5
.LBB695_3:
	s_mov_b32 s3, -1
                                        ; implicit-def: $sgpr12_sgpr13
.LBB695_4:
	s_mov_b32 s3, 0
	s_delay_alu instid0(SALU_CYCLE_1)
	s_lshl_b64 s[8:9], s[2:3], 3
	s_waitcnt lgkmcnt(0)
	s_add_u32 s4, s4, s8
	s_addc_u32 s5, s5, s9
	s_lshl_b64 s[6:7], s[6:7], 1
	s_load_b64 s[4:5], s[4:5], 0x0
	s_waitcnt lgkmcnt(0)
	s_add_u32 s12, s4, s6
	s_addc_u32 s13, s5, s7
.LBB695_5:
	s_waitcnt lgkmcnt(0)
	s_clause 0x1
	s_load_b128 s[4:7], s[0:1], 0x38
	s_load_b64 s[8:9], s[0:1], 0x48
	s_and_not1_b32 vcc_lo, exec_lo, s17
	s_cbranch_vccnz .LBB695_7
; %bb.6:
	s_lshl_b64 s[20:21], s[2:3], 3
	s_waitcnt lgkmcnt(0)
	s_add_u32 s4, s4, s20
	s_addc_u32 s5, s5, s21
	s_lshl_b64 s[6:7], s[6:7], 1
	s_load_b64 s[4:5], s[4:5], 0x0
	s_waitcnt lgkmcnt(0)
	s_add_u32 s6, s4, s6
	s_addc_u32 s7, s5, s7
	s_branch .LBB695_8
.LBB695_7:
	s_waitcnt lgkmcnt(0)
	s_mov_b64 s[6:7], 0
.LBB695_8:
	s_clause 0x1
	s_load_b128 s[20:23], s[0:1], 0x68
	s_load_b64 s[4:5], s[0:1], 0x78
	s_lshl_b64 s[2:3], s[2:3], 3
	s_waitcnt lgkmcnt(0)
	s_add_u32 s2, s20, s2
	s_addc_u32 s3, s21, s3
	s_lshl_b64 s[22:23], s[22:23], 2
	s_load_b64 s[20:21], s[2:3], 0x0
	v_cmp_eq_u32_e64 s2, 0, v0
	s_waitcnt lgkmcnt(0)
	s_add_u32 s19, s20, s22
	s_addc_u32 s20, s21, s23
	s_and_not1_b32 vcc_lo, exec_lo, s16
	s_cbranch_vccnz .LBB695_13
; %bb.9:
	s_mov_b32 s3, 0
	s_mov_b32 s21, 0
                                        ; implicit-def: $vgpr1
                                        ; implicit-def: $sgpr16_sgpr17
	s_and_saveexec_b32 s22, s2
	s_cbranch_execz .LBB695_14
; %bb.10:
	v_cmp_eq_f32_e64 s2, s15, 0
	s_mul_i32 s16, s14, s5
	s_mul_hi_u32 s17, s14, s4
	s_ashr_i32 s21, s14, 31
	v_mov_b32_e32 v1, 0
	s_add_i32 s16, s17, s16
	s_mul_i32 s21, s21, s4
	s_and_b32 vcc_lo, exec_lo, s2
	s_add_i32 s17, s16, s21
	s_mul_i32 s16, s14, s4
	s_cbranch_vccnz .LBB695_12
; %bb.11:
	s_lshl_b64 s[24:25], s[16:17], 2
	s_delay_alu instid0(SALU_CYCLE_1)
	s_add_u32 s24, s19, s24
	s_addc_u32 s25, s20, s25
	s_load_b32 s2, s[24:25], 0x0
	s_waitcnt lgkmcnt(0)
	v_mul_f32_e64 v1, s2, s15
.LBB695_12:
	s_mov_b32 s21, exec_lo
	s_or_b32 exec_lo, exec_lo, s22
	s_delay_alu instid0(SALU_CYCLE_1)
	s_and_b32 vcc_lo, exec_lo, s3
	s_cbranch_vccnz .LBB695_15
	s_branch .LBB695_42
.LBB695_13:
	s_mov_b32 s21, 0
                                        ; implicit-def: $vgpr1
                                        ; implicit-def: $sgpr16_sgpr17
	s_cbranch_execnz .LBB695_15
	s_branch .LBB695_42
.LBB695_14:
	s_or_b32 exec_lo, exec_lo, s22
	s_delay_alu instid0(SALU_CYCLE_1)
	s_and_b32 vcc_lo, exec_lo, s3
	s_cbranch_vccz .LBB695_42
.LBB695_15:
	s_load_b32 s3, s[0:1], 0x0
	s_mul_i32 s0, s14, s11
	s_mul_hi_u32 s2, s14, s10
	s_ashr_i32 s1, s14, 31
	s_add_i32 s0, s2, s0
	s_mul_i32 s2, s1, s10
	s_mul_i32 s10, s14, s10
	s_add_i32 s11, s0, s2
	v_mov_b32_e32 v7, 0
	s_lshl_b64 s[10:11], s[10:11], 1
	s_delay_alu instid0(SALU_CYCLE_1)
	s_add_u32 s0, s10, s12
	s_addc_u32 s10, s11, s13
	s_mov_b32 s13, 0
	s_mov_b32 s12, exec_lo
	s_waitcnt lgkmcnt(0)
	v_cmp_gt_i32_e32 vcc_lo, s3, v0
	s_ashr_i32 s2, s3, 31
	s_delay_alu instid0(SALU_CYCLE_1) | instskip(NEXT) | instid1(SALU_CYCLE_1)
	s_lshr_b32 s2, s2, 22
	s_add_i32 s2, s3, s2
	v_cndmask_b32_e32 v1, 0, v0, vcc_lo
	s_and_b32 s2, s2, 0xfffffc00
	s_delay_alu instid0(VALU_DEP_1) | instskip(NEXT) | instid1(VALU_DEP_1)
	v_lshlrev_b32_e32 v1, 1, v1
	v_add_co_u32 v1, s0, s0, v1
	s_delay_alu instid0(VALU_DEP_1)
	v_add_co_ci_u32_e64 v2, null, s10, 0, s0
	v_cmpx_gt_i32_e64 s2, v0
	s_cbranch_execz .LBB695_23
; %bb.16:
	v_mad_u64_u32 v[3:4], null, s8, v0, 0
	v_mov_b32_e32 v8, v0
	s_lshl_b64 s[10:11], s[8:9], 11
	v_mov_b32_e32 v7, 0
	s_delay_alu instid0(VALU_DEP_3) | instskip(NEXT) | instid1(VALU_DEP_1)
	v_mad_u64_u32 v[5:6], null, s9, v0, v[4:5]
	v_mov_b32_e32 v4, v5
	s_delay_alu instid0(VALU_DEP_1) | instskip(SKIP_1) | instid1(VALU_DEP_2)
	v_lshlrev_b64 v[5:6], 1, v[3:4]
	v_dual_mov_b32 v4, v2 :: v_dual_mov_b32 v3, v1
	v_add_co_u32 v5, vcc_lo, s6, v5
	s_delay_alu instid0(VALU_DEP_3)
	v_add_co_ci_u32_e32 v6, vcc_lo, s7, v6, vcc_lo
	s_set_inst_prefetch_distance 0x1
	s_branch .LBB695_18
	.p2align	6
.LBB695_17:                             ;   in Loop: Header=BB695_18 Depth=1
	s_or_b32 exec_lo, exec_lo, s0
	s_delay_alu instid0(VALU_DEP_1) | instskip(SKIP_3) | instid1(VALU_DEP_4)
	v_and_b32_e32 v9, 0xffff0000, v10
	v_add_nc_u32_e32 v8, 0x400, v8
	v_add_co_u32 v3, vcc_lo, 0x800, v3
	v_add_co_ci_u32_e32 v4, vcc_lo, 0, v4, vcc_lo
	v_add_f32_e32 v7, v7, v9
	s_delay_alu instid0(VALU_DEP_4) | instskip(SKIP_1) | instid1(VALU_DEP_1)
	v_cmp_le_i32_e32 vcc_lo, s2, v8
	v_add_co_u32 v5, s0, v5, s10
	v_add_co_ci_u32_e64 v6, s0, s11, v6, s0
	s_or_b32 s13, vcc_lo, s13
	s_delay_alu instid0(SALU_CYCLE_1)
	s_and_not1_b32 exec_lo, exec_lo, s13
	s_cbranch_execz .LBB695_22
.LBB695_18:                             ; =>This Inner Loop Header: Depth=1
	flat_load_u16 v9, v[5:6]
	flat_load_u16 v10, v[3:4]
	s_waitcnt vmcnt(1) lgkmcnt(1)
	v_lshlrev_b32_e32 v9, 16, v9
	s_waitcnt vmcnt(0) lgkmcnt(0)
	v_lshlrev_b32_e32 v10, 16, v10
	s_delay_alu instid0(VALU_DEP_1) | instskip(NEXT) | instid1(VALU_DEP_1)
	v_mul_f32_e32 v9, v10, v9
	v_and_b32_e32 v10, 0x7f800000, v9
	s_delay_alu instid0(VALU_DEP_1) | instskip(SKIP_1) | instid1(SALU_CYCLE_1)
	v_cmp_ne_u32_e32 vcc_lo, 0x7f800000, v10
                                        ; implicit-def: $vgpr10
	s_and_saveexec_b32 s0, vcc_lo
	s_xor_b32 s0, exec_lo, s0
; %bb.19:                               ;   in Loop: Header=BB695_18 Depth=1
	v_bfe_u32 v10, v9, 16, 1
	s_delay_alu instid0(VALU_DEP_1)
	v_add3_u32 v10, v9, v10, 0x7fff
                                        ; implicit-def: $vgpr9
; %bb.20:                               ;   in Loop: Header=BB695_18 Depth=1
	s_and_not1_saveexec_b32 s0, s0
	s_cbranch_execz .LBB695_17
; %bb.21:                               ;   in Loop: Header=BB695_18 Depth=1
	v_and_b32_e32 v10, 0xffff, v9
	v_or_b32_e32 v11, 0x10000, v9
	s_delay_alu instid0(VALU_DEP_2) | instskip(NEXT) | instid1(VALU_DEP_2)
	v_cmp_eq_u32_e32 vcc_lo, 0, v10
	v_cndmask_b32_e32 v10, v11, v9, vcc_lo
	s_branch .LBB695_17
.LBB695_22:
	s_set_inst_prefetch_distance 0x2
	s_or_b32 exec_lo, exec_lo, s13
.LBB695_23:
	s_delay_alu instid0(SALU_CYCLE_1) | instskip(SKIP_2) | instid1(VALU_DEP_1)
	s_or_b32 exec_lo, exec_lo, s12
	v_or_b32_e32 v3, s2, v0
	s_mov_b32 s0, exec_lo
	v_cmpx_gt_i32_e64 s3, v3
	s_cbranch_execz .LBB695_29
; %bb.24:
	v_ashrrev_i32_e32 v6, 31, v3
	v_mul_lo_u32 v8, v3, s9
	v_mad_u64_u32 v[4:5], null, v3, s8, 0
	s_ashr_i32 s3, s2, 31
	s_delay_alu instid0(VALU_DEP_3) | instskip(SKIP_1) | instid1(VALU_DEP_1)
	v_mul_lo_u32 v3, v6, s8
	s_lshl_b64 s[2:3], s[2:3], 1
	v_add3_u32 v5, v5, v8, v3
	s_delay_alu instid0(VALU_DEP_1) | instskip(NEXT) | instid1(VALU_DEP_1)
	v_lshlrev_b64 v[3:4], 1, v[4:5]
	v_add_co_u32 v3, vcc_lo, s6, v3
	s_delay_alu instid0(VALU_DEP_2)
	v_add_co_ci_u32_e32 v4, vcc_lo, s7, v4, vcc_lo
	v_add_co_u32 v1, vcc_lo, v1, s2
	v_add_co_ci_u32_e32 v2, vcc_lo, s3, v2, vcc_lo
	flat_load_u16 v3, v[3:4]
	flat_load_u16 v1, v[1:2]
	s_waitcnt vmcnt(1) lgkmcnt(1)
	v_lshlrev_b32_e32 v2, 16, v3
	s_waitcnt vmcnt(0) lgkmcnt(0)
	v_lshlrev_b32_e32 v1, 16, v1
	s_delay_alu instid0(VALU_DEP_1) | instskip(NEXT) | instid1(VALU_DEP_1)
	v_mul_f32_e32 v1, v1, v2
	v_and_b32_e32 v2, 0x7f800000, v1
	s_delay_alu instid0(VALU_DEP_1) | instskip(SKIP_1) | instid1(SALU_CYCLE_1)
	v_cmp_ne_u32_e32 vcc_lo, 0x7f800000, v2
                                        ; implicit-def: $vgpr2
	s_and_saveexec_b32 s2, vcc_lo
	s_xor_b32 s2, exec_lo, s2
; %bb.25:
	v_bfe_u32 v2, v1, 16, 1
	s_delay_alu instid0(VALU_DEP_1)
	v_add3_u32 v2, v1, v2, 0x7fff
                                        ; implicit-def: $vgpr1
; %bb.26:
	s_and_not1_saveexec_b32 s2, s2
; %bb.27:
	v_and_b32_e32 v2, 0xffff, v1
	v_or_b32_e32 v3, 0x10000, v1
	s_delay_alu instid0(VALU_DEP_2) | instskip(NEXT) | instid1(VALU_DEP_2)
	v_cmp_eq_u32_e32 vcc_lo, 0, v2
	v_cndmask_b32_e32 v2, v3, v1, vcc_lo
; %bb.28:
	s_or_b32 exec_lo, exec_lo, s2
	s_delay_alu instid0(VALU_DEP_1) | instskip(NEXT) | instid1(VALU_DEP_1)
	v_and_b32_e32 v1, 0xffff0000, v2
	v_add_f32_e32 v7, v7, v1
.LBB695_29:
	s_or_b32 exec_lo, exec_lo, s0
	v_and_b32_e32 v6, 31, v0
	v_cmp_gt_u32_e32 vcc_lo, 32, v0
	s_delay_alu instid0(VALU_DEP_2)
	v_lshlrev_b32_e32 v1, 2, v6
	s_and_saveexec_b32 s0, vcc_lo
	s_cbranch_execz .LBB695_31
; %bb.30:
	v_mov_b32_e32 v2, 0
	ds_store_b32 v1, v2
.LBB695_31:
	s_or_b32 exec_lo, exec_lo, s0
	v_mbcnt_lo_u32_b32 v8, -1, 0
	s_mov_b32 s2, exec_lo
	s_waitcnt lgkmcnt(0)
	s_barrier
	buffer_gl0_inv
	v_cmp_gt_u32_e64 s0, 16, v8
	s_delay_alu instid0(VALU_DEP_1) | instskip(SKIP_1) | instid1(VALU_DEP_2)
	v_cndmask_b32_e64 v2, 0, 1, s0
	v_cmp_gt_u32_e64 s0, 24, v8
	v_lshlrev_b32_e32 v2, 4, v2
	s_delay_alu instid0(VALU_DEP_2) | instskip(SKIP_1) | instid1(VALU_DEP_3)
	v_cndmask_b32_e64 v3, 0, 1, s0
	v_cmp_gt_u32_e64 s0, 28, v8
	v_add_lshl_u32 v2, v2, v8, 2
	s_delay_alu instid0(VALU_DEP_3)
	v_lshlrev_b32_e32 v3, 3, v3
	ds_bpermute_b32 v4, v2, v7
	v_add_lshl_u32 v3, v3, v8, 2
	s_waitcnt lgkmcnt(0)
	v_add_f32_e32 v5, v7, v4
	v_cndmask_b32_e64 v4, 0, 1, s0
	v_cmp_gt_u32_e64 s0, 30, v8
	ds_bpermute_b32 v7, v3, v5
	s_waitcnt lgkmcnt(0)
	v_dual_add_f32 v7, v5, v7 :: v_dual_lshlrev_b32 v4, 2, v4
	s_delay_alu instid0(VALU_DEP_1)
	v_add_lshl_u32 v4, v4, v8, 2
	v_cndmask_b32_e64 v5, 0, 1, s0
	v_cmp_ne_u32_e64 s0, 31, v8
	ds_bpermute_b32 v9, v4, v7
	v_lshlrev_b32_e32 v5, 1, v5
	v_add_co_ci_u32_e64 v10, s0, 0, v8, s0
	s_delay_alu instid0(VALU_DEP_2)
	v_add_lshl_u32 v5, v5, v8, 2
	s_waitcnt lgkmcnt(0)
	v_add_f32_e32 v7, v7, v9
	ds_bpermute_b32 v9, v5, v7
	s_waitcnt lgkmcnt(0)
	v_dual_add_f32 v8, v7, v9 :: v_dual_lshlrev_b32 v7, 2, v10
	ds_bpermute_b32 v9, v7, v8
	v_cmpx_eq_u32_e32 0, v6
	s_cbranch_execz .LBB695_33
; %bb.32:
	v_lshrrev_b32_e32 v6, 3, v0
	s_waitcnt lgkmcnt(0)
	v_add_f32_e32 v8, v8, v9
	s_delay_alu instid0(VALU_DEP_2)
	v_and_b32_e32 v6, 0x7c, v6
	ds_store_b32 v6, v8
.LBB695_33:
	s_or_b32 exec_lo, exec_lo, s2
	v_mov_b32_e32 v6, 0
	s_waitcnt lgkmcnt(0)
	s_barrier
	buffer_gl0_inv
	s_and_saveexec_b32 s0, vcc_lo
	s_cbranch_execz .LBB695_35
; %bb.34:
	ds_load_b32 v6, v1
.LBB695_35:
	s_or_b32 exec_lo, exec_lo, s0
	s_and_saveexec_b32 s0, vcc_lo
	s_cbranch_execz .LBB695_37
; %bb.36:
	s_waitcnt lgkmcnt(0)
	ds_bpermute_b32 v1, v2, v6
	s_waitcnt lgkmcnt(0)
	v_add_f32_e32 v1, v6, v1
	ds_bpermute_b32 v2, v3, v1
	s_waitcnt lgkmcnt(0)
	v_add_f32_e32 v1, v1, v2
	;; [unrolled: 3-line block ×5, first 2 shown]
.LBB695_37:
	s_or_b32 exec_lo, exec_lo, s0
	s_delay_alu instid0(SALU_CYCLE_1)
	s_mov_b32 s0, exec_lo
                                        ; implicit-def: $vgpr1
                                        ; implicit-def: $sgpr16_sgpr17
	v_cmpx_eq_u32_e32 0, v0
	s_cbranch_execz .LBB695_41
; %bb.38:
	s_mul_i32 s2, s14, s5
	v_cmp_eq_f32_e64 s5, s15, 0
	s_mul_hi_u32 s3, s14, s4
	s_waitcnt lgkmcnt(0)
	v_mul_f32_e32 v1, s18, v6
	s_add_i32 s2, s3, s2
	s_mul_i32 s1, s1, s4
	s_and_b32 vcc_lo, exec_lo, s5
	s_add_i32 s17, s2, s1
	s_mul_i32 s16, s14, s4
	s_cbranch_vccnz .LBB695_40
; %bb.39:
	s_lshl_b64 s[2:3], s[16:17], 2
	s_delay_alu instid0(SALU_CYCLE_1)
	s_add_u32 s2, s19, s2
	s_addc_u32 s3, s20, s3
	s_load_b32 s1, s[2:3], 0x0
	s_waitcnt lgkmcnt(0)
	v_fmac_f32_e64 v1, s1, s15
.LBB695_40:
	s_or_b32 s21, s21, exec_lo
.LBB695_41:
	s_or_b32 exec_lo, exec_lo, s0
.LBB695_42:
	s_and_saveexec_b32 s0, s21
	s_cbranch_execz .LBB695_44
; %bb.43:
	s_lshl_b64 s[0:1], s[16:17], 2
	v_mov_b32_e32 v0, 0
	s_add_u32 s0, s19, s0
	s_addc_u32 s1, s20, s1
	global_store_b32 v0, v1, s[0:1]
.LBB695_44:
	s_nop 0
	s_sendmsg sendmsg(MSG_DEALLOC_VGPRS)
	s_endpgm
	.section	.rodata,"a",@progbits
	.p2align	6, 0x0
	.amdhsa_kernel _ZL32rocblas_gemvt_warp_reduce_kernelILb1ELi1024ElPK16rocblas_bfloat16fKPfEviiT3_lPKT2_lT1_lS8_lS9_lS5_lPT4_lS9_li
		.amdhsa_group_segment_fixed_size 128
		.amdhsa_private_segment_fixed_size 0
		.amdhsa_kernarg_size 140
		.amdhsa_user_sgpr_count 14
		.amdhsa_user_sgpr_dispatch_ptr 0
		.amdhsa_user_sgpr_queue_ptr 0
		.amdhsa_user_sgpr_kernarg_segment_ptr 1
		.amdhsa_user_sgpr_dispatch_id 0
		.amdhsa_user_sgpr_private_segment_size 0
		.amdhsa_wavefront_size32 1
		.amdhsa_uses_dynamic_stack 0
		.amdhsa_enable_private_segment 0
		.amdhsa_system_sgpr_workgroup_id_x 1
		.amdhsa_system_sgpr_workgroup_id_y 0
		.amdhsa_system_sgpr_workgroup_id_z 1
		.amdhsa_system_sgpr_workgroup_info 0
		.amdhsa_system_vgpr_workitem_id 0
		.amdhsa_next_free_vgpr 12
		.amdhsa_next_free_sgpr 26
		.amdhsa_reserve_vcc 1
		.amdhsa_float_round_mode_32 0
		.amdhsa_float_round_mode_16_64 0
		.amdhsa_float_denorm_mode_32 3
		.amdhsa_float_denorm_mode_16_64 3
		.amdhsa_dx10_clamp 1
		.amdhsa_ieee_mode 1
		.amdhsa_fp16_overflow 0
		.amdhsa_workgroup_processor_mode 1
		.amdhsa_memory_ordered 1
		.amdhsa_forward_progress 0
		.amdhsa_shared_vgpr_count 0
		.amdhsa_exception_fp_ieee_invalid_op 0
		.amdhsa_exception_fp_denorm_src 0
		.amdhsa_exception_fp_ieee_div_zero 0
		.amdhsa_exception_fp_ieee_overflow 0
		.amdhsa_exception_fp_ieee_underflow 0
		.amdhsa_exception_fp_ieee_inexact 0
		.amdhsa_exception_int_div_zero 0
	.end_amdhsa_kernel
	.section	.text._ZL32rocblas_gemvt_warp_reduce_kernelILb1ELi1024ElPK16rocblas_bfloat16fKPfEviiT3_lPKT2_lT1_lS8_lS9_lS5_lPT4_lS9_li,"axG",@progbits,_ZL32rocblas_gemvt_warp_reduce_kernelILb1ELi1024ElPK16rocblas_bfloat16fKPfEviiT3_lPKT2_lT1_lS8_lS9_lS5_lPT4_lS9_li,comdat
.Lfunc_end695:
	.size	_ZL32rocblas_gemvt_warp_reduce_kernelILb1ELi1024ElPK16rocblas_bfloat16fKPfEviiT3_lPKT2_lT1_lS8_lS9_lS5_lPT4_lS9_li, .Lfunc_end695-_ZL32rocblas_gemvt_warp_reduce_kernelILb1ELi1024ElPK16rocblas_bfloat16fKPfEviiT3_lPKT2_lT1_lS8_lS9_lS5_lPT4_lS9_li
                                        ; -- End function
	.section	.AMDGPU.csdata,"",@progbits
; Kernel info:
; codeLenInByte = 1812
; NumSgprs: 28
; NumVgprs: 12
; ScratchSize: 0
; MemoryBound: 0
; FloatMode: 240
; IeeeMode: 1
; LDSByteSize: 128 bytes/workgroup (compile time only)
; SGPRBlocks: 3
; VGPRBlocks: 1
; NumSGPRsForWavesPerEU: 28
; NumVGPRsForWavesPerEU: 12
; Occupancy: 16
; WaveLimiterHint : 1
; COMPUTE_PGM_RSRC2:SCRATCH_EN: 0
; COMPUTE_PGM_RSRC2:USER_SGPR: 14
; COMPUTE_PGM_RSRC2:TRAP_HANDLER: 0
; COMPUTE_PGM_RSRC2:TGID_X_EN: 1
; COMPUTE_PGM_RSRC2:TGID_Y_EN: 0
; COMPUTE_PGM_RSRC2:TGID_Z_EN: 1
; COMPUTE_PGM_RSRC2:TIDIG_COMP_CNT: 0
	.text
	.p2alignl 7, 3214868480
	.fill 96, 4, 3214868480
	.type	__hip_cuid_9eb8629bcac1025b,@object ; @__hip_cuid_9eb8629bcac1025b
	.section	.bss,"aw",@nobits
	.globl	__hip_cuid_9eb8629bcac1025b
__hip_cuid_9eb8629bcac1025b:
	.byte	0                               ; 0x0
	.size	__hip_cuid_9eb8629bcac1025b, 1

	.ident	"AMD clang version 19.0.0git (https://github.com/RadeonOpenCompute/llvm-project roc-6.4.0 25133 c7fe45cf4b819c5991fe208aaa96edf142730f1d)"
	.section	".note.GNU-stack","",@progbits
	.addrsig
	.addrsig_sym __hip_cuid_9eb8629bcac1025b
	.amdgpu_metadata
---
amdhsa.kernels:
  - .args:
      - .offset:         0
        .size:           4
        .value_kind:     by_value
      - .offset:         4
        .size:           4
        .value_kind:     by_value
      - .address_space:  global
        .offset:         8
        .size:           8
        .value_kind:     global_buffer
      - .offset:         16
        .size:           8
        .value_kind:     by_value
      - .address_space:  global
        .offset:         24
        .size:           8
        .value_kind:     global_buffer
      - .offset:         32
        .size:           8
        .value_kind:     by_value
      - .offset:         40
        .size:           4
        .value_kind:     by_value
      - .offset:         48
        .size:           8
        .value_kind:     by_value
      - .address_space:  global
        .offset:         56
        .size:           8
        .value_kind:     global_buffer
      - .offset:         64
        .size:           8
        .value_kind:     by_value
      - .offset:         72
        .size:           4
        .value_kind:     by_value
      - .offset:         80
        .size:           8
        .value_kind:     by_value
      - .address_space:  global
        .offset:         88
        .size:           8
        .value_kind:     global_buffer
      - .offset:         96
        .size:           8
        .value_kind:     by_value
      - .address_space:  global
        .offset:         104
        .size:           8
        .value_kind:     global_buffer
      - .offset:         112
        .size:           8
        .value_kind:     by_value
      - .offset:         120
        .size:           4
        .value_kind:     by_value
      - .offset:         128
        .size:           8
        .value_kind:     by_value
      - .offset:         136
        .size:           4
        .value_kind:     by_value
    .group_segment_fixed_size: 0
    .kernarg_segment_align: 8
    .kernarg_segment_size: 140
    .language:       OpenCL C
    .language_version:
      - 2
      - 0
    .max_flat_workgroup_size: 768
    .name:           _ZL34rocblas_gemvn_sm_mn_batched_kernelILi32ELi24EfPKffEviiT2_lPKT1_lilS5_lilS2_lPT3_lili
    .private_segment_fixed_size: 0
    .sgpr_count:     0
    .sgpr_spill_count: 0
    .symbol:         _ZL34rocblas_gemvn_sm_mn_batched_kernelILi32ELi24EfPKffEviiT2_lPKT1_lilS5_lilS2_lPT3_lili.kd
    .uniform_work_group_size: 1
    .uses_dynamic_stack: false
    .vgpr_count:     0
    .vgpr_spill_count: 0
    .wavefront_size: 32
    .workgroup_processor_mode: 1
  - .args:
      - .offset:         0
        .size:           4
        .value_kind:     by_value
      - .offset:         4
        .size:           4
        .value_kind:     by_value
      - .offset:         8
        .size:           4
        .value_kind:     by_value
      - .offset:         16
        .size:           8
        .value_kind:     by_value
      - .address_space:  global
        .offset:         24
        .size:           8
        .value_kind:     global_buffer
      - .offset:         32
        .size:           8
        .value_kind:     by_value
      - .offset:         40
        .size:           4
        .value_kind:     by_value
      - .offset:         48
        .size:           8
        .value_kind:     by_value
      - .address_space:  global
        .offset:         56
        .size:           8
        .value_kind:     global_buffer
      - .offset:         64
        .size:           8
        .value_kind:     by_value
      - .offset:         72
        .size:           4
        .value_kind:     by_value
      - .offset:         80
        .size:           8
        .value_kind:     by_value
      - .offset:         88
        .size:           4
        .value_kind:     by_value
      - .offset:         96
        .size:           8
        .value_kind:     by_value
      - .address_space:  global
        .offset:         104
        .size:           8
        .value_kind:     global_buffer
      - .offset:         112
        .size:           8
        .value_kind:     by_value
      - .offset:         120
        .size:           4
        .value_kind:     by_value
      - .offset:         128
        .size:           8
        .value_kind:     by_value
      - .offset:         136
        .size:           4
        .value_kind:     by_value
    .group_segment_fixed_size: 0
    .kernarg_segment_align: 8
    .kernarg_segment_size: 140
    .language:       OpenCL C
    .language_version:
      - 2
      - 0
    .max_flat_workgroup_size: 768
    .name:           _ZL34rocblas_gemvn_sm_mn_batched_kernelILi32ELi24EfffEviiT2_lPKT1_lilS3_lilS0_lPT3_lili
    .private_segment_fixed_size: 0
    .sgpr_count:     0
    .sgpr_spill_count: 0
    .symbol:         _ZL34rocblas_gemvn_sm_mn_batched_kernelILi32ELi24EfffEviiT2_lPKT1_lilS3_lilS0_lPT3_lili.kd
    .uniform_work_group_size: 1
    .uses_dynamic_stack: false
    .vgpr_count:     0
    .vgpr_spill_count: 0
    .wavefront_size: 32
    .workgroup_processor_mode: 1
  - .args:
      - .offset:         0
        .size:           4
        .value_kind:     by_value
      - .offset:         4
        .size:           4
        .value_kind:     by_value
      - .address_space:  global
        .offset:         8
        .size:           8
        .value_kind:     global_buffer
      - .offset:         16
        .size:           8
        .value_kind:     by_value
      - .address_space:  global
        .offset:         24
        .size:           8
        .value_kind:     global_buffer
      - .offset:         32
        .size:           8
        .value_kind:     by_value
      - .offset:         40
        .size:           4
        .value_kind:     by_value
      - .offset:         48
        .size:           8
        .value_kind:     by_value
      - .address_space:  global
        .offset:         56
        .size:           8
        .value_kind:     global_buffer
      - .offset:         64
        .size:           8
        .value_kind:     by_value
      - .offset:         72
        .size:           4
        .value_kind:     by_value
      - .offset:         80
        .size:           8
        .value_kind:     by_value
      - .address_space:  global
        .offset:         88
        .size:           8
        .value_kind:     global_buffer
      - .offset:         96
        .size:           8
        .value_kind:     by_value
      - .address_space:  global
        .offset:         104
        .size:           8
        .value_kind:     global_buffer
      - .offset:         112
        .size:           8
        .value_kind:     by_value
      - .offset:         120
        .size:           4
        .value_kind:     by_value
      - .offset:         128
        .size:           8
        .value_kind:     by_value
      - .offset:         136
        .size:           4
        .value_kind:     by_value
      - .offset:         144
        .size:           4
        .value_kind:     hidden_block_count_x
      - .offset:         148
        .size:           4
        .value_kind:     hidden_block_count_y
      - .offset:         152
        .size:           4
        .value_kind:     hidden_block_count_z
      - .offset:         156
        .size:           2
        .value_kind:     hidden_group_size_x
      - .offset:         158
        .size:           2
        .value_kind:     hidden_group_size_y
      - .offset:         160
        .size:           2
        .value_kind:     hidden_group_size_z
      - .offset:         162
        .size:           2
        .value_kind:     hidden_remainder_x
      - .offset:         164
        .size:           2
        .value_kind:     hidden_remainder_y
      - .offset:         166
        .size:           2
        .value_kind:     hidden_remainder_z
      - .offset:         184
        .size:           8
        .value_kind:     hidden_global_offset_x
      - .offset:         192
        .size:           8
        .value_kind:     hidden_global_offset_y
      - .offset:         200
        .size:           8
        .value_kind:     hidden_global_offset_z
      - .offset:         208
        .size:           2
        .value_kind:     hidden_grid_dims
    .group_segment_fixed_size: 4096
    .kernarg_segment_align: 8
    .kernarg_segment_size: 400
    .language:       OpenCL C
    .language_version:
      - 2
      - 0
    .max_flat_workgroup_size: 256
    .name:           _ZL20rocblas_gemvn_kernelILi64ELi4EifPKffEviiT3_lPKT2_lT1_lS5_lS6_lS2_lPT4_lS6_li
    .private_segment_fixed_size: 0
    .sgpr_count:     30
    .sgpr_spill_count: 0
    .symbol:         _ZL20rocblas_gemvn_kernelILi64ELi4EifPKffEviiT3_lPKT2_lT1_lS5_lS6_lS2_lPT4_lS6_li.kd
    .uniform_work_group_size: 1
    .uses_dynamic_stack: false
    .vgpr_count:     41
    .vgpr_spill_count: 0
    .wavefront_size: 32
    .workgroup_processor_mode: 1
  - .args:
      - .offset:         0
        .size:           4
        .value_kind:     by_value
      - .offset:         4
        .size:           4
        .value_kind:     by_value
      - .address_space:  global
        .offset:         8
        .size:           8
        .value_kind:     global_buffer
      - .offset:         16
        .size:           8
        .value_kind:     by_value
      - .address_space:  global
        .offset:         24
        .size:           8
        .value_kind:     global_buffer
      - .offset:         32
        .size:           8
        .value_kind:     by_value
      - .offset:         40
        .size:           8
        .value_kind:     by_value
      - .offset:         48
        .size:           8
        .value_kind:     by_value
      - .address_space:  global
        .offset:         56
        .size:           8
        .value_kind:     global_buffer
      - .offset:         64
        .size:           8
        .value_kind:     by_value
      - .offset:         72
        .size:           8
        .value_kind:     by_value
      - .offset:         80
        .size:           8
        .value_kind:     by_value
      - .address_space:  global
        .offset:         88
        .size:           8
        .value_kind:     global_buffer
      - .offset:         96
        .size:           8
        .value_kind:     by_value
      - .address_space:  global
        .offset:         104
        .size:           8
        .value_kind:     global_buffer
      - .offset:         112
        .size:           8
        .value_kind:     by_value
      - .offset:         120
        .size:           8
        .value_kind:     by_value
      - .offset:         128
        .size:           8
        .value_kind:     by_value
      - .offset:         136
        .size:           4
        .value_kind:     by_value
      - .offset:         144
        .size:           4
        .value_kind:     hidden_block_count_x
      - .offset:         148
        .size:           4
        .value_kind:     hidden_block_count_y
      - .offset:         152
        .size:           4
        .value_kind:     hidden_block_count_z
      - .offset:         156
        .size:           2
        .value_kind:     hidden_group_size_x
      - .offset:         158
        .size:           2
        .value_kind:     hidden_group_size_y
      - .offset:         160
        .size:           2
        .value_kind:     hidden_group_size_z
      - .offset:         162
        .size:           2
        .value_kind:     hidden_remainder_x
      - .offset:         164
        .size:           2
        .value_kind:     hidden_remainder_y
      - .offset:         166
        .size:           2
        .value_kind:     hidden_remainder_z
      - .offset:         184
        .size:           8
        .value_kind:     hidden_global_offset_x
      - .offset:         192
        .size:           8
        .value_kind:     hidden_global_offset_y
      - .offset:         200
        .size:           8
        .value_kind:     hidden_global_offset_z
      - .offset:         208
        .size:           2
        .value_kind:     hidden_grid_dims
    .group_segment_fixed_size: 4096
    .kernarg_segment_align: 8
    .kernarg_segment_size: 400
    .language:       OpenCL C
    .language_version:
      - 2
      - 0
    .max_flat_workgroup_size: 256
    .name:           _ZL20rocblas_gemvn_kernelILi64ELi4ElfPKffEviiT3_lPKT2_lT1_lS5_lS6_lS2_lPT4_lS6_li
    .private_segment_fixed_size: 0
    .sgpr_count:     54
    .sgpr_spill_count: 0
    .symbol:         _ZL20rocblas_gemvn_kernelILi64ELi4ElfPKffEviiT3_lPKT2_lT1_lS5_lS6_lS2_lPT4_lS6_li.kd
    .uniform_work_group_size: 1
    .uses_dynamic_stack: false
    .vgpr_count:     51
    .vgpr_spill_count: 0
    .wavefront_size: 32
    .workgroup_processor_mode: 1
  - .args:
      - .offset:         0
        .size:           4
        .value_kind:     by_value
      - .offset:         4
        .size:           4
        .value_kind:     by_value
      - .offset:         8
        .size:           4
        .value_kind:     by_value
      - .offset:         16
        .size:           8
        .value_kind:     by_value
      - .address_space:  global
        .offset:         24
        .size:           8
        .value_kind:     global_buffer
      - .offset:         32
        .size:           8
        .value_kind:     by_value
      - .offset:         40
        .size:           4
        .value_kind:     by_value
      - .offset:         48
        .size:           8
        .value_kind:     by_value
      - .address_space:  global
        .offset:         56
        .size:           8
        .value_kind:     global_buffer
      - .offset:         64
        .size:           8
        .value_kind:     by_value
      - .offset:         72
        .size:           4
        .value_kind:     by_value
      - .offset:         80
        .size:           8
        .value_kind:     by_value
      - .offset:         88
        .size:           4
        .value_kind:     by_value
      - .offset:         96
        .size:           8
        .value_kind:     by_value
      - .address_space:  global
        .offset:         104
        .size:           8
        .value_kind:     global_buffer
      - .offset:         112
        .size:           8
        .value_kind:     by_value
      - .offset:         120
        .size:           4
        .value_kind:     by_value
      - .offset:         128
        .size:           8
        .value_kind:     by_value
      - .offset:         136
        .size:           4
        .value_kind:     by_value
      - .offset:         144
        .size:           4
        .value_kind:     hidden_block_count_x
      - .offset:         148
        .size:           4
        .value_kind:     hidden_block_count_y
      - .offset:         152
        .size:           4
        .value_kind:     hidden_block_count_z
      - .offset:         156
        .size:           2
        .value_kind:     hidden_group_size_x
      - .offset:         158
        .size:           2
        .value_kind:     hidden_group_size_y
      - .offset:         160
        .size:           2
        .value_kind:     hidden_group_size_z
      - .offset:         162
        .size:           2
        .value_kind:     hidden_remainder_x
      - .offset:         164
        .size:           2
        .value_kind:     hidden_remainder_y
      - .offset:         166
        .size:           2
        .value_kind:     hidden_remainder_z
      - .offset:         184
        .size:           8
        .value_kind:     hidden_global_offset_x
      - .offset:         192
        .size:           8
        .value_kind:     hidden_global_offset_y
      - .offset:         200
        .size:           8
        .value_kind:     hidden_global_offset_z
      - .offset:         208
        .size:           2
        .value_kind:     hidden_grid_dims
    .group_segment_fixed_size: 4096
    .kernarg_segment_align: 8
    .kernarg_segment_size: 400
    .language:       OpenCL C
    .language_version:
      - 2
      - 0
    .max_flat_workgroup_size: 256
    .name:           _ZL20rocblas_gemvn_kernelILi64ELi4EifffEviiT3_lPKT2_lT1_lS3_lS4_lS0_lPT4_lS4_li
    .private_segment_fixed_size: 0
    .sgpr_count:     30
    .sgpr_spill_count: 0
    .symbol:         _ZL20rocblas_gemvn_kernelILi64ELi4EifffEviiT3_lPKT2_lT1_lS3_lS4_lS0_lPT4_lS4_li.kd
    .uniform_work_group_size: 1
    .uses_dynamic_stack: false
    .vgpr_count:     41
    .vgpr_spill_count: 0
    .wavefront_size: 32
    .workgroup_processor_mode: 1
  - .args:
      - .offset:         0
        .size:           4
        .value_kind:     by_value
      - .offset:         4
        .size:           4
        .value_kind:     by_value
      - .offset:         8
        .size:           4
        .value_kind:     by_value
      - .offset:         16
        .size:           8
        .value_kind:     by_value
      - .address_space:  global
        .offset:         24
        .size:           8
        .value_kind:     global_buffer
      - .offset:         32
        .size:           8
        .value_kind:     by_value
      - .offset:         40
        .size:           8
        .value_kind:     by_value
      - .offset:         48
        .size:           8
        .value_kind:     by_value
      - .address_space:  global
        .offset:         56
        .size:           8
        .value_kind:     global_buffer
      - .offset:         64
        .size:           8
        .value_kind:     by_value
      - .offset:         72
        .size:           8
        .value_kind:     by_value
      - .offset:         80
        .size:           8
        .value_kind:     by_value
      - .offset:         88
        .size:           4
        .value_kind:     by_value
      - .offset:         96
        .size:           8
        .value_kind:     by_value
      - .address_space:  global
        .offset:         104
        .size:           8
        .value_kind:     global_buffer
      - .offset:         112
        .size:           8
        .value_kind:     by_value
      - .offset:         120
        .size:           8
        .value_kind:     by_value
      - .offset:         128
        .size:           8
        .value_kind:     by_value
      - .offset:         136
        .size:           4
        .value_kind:     by_value
      - .offset:         144
        .size:           4
        .value_kind:     hidden_block_count_x
      - .offset:         148
        .size:           4
        .value_kind:     hidden_block_count_y
      - .offset:         152
        .size:           4
        .value_kind:     hidden_block_count_z
      - .offset:         156
        .size:           2
        .value_kind:     hidden_group_size_x
      - .offset:         158
        .size:           2
        .value_kind:     hidden_group_size_y
      - .offset:         160
        .size:           2
        .value_kind:     hidden_group_size_z
      - .offset:         162
        .size:           2
        .value_kind:     hidden_remainder_x
      - .offset:         164
        .size:           2
        .value_kind:     hidden_remainder_y
      - .offset:         166
        .size:           2
        .value_kind:     hidden_remainder_z
      - .offset:         184
        .size:           8
        .value_kind:     hidden_global_offset_x
      - .offset:         192
        .size:           8
        .value_kind:     hidden_global_offset_y
      - .offset:         200
        .size:           8
        .value_kind:     hidden_global_offset_z
      - .offset:         208
        .size:           2
        .value_kind:     hidden_grid_dims
    .group_segment_fixed_size: 4096
    .kernarg_segment_align: 8
    .kernarg_segment_size: 400
    .language:       OpenCL C
    .language_version:
      - 2
      - 0
    .max_flat_workgroup_size: 256
    .name:           _ZL20rocblas_gemvn_kernelILi64ELi4ElfffEviiT3_lPKT2_lT1_lS3_lS4_lS0_lPT4_lS4_li
    .private_segment_fixed_size: 0
    .sgpr_count:     46
    .sgpr_spill_count: 0
    .symbol:         _ZL20rocblas_gemvn_kernelILi64ELi4ElfffEviiT3_lPKT2_lT1_lS3_lS4_lS0_lPT4_lS4_li.kd
    .uniform_work_group_size: 1
    .uses_dynamic_stack: false
    .vgpr_count:     51
    .vgpr_spill_count: 0
    .wavefront_size: 32
    .workgroup_processor_mode: 1
  - .args:
      - .offset:         0
        .size:           4
        .value_kind:     by_value
      - .address_space:  global
        .offset:         8
        .size:           8
        .value_kind:     global_buffer
      - .offset:         16
        .size:           8
        .value_kind:     by_value
      - .address_space:  global
        .offset:         24
        .size:           8
        .value_kind:     global_buffer
      - .offset:         32
        .size:           8
        .value_kind:     by_value
      - .offset:         40
        .size:           4
        .value_kind:     by_value
      - .offset:         48
        .size:           8
        .value_kind:     by_value
      - .offset:         56
        .size:           4
        .value_kind:     by_value
      - .offset:         64
        .size:           4
        .value_kind:     hidden_block_count_x
      - .offset:         68
        .size:           4
        .value_kind:     hidden_block_count_y
      - .offset:         72
        .size:           4
        .value_kind:     hidden_block_count_z
      - .offset:         76
        .size:           2
        .value_kind:     hidden_group_size_x
      - .offset:         78
        .size:           2
        .value_kind:     hidden_group_size_y
      - .offset:         80
        .size:           2
        .value_kind:     hidden_group_size_z
      - .offset:         82
        .size:           2
        .value_kind:     hidden_remainder_x
      - .offset:         84
        .size:           2
        .value_kind:     hidden_remainder_y
      - .offset:         86
        .size:           2
        .value_kind:     hidden_remainder_z
      - .offset:         104
        .size:           8
        .value_kind:     hidden_global_offset_x
      - .offset:         112
        .size:           8
        .value_kind:     hidden_global_offset_y
      - .offset:         120
        .size:           8
        .value_kind:     hidden_global_offset_z
      - .offset:         128
        .size:           2
        .value_kind:     hidden_grid_dims
    .group_segment_fixed_size: 0
    .kernarg_segment_align: 8
    .kernarg_segment_size: 320
    .language:       OpenCL C
    .language_version:
      - 2
      - 0
    .max_flat_workgroup_size: 256
    .name:           _ZL24rocblas_gemv_scal_kernelILi256EPKfPfEviT0_lT1_lili
    .private_segment_fixed_size: 0
    .sgpr_count:     18
    .sgpr_spill_count: 0
    .symbol:         _ZL24rocblas_gemv_scal_kernelILi256EPKfPfEviT0_lT1_lili.kd
    .uniform_work_group_size: 1
    .uses_dynamic_stack: false
    .vgpr_count:     6
    .vgpr_spill_count: 0
    .wavefront_size: 32
    .workgroup_processor_mode: 1
  - .args:
      - .offset:         0
        .size:           4
        .value_kind:     by_value
      - .offset:         4
        .size:           4
        .value_kind:     by_value
      - .offset:         8
        .size:           8
        .value_kind:     by_value
      - .address_space:  global
        .offset:         16
        .size:           8
        .value_kind:     global_buffer
      - .offset:         24
        .size:           8
        .value_kind:     by_value
      - .offset:         32
        .size:           4
        .value_kind:     by_value
      - .offset:         40
        .size:           8
        .value_kind:     by_value
      - .offset:         48
        .size:           4
        .value_kind:     by_value
      - .offset:         56
        .size:           4
        .value_kind:     hidden_block_count_x
      - .offset:         60
        .size:           4
        .value_kind:     hidden_block_count_y
      - .offset:         64
        .size:           4
        .value_kind:     hidden_block_count_z
      - .offset:         68
        .size:           2
        .value_kind:     hidden_group_size_x
      - .offset:         70
        .size:           2
        .value_kind:     hidden_group_size_y
      - .offset:         72
        .size:           2
        .value_kind:     hidden_group_size_z
      - .offset:         74
        .size:           2
        .value_kind:     hidden_remainder_x
      - .offset:         76
        .size:           2
        .value_kind:     hidden_remainder_y
      - .offset:         78
        .size:           2
        .value_kind:     hidden_remainder_z
      - .offset:         96
        .size:           8
        .value_kind:     hidden_global_offset_x
      - .offset:         104
        .size:           8
        .value_kind:     hidden_global_offset_y
      - .offset:         112
        .size:           8
        .value_kind:     hidden_global_offset_z
      - .offset:         120
        .size:           2
        .value_kind:     hidden_grid_dims
    .group_segment_fixed_size: 0
    .kernarg_segment_align: 8
    .kernarg_segment_size: 312
    .language:       OpenCL C
    .language_version:
      - 2
      - 0
    .max_flat_workgroup_size: 256
    .name:           _ZL24rocblas_gemv_scal_kernelILi256EfPfEviT0_lT1_lili
    .private_segment_fixed_size: 0
    .sgpr_count:     18
    .sgpr_spill_count: 0
    .symbol:         _ZL24rocblas_gemv_scal_kernelILi256EfPfEviT0_lT1_lili.kd
    .uniform_work_group_size: 1
    .uses_dynamic_stack: false
    .vgpr_count:     6
    .vgpr_spill_count: 0
    .wavefront_size: 32
    .workgroup_processor_mode: 1
  - .args:
      - .offset:         0
        .size:           4
        .value_kind:     by_value
      - .offset:         4
        .size:           4
        .value_kind:     by_value
      - .address_space:  global
        .offset:         8
        .size:           8
        .value_kind:     global_buffer
      - .offset:         16
        .size:           8
        .value_kind:     by_value
      - .address_space:  global
        .offset:         24
        .size:           8
        .value_kind:     global_buffer
      - .offset:         32
        .size:           8
        .value_kind:     by_value
      - .offset:         40
        .size:           4
        .value_kind:     by_value
      - .offset:         48
        .size:           8
        .value_kind:     by_value
      - .address_space:  global
        .offset:         56
        .size:           8
        .value_kind:     global_buffer
      - .offset:         64
        .size:           8
        .value_kind:     by_value
      - .offset:         72
        .size:           4
        .value_kind:     by_value
      - .offset:         80
        .size:           8
        .value_kind:     by_value
      - .address_space:  global
        .offset:         88
        .size:           8
        .value_kind:     global_buffer
      - .offset:         96
        .size:           8
        .value_kind:     by_value
      - .offset:         104
        .size:           4
        .value_kind:     by_value
      - .offset:         112
        .size:           8
        .value_kind:     by_value
      - .offset:         120
        .size:           4
        .value_kind:     by_value
      - .offset:         128
        .size:           4
        .value_kind:     hidden_block_count_x
      - .offset:         132
        .size:           4
        .value_kind:     hidden_block_count_y
      - .offset:         136
        .size:           4
        .value_kind:     hidden_block_count_z
      - .offset:         140
        .size:           2
        .value_kind:     hidden_group_size_x
      - .offset:         142
        .size:           2
        .value_kind:     hidden_group_size_y
      - .offset:         144
        .size:           2
        .value_kind:     hidden_group_size_z
      - .offset:         146
        .size:           2
        .value_kind:     hidden_remainder_x
      - .offset:         148
        .size:           2
        .value_kind:     hidden_remainder_y
      - .offset:         150
        .size:           2
        .value_kind:     hidden_remainder_z
      - .offset:         168
        .size:           8
        .value_kind:     hidden_global_offset_x
      - .offset:         176
        .size:           8
        .value_kind:     hidden_global_offset_y
      - .offset:         184
        .size:           8
        .value_kind:     hidden_global_offset_z
      - .offset:         192
        .size:           2
        .value_kind:     hidden_grid_dims
    .group_segment_fixed_size: 8192
    .kernarg_segment_align: 8
    .kernarg_segment_size: 384
    .language:       OpenCL C
    .language_version:
      - 2
      - 0
    .max_flat_workgroup_size: 1024
    .name:           _ZL36rocblas_gemvn_double_buffered_kernelILi128ELi8ELi8EfPKffEviiT3_lPKT2_lilS5_lilPT4_lili
    .private_segment_fixed_size: 0
    .sgpr_count:     40
    .sgpr_spill_count: 0
    .symbol:         _ZL36rocblas_gemvn_double_buffered_kernelILi128ELi8ELi8EfPKffEviiT3_lPKT2_lilS5_lilPT4_lili.kd
    .uniform_work_group_size: 1
    .uses_dynamic_stack: false
    .vgpr_count:     68
    .vgpr_spill_count: 0
    .wavefront_size: 32
    .workgroup_processor_mode: 1
  - .args:
      - .offset:         0
        .size:           4
        .value_kind:     by_value
      - .offset:         4
        .size:           4
        .value_kind:     by_value
      - .offset:         8
        .size:           4
        .value_kind:     by_value
      - .offset:         16
        .size:           8
        .value_kind:     by_value
      - .address_space:  global
        .offset:         24
        .size:           8
        .value_kind:     global_buffer
      - .offset:         32
        .size:           8
        .value_kind:     by_value
      - .offset:         40
        .size:           4
        .value_kind:     by_value
      - .offset:         48
        .size:           8
        .value_kind:     by_value
      - .address_space:  global
        .offset:         56
        .size:           8
        .value_kind:     global_buffer
      - .offset:         64
        .size:           8
        .value_kind:     by_value
      - .offset:         72
        .size:           4
        .value_kind:     by_value
      - .offset:         80
        .size:           8
        .value_kind:     by_value
      - .address_space:  global
        .offset:         88
        .size:           8
        .value_kind:     global_buffer
      - .offset:         96
        .size:           8
        .value_kind:     by_value
      - .offset:         104
        .size:           4
        .value_kind:     by_value
      - .offset:         112
        .size:           8
        .value_kind:     by_value
      - .offset:         120
        .size:           4
        .value_kind:     by_value
      - .offset:         128
        .size:           4
        .value_kind:     hidden_block_count_x
      - .offset:         132
        .size:           4
        .value_kind:     hidden_block_count_y
      - .offset:         136
        .size:           4
        .value_kind:     hidden_block_count_z
      - .offset:         140
        .size:           2
        .value_kind:     hidden_group_size_x
      - .offset:         142
        .size:           2
        .value_kind:     hidden_group_size_y
      - .offset:         144
        .size:           2
        .value_kind:     hidden_group_size_z
      - .offset:         146
        .size:           2
        .value_kind:     hidden_remainder_x
      - .offset:         148
        .size:           2
        .value_kind:     hidden_remainder_y
      - .offset:         150
        .size:           2
        .value_kind:     hidden_remainder_z
      - .offset:         168
        .size:           8
        .value_kind:     hidden_global_offset_x
      - .offset:         176
        .size:           8
        .value_kind:     hidden_global_offset_y
      - .offset:         184
        .size:           8
        .value_kind:     hidden_global_offset_z
      - .offset:         192
        .size:           2
        .value_kind:     hidden_grid_dims
    .group_segment_fixed_size: 8192
    .kernarg_segment_align: 8
    .kernarg_segment_size: 384
    .language:       OpenCL C
    .language_version:
      - 2
      - 0
    .max_flat_workgroup_size: 1024
    .name:           _ZL36rocblas_gemvn_double_buffered_kernelILi128ELi8ELi8EfffEviiT3_lPKT2_lilS3_lilPT4_lili
    .private_segment_fixed_size: 0
    .sgpr_count:     44
    .sgpr_spill_count: 0
    .symbol:         _ZL36rocblas_gemvn_double_buffered_kernelILi128ELi8ELi8EfffEviiT3_lPKT2_lilS3_lilPT4_lili.kd
    .uniform_work_group_size: 1
    .uses_dynamic_stack: false
    .vgpr_count:     68
    .vgpr_spill_count: 0
    .wavefront_size: 32
    .workgroup_processor_mode: 1
  - .args:
      - .offset:         0
        .size:           4
        .value_kind:     by_value
      - .offset:         4
        .size:           4
        .value_kind:     by_value
      - .address_space:  global
        .offset:         8
        .size:           8
        .value_kind:     global_buffer
      - .offset:         16
        .size:           8
        .value_kind:     by_value
      - .address_space:  global
        .offset:         24
        .size:           8
        .value_kind:     global_buffer
      - .offset:         32
        .size:           8
        .value_kind:     by_value
      - .offset:         40
        .size:           4
        .value_kind:     by_value
      - .offset:         48
        .size:           8
        .value_kind:     by_value
      - .address_space:  global
        .offset:         56
        .size:           8
        .value_kind:     global_buffer
      - .offset:         64
        .size:           8
        .value_kind:     by_value
      - .offset:         72
        .size:           4
        .value_kind:     by_value
      - .offset:         80
        .size:           8
        .value_kind:     by_value
      - .address_space:  global
        .offset:         88
        .size:           8
        .value_kind:     global_buffer
      - .offset:         96
        .size:           8
        .value_kind:     by_value
      - .address_space:  global
        .offset:         104
        .size:           8
        .value_kind:     global_buffer
      - .offset:         112
        .size:           8
        .value_kind:     by_value
      - .offset:         120
        .size:           4
        .value_kind:     by_value
      - .offset:         128
        .size:           8
        .value_kind:     by_value
      - .offset:         136
        .size:           4
        .value_kind:     by_value
      - .offset:         144
        .size:           4
        .value_kind:     hidden_block_count_x
      - .offset:         148
        .size:           4
        .value_kind:     hidden_block_count_y
      - .offset:         152
        .size:           4
        .value_kind:     hidden_block_count_z
      - .offset:         156
        .size:           2
        .value_kind:     hidden_group_size_x
      - .offset:         158
        .size:           2
        .value_kind:     hidden_group_size_y
      - .offset:         160
        .size:           2
        .value_kind:     hidden_group_size_z
      - .offset:         162
        .size:           2
        .value_kind:     hidden_remainder_x
      - .offset:         164
        .size:           2
        .value_kind:     hidden_remainder_y
      - .offset:         166
        .size:           2
        .value_kind:     hidden_remainder_z
      - .offset:         184
        .size:           8
        .value_kind:     hidden_global_offset_x
      - .offset:         192
        .size:           8
        .value_kind:     hidden_global_offset_y
      - .offset:         200
        .size:           8
        .value_kind:     hidden_global_offset_z
      - .offset:         208
        .size:           2
        .value_kind:     hidden_grid_dims
    .group_segment_fixed_size: 8192
    .kernarg_segment_align: 8
    .kernarg_segment_size: 400
    .language:       OpenCL C
    .language_version:
      - 2
      - 0
    .max_flat_workgroup_size: 512
    .name:           _ZL20rocblas_gemvn_kernelILi32ELi16EifPKffEviiT3_lPKT2_lT1_lS5_lS6_lS2_lPT4_lS6_li
    .private_segment_fixed_size: 0
    .sgpr_count:     30
    .sgpr_spill_count: 0
    .symbol:         _ZL20rocblas_gemvn_kernelILi32ELi16EifPKffEviiT3_lPKT2_lT1_lS5_lS6_lS2_lPT4_lS6_li.kd
    .uniform_work_group_size: 1
    .uses_dynamic_stack: false
    .vgpr_count:     41
    .vgpr_spill_count: 0
    .wavefront_size: 32
    .workgroup_processor_mode: 1
  - .args:
      - .offset:         0
        .size:           4
        .value_kind:     by_value
      - .offset:         4
        .size:           4
        .value_kind:     by_value
      - .address_space:  global
        .offset:         8
        .size:           8
        .value_kind:     global_buffer
      - .offset:         16
        .size:           8
        .value_kind:     by_value
      - .address_space:  global
        .offset:         24
        .size:           8
        .value_kind:     global_buffer
      - .offset:         32
        .size:           8
        .value_kind:     by_value
      - .offset:         40
        .size:           8
        .value_kind:     by_value
      - .offset:         48
        .size:           8
        .value_kind:     by_value
      - .address_space:  global
        .offset:         56
        .size:           8
        .value_kind:     global_buffer
      - .offset:         64
        .size:           8
        .value_kind:     by_value
      - .offset:         72
        .size:           8
        .value_kind:     by_value
      - .offset:         80
        .size:           8
        .value_kind:     by_value
      - .address_space:  global
        .offset:         88
        .size:           8
        .value_kind:     global_buffer
      - .offset:         96
        .size:           8
        .value_kind:     by_value
      - .address_space:  global
        .offset:         104
        .size:           8
        .value_kind:     global_buffer
      - .offset:         112
        .size:           8
        .value_kind:     by_value
      - .offset:         120
        .size:           8
        .value_kind:     by_value
      - .offset:         128
        .size:           8
        .value_kind:     by_value
      - .offset:         136
        .size:           4
        .value_kind:     by_value
      - .offset:         144
        .size:           4
        .value_kind:     hidden_block_count_x
      - .offset:         148
        .size:           4
        .value_kind:     hidden_block_count_y
      - .offset:         152
        .size:           4
        .value_kind:     hidden_block_count_z
      - .offset:         156
        .size:           2
        .value_kind:     hidden_group_size_x
      - .offset:         158
        .size:           2
        .value_kind:     hidden_group_size_y
      - .offset:         160
        .size:           2
        .value_kind:     hidden_group_size_z
      - .offset:         162
        .size:           2
        .value_kind:     hidden_remainder_x
      - .offset:         164
        .size:           2
        .value_kind:     hidden_remainder_y
      - .offset:         166
        .size:           2
        .value_kind:     hidden_remainder_z
      - .offset:         184
        .size:           8
        .value_kind:     hidden_global_offset_x
      - .offset:         192
        .size:           8
        .value_kind:     hidden_global_offset_y
      - .offset:         200
        .size:           8
        .value_kind:     hidden_global_offset_z
      - .offset:         208
        .size:           2
        .value_kind:     hidden_grid_dims
    .group_segment_fixed_size: 8192
    .kernarg_segment_align: 8
    .kernarg_segment_size: 400
    .language:       OpenCL C
    .language_version:
      - 2
      - 0
    .max_flat_workgroup_size: 512
    .name:           _ZL20rocblas_gemvn_kernelILi32ELi16ElfPKffEviiT3_lPKT2_lT1_lS5_lS6_lS2_lPT4_lS6_li
    .private_segment_fixed_size: 0
    .sgpr_count:     54
    .sgpr_spill_count: 0
    .symbol:         _ZL20rocblas_gemvn_kernelILi32ELi16ElfPKffEviiT3_lPKT2_lT1_lS5_lS6_lS2_lPT4_lS6_li.kd
    .uniform_work_group_size: 1
    .uses_dynamic_stack: false
    .vgpr_count:     51
    .vgpr_spill_count: 0
    .wavefront_size: 32
    .workgroup_processor_mode: 1
  - .args:
      - .offset:         0
        .size:           4
        .value_kind:     by_value
      - .offset:         4
        .size:           4
        .value_kind:     by_value
      - .offset:         8
        .size:           4
        .value_kind:     by_value
      - .offset:         16
        .size:           8
        .value_kind:     by_value
      - .address_space:  global
        .offset:         24
        .size:           8
        .value_kind:     global_buffer
      - .offset:         32
        .size:           8
        .value_kind:     by_value
      - .offset:         40
        .size:           4
        .value_kind:     by_value
      - .offset:         48
        .size:           8
        .value_kind:     by_value
      - .address_space:  global
        .offset:         56
        .size:           8
        .value_kind:     global_buffer
      - .offset:         64
        .size:           8
        .value_kind:     by_value
      - .offset:         72
        .size:           4
        .value_kind:     by_value
      - .offset:         80
        .size:           8
        .value_kind:     by_value
      - .offset:         88
        .size:           4
        .value_kind:     by_value
      - .offset:         96
        .size:           8
        .value_kind:     by_value
      - .address_space:  global
        .offset:         104
        .size:           8
        .value_kind:     global_buffer
      - .offset:         112
        .size:           8
        .value_kind:     by_value
      - .offset:         120
        .size:           4
        .value_kind:     by_value
      - .offset:         128
        .size:           8
        .value_kind:     by_value
      - .offset:         136
        .size:           4
        .value_kind:     by_value
      - .offset:         144
        .size:           4
        .value_kind:     hidden_block_count_x
      - .offset:         148
        .size:           4
        .value_kind:     hidden_block_count_y
      - .offset:         152
        .size:           4
        .value_kind:     hidden_block_count_z
      - .offset:         156
        .size:           2
        .value_kind:     hidden_group_size_x
      - .offset:         158
        .size:           2
        .value_kind:     hidden_group_size_y
      - .offset:         160
        .size:           2
        .value_kind:     hidden_group_size_z
      - .offset:         162
        .size:           2
        .value_kind:     hidden_remainder_x
      - .offset:         164
        .size:           2
        .value_kind:     hidden_remainder_y
      - .offset:         166
        .size:           2
        .value_kind:     hidden_remainder_z
      - .offset:         184
        .size:           8
        .value_kind:     hidden_global_offset_x
      - .offset:         192
        .size:           8
        .value_kind:     hidden_global_offset_y
      - .offset:         200
        .size:           8
        .value_kind:     hidden_global_offset_z
      - .offset:         208
        .size:           2
        .value_kind:     hidden_grid_dims
    .group_segment_fixed_size: 8192
    .kernarg_segment_align: 8
    .kernarg_segment_size: 400
    .language:       OpenCL C
    .language_version:
      - 2
      - 0
    .max_flat_workgroup_size: 512
    .name:           _ZL20rocblas_gemvn_kernelILi32ELi16EifffEviiT3_lPKT2_lT1_lS3_lS4_lS0_lPT4_lS4_li
    .private_segment_fixed_size: 0
    .sgpr_count:     30
    .sgpr_spill_count: 0
    .symbol:         _ZL20rocblas_gemvn_kernelILi32ELi16EifffEviiT3_lPKT2_lT1_lS3_lS4_lS0_lPT4_lS4_li.kd
    .uniform_work_group_size: 1
    .uses_dynamic_stack: false
    .vgpr_count:     41
    .vgpr_spill_count: 0
    .wavefront_size: 32
    .workgroup_processor_mode: 1
  - .args:
      - .offset:         0
        .size:           4
        .value_kind:     by_value
      - .offset:         4
        .size:           4
        .value_kind:     by_value
      - .offset:         8
        .size:           4
        .value_kind:     by_value
      - .offset:         16
        .size:           8
        .value_kind:     by_value
      - .address_space:  global
        .offset:         24
        .size:           8
        .value_kind:     global_buffer
      - .offset:         32
        .size:           8
        .value_kind:     by_value
      - .offset:         40
        .size:           8
        .value_kind:     by_value
      - .offset:         48
        .size:           8
        .value_kind:     by_value
      - .address_space:  global
        .offset:         56
        .size:           8
        .value_kind:     global_buffer
      - .offset:         64
        .size:           8
        .value_kind:     by_value
      - .offset:         72
        .size:           8
        .value_kind:     by_value
      - .offset:         80
        .size:           8
        .value_kind:     by_value
      - .offset:         88
        .size:           4
        .value_kind:     by_value
      - .offset:         96
        .size:           8
        .value_kind:     by_value
      - .address_space:  global
        .offset:         104
        .size:           8
        .value_kind:     global_buffer
      - .offset:         112
        .size:           8
        .value_kind:     by_value
      - .offset:         120
        .size:           8
        .value_kind:     by_value
      - .offset:         128
        .size:           8
        .value_kind:     by_value
      - .offset:         136
        .size:           4
        .value_kind:     by_value
      - .offset:         144
        .size:           4
        .value_kind:     hidden_block_count_x
      - .offset:         148
        .size:           4
        .value_kind:     hidden_block_count_y
      - .offset:         152
        .size:           4
        .value_kind:     hidden_block_count_z
      - .offset:         156
        .size:           2
        .value_kind:     hidden_group_size_x
      - .offset:         158
        .size:           2
        .value_kind:     hidden_group_size_y
      - .offset:         160
        .size:           2
        .value_kind:     hidden_group_size_z
      - .offset:         162
        .size:           2
        .value_kind:     hidden_remainder_x
      - .offset:         164
        .size:           2
        .value_kind:     hidden_remainder_y
      - .offset:         166
        .size:           2
        .value_kind:     hidden_remainder_z
      - .offset:         184
        .size:           8
        .value_kind:     hidden_global_offset_x
      - .offset:         192
        .size:           8
        .value_kind:     hidden_global_offset_y
      - .offset:         200
        .size:           8
        .value_kind:     hidden_global_offset_z
      - .offset:         208
        .size:           2
        .value_kind:     hidden_grid_dims
    .group_segment_fixed_size: 8192
    .kernarg_segment_align: 8
    .kernarg_segment_size: 400
    .language:       OpenCL C
    .language_version:
      - 2
      - 0
    .max_flat_workgroup_size: 512
    .name:           _ZL20rocblas_gemvn_kernelILi32ELi16ElfffEviiT3_lPKT2_lT1_lS3_lS4_lS0_lPT4_lS4_li
    .private_segment_fixed_size: 0
    .sgpr_count:     46
    .sgpr_spill_count: 0
    .symbol:         _ZL20rocblas_gemvn_kernelILi32ELi16ElfffEviiT3_lPKT2_lT1_lS3_lS4_lS0_lPT4_lS4_li.kd
    .uniform_work_group_size: 1
    .uses_dynamic_stack: false
    .vgpr_count:     51
    .vgpr_spill_count: 0
    .wavefront_size: 32
    .workgroup_processor_mode: 1
  - .args:
      - .offset:         0
        .size:           4
        .value_kind:     by_value
      - .offset:         4
        .size:           4
        .value_kind:     by_value
      - .address_space:  global
        .offset:         8
        .size:           8
        .value_kind:     global_buffer
      - .offset:         16
        .size:           8
        .value_kind:     by_value
      - .address_space:  global
        .offset:         24
        .size:           8
        .value_kind:     global_buffer
      - .offset:         32
        .size:           8
        .value_kind:     by_value
      - .offset:         40
        .size:           4
        .value_kind:     by_value
      - .offset:         48
        .size:           8
        .value_kind:     by_value
      - .address_space:  global
        .offset:         56
        .size:           8
        .value_kind:     global_buffer
      - .offset:         64
        .size:           8
        .value_kind:     by_value
      - .offset:         72
        .size:           4
        .value_kind:     by_value
      - .offset:         80
        .size:           8
        .value_kind:     by_value
      - .address_space:  global
        .offset:         88
        .size:           8
        .value_kind:     global_buffer
      - .offset:         96
        .size:           8
        .value_kind:     by_value
      - .address_space:  global
        .offset:         104
        .size:           8
        .value_kind:     global_buffer
      - .offset:         112
        .size:           8
        .value_kind:     by_value
      - .offset:         120
        .size:           4
        .value_kind:     by_value
      - .offset:         128
        .size:           8
        .value_kind:     by_value
      - .offset:         136
        .size:           4
        .value_kind:     by_value
      - .offset:         144
        .size:           4
        .value_kind:     hidden_block_count_x
      - .offset:         148
        .size:           4
        .value_kind:     hidden_block_count_y
      - .offset:         152
        .size:           4
        .value_kind:     hidden_block_count_z
      - .offset:         156
        .size:           2
        .value_kind:     hidden_group_size_x
      - .offset:         158
        .size:           2
        .value_kind:     hidden_group_size_y
      - .offset:         160
        .size:           2
        .value_kind:     hidden_group_size_z
      - .offset:         162
        .size:           2
        .value_kind:     hidden_remainder_x
      - .offset:         164
        .size:           2
        .value_kind:     hidden_remainder_y
      - .offset:         166
        .size:           2
        .value_kind:     hidden_remainder_z
      - .offset:         184
        .size:           8
        .value_kind:     hidden_global_offset_x
      - .offset:         192
        .size:           8
        .value_kind:     hidden_global_offset_y
      - .offset:         200
        .size:           8
        .value_kind:     hidden_global_offset_z
      - .offset:         208
        .size:           2
        .value_kind:     hidden_grid_dims
    .group_segment_fixed_size: 16384
    .kernarg_segment_align: 8
    .kernarg_segment_size: 400
    .language:       OpenCL C
    .language_version:
      - 2
      - 0
    .max_flat_workgroup_size: 1024
    .name:           _ZL20rocblas_gemvn_kernelILi64ELi16EifPKffEviiT3_lPKT2_lT1_lS5_lS6_lS2_lPT4_lS6_li
    .private_segment_fixed_size: 0
    .sgpr_count:     30
    .sgpr_spill_count: 0
    .symbol:         _ZL20rocblas_gemvn_kernelILi64ELi16EifPKffEviiT3_lPKT2_lT1_lS5_lS6_lS2_lPT4_lS6_li.kd
    .uniform_work_group_size: 1
    .uses_dynamic_stack: false
    .vgpr_count:     41
    .vgpr_spill_count: 0
    .wavefront_size: 32
    .workgroup_processor_mode: 1
  - .args:
      - .offset:         0
        .size:           4
        .value_kind:     by_value
      - .offset:         4
        .size:           4
        .value_kind:     by_value
      - .address_space:  global
        .offset:         8
        .size:           8
        .value_kind:     global_buffer
      - .offset:         16
        .size:           8
        .value_kind:     by_value
      - .address_space:  global
        .offset:         24
        .size:           8
        .value_kind:     global_buffer
      - .offset:         32
        .size:           8
        .value_kind:     by_value
      - .offset:         40
        .size:           8
        .value_kind:     by_value
      - .offset:         48
        .size:           8
        .value_kind:     by_value
      - .address_space:  global
        .offset:         56
        .size:           8
        .value_kind:     global_buffer
      - .offset:         64
        .size:           8
        .value_kind:     by_value
      - .offset:         72
        .size:           8
        .value_kind:     by_value
      - .offset:         80
        .size:           8
        .value_kind:     by_value
      - .address_space:  global
        .offset:         88
        .size:           8
        .value_kind:     global_buffer
      - .offset:         96
        .size:           8
        .value_kind:     by_value
      - .address_space:  global
        .offset:         104
        .size:           8
        .value_kind:     global_buffer
      - .offset:         112
        .size:           8
        .value_kind:     by_value
      - .offset:         120
        .size:           8
        .value_kind:     by_value
      - .offset:         128
        .size:           8
        .value_kind:     by_value
      - .offset:         136
        .size:           4
        .value_kind:     by_value
      - .offset:         144
        .size:           4
        .value_kind:     hidden_block_count_x
      - .offset:         148
        .size:           4
        .value_kind:     hidden_block_count_y
      - .offset:         152
        .size:           4
        .value_kind:     hidden_block_count_z
      - .offset:         156
        .size:           2
        .value_kind:     hidden_group_size_x
      - .offset:         158
        .size:           2
        .value_kind:     hidden_group_size_y
      - .offset:         160
        .size:           2
        .value_kind:     hidden_group_size_z
      - .offset:         162
        .size:           2
        .value_kind:     hidden_remainder_x
      - .offset:         164
        .size:           2
        .value_kind:     hidden_remainder_y
      - .offset:         166
        .size:           2
        .value_kind:     hidden_remainder_z
      - .offset:         184
        .size:           8
        .value_kind:     hidden_global_offset_x
      - .offset:         192
        .size:           8
        .value_kind:     hidden_global_offset_y
      - .offset:         200
        .size:           8
        .value_kind:     hidden_global_offset_z
      - .offset:         208
        .size:           2
        .value_kind:     hidden_grid_dims
    .group_segment_fixed_size: 16384
    .kernarg_segment_align: 8
    .kernarg_segment_size: 400
    .language:       OpenCL C
    .language_version:
      - 2
      - 0
    .max_flat_workgroup_size: 1024
    .name:           _ZL20rocblas_gemvn_kernelILi64ELi16ElfPKffEviiT3_lPKT2_lT1_lS5_lS6_lS2_lPT4_lS6_li
    .private_segment_fixed_size: 0
    .sgpr_count:     54
    .sgpr_spill_count: 0
    .symbol:         _ZL20rocblas_gemvn_kernelILi64ELi16ElfPKffEviiT3_lPKT2_lT1_lS5_lS6_lS2_lPT4_lS6_li.kd
    .uniform_work_group_size: 1
    .uses_dynamic_stack: false
    .vgpr_count:     51
    .vgpr_spill_count: 0
    .wavefront_size: 32
    .workgroup_processor_mode: 1
  - .args:
      - .offset:         0
        .size:           4
        .value_kind:     by_value
      - .offset:         4
        .size:           4
        .value_kind:     by_value
      - .offset:         8
        .size:           4
        .value_kind:     by_value
      - .offset:         16
        .size:           8
        .value_kind:     by_value
      - .address_space:  global
        .offset:         24
        .size:           8
        .value_kind:     global_buffer
      - .offset:         32
        .size:           8
        .value_kind:     by_value
      - .offset:         40
        .size:           4
        .value_kind:     by_value
      - .offset:         48
        .size:           8
        .value_kind:     by_value
      - .address_space:  global
        .offset:         56
        .size:           8
        .value_kind:     global_buffer
      - .offset:         64
        .size:           8
        .value_kind:     by_value
      - .offset:         72
        .size:           4
        .value_kind:     by_value
      - .offset:         80
        .size:           8
        .value_kind:     by_value
      - .offset:         88
        .size:           4
        .value_kind:     by_value
      - .offset:         96
        .size:           8
        .value_kind:     by_value
      - .address_space:  global
        .offset:         104
        .size:           8
        .value_kind:     global_buffer
      - .offset:         112
        .size:           8
        .value_kind:     by_value
      - .offset:         120
        .size:           4
        .value_kind:     by_value
      - .offset:         128
        .size:           8
        .value_kind:     by_value
      - .offset:         136
        .size:           4
        .value_kind:     by_value
      - .offset:         144
        .size:           4
        .value_kind:     hidden_block_count_x
      - .offset:         148
        .size:           4
        .value_kind:     hidden_block_count_y
      - .offset:         152
        .size:           4
        .value_kind:     hidden_block_count_z
      - .offset:         156
        .size:           2
        .value_kind:     hidden_group_size_x
      - .offset:         158
        .size:           2
        .value_kind:     hidden_group_size_y
      - .offset:         160
        .size:           2
        .value_kind:     hidden_group_size_z
      - .offset:         162
        .size:           2
        .value_kind:     hidden_remainder_x
      - .offset:         164
        .size:           2
        .value_kind:     hidden_remainder_y
      - .offset:         166
        .size:           2
        .value_kind:     hidden_remainder_z
      - .offset:         184
        .size:           8
        .value_kind:     hidden_global_offset_x
      - .offset:         192
        .size:           8
        .value_kind:     hidden_global_offset_y
      - .offset:         200
        .size:           8
        .value_kind:     hidden_global_offset_z
      - .offset:         208
        .size:           2
        .value_kind:     hidden_grid_dims
    .group_segment_fixed_size: 16384
    .kernarg_segment_align: 8
    .kernarg_segment_size: 400
    .language:       OpenCL C
    .language_version:
      - 2
      - 0
    .max_flat_workgroup_size: 1024
    .name:           _ZL20rocblas_gemvn_kernelILi64ELi16EifffEviiT3_lPKT2_lT1_lS3_lS4_lS0_lPT4_lS4_li
    .private_segment_fixed_size: 0
    .sgpr_count:     30
    .sgpr_spill_count: 0
    .symbol:         _ZL20rocblas_gemvn_kernelILi64ELi16EifffEviiT3_lPKT2_lT1_lS3_lS4_lS0_lPT4_lS4_li.kd
    .uniform_work_group_size: 1
    .uses_dynamic_stack: false
    .vgpr_count:     41
    .vgpr_spill_count: 0
    .wavefront_size: 32
    .workgroup_processor_mode: 1
  - .args:
      - .offset:         0
        .size:           4
        .value_kind:     by_value
      - .offset:         4
        .size:           4
        .value_kind:     by_value
      - .offset:         8
        .size:           4
        .value_kind:     by_value
      - .offset:         16
        .size:           8
        .value_kind:     by_value
      - .address_space:  global
        .offset:         24
        .size:           8
        .value_kind:     global_buffer
      - .offset:         32
        .size:           8
        .value_kind:     by_value
      - .offset:         40
        .size:           8
        .value_kind:     by_value
      - .offset:         48
        .size:           8
        .value_kind:     by_value
      - .address_space:  global
        .offset:         56
        .size:           8
        .value_kind:     global_buffer
      - .offset:         64
        .size:           8
        .value_kind:     by_value
      - .offset:         72
        .size:           8
        .value_kind:     by_value
      - .offset:         80
        .size:           8
        .value_kind:     by_value
      - .offset:         88
        .size:           4
        .value_kind:     by_value
      - .offset:         96
        .size:           8
        .value_kind:     by_value
      - .address_space:  global
        .offset:         104
        .size:           8
        .value_kind:     global_buffer
      - .offset:         112
        .size:           8
        .value_kind:     by_value
      - .offset:         120
        .size:           8
        .value_kind:     by_value
      - .offset:         128
        .size:           8
        .value_kind:     by_value
      - .offset:         136
        .size:           4
        .value_kind:     by_value
      - .offset:         144
        .size:           4
        .value_kind:     hidden_block_count_x
      - .offset:         148
        .size:           4
        .value_kind:     hidden_block_count_y
      - .offset:         152
        .size:           4
        .value_kind:     hidden_block_count_z
      - .offset:         156
        .size:           2
        .value_kind:     hidden_group_size_x
      - .offset:         158
        .size:           2
        .value_kind:     hidden_group_size_y
      - .offset:         160
        .size:           2
        .value_kind:     hidden_group_size_z
      - .offset:         162
        .size:           2
        .value_kind:     hidden_remainder_x
      - .offset:         164
        .size:           2
        .value_kind:     hidden_remainder_y
      - .offset:         166
        .size:           2
        .value_kind:     hidden_remainder_z
      - .offset:         184
        .size:           8
        .value_kind:     hidden_global_offset_x
      - .offset:         192
        .size:           8
        .value_kind:     hidden_global_offset_y
      - .offset:         200
        .size:           8
        .value_kind:     hidden_global_offset_z
      - .offset:         208
        .size:           2
        .value_kind:     hidden_grid_dims
    .group_segment_fixed_size: 16384
    .kernarg_segment_align: 8
    .kernarg_segment_size: 400
    .language:       OpenCL C
    .language_version:
      - 2
      - 0
    .max_flat_workgroup_size: 1024
    .name:           _ZL20rocblas_gemvn_kernelILi64ELi16ElfffEviiT3_lPKT2_lT1_lS3_lS4_lS0_lPT4_lS4_li
    .private_segment_fixed_size: 0
    .sgpr_count:     46
    .sgpr_spill_count: 0
    .symbol:         _ZL20rocblas_gemvn_kernelILi64ELi16ElfffEviiT3_lPKT2_lT1_lS3_lS4_lS0_lPT4_lS4_li.kd
    .uniform_work_group_size: 1
    .uses_dynamic_stack: false
    .vgpr_count:     51
    .vgpr_spill_count: 0
    .wavefront_size: 32
    .workgroup_processor_mode: 1
  - .args:
      - .offset:         0
        .size:           4
        .value_kind:     by_value
      - .offset:         4
        .size:           4
        .value_kind:     by_value
      - .address_space:  global
        .offset:         8
        .size:           8
        .value_kind:     global_buffer
      - .offset:         16
        .size:           8
        .value_kind:     by_value
      - .address_space:  global
        .offset:         24
        .size:           8
        .value_kind:     global_buffer
      - .offset:         32
        .size:           8
        .value_kind:     by_value
      - .offset:         40
        .size:           4
        .value_kind:     by_value
      - .offset:         48
        .size:           8
        .value_kind:     by_value
      - .address_space:  global
        .offset:         56
        .size:           8
        .value_kind:     global_buffer
      - .offset:         64
        .size:           8
        .value_kind:     by_value
      - .offset:         72
        .size:           4
        .value_kind:     by_value
      - .offset:         80
        .size:           8
        .value_kind:     by_value
      - .address_space:  global
        .offset:         88
        .size:           8
        .value_kind:     global_buffer
      - .offset:         96
        .size:           8
        .value_kind:     by_value
      - .address_space:  global
        .offset:         104
        .size:           8
        .value_kind:     global_buffer
      - .offset:         112
        .size:           8
        .value_kind:     by_value
      - .offset:         120
        .size:           4
        .value_kind:     by_value
      - .offset:         128
        .size:           8
        .value_kind:     by_value
    .group_segment_fixed_size: 256
    .kernarg_segment_align: 8
    .kernarg_segment_size: 136
    .language:       OpenCL C
    .language_version:
      - 2
      - 0
    .max_flat_workgroup_size: 256
    .name:           _ZL22rocblas_gemvtsm_kernelILb0ELi256EfPKffEviiT2_lPKT1_lilS5_lilS2_lPT3_lil
    .private_segment_fixed_size: 0
    .sgpr_count:     31
    .sgpr_spill_count: 0
    .symbol:         _ZL22rocblas_gemvtsm_kernelILb0ELi256EfPKffEviiT2_lPKT1_lilS5_lilS2_lPT3_lil.kd
    .uniform_work_group_size: 1
    .uses_dynamic_stack: false
    .vgpr_count:     26
    .vgpr_spill_count: 0
    .wavefront_size: 32
    .workgroup_processor_mode: 1
  - .args:
      - .offset:         0
        .size:           4
        .value_kind:     by_value
      - .offset:         4
        .size:           4
        .value_kind:     by_value
      - .offset:         8
        .size:           4
        .value_kind:     by_value
      - .offset:         16
        .size:           8
        .value_kind:     by_value
      - .address_space:  global
        .offset:         24
        .size:           8
        .value_kind:     global_buffer
      - .offset:         32
        .size:           8
        .value_kind:     by_value
      - .offset:         40
        .size:           4
        .value_kind:     by_value
      - .offset:         48
        .size:           8
        .value_kind:     by_value
      - .address_space:  global
        .offset:         56
        .size:           8
        .value_kind:     global_buffer
      - .offset:         64
        .size:           8
        .value_kind:     by_value
      - .offset:         72
        .size:           4
        .value_kind:     by_value
      - .offset:         80
        .size:           8
        .value_kind:     by_value
      - .offset:         88
        .size:           4
        .value_kind:     by_value
      - .offset:         96
        .size:           8
        .value_kind:     by_value
      - .address_space:  global
        .offset:         104
        .size:           8
        .value_kind:     global_buffer
      - .offset:         112
        .size:           8
        .value_kind:     by_value
      - .offset:         120
        .size:           4
        .value_kind:     by_value
      - .offset:         128
        .size:           8
        .value_kind:     by_value
    .group_segment_fixed_size: 256
    .kernarg_segment_align: 8
    .kernarg_segment_size: 136
    .language:       OpenCL C
    .language_version:
      - 2
      - 0
    .max_flat_workgroup_size: 256
    .name:           _ZL22rocblas_gemvtsm_kernelILb0ELi256EfffEviiT2_lPKT1_lilS3_lilS0_lPT3_lil
    .private_segment_fixed_size: 0
    .sgpr_count:     27
    .sgpr_spill_count: 0
    .symbol:         _ZL22rocblas_gemvtsm_kernelILb0ELi256EfffEviiT2_lPKT1_lilS3_lilS0_lPT3_lil.kd
    .uniform_work_group_size: 1
    .uses_dynamic_stack: false
    .vgpr_count:     26
    .vgpr_spill_count: 0
    .wavefront_size: 32
    .workgroup_processor_mode: 1
  - .args:
      - .offset:         0
        .size:           4
        .value_kind:     by_value
      - .offset:         4
        .size:           4
        .value_kind:     by_value
      - .address_space:  global
        .offset:         8
        .size:           8
        .value_kind:     global_buffer
      - .offset:         16
        .size:           8
        .value_kind:     by_value
      - .address_space:  global
        .offset:         24
        .size:           8
        .value_kind:     global_buffer
      - .offset:         32
        .size:           8
        .value_kind:     by_value
      - .offset:         40
        .size:           4
        .value_kind:     by_value
      - .offset:         48
        .size:           8
        .value_kind:     by_value
      - .address_space:  global
        .offset:         56
        .size:           8
        .value_kind:     global_buffer
      - .offset:         64
        .size:           8
        .value_kind:     by_value
      - .offset:         72
        .size:           4
        .value_kind:     by_value
      - .offset:         80
        .size:           8
        .value_kind:     by_value
      - .address_space:  global
        .offset:         88
        .size:           8
        .value_kind:     global_buffer
      - .offset:         96
        .size:           4
        .value_kind:     by_value
      - .offset:         104
        .size:           4
        .value_kind:     hidden_block_count_x
      - .offset:         108
        .size:           4
        .value_kind:     hidden_block_count_y
      - .offset:         112
        .size:           4
        .value_kind:     hidden_block_count_z
      - .offset:         116
        .size:           2
        .value_kind:     hidden_group_size_x
      - .offset:         118
        .size:           2
        .value_kind:     hidden_group_size_y
      - .offset:         120
        .size:           2
        .value_kind:     hidden_group_size_z
      - .offset:         122
        .size:           2
        .value_kind:     hidden_remainder_x
      - .offset:         124
        .size:           2
        .value_kind:     hidden_remainder_y
      - .offset:         126
        .size:           2
        .value_kind:     hidden_remainder_z
      - .offset:         144
        .size:           8
        .value_kind:     hidden_global_offset_x
      - .offset:         152
        .size:           8
        .value_kind:     hidden_global_offset_y
      - .offset:         160
        .size:           8
        .value_kind:     hidden_global_offset_z
      - .offset:         168
        .size:           2
        .value_kind:     hidden_grid_dims
    .group_segment_fixed_size: 128
    .kernarg_segment_align: 8
    .kernarg_segment_size: 360
    .language:       OpenCL C
    .language_version:
      - 2
      - 0
    .max_flat_workgroup_size: 256
    .name:           _ZL23rocblas_gemvt_sn_kernelILb0ELi256ELi4EifPKffEviiT4_lPKT3_lilS5_lilPT5_i
    .private_segment_fixed_size: 0
    .sgpr_count:     52
    .sgpr_spill_count: 0
    .symbol:         _ZL23rocblas_gemvt_sn_kernelILb0ELi256ELi4EifPKffEviiT4_lPKT3_lilS5_lilPT5_i.kd
    .uniform_work_group_size: 1
    .uses_dynamic_stack: false
    .vgpr_count:     55
    .vgpr_spill_count: 0
    .wavefront_size: 32
    .workgroup_processor_mode: 1
  - .args:
      - .offset:         0
        .size:           4
        .value_kind:     by_value
      - .offset:         4
        .size:           4
        .value_kind:     by_value
      - .address_space:  global
        .offset:         8
        .size:           8
        .value_kind:     global_buffer
      - .offset:         16
        .size:           8
        .value_kind:     by_value
      - .address_space:  global
        .offset:         24
        .size:           8
        .value_kind:     global_buffer
      - .offset:         32
        .size:           8
        .value_kind:     by_value
      - .offset:         40
        .size:           4
        .value_kind:     by_value
      - .offset:         48
        .size:           8
        .value_kind:     by_value
      - .address_space:  global
        .offset:         56
        .size:           8
        .value_kind:     global_buffer
      - .offset:         64
        .size:           8
        .value_kind:     by_value
      - .offset:         72
        .size:           4
        .value_kind:     by_value
      - .offset:         80
        .size:           8
        .value_kind:     by_value
      - .address_space:  global
        .offset:         88
        .size:           8
        .value_kind:     global_buffer
      - .offset:         96
        .size:           4
        .value_kind:     by_value
      - .offset:         104
        .size:           4
        .value_kind:     hidden_block_count_x
      - .offset:         108
        .size:           4
        .value_kind:     hidden_block_count_y
      - .offset:         112
        .size:           4
        .value_kind:     hidden_block_count_z
      - .offset:         116
        .size:           2
        .value_kind:     hidden_group_size_x
      - .offset:         118
        .size:           2
        .value_kind:     hidden_group_size_y
      - .offset:         120
        .size:           2
        .value_kind:     hidden_group_size_z
      - .offset:         122
        .size:           2
        .value_kind:     hidden_remainder_x
      - .offset:         124
        .size:           2
        .value_kind:     hidden_remainder_y
      - .offset:         126
        .size:           2
        .value_kind:     hidden_remainder_z
      - .offset:         144
        .size:           8
        .value_kind:     hidden_global_offset_x
      - .offset:         152
        .size:           8
        .value_kind:     hidden_global_offset_y
      - .offset:         160
        .size:           8
        .value_kind:     hidden_global_offset_z
      - .offset:         168
        .size:           2
        .value_kind:     hidden_grid_dims
    .group_segment_fixed_size: 128
    .kernarg_segment_align: 8
    .kernarg_segment_size: 360
    .language:       OpenCL C
    .language_version:
      - 2
      - 0
    .max_flat_workgroup_size: 256
    .name:           _ZL23rocblas_gemvt_sn_kernelILb0ELi256ELi4ElfPKffEviiT4_lPKT3_lilS5_lilPT5_i
    .private_segment_fixed_size: 0
    .sgpr_count:     58
    .sgpr_spill_count: 0
    .symbol:         _ZL23rocblas_gemvt_sn_kernelILb0ELi256ELi4ElfPKffEviiT4_lPKT3_lilS5_lilPT5_i.kd
    .uniform_work_group_size: 1
    .uses_dynamic_stack: false
    .vgpr_count:     59
    .vgpr_spill_count: 0
    .wavefront_size: 32
    .workgroup_processor_mode: 1
  - .args:
      - .offset:         0
        .size:           4
        .value_kind:     by_value
      - .offset:         4
        .size:           4
        .value_kind:     by_value
      - .offset:         8
        .size:           4
        .value_kind:     by_value
      - .offset:         16
        .size:           8
        .value_kind:     by_value
      - .address_space:  global
        .offset:         24
        .size:           8
        .value_kind:     global_buffer
      - .offset:         32
        .size:           8
        .value_kind:     by_value
      - .offset:         40
        .size:           4
        .value_kind:     by_value
      - .offset:         48
        .size:           8
        .value_kind:     by_value
      - .address_space:  global
        .offset:         56
        .size:           8
        .value_kind:     global_buffer
      - .offset:         64
        .size:           8
        .value_kind:     by_value
      - .offset:         72
        .size:           4
        .value_kind:     by_value
      - .offset:         80
        .size:           8
        .value_kind:     by_value
      - .address_space:  global
        .offset:         88
        .size:           8
        .value_kind:     global_buffer
      - .offset:         96
        .size:           4
        .value_kind:     by_value
      - .offset:         104
        .size:           4
        .value_kind:     hidden_block_count_x
      - .offset:         108
        .size:           4
        .value_kind:     hidden_block_count_y
      - .offset:         112
        .size:           4
        .value_kind:     hidden_block_count_z
      - .offset:         116
        .size:           2
        .value_kind:     hidden_group_size_x
      - .offset:         118
        .size:           2
        .value_kind:     hidden_group_size_y
      - .offset:         120
        .size:           2
        .value_kind:     hidden_group_size_z
      - .offset:         122
        .size:           2
        .value_kind:     hidden_remainder_x
      - .offset:         124
        .size:           2
        .value_kind:     hidden_remainder_y
      - .offset:         126
        .size:           2
        .value_kind:     hidden_remainder_z
      - .offset:         144
        .size:           8
        .value_kind:     hidden_global_offset_x
      - .offset:         152
        .size:           8
        .value_kind:     hidden_global_offset_y
      - .offset:         160
        .size:           8
        .value_kind:     hidden_global_offset_z
      - .offset:         168
        .size:           2
        .value_kind:     hidden_grid_dims
    .group_segment_fixed_size: 128
    .kernarg_segment_align: 8
    .kernarg_segment_size: 360
    .language:       OpenCL C
    .language_version:
      - 2
      - 0
    .max_flat_workgroup_size: 256
    .name:           _ZL23rocblas_gemvt_sn_kernelILb0ELi256ELi4EifffEviiT4_lPKT3_lilS3_lilPT5_i
    .private_segment_fixed_size: 0
    .sgpr_count:     52
    .sgpr_spill_count: 0
    .symbol:         _ZL23rocblas_gemvt_sn_kernelILb0ELi256ELi4EifffEviiT4_lPKT3_lilS3_lilPT5_i.kd
    .uniform_work_group_size: 1
    .uses_dynamic_stack: false
    .vgpr_count:     55
    .vgpr_spill_count: 0
    .wavefront_size: 32
    .workgroup_processor_mode: 1
  - .args:
      - .offset:         0
        .size:           4
        .value_kind:     by_value
      - .offset:         4
        .size:           4
        .value_kind:     by_value
      - .offset:         8
        .size:           4
        .value_kind:     by_value
      - .offset:         16
        .size:           8
        .value_kind:     by_value
      - .address_space:  global
        .offset:         24
        .size:           8
        .value_kind:     global_buffer
      - .offset:         32
        .size:           8
        .value_kind:     by_value
      - .offset:         40
        .size:           4
        .value_kind:     by_value
      - .offset:         48
        .size:           8
        .value_kind:     by_value
      - .address_space:  global
        .offset:         56
        .size:           8
        .value_kind:     global_buffer
      - .offset:         64
        .size:           8
        .value_kind:     by_value
      - .offset:         72
        .size:           4
        .value_kind:     by_value
      - .offset:         80
        .size:           8
        .value_kind:     by_value
      - .address_space:  global
        .offset:         88
        .size:           8
        .value_kind:     global_buffer
      - .offset:         96
        .size:           4
        .value_kind:     by_value
      - .offset:         104
        .size:           4
        .value_kind:     hidden_block_count_x
      - .offset:         108
        .size:           4
        .value_kind:     hidden_block_count_y
      - .offset:         112
        .size:           4
        .value_kind:     hidden_block_count_z
      - .offset:         116
        .size:           2
        .value_kind:     hidden_group_size_x
      - .offset:         118
        .size:           2
        .value_kind:     hidden_group_size_y
      - .offset:         120
        .size:           2
        .value_kind:     hidden_group_size_z
      - .offset:         122
        .size:           2
        .value_kind:     hidden_remainder_x
      - .offset:         124
        .size:           2
        .value_kind:     hidden_remainder_y
      - .offset:         126
        .size:           2
        .value_kind:     hidden_remainder_z
      - .offset:         144
        .size:           8
        .value_kind:     hidden_global_offset_x
      - .offset:         152
        .size:           8
        .value_kind:     hidden_global_offset_y
      - .offset:         160
        .size:           8
        .value_kind:     hidden_global_offset_z
      - .offset:         168
        .size:           2
        .value_kind:     hidden_grid_dims
    .group_segment_fixed_size: 128
    .kernarg_segment_align: 8
    .kernarg_segment_size: 360
    .language:       OpenCL C
    .language_version:
      - 2
      - 0
    .max_flat_workgroup_size: 256
    .name:           _ZL23rocblas_gemvt_sn_kernelILb0ELi256ELi4ElfffEviiT4_lPKT3_lilS3_lilPT5_i
    .private_segment_fixed_size: 0
    .sgpr_count:     58
    .sgpr_spill_count: 0
    .symbol:         _ZL23rocblas_gemvt_sn_kernelILb0ELi256ELi4ElfffEviiT4_lPKT3_lilS3_lilPT5_i.kd
    .uniform_work_group_size: 1
    .uses_dynamic_stack: false
    .vgpr_count:     59
    .vgpr_spill_count: 0
    .wavefront_size: 32
    .workgroup_processor_mode: 1
  - .args:
      - .offset:         0
        .size:           4
        .value_kind:     by_value
      - .offset:         4
        .size:           4
        .value_kind:     by_value
      - .address_space:  global
        .offset:         8
        .size:           8
        .value_kind:     global_buffer
      - .offset:         16
        .size:           8
        .value_kind:     by_value
      - .address_space:  global
        .offset:         24
        .size:           8
        .value_kind:     global_buffer
      - .offset:         32
        .size:           8
        .value_kind:     by_value
      - .offset:         40
        .size:           4
        .value_kind:     by_value
      - .offset:         48
        .size:           8
        .value_kind:     by_value
      - .address_space:  global
        .offset:         56
        .size:           8
        .value_kind:     global_buffer
      - .offset:         64
        .size:           8
        .value_kind:     by_value
      - .offset:         72
        .size:           4
        .value_kind:     by_value
      - .offset:         80
        .size:           8
        .value_kind:     by_value
      - .address_space:  global
        .offset:         88
        .size:           8
        .value_kind:     global_buffer
      - .offset:         96
        .size:           8
        .value_kind:     by_value
      - .offset:         104
        .size:           4
        .value_kind:     by_value
      - .offset:         112
        .size:           8
        .value_kind:     by_value
      - .offset:         120
        .size:           4
        .value_kind:     by_value
      - .offset:         128
        .size:           4
        .value_kind:     hidden_block_count_x
      - .offset:         132
        .size:           4
        .value_kind:     hidden_block_count_y
      - .offset:         136
        .size:           4
        .value_kind:     hidden_block_count_z
      - .offset:         140
        .size:           2
        .value_kind:     hidden_group_size_x
      - .offset:         142
        .size:           2
        .value_kind:     hidden_group_size_y
      - .offset:         144
        .size:           2
        .value_kind:     hidden_group_size_z
      - .offset:         146
        .size:           2
        .value_kind:     hidden_remainder_x
      - .offset:         148
        .size:           2
        .value_kind:     hidden_remainder_y
      - .offset:         150
        .size:           2
        .value_kind:     hidden_remainder_z
      - .offset:         168
        .size:           8
        .value_kind:     hidden_global_offset_x
      - .offset:         176
        .size:           8
        .value_kind:     hidden_global_offset_y
      - .offset:         184
        .size:           8
        .value_kind:     hidden_global_offset_z
      - .offset:         192
        .size:           2
        .value_kind:     hidden_grid_dims
    .group_segment_fixed_size: 32768
    .kernarg_segment_align: 8
    .kernarg_segment_size: 384
    .language:       OpenCL C
    .language_version:
      - 2
      - 0
    .max_flat_workgroup_size: 1024
    .name:           _ZL36rocblas_gemvt_double_buffered_kernelILb0ELi128ELi8ELi8EfPKffEviiT4_lPKT3_lilS5_lilPT5_lili
    .private_segment_fixed_size: 0
    .sgpr_count:     36
    .sgpr_spill_count: 0
    .symbol:         _ZL36rocblas_gemvt_double_buffered_kernelILb0ELi128ELi8ELi8EfPKffEviiT4_lPKT3_lilS5_lilPT5_lili.kd
    .uniform_work_group_size: 1
    .uses_dynamic_stack: false
    .vgpr_count:     69
    .vgpr_spill_count: 0
    .wavefront_size: 32
    .workgroup_processor_mode: 1
  - .args:
      - .offset:         0
        .size:           4
        .value_kind:     by_value
      - .offset:         4
        .size:           4
        .value_kind:     by_value
      - .offset:         8
        .size:           4
        .value_kind:     by_value
      - .offset:         16
        .size:           8
        .value_kind:     by_value
      - .address_space:  global
        .offset:         24
        .size:           8
        .value_kind:     global_buffer
      - .offset:         32
        .size:           8
        .value_kind:     by_value
      - .offset:         40
        .size:           4
        .value_kind:     by_value
      - .offset:         48
        .size:           8
        .value_kind:     by_value
      - .address_space:  global
        .offset:         56
        .size:           8
        .value_kind:     global_buffer
      - .offset:         64
        .size:           8
        .value_kind:     by_value
      - .offset:         72
        .size:           4
        .value_kind:     by_value
      - .offset:         80
        .size:           8
        .value_kind:     by_value
      - .address_space:  global
        .offset:         88
        .size:           8
        .value_kind:     global_buffer
      - .offset:         96
        .size:           8
        .value_kind:     by_value
      - .offset:         104
        .size:           4
        .value_kind:     by_value
      - .offset:         112
        .size:           8
        .value_kind:     by_value
      - .offset:         120
        .size:           4
        .value_kind:     by_value
      - .offset:         128
        .size:           4
        .value_kind:     hidden_block_count_x
      - .offset:         132
        .size:           4
        .value_kind:     hidden_block_count_y
      - .offset:         136
        .size:           4
        .value_kind:     hidden_block_count_z
      - .offset:         140
        .size:           2
        .value_kind:     hidden_group_size_x
      - .offset:         142
        .size:           2
        .value_kind:     hidden_group_size_y
      - .offset:         144
        .size:           2
        .value_kind:     hidden_group_size_z
      - .offset:         146
        .size:           2
        .value_kind:     hidden_remainder_x
      - .offset:         148
        .size:           2
        .value_kind:     hidden_remainder_y
      - .offset:         150
        .size:           2
        .value_kind:     hidden_remainder_z
      - .offset:         168
        .size:           8
        .value_kind:     hidden_global_offset_x
      - .offset:         176
        .size:           8
        .value_kind:     hidden_global_offset_y
      - .offset:         184
        .size:           8
        .value_kind:     hidden_global_offset_z
      - .offset:         192
        .size:           2
        .value_kind:     hidden_grid_dims
    .group_segment_fixed_size: 32768
    .kernarg_segment_align: 8
    .kernarg_segment_size: 384
    .language:       OpenCL C
    .language_version:
      - 2
      - 0
    .max_flat_workgroup_size: 1024
    .name:           _ZL36rocblas_gemvt_double_buffered_kernelILb0ELi128ELi8ELi8EfffEviiT4_lPKT3_lilS3_lilPT5_lili
    .private_segment_fixed_size: 0
    .sgpr_count:     38
    .sgpr_spill_count: 0
    .symbol:         _ZL36rocblas_gemvt_double_buffered_kernelILb0ELi128ELi8ELi8EfffEviiT4_lPKT3_lilS3_lilPT5_lili.kd
    .uniform_work_group_size: 1
    .uses_dynamic_stack: false
    .vgpr_count:     69
    .vgpr_spill_count: 0
    .wavefront_size: 32
    .workgroup_processor_mode: 1
  - .args:
      - .offset:         0
        .size:           4
        .value_kind:     by_value
      - .offset:         4
        .size:           4
        .value_kind:     by_value
      - .address_space:  global
        .offset:         8
        .size:           8
        .value_kind:     global_buffer
      - .offset:         16
        .size:           8
        .value_kind:     by_value
      - .address_space:  global
        .offset:         24
        .size:           8
        .value_kind:     global_buffer
      - .offset:         32
        .size:           8
        .value_kind:     by_value
      - .offset:         40
        .size:           4
        .value_kind:     by_value
      - .offset:         48
        .size:           8
        .value_kind:     by_value
      - .address_space:  global
        .offset:         56
        .size:           8
        .value_kind:     global_buffer
      - .offset:         64
        .size:           8
        .value_kind:     by_value
      - .offset:         72
        .size:           4
        .value_kind:     by_value
      - .offset:         80
        .size:           8
        .value_kind:     by_value
      - .address_space:  global
        .offset:         88
        .size:           8
        .value_kind:     global_buffer
      - .offset:         96
        .size:           8
        .value_kind:     by_value
      - .address_space:  global
        .offset:         104
        .size:           8
        .value_kind:     global_buffer
      - .offset:         112
        .size:           8
        .value_kind:     by_value
      - .offset:         120
        .size:           4
        .value_kind:     by_value
      - .offset:         128
        .size:           8
        .value_kind:     by_value
      - .offset:         136
        .size:           4
        .value_kind:     by_value
    .group_segment_fixed_size: 128
    .kernarg_segment_align: 8
    .kernarg_segment_size: 140
    .language:       OpenCL C
    .language_version:
      - 2
      - 0
    .max_flat_workgroup_size: 256
    .name:           _ZL32rocblas_gemvt_warp_reduce_kernelILb0ELi256EifPKffEviiT3_lPKT2_lT1_lS5_lS6_lS2_lPT4_lS6_li
    .private_segment_fixed_size: 0
    .sgpr_count:     27
    .sgpr_spill_count: 0
    .symbol:         _ZL32rocblas_gemvt_warp_reduce_kernelILb0ELi256EifPKffEviiT3_lPKT2_lT1_lS5_lS6_lS2_lPT4_lS6_li.kd
    .uniform_work_group_size: 1
    .uses_dynamic_stack: false
    .vgpr_count:     11
    .vgpr_spill_count: 0
    .wavefront_size: 32
    .workgroup_processor_mode: 1
  - .args:
      - .offset:         0
        .size:           4
        .value_kind:     by_value
      - .offset:         4
        .size:           4
        .value_kind:     by_value
      - .address_space:  global
        .offset:         8
        .size:           8
        .value_kind:     global_buffer
      - .offset:         16
        .size:           8
        .value_kind:     by_value
      - .address_space:  global
        .offset:         24
        .size:           8
        .value_kind:     global_buffer
      - .offset:         32
        .size:           8
        .value_kind:     by_value
      - .offset:         40
        .size:           8
        .value_kind:     by_value
      - .offset:         48
        .size:           8
        .value_kind:     by_value
      - .address_space:  global
        .offset:         56
        .size:           8
        .value_kind:     global_buffer
      - .offset:         64
        .size:           8
        .value_kind:     by_value
      - .offset:         72
        .size:           8
        .value_kind:     by_value
      - .offset:         80
        .size:           8
        .value_kind:     by_value
      - .address_space:  global
        .offset:         88
        .size:           8
        .value_kind:     global_buffer
      - .offset:         96
        .size:           8
        .value_kind:     by_value
      - .address_space:  global
        .offset:         104
        .size:           8
        .value_kind:     global_buffer
      - .offset:         112
        .size:           8
        .value_kind:     by_value
      - .offset:         120
        .size:           8
        .value_kind:     by_value
      - .offset:         128
        .size:           8
        .value_kind:     by_value
      - .offset:         136
        .size:           4
        .value_kind:     by_value
    .group_segment_fixed_size: 128
    .kernarg_segment_align: 8
    .kernarg_segment_size: 140
    .language:       OpenCL C
    .language_version:
      - 2
      - 0
    .max_flat_workgroup_size: 256
    .name:           _ZL32rocblas_gemvt_warp_reduce_kernelILb0ELi256ElfPKffEviiT3_lPKT2_lT1_lS5_lS6_lS2_lPT4_lS6_li
    .private_segment_fixed_size: 0
    .sgpr_count:     54
    .sgpr_spill_count: 0
    .symbol:         _ZL32rocblas_gemvt_warp_reduce_kernelILb0ELi256ElfPKffEviiT3_lPKT2_lT1_lS5_lS6_lS2_lPT4_lS6_li.kd
    .uniform_work_group_size: 1
    .uses_dynamic_stack: false
    .vgpr_count:     11
    .vgpr_spill_count: 0
    .wavefront_size: 32
    .workgroup_processor_mode: 1
  - .args:
      - .offset:         0
        .size:           4
        .value_kind:     by_value
      - .offset:         4
        .size:           4
        .value_kind:     by_value
      - .offset:         8
        .size:           4
        .value_kind:     by_value
      - .offset:         16
        .size:           8
        .value_kind:     by_value
      - .address_space:  global
        .offset:         24
        .size:           8
        .value_kind:     global_buffer
      - .offset:         32
        .size:           8
        .value_kind:     by_value
      - .offset:         40
        .size:           4
        .value_kind:     by_value
      - .offset:         48
        .size:           8
        .value_kind:     by_value
      - .address_space:  global
        .offset:         56
        .size:           8
        .value_kind:     global_buffer
      - .offset:         64
        .size:           8
        .value_kind:     by_value
      - .offset:         72
        .size:           4
        .value_kind:     by_value
      - .offset:         80
        .size:           8
        .value_kind:     by_value
      - .offset:         88
        .size:           4
        .value_kind:     by_value
      - .offset:         96
        .size:           8
        .value_kind:     by_value
      - .address_space:  global
        .offset:         104
        .size:           8
        .value_kind:     global_buffer
      - .offset:         112
        .size:           8
        .value_kind:     by_value
      - .offset:         120
        .size:           4
        .value_kind:     by_value
      - .offset:         128
        .size:           8
        .value_kind:     by_value
      - .offset:         136
        .size:           4
        .value_kind:     by_value
    .group_segment_fixed_size: 128
    .kernarg_segment_align: 8
    .kernarg_segment_size: 140
    .language:       OpenCL C
    .language_version:
      - 2
      - 0
    .max_flat_workgroup_size: 256
    .name:           _ZL32rocblas_gemvt_warp_reduce_kernelILb0ELi256EifffEviiT3_lPKT2_lT1_lS3_lS4_lS0_lPT4_lS4_li
    .private_segment_fixed_size: 0
    .sgpr_count:     26
    .sgpr_spill_count: 0
    .symbol:         _ZL32rocblas_gemvt_warp_reduce_kernelILb0ELi256EifffEviiT3_lPKT2_lT1_lS3_lS4_lS0_lPT4_lS4_li.kd
    .uniform_work_group_size: 1
    .uses_dynamic_stack: false
    .vgpr_count:     11
    .vgpr_spill_count: 0
    .wavefront_size: 32
    .workgroup_processor_mode: 1
  - .args:
      - .offset:         0
        .size:           4
        .value_kind:     by_value
      - .offset:         4
        .size:           4
        .value_kind:     by_value
      - .offset:         8
        .size:           4
        .value_kind:     by_value
      - .offset:         16
        .size:           8
        .value_kind:     by_value
      - .address_space:  global
        .offset:         24
        .size:           8
        .value_kind:     global_buffer
      - .offset:         32
        .size:           8
        .value_kind:     by_value
      - .offset:         40
        .size:           8
        .value_kind:     by_value
      - .offset:         48
        .size:           8
        .value_kind:     by_value
      - .address_space:  global
        .offset:         56
        .size:           8
        .value_kind:     global_buffer
      - .offset:         64
        .size:           8
        .value_kind:     by_value
      - .offset:         72
        .size:           8
        .value_kind:     by_value
      - .offset:         80
        .size:           8
        .value_kind:     by_value
      - .offset:         88
        .size:           4
        .value_kind:     by_value
      - .offset:         96
        .size:           8
        .value_kind:     by_value
      - .address_space:  global
        .offset:         104
        .size:           8
        .value_kind:     global_buffer
      - .offset:         112
        .size:           8
        .value_kind:     by_value
      - .offset:         120
        .size:           8
        .value_kind:     by_value
      - .offset:         128
        .size:           8
        .value_kind:     by_value
      - .offset:         136
        .size:           4
        .value_kind:     by_value
    .group_segment_fixed_size: 128
    .kernarg_segment_align: 8
    .kernarg_segment_size: 140
    .language:       OpenCL C
    .language_version:
      - 2
      - 0
    .max_flat_workgroup_size: 256
    .name:           _ZL32rocblas_gemvt_warp_reduce_kernelILb0ELi256ElfffEviiT3_lPKT2_lT1_lS3_lS4_lS0_lPT4_lS4_li
    .private_segment_fixed_size: 0
    .sgpr_count:     36
    .sgpr_spill_count: 0
    .symbol:         _ZL32rocblas_gemvt_warp_reduce_kernelILb0ELi256ElfffEviiT3_lPKT2_lT1_lS3_lS4_lS0_lPT4_lS4_li.kd
    .uniform_work_group_size: 1
    .uses_dynamic_stack: false
    .vgpr_count:     11
    .vgpr_spill_count: 0
    .wavefront_size: 32
    .workgroup_processor_mode: 1
  - .args:
      - .offset:         0
        .size:           4
        .value_kind:     by_value
      - .offset:         4
        .size:           4
        .value_kind:     by_value
      - .address_space:  global
        .offset:         8
        .size:           8
        .value_kind:     global_buffer
      - .offset:         16
        .size:           8
        .value_kind:     by_value
      - .address_space:  global
        .offset:         24
        .size:           8
        .value_kind:     global_buffer
      - .offset:         32
        .size:           8
        .value_kind:     by_value
      - .offset:         40
        .size:           4
        .value_kind:     by_value
      - .offset:         48
        .size:           8
        .value_kind:     by_value
      - .address_space:  global
        .offset:         56
        .size:           8
        .value_kind:     global_buffer
      - .offset:         64
        .size:           8
        .value_kind:     by_value
      - .offset:         72
        .size:           4
        .value_kind:     by_value
      - .offset:         80
        .size:           8
        .value_kind:     by_value
      - .address_space:  global
        .offset:         88
        .size:           8
        .value_kind:     global_buffer
      - .offset:         96
        .size:           8
        .value_kind:     by_value
      - .address_space:  global
        .offset:         104
        .size:           8
        .value_kind:     global_buffer
      - .offset:         112
        .size:           8
        .value_kind:     by_value
      - .offset:         120
        .size:           4
        .value_kind:     by_value
      - .offset:         128
        .size:           8
        .value_kind:     by_value
      - .offset:         136
        .size:           4
        .value_kind:     by_value
    .group_segment_fixed_size: 1024
    .kernarg_segment_align: 8
    .kernarg_segment_size: 140
    .language:       OpenCL C
    .language_version:
      - 2
      - 0
    .max_flat_workgroup_size: 256
    .name:           _ZL20rocblas_gemvt_kernelILb0ELi256EfPKffEviiT2_lPKT1_lilS5_lilS2_lPT3_lili
    .private_segment_fixed_size: 0
    .sgpr_count:     28
    .sgpr_spill_count: 0
    .symbol:         _ZL20rocblas_gemvt_kernelILb0ELi256EfPKffEviiT2_lPKT1_lilS5_lilS2_lPT3_lili.kd
    .uniform_work_group_size: 1
    .uses_dynamic_stack: false
    .vgpr_count:     10
    .vgpr_spill_count: 0
    .wavefront_size: 32
    .workgroup_processor_mode: 1
  - .args:
      - .offset:         0
        .size:           4
        .value_kind:     by_value
      - .offset:         4
        .size:           4
        .value_kind:     by_value
      - .offset:         8
        .size:           4
        .value_kind:     by_value
      - .offset:         16
        .size:           8
        .value_kind:     by_value
      - .address_space:  global
        .offset:         24
        .size:           8
        .value_kind:     global_buffer
      - .offset:         32
        .size:           8
        .value_kind:     by_value
      - .offset:         40
        .size:           4
        .value_kind:     by_value
      - .offset:         48
        .size:           8
        .value_kind:     by_value
      - .address_space:  global
        .offset:         56
        .size:           8
        .value_kind:     global_buffer
      - .offset:         64
        .size:           8
        .value_kind:     by_value
      - .offset:         72
        .size:           4
        .value_kind:     by_value
      - .offset:         80
        .size:           8
        .value_kind:     by_value
      - .offset:         88
        .size:           4
        .value_kind:     by_value
      - .offset:         96
        .size:           8
        .value_kind:     by_value
      - .address_space:  global
        .offset:         104
        .size:           8
        .value_kind:     global_buffer
      - .offset:         112
        .size:           8
        .value_kind:     by_value
      - .offset:         120
        .size:           4
        .value_kind:     by_value
      - .offset:         128
        .size:           8
        .value_kind:     by_value
      - .offset:         136
        .size:           4
        .value_kind:     by_value
    .group_segment_fixed_size: 1024
    .kernarg_segment_align: 8
    .kernarg_segment_size: 140
    .language:       OpenCL C
    .language_version:
      - 2
      - 0
    .max_flat_workgroup_size: 256
    .name:           _ZL20rocblas_gemvt_kernelILb0ELi256EfffEviiT2_lPKT1_lilS3_lilS0_lPT3_lili
    .private_segment_fixed_size: 0
    .sgpr_count:     30
    .sgpr_spill_count: 0
    .symbol:         _ZL20rocblas_gemvt_kernelILb0ELi256EfffEviiT2_lPKT1_lilS3_lilS0_lPT3_lili.kd
    .uniform_work_group_size: 1
    .uses_dynamic_stack: false
    .vgpr_count:     10
    .vgpr_spill_count: 0
    .wavefront_size: 32
    .workgroup_processor_mode: 1
  - .args:
      - .offset:         0
        .size:           4
        .value_kind:     by_value
      - .offset:         4
        .size:           4
        .value_kind:     by_value
      - .address_space:  global
        .offset:         8
        .size:           8
        .value_kind:     global_buffer
      - .offset:         16
        .size:           8
        .value_kind:     by_value
      - .address_space:  global
        .offset:         24
        .size:           8
        .value_kind:     global_buffer
      - .offset:         32
        .size:           8
        .value_kind:     by_value
      - .offset:         40
        .size:           4
        .value_kind:     by_value
      - .offset:         48
        .size:           8
        .value_kind:     by_value
      - .address_space:  global
        .offset:         56
        .size:           8
        .value_kind:     global_buffer
      - .offset:         64
        .size:           8
        .value_kind:     by_value
      - .offset:         72
        .size:           4
        .value_kind:     by_value
      - .offset:         80
        .size:           8
        .value_kind:     by_value
      - .address_space:  global
        .offset:         88
        .size:           8
        .value_kind:     global_buffer
      - .offset:         96
        .size:           8
        .value_kind:     by_value
      - .address_space:  global
        .offset:         104
        .size:           8
        .value_kind:     global_buffer
      - .offset:         112
        .size:           8
        .value_kind:     by_value
      - .offset:         120
        .size:           4
        .value_kind:     by_value
      - .offset:         128
        .size:           8
        .value_kind:     by_value
      - .offset:         136
        .size:           4
        .value_kind:     by_value
    .group_segment_fixed_size: 128
    .kernarg_segment_align: 8
    .kernarg_segment_size: 140
    .language:       OpenCL C
    .language_version:
      - 2
      - 0
    .max_flat_workgroup_size: 1024
    .name:           _ZL32rocblas_gemvt_warp_reduce_kernelILb0ELi1024EifPKffEviiT3_lPKT2_lT1_lS5_lS6_lS2_lPT4_lS6_li
    .private_segment_fixed_size: 0
    .sgpr_count:     27
    .sgpr_spill_count: 0
    .symbol:         _ZL32rocblas_gemvt_warp_reduce_kernelILb0ELi1024EifPKffEviiT3_lPKT2_lT1_lS5_lS6_lS2_lPT4_lS6_li.kd
    .uniform_work_group_size: 1
    .uses_dynamic_stack: false
    .vgpr_count:     11
    .vgpr_spill_count: 0
    .wavefront_size: 32
    .workgroup_processor_mode: 1
  - .args:
      - .offset:         0
        .size:           4
        .value_kind:     by_value
      - .offset:         4
        .size:           4
        .value_kind:     by_value
      - .address_space:  global
        .offset:         8
        .size:           8
        .value_kind:     global_buffer
      - .offset:         16
        .size:           8
        .value_kind:     by_value
      - .address_space:  global
        .offset:         24
        .size:           8
        .value_kind:     global_buffer
      - .offset:         32
        .size:           8
        .value_kind:     by_value
      - .offset:         40
        .size:           8
        .value_kind:     by_value
      - .offset:         48
        .size:           8
        .value_kind:     by_value
      - .address_space:  global
        .offset:         56
        .size:           8
        .value_kind:     global_buffer
      - .offset:         64
        .size:           8
        .value_kind:     by_value
      - .offset:         72
        .size:           8
        .value_kind:     by_value
      - .offset:         80
        .size:           8
        .value_kind:     by_value
      - .address_space:  global
        .offset:         88
        .size:           8
        .value_kind:     global_buffer
      - .offset:         96
        .size:           8
        .value_kind:     by_value
      - .address_space:  global
        .offset:         104
        .size:           8
        .value_kind:     global_buffer
      - .offset:         112
        .size:           8
        .value_kind:     by_value
      - .offset:         120
        .size:           8
        .value_kind:     by_value
      - .offset:         128
        .size:           8
        .value_kind:     by_value
      - .offset:         136
        .size:           4
        .value_kind:     by_value
    .group_segment_fixed_size: 128
    .kernarg_segment_align: 8
    .kernarg_segment_size: 140
    .language:       OpenCL C
    .language_version:
      - 2
      - 0
    .max_flat_workgroup_size: 1024
    .name:           _ZL32rocblas_gemvt_warp_reduce_kernelILb0ELi1024ElfPKffEviiT3_lPKT2_lT1_lS5_lS6_lS2_lPT4_lS6_li
    .private_segment_fixed_size: 0
    .sgpr_count:     54
    .sgpr_spill_count: 0
    .symbol:         _ZL32rocblas_gemvt_warp_reduce_kernelILb0ELi1024ElfPKffEviiT3_lPKT2_lT1_lS5_lS6_lS2_lPT4_lS6_li.kd
    .uniform_work_group_size: 1
    .uses_dynamic_stack: false
    .vgpr_count:     11
    .vgpr_spill_count: 0
    .wavefront_size: 32
    .workgroup_processor_mode: 1
  - .args:
      - .offset:         0
        .size:           4
        .value_kind:     by_value
      - .offset:         4
        .size:           4
        .value_kind:     by_value
      - .offset:         8
        .size:           4
        .value_kind:     by_value
      - .offset:         16
        .size:           8
        .value_kind:     by_value
      - .address_space:  global
        .offset:         24
        .size:           8
        .value_kind:     global_buffer
      - .offset:         32
        .size:           8
        .value_kind:     by_value
      - .offset:         40
        .size:           4
        .value_kind:     by_value
      - .offset:         48
        .size:           8
        .value_kind:     by_value
      - .address_space:  global
        .offset:         56
        .size:           8
        .value_kind:     global_buffer
      - .offset:         64
        .size:           8
        .value_kind:     by_value
      - .offset:         72
        .size:           4
        .value_kind:     by_value
      - .offset:         80
        .size:           8
        .value_kind:     by_value
      - .offset:         88
        .size:           4
        .value_kind:     by_value
      - .offset:         96
        .size:           8
        .value_kind:     by_value
      - .address_space:  global
        .offset:         104
        .size:           8
        .value_kind:     global_buffer
      - .offset:         112
        .size:           8
        .value_kind:     by_value
      - .offset:         120
        .size:           4
        .value_kind:     by_value
      - .offset:         128
        .size:           8
        .value_kind:     by_value
      - .offset:         136
        .size:           4
        .value_kind:     by_value
    .group_segment_fixed_size: 128
    .kernarg_segment_align: 8
    .kernarg_segment_size: 140
    .language:       OpenCL C
    .language_version:
      - 2
      - 0
    .max_flat_workgroup_size: 1024
    .name:           _ZL32rocblas_gemvt_warp_reduce_kernelILb0ELi1024EifffEviiT3_lPKT2_lT1_lS3_lS4_lS0_lPT4_lS4_li
    .private_segment_fixed_size: 0
    .sgpr_count:     26
    .sgpr_spill_count: 0
    .symbol:         _ZL32rocblas_gemvt_warp_reduce_kernelILb0ELi1024EifffEviiT3_lPKT2_lT1_lS3_lS4_lS0_lPT4_lS4_li.kd
    .uniform_work_group_size: 1
    .uses_dynamic_stack: false
    .vgpr_count:     11
    .vgpr_spill_count: 0
    .wavefront_size: 32
    .workgroup_processor_mode: 1
  - .args:
      - .offset:         0
        .size:           4
        .value_kind:     by_value
      - .offset:         4
        .size:           4
        .value_kind:     by_value
      - .offset:         8
        .size:           4
        .value_kind:     by_value
      - .offset:         16
        .size:           8
        .value_kind:     by_value
      - .address_space:  global
        .offset:         24
        .size:           8
        .value_kind:     global_buffer
      - .offset:         32
        .size:           8
        .value_kind:     by_value
      - .offset:         40
        .size:           8
        .value_kind:     by_value
      - .offset:         48
        .size:           8
        .value_kind:     by_value
      - .address_space:  global
        .offset:         56
        .size:           8
        .value_kind:     global_buffer
      - .offset:         64
        .size:           8
        .value_kind:     by_value
      - .offset:         72
        .size:           8
        .value_kind:     by_value
      - .offset:         80
        .size:           8
        .value_kind:     by_value
      - .offset:         88
        .size:           4
        .value_kind:     by_value
      - .offset:         96
        .size:           8
        .value_kind:     by_value
      - .address_space:  global
        .offset:         104
        .size:           8
        .value_kind:     global_buffer
      - .offset:         112
        .size:           8
        .value_kind:     by_value
      - .offset:         120
        .size:           8
        .value_kind:     by_value
      - .offset:         128
        .size:           8
        .value_kind:     by_value
      - .offset:         136
        .size:           4
        .value_kind:     by_value
    .group_segment_fixed_size: 128
    .kernarg_segment_align: 8
    .kernarg_segment_size: 140
    .language:       OpenCL C
    .language_version:
      - 2
      - 0
    .max_flat_workgroup_size: 1024
    .name:           _ZL32rocblas_gemvt_warp_reduce_kernelILb0ELi1024ElfffEviiT3_lPKT2_lT1_lS3_lS4_lS0_lPT4_lS4_li
    .private_segment_fixed_size: 0
    .sgpr_count:     36
    .sgpr_spill_count: 0
    .symbol:         _ZL32rocblas_gemvt_warp_reduce_kernelILb0ELi1024ElfffEviiT3_lPKT2_lT1_lS3_lS4_lS0_lPT4_lS4_li.kd
    .uniform_work_group_size: 1
    .uses_dynamic_stack: false
    .vgpr_count:     11
    .vgpr_spill_count: 0
    .wavefront_size: 32
    .workgroup_processor_mode: 1
  - .args:
      - .offset:         0
        .size:           4
        .value_kind:     by_value
      - .offset:         4
        .size:           4
        .value_kind:     by_value
      - .address_space:  global
        .offset:         8
        .size:           8
        .value_kind:     global_buffer
      - .offset:         16
        .size:           8
        .value_kind:     by_value
      - .address_space:  global
        .offset:         24
        .size:           8
        .value_kind:     global_buffer
      - .offset:         32
        .size:           8
        .value_kind:     by_value
      - .offset:         40
        .size:           4
        .value_kind:     by_value
      - .offset:         48
        .size:           8
        .value_kind:     by_value
      - .address_space:  global
        .offset:         56
        .size:           8
        .value_kind:     global_buffer
      - .offset:         64
        .size:           8
        .value_kind:     by_value
      - .offset:         72
        .size:           4
        .value_kind:     by_value
      - .offset:         80
        .size:           8
        .value_kind:     by_value
      - .address_space:  global
        .offset:         88
        .size:           8
        .value_kind:     global_buffer
      - .offset:         96
        .size:           8
        .value_kind:     by_value
      - .address_space:  global
        .offset:         104
        .size:           8
        .value_kind:     global_buffer
      - .offset:         112
        .size:           8
        .value_kind:     by_value
      - .offset:         120
        .size:           4
        .value_kind:     by_value
      - .offset:         128
        .size:           8
        .value_kind:     by_value
    .group_segment_fixed_size: 256
    .kernarg_segment_align: 8
    .kernarg_segment_size: 136
    .language:       OpenCL C
    .language_version:
      - 2
      - 0
    .max_flat_workgroup_size: 256
    .name:           _ZL22rocblas_gemvtsm_kernelILb1ELi256EfPKffEviiT2_lPKT1_lilS5_lilS2_lPT3_lil
    .private_segment_fixed_size: 0
    .sgpr_count:     31
    .sgpr_spill_count: 0
    .symbol:         _ZL22rocblas_gemvtsm_kernelILb1ELi256EfPKffEviiT2_lPKT1_lilS5_lilS2_lPT3_lil.kd
    .uniform_work_group_size: 1
    .uses_dynamic_stack: false
    .vgpr_count:     26
    .vgpr_spill_count: 0
    .wavefront_size: 32
    .workgroup_processor_mode: 1
  - .args:
      - .offset:         0
        .size:           4
        .value_kind:     by_value
      - .offset:         4
        .size:           4
        .value_kind:     by_value
      - .offset:         8
        .size:           4
        .value_kind:     by_value
      - .offset:         16
        .size:           8
        .value_kind:     by_value
      - .address_space:  global
        .offset:         24
        .size:           8
        .value_kind:     global_buffer
      - .offset:         32
        .size:           8
        .value_kind:     by_value
      - .offset:         40
        .size:           4
        .value_kind:     by_value
      - .offset:         48
        .size:           8
        .value_kind:     by_value
      - .address_space:  global
        .offset:         56
        .size:           8
        .value_kind:     global_buffer
      - .offset:         64
        .size:           8
        .value_kind:     by_value
      - .offset:         72
        .size:           4
        .value_kind:     by_value
      - .offset:         80
        .size:           8
        .value_kind:     by_value
      - .offset:         88
        .size:           4
        .value_kind:     by_value
      - .offset:         96
        .size:           8
        .value_kind:     by_value
      - .address_space:  global
        .offset:         104
        .size:           8
        .value_kind:     global_buffer
      - .offset:         112
        .size:           8
        .value_kind:     by_value
      - .offset:         120
        .size:           4
        .value_kind:     by_value
      - .offset:         128
        .size:           8
        .value_kind:     by_value
    .group_segment_fixed_size: 256
    .kernarg_segment_align: 8
    .kernarg_segment_size: 136
    .language:       OpenCL C
    .language_version:
      - 2
      - 0
    .max_flat_workgroup_size: 256
    .name:           _ZL22rocblas_gemvtsm_kernelILb1ELi256EfffEviiT2_lPKT1_lilS3_lilS0_lPT3_lil
    .private_segment_fixed_size: 0
    .sgpr_count:     27
    .sgpr_spill_count: 0
    .symbol:         _ZL22rocblas_gemvtsm_kernelILb1ELi256EfffEviiT2_lPKT1_lilS3_lilS0_lPT3_lil.kd
    .uniform_work_group_size: 1
    .uses_dynamic_stack: false
    .vgpr_count:     26
    .vgpr_spill_count: 0
    .wavefront_size: 32
    .workgroup_processor_mode: 1
  - .args:
      - .offset:         0
        .size:           4
        .value_kind:     by_value
      - .offset:         4
        .size:           4
        .value_kind:     by_value
      - .address_space:  global
        .offset:         8
        .size:           8
        .value_kind:     global_buffer
      - .offset:         16
        .size:           8
        .value_kind:     by_value
      - .address_space:  global
        .offset:         24
        .size:           8
        .value_kind:     global_buffer
      - .offset:         32
        .size:           8
        .value_kind:     by_value
      - .offset:         40
        .size:           4
        .value_kind:     by_value
      - .offset:         48
        .size:           8
        .value_kind:     by_value
      - .address_space:  global
        .offset:         56
        .size:           8
        .value_kind:     global_buffer
      - .offset:         64
        .size:           8
        .value_kind:     by_value
      - .offset:         72
        .size:           4
        .value_kind:     by_value
      - .offset:         80
        .size:           8
        .value_kind:     by_value
      - .address_space:  global
        .offset:         88
        .size:           8
        .value_kind:     global_buffer
      - .offset:         96
        .size:           4
        .value_kind:     by_value
      - .offset:         104
        .size:           4
        .value_kind:     hidden_block_count_x
      - .offset:         108
        .size:           4
        .value_kind:     hidden_block_count_y
      - .offset:         112
        .size:           4
        .value_kind:     hidden_block_count_z
      - .offset:         116
        .size:           2
        .value_kind:     hidden_group_size_x
      - .offset:         118
        .size:           2
        .value_kind:     hidden_group_size_y
      - .offset:         120
        .size:           2
        .value_kind:     hidden_group_size_z
      - .offset:         122
        .size:           2
        .value_kind:     hidden_remainder_x
      - .offset:         124
        .size:           2
        .value_kind:     hidden_remainder_y
      - .offset:         126
        .size:           2
        .value_kind:     hidden_remainder_z
      - .offset:         144
        .size:           8
        .value_kind:     hidden_global_offset_x
      - .offset:         152
        .size:           8
        .value_kind:     hidden_global_offset_y
      - .offset:         160
        .size:           8
        .value_kind:     hidden_global_offset_z
      - .offset:         168
        .size:           2
        .value_kind:     hidden_grid_dims
    .group_segment_fixed_size: 128
    .kernarg_segment_align: 8
    .kernarg_segment_size: 360
    .language:       OpenCL C
    .language_version:
      - 2
      - 0
    .max_flat_workgroup_size: 256
    .name:           _ZL23rocblas_gemvt_sn_kernelILb1ELi256ELi4EifPKffEviiT4_lPKT3_lilS5_lilPT5_i
    .private_segment_fixed_size: 0
    .sgpr_count:     52
    .sgpr_spill_count: 0
    .symbol:         _ZL23rocblas_gemvt_sn_kernelILb1ELi256ELi4EifPKffEviiT4_lPKT3_lilS5_lilPT5_i.kd
    .uniform_work_group_size: 1
    .uses_dynamic_stack: false
    .vgpr_count:     55
    .vgpr_spill_count: 0
    .wavefront_size: 32
    .workgroup_processor_mode: 1
  - .args:
      - .offset:         0
        .size:           4
        .value_kind:     by_value
      - .offset:         4
        .size:           4
        .value_kind:     by_value
      - .address_space:  global
        .offset:         8
        .size:           8
        .value_kind:     global_buffer
      - .offset:         16
        .size:           8
        .value_kind:     by_value
      - .address_space:  global
        .offset:         24
        .size:           8
        .value_kind:     global_buffer
      - .offset:         32
        .size:           8
        .value_kind:     by_value
      - .offset:         40
        .size:           4
        .value_kind:     by_value
      - .offset:         48
        .size:           8
        .value_kind:     by_value
      - .address_space:  global
        .offset:         56
        .size:           8
        .value_kind:     global_buffer
      - .offset:         64
        .size:           8
        .value_kind:     by_value
      - .offset:         72
        .size:           4
        .value_kind:     by_value
      - .offset:         80
        .size:           8
        .value_kind:     by_value
      - .address_space:  global
        .offset:         88
        .size:           8
        .value_kind:     global_buffer
      - .offset:         96
        .size:           4
        .value_kind:     by_value
      - .offset:         104
        .size:           4
        .value_kind:     hidden_block_count_x
      - .offset:         108
        .size:           4
        .value_kind:     hidden_block_count_y
      - .offset:         112
        .size:           4
        .value_kind:     hidden_block_count_z
      - .offset:         116
        .size:           2
        .value_kind:     hidden_group_size_x
      - .offset:         118
        .size:           2
        .value_kind:     hidden_group_size_y
      - .offset:         120
        .size:           2
        .value_kind:     hidden_group_size_z
      - .offset:         122
        .size:           2
        .value_kind:     hidden_remainder_x
      - .offset:         124
        .size:           2
        .value_kind:     hidden_remainder_y
      - .offset:         126
        .size:           2
        .value_kind:     hidden_remainder_z
      - .offset:         144
        .size:           8
        .value_kind:     hidden_global_offset_x
      - .offset:         152
        .size:           8
        .value_kind:     hidden_global_offset_y
      - .offset:         160
        .size:           8
        .value_kind:     hidden_global_offset_z
      - .offset:         168
        .size:           2
        .value_kind:     hidden_grid_dims
    .group_segment_fixed_size: 128
    .kernarg_segment_align: 8
    .kernarg_segment_size: 360
    .language:       OpenCL C
    .language_version:
      - 2
      - 0
    .max_flat_workgroup_size: 256
    .name:           _ZL23rocblas_gemvt_sn_kernelILb1ELi256ELi4ElfPKffEviiT4_lPKT3_lilS5_lilPT5_i
    .private_segment_fixed_size: 0
    .sgpr_count:     58
    .sgpr_spill_count: 0
    .symbol:         _ZL23rocblas_gemvt_sn_kernelILb1ELi256ELi4ElfPKffEviiT4_lPKT3_lilS5_lilPT5_i.kd
    .uniform_work_group_size: 1
    .uses_dynamic_stack: false
    .vgpr_count:     59
    .vgpr_spill_count: 0
    .wavefront_size: 32
    .workgroup_processor_mode: 1
  - .args:
      - .offset:         0
        .size:           4
        .value_kind:     by_value
      - .offset:         4
        .size:           4
        .value_kind:     by_value
      - .offset:         8
        .size:           4
        .value_kind:     by_value
      - .offset:         16
        .size:           8
        .value_kind:     by_value
      - .address_space:  global
        .offset:         24
        .size:           8
        .value_kind:     global_buffer
      - .offset:         32
        .size:           8
        .value_kind:     by_value
      - .offset:         40
        .size:           4
        .value_kind:     by_value
      - .offset:         48
        .size:           8
        .value_kind:     by_value
      - .address_space:  global
        .offset:         56
        .size:           8
        .value_kind:     global_buffer
      - .offset:         64
        .size:           8
        .value_kind:     by_value
      - .offset:         72
        .size:           4
        .value_kind:     by_value
      - .offset:         80
        .size:           8
        .value_kind:     by_value
      - .address_space:  global
        .offset:         88
        .size:           8
        .value_kind:     global_buffer
      - .offset:         96
        .size:           4
        .value_kind:     by_value
      - .offset:         104
        .size:           4
        .value_kind:     hidden_block_count_x
      - .offset:         108
        .size:           4
        .value_kind:     hidden_block_count_y
      - .offset:         112
        .size:           4
        .value_kind:     hidden_block_count_z
      - .offset:         116
        .size:           2
        .value_kind:     hidden_group_size_x
      - .offset:         118
        .size:           2
        .value_kind:     hidden_group_size_y
      - .offset:         120
        .size:           2
        .value_kind:     hidden_group_size_z
      - .offset:         122
        .size:           2
        .value_kind:     hidden_remainder_x
      - .offset:         124
        .size:           2
        .value_kind:     hidden_remainder_y
      - .offset:         126
        .size:           2
        .value_kind:     hidden_remainder_z
      - .offset:         144
        .size:           8
        .value_kind:     hidden_global_offset_x
      - .offset:         152
        .size:           8
        .value_kind:     hidden_global_offset_y
      - .offset:         160
        .size:           8
        .value_kind:     hidden_global_offset_z
      - .offset:         168
        .size:           2
        .value_kind:     hidden_grid_dims
    .group_segment_fixed_size: 128
    .kernarg_segment_align: 8
    .kernarg_segment_size: 360
    .language:       OpenCL C
    .language_version:
      - 2
      - 0
    .max_flat_workgroup_size: 256
    .name:           _ZL23rocblas_gemvt_sn_kernelILb1ELi256ELi4EifffEviiT4_lPKT3_lilS3_lilPT5_i
    .private_segment_fixed_size: 0
    .sgpr_count:     52
    .sgpr_spill_count: 0
    .symbol:         _ZL23rocblas_gemvt_sn_kernelILb1ELi256ELi4EifffEviiT4_lPKT3_lilS3_lilPT5_i.kd
    .uniform_work_group_size: 1
    .uses_dynamic_stack: false
    .vgpr_count:     55
    .vgpr_spill_count: 0
    .wavefront_size: 32
    .workgroup_processor_mode: 1
  - .args:
      - .offset:         0
        .size:           4
        .value_kind:     by_value
      - .offset:         4
        .size:           4
        .value_kind:     by_value
      - .offset:         8
        .size:           4
        .value_kind:     by_value
      - .offset:         16
        .size:           8
        .value_kind:     by_value
      - .address_space:  global
        .offset:         24
        .size:           8
        .value_kind:     global_buffer
      - .offset:         32
        .size:           8
        .value_kind:     by_value
      - .offset:         40
        .size:           4
        .value_kind:     by_value
      - .offset:         48
        .size:           8
        .value_kind:     by_value
      - .address_space:  global
        .offset:         56
        .size:           8
        .value_kind:     global_buffer
      - .offset:         64
        .size:           8
        .value_kind:     by_value
      - .offset:         72
        .size:           4
        .value_kind:     by_value
      - .offset:         80
        .size:           8
        .value_kind:     by_value
      - .address_space:  global
        .offset:         88
        .size:           8
        .value_kind:     global_buffer
      - .offset:         96
        .size:           4
        .value_kind:     by_value
      - .offset:         104
        .size:           4
        .value_kind:     hidden_block_count_x
      - .offset:         108
        .size:           4
        .value_kind:     hidden_block_count_y
      - .offset:         112
        .size:           4
        .value_kind:     hidden_block_count_z
      - .offset:         116
        .size:           2
        .value_kind:     hidden_group_size_x
      - .offset:         118
        .size:           2
        .value_kind:     hidden_group_size_y
      - .offset:         120
        .size:           2
        .value_kind:     hidden_group_size_z
      - .offset:         122
        .size:           2
        .value_kind:     hidden_remainder_x
      - .offset:         124
        .size:           2
        .value_kind:     hidden_remainder_y
      - .offset:         126
        .size:           2
        .value_kind:     hidden_remainder_z
      - .offset:         144
        .size:           8
        .value_kind:     hidden_global_offset_x
      - .offset:         152
        .size:           8
        .value_kind:     hidden_global_offset_y
      - .offset:         160
        .size:           8
        .value_kind:     hidden_global_offset_z
      - .offset:         168
        .size:           2
        .value_kind:     hidden_grid_dims
    .group_segment_fixed_size: 128
    .kernarg_segment_align: 8
    .kernarg_segment_size: 360
    .language:       OpenCL C
    .language_version:
      - 2
      - 0
    .max_flat_workgroup_size: 256
    .name:           _ZL23rocblas_gemvt_sn_kernelILb1ELi256ELi4ElfffEviiT4_lPKT3_lilS3_lilPT5_i
    .private_segment_fixed_size: 0
    .sgpr_count:     58
    .sgpr_spill_count: 0
    .symbol:         _ZL23rocblas_gemvt_sn_kernelILb1ELi256ELi4ElfffEviiT4_lPKT3_lilS3_lilPT5_i.kd
    .uniform_work_group_size: 1
    .uses_dynamic_stack: false
    .vgpr_count:     59
    .vgpr_spill_count: 0
    .wavefront_size: 32
    .workgroup_processor_mode: 1
  - .args:
      - .offset:         0
        .size:           4
        .value_kind:     by_value
      - .offset:         4
        .size:           4
        .value_kind:     by_value
      - .address_space:  global
        .offset:         8
        .size:           8
        .value_kind:     global_buffer
      - .offset:         16
        .size:           8
        .value_kind:     by_value
      - .address_space:  global
        .offset:         24
        .size:           8
        .value_kind:     global_buffer
      - .offset:         32
        .size:           8
        .value_kind:     by_value
      - .offset:         40
        .size:           4
        .value_kind:     by_value
      - .offset:         48
        .size:           8
        .value_kind:     by_value
      - .address_space:  global
        .offset:         56
        .size:           8
        .value_kind:     global_buffer
      - .offset:         64
        .size:           8
        .value_kind:     by_value
      - .offset:         72
        .size:           4
        .value_kind:     by_value
      - .offset:         80
        .size:           8
        .value_kind:     by_value
      - .address_space:  global
        .offset:         88
        .size:           8
        .value_kind:     global_buffer
      - .offset:         96
        .size:           8
        .value_kind:     by_value
      - .offset:         104
        .size:           4
        .value_kind:     by_value
      - .offset:         112
        .size:           8
        .value_kind:     by_value
      - .offset:         120
        .size:           4
        .value_kind:     by_value
      - .offset:         128
        .size:           4
        .value_kind:     hidden_block_count_x
      - .offset:         132
        .size:           4
        .value_kind:     hidden_block_count_y
      - .offset:         136
        .size:           4
        .value_kind:     hidden_block_count_z
      - .offset:         140
        .size:           2
        .value_kind:     hidden_group_size_x
      - .offset:         142
        .size:           2
        .value_kind:     hidden_group_size_y
      - .offset:         144
        .size:           2
        .value_kind:     hidden_group_size_z
      - .offset:         146
        .size:           2
        .value_kind:     hidden_remainder_x
      - .offset:         148
        .size:           2
        .value_kind:     hidden_remainder_y
      - .offset:         150
        .size:           2
        .value_kind:     hidden_remainder_z
      - .offset:         168
        .size:           8
        .value_kind:     hidden_global_offset_x
      - .offset:         176
        .size:           8
        .value_kind:     hidden_global_offset_y
      - .offset:         184
        .size:           8
        .value_kind:     hidden_global_offset_z
      - .offset:         192
        .size:           2
        .value_kind:     hidden_grid_dims
    .group_segment_fixed_size: 32768
    .kernarg_segment_align: 8
    .kernarg_segment_size: 384
    .language:       OpenCL C
    .language_version:
      - 2
      - 0
    .max_flat_workgroup_size: 1024
    .name:           _ZL36rocblas_gemvt_double_buffered_kernelILb1ELi128ELi8ELi8EfPKffEviiT4_lPKT3_lilS5_lilPT5_lili
    .private_segment_fixed_size: 0
    .sgpr_count:     36
    .sgpr_spill_count: 0
    .symbol:         _ZL36rocblas_gemvt_double_buffered_kernelILb1ELi128ELi8ELi8EfPKffEviiT4_lPKT3_lilS5_lilPT5_lili.kd
    .uniform_work_group_size: 1
    .uses_dynamic_stack: false
    .vgpr_count:     69
    .vgpr_spill_count: 0
    .wavefront_size: 32
    .workgroup_processor_mode: 1
  - .args:
      - .offset:         0
        .size:           4
        .value_kind:     by_value
      - .offset:         4
        .size:           4
        .value_kind:     by_value
      - .offset:         8
        .size:           4
        .value_kind:     by_value
      - .offset:         16
        .size:           8
        .value_kind:     by_value
      - .address_space:  global
        .offset:         24
        .size:           8
        .value_kind:     global_buffer
      - .offset:         32
        .size:           8
        .value_kind:     by_value
      - .offset:         40
        .size:           4
        .value_kind:     by_value
      - .offset:         48
        .size:           8
        .value_kind:     by_value
      - .address_space:  global
        .offset:         56
        .size:           8
        .value_kind:     global_buffer
      - .offset:         64
        .size:           8
        .value_kind:     by_value
      - .offset:         72
        .size:           4
        .value_kind:     by_value
      - .offset:         80
        .size:           8
        .value_kind:     by_value
      - .address_space:  global
        .offset:         88
        .size:           8
        .value_kind:     global_buffer
      - .offset:         96
        .size:           8
        .value_kind:     by_value
      - .offset:         104
        .size:           4
        .value_kind:     by_value
      - .offset:         112
        .size:           8
        .value_kind:     by_value
      - .offset:         120
        .size:           4
        .value_kind:     by_value
      - .offset:         128
        .size:           4
        .value_kind:     hidden_block_count_x
      - .offset:         132
        .size:           4
        .value_kind:     hidden_block_count_y
      - .offset:         136
        .size:           4
        .value_kind:     hidden_block_count_z
      - .offset:         140
        .size:           2
        .value_kind:     hidden_group_size_x
      - .offset:         142
        .size:           2
        .value_kind:     hidden_group_size_y
      - .offset:         144
        .size:           2
        .value_kind:     hidden_group_size_z
      - .offset:         146
        .size:           2
        .value_kind:     hidden_remainder_x
      - .offset:         148
        .size:           2
        .value_kind:     hidden_remainder_y
      - .offset:         150
        .size:           2
        .value_kind:     hidden_remainder_z
      - .offset:         168
        .size:           8
        .value_kind:     hidden_global_offset_x
      - .offset:         176
        .size:           8
        .value_kind:     hidden_global_offset_y
      - .offset:         184
        .size:           8
        .value_kind:     hidden_global_offset_z
      - .offset:         192
        .size:           2
        .value_kind:     hidden_grid_dims
    .group_segment_fixed_size: 32768
    .kernarg_segment_align: 8
    .kernarg_segment_size: 384
    .language:       OpenCL C
    .language_version:
      - 2
      - 0
    .max_flat_workgroup_size: 1024
    .name:           _ZL36rocblas_gemvt_double_buffered_kernelILb1ELi128ELi8ELi8EfffEviiT4_lPKT3_lilS3_lilPT5_lili
    .private_segment_fixed_size: 0
    .sgpr_count:     38
    .sgpr_spill_count: 0
    .symbol:         _ZL36rocblas_gemvt_double_buffered_kernelILb1ELi128ELi8ELi8EfffEviiT4_lPKT3_lilS3_lilPT5_lili.kd
    .uniform_work_group_size: 1
    .uses_dynamic_stack: false
    .vgpr_count:     69
    .vgpr_spill_count: 0
    .wavefront_size: 32
    .workgroup_processor_mode: 1
  - .args:
      - .offset:         0
        .size:           4
        .value_kind:     by_value
      - .offset:         4
        .size:           4
        .value_kind:     by_value
      - .address_space:  global
        .offset:         8
        .size:           8
        .value_kind:     global_buffer
      - .offset:         16
        .size:           8
        .value_kind:     by_value
      - .address_space:  global
        .offset:         24
        .size:           8
        .value_kind:     global_buffer
      - .offset:         32
        .size:           8
        .value_kind:     by_value
      - .offset:         40
        .size:           4
        .value_kind:     by_value
      - .offset:         48
        .size:           8
        .value_kind:     by_value
      - .address_space:  global
        .offset:         56
        .size:           8
        .value_kind:     global_buffer
      - .offset:         64
        .size:           8
        .value_kind:     by_value
      - .offset:         72
        .size:           4
        .value_kind:     by_value
      - .offset:         80
        .size:           8
        .value_kind:     by_value
      - .address_space:  global
        .offset:         88
        .size:           8
        .value_kind:     global_buffer
      - .offset:         96
        .size:           8
        .value_kind:     by_value
      - .address_space:  global
        .offset:         104
        .size:           8
        .value_kind:     global_buffer
      - .offset:         112
        .size:           8
        .value_kind:     by_value
      - .offset:         120
        .size:           4
        .value_kind:     by_value
      - .offset:         128
        .size:           8
        .value_kind:     by_value
      - .offset:         136
        .size:           4
        .value_kind:     by_value
    .group_segment_fixed_size: 1024
    .kernarg_segment_align: 8
    .kernarg_segment_size: 140
    .language:       OpenCL C
    .language_version:
      - 2
      - 0
    .max_flat_workgroup_size: 256
    .name:           _ZL20rocblas_gemvt_kernelILb1ELi256EfPKffEviiT2_lPKT1_lilS5_lilS2_lPT3_lili
    .private_segment_fixed_size: 0
    .sgpr_count:     28
    .sgpr_spill_count: 0
    .symbol:         _ZL20rocblas_gemvt_kernelILb1ELi256EfPKffEviiT2_lPKT1_lilS5_lilS2_lPT3_lili.kd
    .uniform_work_group_size: 1
    .uses_dynamic_stack: false
    .vgpr_count:     10
    .vgpr_spill_count: 0
    .wavefront_size: 32
    .workgroup_processor_mode: 1
  - .args:
      - .offset:         0
        .size:           4
        .value_kind:     by_value
      - .offset:         4
        .size:           4
        .value_kind:     by_value
      - .offset:         8
        .size:           4
        .value_kind:     by_value
      - .offset:         16
        .size:           8
        .value_kind:     by_value
      - .address_space:  global
        .offset:         24
        .size:           8
        .value_kind:     global_buffer
      - .offset:         32
        .size:           8
        .value_kind:     by_value
      - .offset:         40
        .size:           4
        .value_kind:     by_value
      - .offset:         48
        .size:           8
        .value_kind:     by_value
      - .address_space:  global
        .offset:         56
        .size:           8
        .value_kind:     global_buffer
      - .offset:         64
        .size:           8
        .value_kind:     by_value
      - .offset:         72
        .size:           4
        .value_kind:     by_value
      - .offset:         80
        .size:           8
        .value_kind:     by_value
      - .offset:         88
        .size:           4
        .value_kind:     by_value
      - .offset:         96
        .size:           8
        .value_kind:     by_value
      - .address_space:  global
        .offset:         104
        .size:           8
        .value_kind:     global_buffer
      - .offset:         112
        .size:           8
        .value_kind:     by_value
      - .offset:         120
        .size:           4
        .value_kind:     by_value
      - .offset:         128
        .size:           8
        .value_kind:     by_value
      - .offset:         136
        .size:           4
        .value_kind:     by_value
    .group_segment_fixed_size: 1024
    .kernarg_segment_align: 8
    .kernarg_segment_size: 140
    .language:       OpenCL C
    .language_version:
      - 2
      - 0
    .max_flat_workgroup_size: 256
    .name:           _ZL20rocblas_gemvt_kernelILb1ELi256EfffEviiT2_lPKT1_lilS3_lilS0_lPT3_lili
    .private_segment_fixed_size: 0
    .sgpr_count:     30
    .sgpr_spill_count: 0
    .symbol:         _ZL20rocblas_gemvt_kernelILb1ELi256EfffEviiT2_lPKT1_lilS3_lilS0_lPT3_lili.kd
    .uniform_work_group_size: 1
    .uses_dynamic_stack: false
    .vgpr_count:     10
    .vgpr_spill_count: 0
    .wavefront_size: 32
    .workgroup_processor_mode: 1
  - .args:
      - .offset:         0
        .size:           4
        .value_kind:     by_value
      - .offset:         4
        .size:           4
        .value_kind:     by_value
      - .address_space:  global
        .offset:         8
        .size:           8
        .value_kind:     global_buffer
      - .offset:         16
        .size:           8
        .value_kind:     by_value
      - .address_space:  global
        .offset:         24
        .size:           8
        .value_kind:     global_buffer
      - .offset:         32
        .size:           8
        .value_kind:     by_value
      - .offset:         40
        .size:           4
        .value_kind:     by_value
      - .offset:         48
        .size:           8
        .value_kind:     by_value
      - .address_space:  global
        .offset:         56
        .size:           8
        .value_kind:     global_buffer
      - .offset:         64
        .size:           8
        .value_kind:     by_value
      - .offset:         72
        .size:           4
        .value_kind:     by_value
      - .offset:         80
        .size:           8
        .value_kind:     by_value
      - .address_space:  global
        .offset:         88
        .size:           8
        .value_kind:     global_buffer
      - .offset:         96
        .size:           8
        .value_kind:     by_value
      - .address_space:  global
        .offset:         104
        .size:           8
        .value_kind:     global_buffer
      - .offset:         112
        .size:           8
        .value_kind:     by_value
      - .offset:         120
        .size:           4
        .value_kind:     by_value
      - .offset:         128
        .size:           8
        .value_kind:     by_value
      - .offset:         136
        .size:           4
        .value_kind:     by_value
    .group_segment_fixed_size: 128
    .kernarg_segment_align: 8
    .kernarg_segment_size: 140
    .language:       OpenCL C
    .language_version:
      - 2
      - 0
    .max_flat_workgroup_size: 1024
    .name:           _ZL32rocblas_gemvt_warp_reduce_kernelILb1ELi1024EifPKffEviiT3_lPKT2_lT1_lS5_lS6_lS2_lPT4_lS6_li
    .private_segment_fixed_size: 0
    .sgpr_count:     27
    .sgpr_spill_count: 0
    .symbol:         _ZL32rocblas_gemvt_warp_reduce_kernelILb1ELi1024EifPKffEviiT3_lPKT2_lT1_lS5_lS6_lS2_lPT4_lS6_li.kd
    .uniform_work_group_size: 1
    .uses_dynamic_stack: false
    .vgpr_count:     11
    .vgpr_spill_count: 0
    .wavefront_size: 32
    .workgroup_processor_mode: 1
  - .args:
      - .offset:         0
        .size:           4
        .value_kind:     by_value
      - .offset:         4
        .size:           4
        .value_kind:     by_value
      - .address_space:  global
        .offset:         8
        .size:           8
        .value_kind:     global_buffer
      - .offset:         16
        .size:           8
        .value_kind:     by_value
      - .address_space:  global
        .offset:         24
        .size:           8
        .value_kind:     global_buffer
      - .offset:         32
        .size:           8
        .value_kind:     by_value
      - .offset:         40
        .size:           8
        .value_kind:     by_value
      - .offset:         48
        .size:           8
        .value_kind:     by_value
      - .address_space:  global
        .offset:         56
        .size:           8
        .value_kind:     global_buffer
      - .offset:         64
        .size:           8
        .value_kind:     by_value
      - .offset:         72
        .size:           8
        .value_kind:     by_value
      - .offset:         80
        .size:           8
        .value_kind:     by_value
      - .address_space:  global
        .offset:         88
        .size:           8
        .value_kind:     global_buffer
      - .offset:         96
        .size:           8
        .value_kind:     by_value
      - .address_space:  global
        .offset:         104
        .size:           8
        .value_kind:     global_buffer
      - .offset:         112
        .size:           8
        .value_kind:     by_value
      - .offset:         120
        .size:           8
        .value_kind:     by_value
      - .offset:         128
        .size:           8
        .value_kind:     by_value
      - .offset:         136
        .size:           4
        .value_kind:     by_value
    .group_segment_fixed_size: 128
    .kernarg_segment_align: 8
    .kernarg_segment_size: 140
    .language:       OpenCL C
    .language_version:
      - 2
      - 0
    .max_flat_workgroup_size: 1024
    .name:           _ZL32rocblas_gemvt_warp_reduce_kernelILb1ELi1024ElfPKffEviiT3_lPKT2_lT1_lS5_lS6_lS2_lPT4_lS6_li
    .private_segment_fixed_size: 0
    .sgpr_count:     54
    .sgpr_spill_count: 0
    .symbol:         _ZL32rocblas_gemvt_warp_reduce_kernelILb1ELi1024ElfPKffEviiT3_lPKT2_lT1_lS5_lS6_lS2_lPT4_lS6_li.kd
    .uniform_work_group_size: 1
    .uses_dynamic_stack: false
    .vgpr_count:     11
    .vgpr_spill_count: 0
    .wavefront_size: 32
    .workgroup_processor_mode: 1
  - .args:
      - .offset:         0
        .size:           4
        .value_kind:     by_value
      - .offset:         4
        .size:           4
        .value_kind:     by_value
      - .offset:         8
        .size:           4
        .value_kind:     by_value
      - .offset:         16
        .size:           8
        .value_kind:     by_value
      - .address_space:  global
        .offset:         24
        .size:           8
        .value_kind:     global_buffer
      - .offset:         32
        .size:           8
        .value_kind:     by_value
      - .offset:         40
        .size:           4
        .value_kind:     by_value
      - .offset:         48
        .size:           8
        .value_kind:     by_value
      - .address_space:  global
        .offset:         56
        .size:           8
        .value_kind:     global_buffer
      - .offset:         64
        .size:           8
        .value_kind:     by_value
      - .offset:         72
        .size:           4
        .value_kind:     by_value
      - .offset:         80
        .size:           8
        .value_kind:     by_value
      - .offset:         88
        .size:           4
        .value_kind:     by_value
      - .offset:         96
        .size:           8
        .value_kind:     by_value
      - .address_space:  global
        .offset:         104
        .size:           8
        .value_kind:     global_buffer
      - .offset:         112
        .size:           8
        .value_kind:     by_value
      - .offset:         120
        .size:           4
        .value_kind:     by_value
      - .offset:         128
        .size:           8
        .value_kind:     by_value
      - .offset:         136
        .size:           4
        .value_kind:     by_value
    .group_segment_fixed_size: 128
    .kernarg_segment_align: 8
    .kernarg_segment_size: 140
    .language:       OpenCL C
    .language_version:
      - 2
      - 0
    .max_flat_workgroup_size: 1024
    .name:           _ZL32rocblas_gemvt_warp_reduce_kernelILb1ELi1024EifffEviiT3_lPKT2_lT1_lS3_lS4_lS0_lPT4_lS4_li
    .private_segment_fixed_size: 0
    .sgpr_count:     26
    .sgpr_spill_count: 0
    .symbol:         _ZL32rocblas_gemvt_warp_reduce_kernelILb1ELi1024EifffEviiT3_lPKT2_lT1_lS3_lS4_lS0_lPT4_lS4_li.kd
    .uniform_work_group_size: 1
    .uses_dynamic_stack: false
    .vgpr_count:     11
    .vgpr_spill_count: 0
    .wavefront_size: 32
    .workgroup_processor_mode: 1
  - .args:
      - .offset:         0
        .size:           4
        .value_kind:     by_value
      - .offset:         4
        .size:           4
        .value_kind:     by_value
      - .offset:         8
        .size:           4
        .value_kind:     by_value
      - .offset:         16
        .size:           8
        .value_kind:     by_value
      - .address_space:  global
        .offset:         24
        .size:           8
        .value_kind:     global_buffer
      - .offset:         32
        .size:           8
        .value_kind:     by_value
      - .offset:         40
        .size:           8
        .value_kind:     by_value
      - .offset:         48
        .size:           8
        .value_kind:     by_value
      - .address_space:  global
        .offset:         56
        .size:           8
        .value_kind:     global_buffer
      - .offset:         64
        .size:           8
        .value_kind:     by_value
      - .offset:         72
        .size:           8
        .value_kind:     by_value
      - .offset:         80
        .size:           8
        .value_kind:     by_value
      - .offset:         88
        .size:           4
        .value_kind:     by_value
      - .offset:         96
        .size:           8
        .value_kind:     by_value
      - .address_space:  global
        .offset:         104
        .size:           8
        .value_kind:     global_buffer
      - .offset:         112
        .size:           8
        .value_kind:     by_value
      - .offset:         120
        .size:           8
        .value_kind:     by_value
      - .offset:         128
        .size:           8
        .value_kind:     by_value
      - .offset:         136
        .size:           4
        .value_kind:     by_value
    .group_segment_fixed_size: 128
    .kernarg_segment_align: 8
    .kernarg_segment_size: 140
    .language:       OpenCL C
    .language_version:
      - 2
      - 0
    .max_flat_workgroup_size: 1024
    .name:           _ZL32rocblas_gemvt_warp_reduce_kernelILb1ELi1024ElfffEviiT3_lPKT2_lT1_lS3_lS4_lS0_lPT4_lS4_li
    .private_segment_fixed_size: 0
    .sgpr_count:     36
    .sgpr_spill_count: 0
    .symbol:         _ZL32rocblas_gemvt_warp_reduce_kernelILb1ELi1024ElfffEviiT3_lPKT2_lT1_lS3_lS4_lS0_lPT4_lS4_li.kd
    .uniform_work_group_size: 1
    .uses_dynamic_stack: false
    .vgpr_count:     11
    .vgpr_spill_count: 0
    .wavefront_size: 32
    .workgroup_processor_mode: 1
  - .args:
      - .offset:         0
        .size:           4
        .value_kind:     by_value
      - .offset:         4
        .size:           4
        .value_kind:     by_value
      - .address_space:  global
        .offset:         8
        .size:           8
        .value_kind:     global_buffer
      - .offset:         16
        .size:           8
        .value_kind:     by_value
      - .address_space:  global
        .offset:         24
        .size:           8
        .value_kind:     global_buffer
      - .offset:         32
        .size:           8
        .value_kind:     by_value
      - .offset:         40
        .size:           4
        .value_kind:     by_value
      - .offset:         48
        .size:           8
        .value_kind:     by_value
      - .address_space:  global
        .offset:         56
        .size:           8
        .value_kind:     global_buffer
      - .offset:         64
        .size:           8
        .value_kind:     by_value
      - .offset:         72
        .size:           4
        .value_kind:     by_value
      - .offset:         80
        .size:           8
        .value_kind:     by_value
      - .address_space:  global
        .offset:         88
        .size:           8
        .value_kind:     global_buffer
      - .offset:         96
        .size:           8
        .value_kind:     by_value
      - .address_space:  global
        .offset:         104
        .size:           8
        .value_kind:     global_buffer
      - .offset:         112
        .size:           8
        .value_kind:     by_value
      - .offset:         120
        .size:           4
        .value_kind:     by_value
      - .offset:         128
        .size:           8
        .value_kind:     by_value
      - .offset:         136
        .size:           4
        .value_kind:     by_value
    .group_segment_fixed_size: 0
    .kernarg_segment_align: 8
    .kernarg_segment_size: 140
    .language:       OpenCL C
    .language_version:
      - 2
      - 0
    .max_flat_workgroup_size: 768
    .name:           _ZL34rocblas_gemvn_sm_mn_batched_kernelILi32ELi24EdPKddEviiT2_lPKT1_lilS5_lilS2_lPT3_lili
    .private_segment_fixed_size: 0
    .sgpr_count:     0
    .sgpr_spill_count: 0
    .symbol:         _ZL34rocblas_gemvn_sm_mn_batched_kernelILi32ELi24EdPKddEviiT2_lPKT1_lilS5_lilS2_lPT3_lili.kd
    .uniform_work_group_size: 1
    .uses_dynamic_stack: false
    .vgpr_count:     0
    .vgpr_spill_count: 0
    .wavefront_size: 32
    .workgroup_processor_mode: 1
  - .args:
      - .offset:         0
        .size:           4
        .value_kind:     by_value
      - .offset:         4
        .size:           4
        .value_kind:     by_value
      - .offset:         8
        .size:           8
        .value_kind:     by_value
      - .offset:         16
        .size:           8
        .value_kind:     by_value
      - .address_space:  global
        .offset:         24
        .size:           8
        .value_kind:     global_buffer
      - .offset:         32
        .size:           8
        .value_kind:     by_value
      - .offset:         40
        .size:           4
        .value_kind:     by_value
      - .offset:         48
        .size:           8
        .value_kind:     by_value
      - .address_space:  global
        .offset:         56
        .size:           8
        .value_kind:     global_buffer
      - .offset:         64
        .size:           8
        .value_kind:     by_value
      - .offset:         72
        .size:           4
        .value_kind:     by_value
      - .offset:         80
        .size:           8
        .value_kind:     by_value
      - .offset:         88
        .size:           8
        .value_kind:     by_value
      - .offset:         96
        .size:           8
        .value_kind:     by_value
      - .address_space:  global
        .offset:         104
        .size:           8
        .value_kind:     global_buffer
      - .offset:         112
        .size:           8
        .value_kind:     by_value
      - .offset:         120
        .size:           4
        .value_kind:     by_value
      - .offset:         128
        .size:           8
        .value_kind:     by_value
      - .offset:         136
        .size:           4
        .value_kind:     by_value
    .group_segment_fixed_size: 0
    .kernarg_segment_align: 8
    .kernarg_segment_size: 140
    .language:       OpenCL C
    .language_version:
      - 2
      - 0
    .max_flat_workgroup_size: 768
    .name:           _ZL34rocblas_gemvn_sm_mn_batched_kernelILi32ELi24EdddEviiT2_lPKT1_lilS3_lilS0_lPT3_lili
    .private_segment_fixed_size: 0
    .sgpr_count:     0
    .sgpr_spill_count: 0
    .symbol:         _ZL34rocblas_gemvn_sm_mn_batched_kernelILi32ELi24EdddEviiT2_lPKT1_lilS3_lilS0_lPT3_lili.kd
    .uniform_work_group_size: 1
    .uses_dynamic_stack: false
    .vgpr_count:     0
    .vgpr_spill_count: 0
    .wavefront_size: 32
    .workgroup_processor_mode: 1
  - .args:
      - .offset:         0
        .size:           4
        .value_kind:     by_value
      - .offset:         4
        .size:           4
        .value_kind:     by_value
      - .address_space:  global
        .offset:         8
        .size:           8
        .value_kind:     global_buffer
      - .offset:         16
        .size:           8
        .value_kind:     by_value
      - .address_space:  global
        .offset:         24
        .size:           8
        .value_kind:     global_buffer
      - .offset:         32
        .size:           8
        .value_kind:     by_value
      - .offset:         40
        .size:           4
        .value_kind:     by_value
      - .offset:         48
        .size:           8
        .value_kind:     by_value
      - .address_space:  global
        .offset:         56
        .size:           8
        .value_kind:     global_buffer
      - .offset:         64
        .size:           8
        .value_kind:     by_value
      - .offset:         72
        .size:           4
        .value_kind:     by_value
      - .offset:         80
        .size:           8
        .value_kind:     by_value
      - .address_space:  global
        .offset:         88
        .size:           8
        .value_kind:     global_buffer
      - .offset:         96
        .size:           8
        .value_kind:     by_value
      - .address_space:  global
        .offset:         104
        .size:           8
        .value_kind:     global_buffer
      - .offset:         112
        .size:           8
        .value_kind:     by_value
      - .offset:         120
        .size:           4
        .value_kind:     by_value
      - .offset:         128
        .size:           8
        .value_kind:     by_value
      - .offset:         136
        .size:           4
        .value_kind:     by_value
      - .offset:         144
        .size:           4
        .value_kind:     hidden_block_count_x
      - .offset:         148
        .size:           4
        .value_kind:     hidden_block_count_y
      - .offset:         152
        .size:           4
        .value_kind:     hidden_block_count_z
      - .offset:         156
        .size:           2
        .value_kind:     hidden_group_size_x
      - .offset:         158
        .size:           2
        .value_kind:     hidden_group_size_y
      - .offset:         160
        .size:           2
        .value_kind:     hidden_group_size_z
      - .offset:         162
        .size:           2
        .value_kind:     hidden_remainder_x
      - .offset:         164
        .size:           2
        .value_kind:     hidden_remainder_y
      - .offset:         166
        .size:           2
        .value_kind:     hidden_remainder_z
      - .offset:         184
        .size:           8
        .value_kind:     hidden_global_offset_x
      - .offset:         192
        .size:           8
        .value_kind:     hidden_global_offset_y
      - .offset:         200
        .size:           8
        .value_kind:     hidden_global_offset_z
      - .offset:         208
        .size:           2
        .value_kind:     hidden_grid_dims
    .group_segment_fixed_size: 8192
    .kernarg_segment_align: 8
    .kernarg_segment_size: 400
    .language:       OpenCL C
    .language_version:
      - 2
      - 0
    .max_flat_workgroup_size: 256
    .name:           _ZL20rocblas_gemvn_kernelILi64ELi4EidPKddEviiT3_lPKT2_lT1_lS5_lS6_lS2_lPT4_lS6_li
    .private_segment_fixed_size: 0
    .sgpr_count:     32
    .sgpr_spill_count: 0
    .symbol:         _ZL20rocblas_gemvn_kernelILi64ELi4EidPKddEviiT3_lPKT2_lT1_lS5_lS6_lS2_lPT4_lS6_li.kd
    .uniform_work_group_size: 1
    .uses_dynamic_stack: false
    .vgpr_count:     61
    .vgpr_spill_count: 0
    .wavefront_size: 32
    .workgroup_processor_mode: 1
  - .args:
      - .offset:         0
        .size:           4
        .value_kind:     by_value
      - .offset:         4
        .size:           4
        .value_kind:     by_value
      - .address_space:  global
        .offset:         8
        .size:           8
        .value_kind:     global_buffer
      - .offset:         16
        .size:           8
        .value_kind:     by_value
      - .address_space:  global
        .offset:         24
        .size:           8
        .value_kind:     global_buffer
      - .offset:         32
        .size:           8
        .value_kind:     by_value
      - .offset:         40
        .size:           8
        .value_kind:     by_value
      - .offset:         48
        .size:           8
        .value_kind:     by_value
      - .address_space:  global
        .offset:         56
        .size:           8
        .value_kind:     global_buffer
      - .offset:         64
        .size:           8
        .value_kind:     by_value
      - .offset:         72
        .size:           8
        .value_kind:     by_value
      - .offset:         80
        .size:           8
        .value_kind:     by_value
      - .address_space:  global
        .offset:         88
        .size:           8
        .value_kind:     global_buffer
      - .offset:         96
        .size:           8
        .value_kind:     by_value
      - .address_space:  global
        .offset:         104
        .size:           8
        .value_kind:     global_buffer
      - .offset:         112
        .size:           8
        .value_kind:     by_value
      - .offset:         120
        .size:           8
        .value_kind:     by_value
      - .offset:         128
        .size:           8
        .value_kind:     by_value
      - .offset:         136
        .size:           4
        .value_kind:     by_value
      - .offset:         144
        .size:           4
        .value_kind:     hidden_block_count_x
      - .offset:         148
        .size:           4
        .value_kind:     hidden_block_count_y
      - .offset:         152
        .size:           4
        .value_kind:     hidden_block_count_z
      - .offset:         156
        .size:           2
        .value_kind:     hidden_group_size_x
      - .offset:         158
        .size:           2
        .value_kind:     hidden_group_size_y
      - .offset:         160
        .size:           2
        .value_kind:     hidden_group_size_z
      - .offset:         162
        .size:           2
        .value_kind:     hidden_remainder_x
      - .offset:         164
        .size:           2
        .value_kind:     hidden_remainder_y
      - .offset:         166
        .size:           2
        .value_kind:     hidden_remainder_z
      - .offset:         184
        .size:           8
        .value_kind:     hidden_global_offset_x
      - .offset:         192
        .size:           8
        .value_kind:     hidden_global_offset_y
      - .offset:         200
        .size:           8
        .value_kind:     hidden_global_offset_z
      - .offset:         208
        .size:           2
        .value_kind:     hidden_grid_dims
    .group_segment_fixed_size: 8192
    .kernarg_segment_align: 8
    .kernarg_segment_size: 400
    .language:       OpenCL C
    .language_version:
      - 2
      - 0
    .max_flat_workgroup_size: 256
    .name:           _ZL20rocblas_gemvn_kernelILi64ELi4EldPKddEviiT3_lPKT2_lT1_lS5_lS6_lS2_lPT4_lS6_li
    .private_segment_fixed_size: 0
    .sgpr_count:     54
    .sgpr_spill_count: 0
    .symbol:         _ZL20rocblas_gemvn_kernelILi64ELi4EldPKddEviiT3_lPKT2_lT1_lS5_lS6_lS2_lPT4_lS6_li.kd
    .uniform_work_group_size: 1
    .uses_dynamic_stack: false
    .vgpr_count:     71
    .vgpr_spill_count: 0
    .wavefront_size: 32
    .workgroup_processor_mode: 1
  - .args:
      - .offset:         0
        .size:           4
        .value_kind:     by_value
      - .offset:         4
        .size:           4
        .value_kind:     by_value
      - .offset:         8
        .size:           8
        .value_kind:     by_value
      - .offset:         16
        .size:           8
        .value_kind:     by_value
      - .address_space:  global
        .offset:         24
        .size:           8
        .value_kind:     global_buffer
      - .offset:         32
        .size:           8
        .value_kind:     by_value
      - .offset:         40
        .size:           4
        .value_kind:     by_value
      - .offset:         48
        .size:           8
        .value_kind:     by_value
      - .address_space:  global
        .offset:         56
        .size:           8
        .value_kind:     global_buffer
      - .offset:         64
        .size:           8
        .value_kind:     by_value
      - .offset:         72
        .size:           4
        .value_kind:     by_value
      - .offset:         80
        .size:           8
        .value_kind:     by_value
      - .offset:         88
        .size:           8
        .value_kind:     by_value
      - .offset:         96
        .size:           8
        .value_kind:     by_value
      - .address_space:  global
        .offset:         104
        .size:           8
        .value_kind:     global_buffer
      - .offset:         112
        .size:           8
        .value_kind:     by_value
      - .offset:         120
        .size:           4
        .value_kind:     by_value
      - .offset:         128
        .size:           8
        .value_kind:     by_value
      - .offset:         136
        .size:           4
        .value_kind:     by_value
      - .offset:         144
        .size:           4
        .value_kind:     hidden_block_count_x
      - .offset:         148
        .size:           4
        .value_kind:     hidden_block_count_y
      - .offset:         152
        .size:           4
        .value_kind:     hidden_block_count_z
      - .offset:         156
        .size:           2
        .value_kind:     hidden_group_size_x
      - .offset:         158
        .size:           2
        .value_kind:     hidden_group_size_y
      - .offset:         160
        .size:           2
        .value_kind:     hidden_group_size_z
      - .offset:         162
        .size:           2
        .value_kind:     hidden_remainder_x
      - .offset:         164
        .size:           2
        .value_kind:     hidden_remainder_y
      - .offset:         166
        .size:           2
        .value_kind:     hidden_remainder_z
      - .offset:         184
        .size:           8
        .value_kind:     hidden_global_offset_x
      - .offset:         192
        .size:           8
        .value_kind:     hidden_global_offset_y
      - .offset:         200
        .size:           8
        .value_kind:     hidden_global_offset_z
      - .offset:         208
        .size:           2
        .value_kind:     hidden_grid_dims
    .group_segment_fixed_size: 8192
    .kernarg_segment_align: 8
    .kernarg_segment_size: 400
    .language:       OpenCL C
    .language_version:
      - 2
      - 0
    .max_flat_workgroup_size: 256
    .name:           _ZL20rocblas_gemvn_kernelILi64ELi4EidddEviiT3_lPKT2_lT1_lS3_lS4_lS0_lPT4_lS4_li
    .private_segment_fixed_size: 0
    .sgpr_count:     32
    .sgpr_spill_count: 0
    .symbol:         _ZL20rocblas_gemvn_kernelILi64ELi4EidddEviiT3_lPKT2_lT1_lS3_lS4_lS0_lPT4_lS4_li.kd
    .uniform_work_group_size: 1
    .uses_dynamic_stack: false
    .vgpr_count:     61
    .vgpr_spill_count: 0
    .wavefront_size: 32
    .workgroup_processor_mode: 1
  - .args:
      - .offset:         0
        .size:           4
        .value_kind:     by_value
      - .offset:         4
        .size:           4
        .value_kind:     by_value
      - .offset:         8
        .size:           8
        .value_kind:     by_value
      - .offset:         16
        .size:           8
        .value_kind:     by_value
      - .address_space:  global
        .offset:         24
        .size:           8
        .value_kind:     global_buffer
      - .offset:         32
        .size:           8
        .value_kind:     by_value
      - .offset:         40
        .size:           8
        .value_kind:     by_value
      - .offset:         48
        .size:           8
        .value_kind:     by_value
      - .address_space:  global
        .offset:         56
        .size:           8
        .value_kind:     global_buffer
      - .offset:         64
        .size:           8
        .value_kind:     by_value
      - .offset:         72
        .size:           8
        .value_kind:     by_value
      - .offset:         80
        .size:           8
        .value_kind:     by_value
      - .offset:         88
        .size:           8
        .value_kind:     by_value
      - .offset:         96
        .size:           8
        .value_kind:     by_value
      - .address_space:  global
        .offset:         104
        .size:           8
        .value_kind:     global_buffer
      - .offset:         112
        .size:           8
        .value_kind:     by_value
      - .offset:         120
        .size:           8
        .value_kind:     by_value
      - .offset:         128
        .size:           8
        .value_kind:     by_value
      - .offset:         136
        .size:           4
        .value_kind:     by_value
      - .offset:         144
        .size:           4
        .value_kind:     hidden_block_count_x
      - .offset:         148
        .size:           4
        .value_kind:     hidden_block_count_y
      - .offset:         152
        .size:           4
        .value_kind:     hidden_block_count_z
      - .offset:         156
        .size:           2
        .value_kind:     hidden_group_size_x
      - .offset:         158
        .size:           2
        .value_kind:     hidden_group_size_y
      - .offset:         160
        .size:           2
        .value_kind:     hidden_group_size_z
      - .offset:         162
        .size:           2
        .value_kind:     hidden_remainder_x
      - .offset:         164
        .size:           2
        .value_kind:     hidden_remainder_y
      - .offset:         166
        .size:           2
        .value_kind:     hidden_remainder_z
      - .offset:         184
        .size:           8
        .value_kind:     hidden_global_offset_x
      - .offset:         192
        .size:           8
        .value_kind:     hidden_global_offset_y
      - .offset:         200
        .size:           8
        .value_kind:     hidden_global_offset_z
      - .offset:         208
        .size:           2
        .value_kind:     hidden_grid_dims
    .group_segment_fixed_size: 8192
    .kernarg_segment_align: 8
    .kernarg_segment_size: 400
    .language:       OpenCL C
    .language_version:
      - 2
      - 0
    .max_flat_workgroup_size: 256
    .name:           _ZL20rocblas_gemvn_kernelILi64ELi4EldddEviiT3_lPKT2_lT1_lS3_lS4_lS0_lPT4_lS4_li
    .private_segment_fixed_size: 0
    .sgpr_count:     47
    .sgpr_spill_count: 0
    .symbol:         _ZL20rocblas_gemvn_kernelILi64ELi4EldddEviiT3_lPKT2_lT1_lS3_lS4_lS0_lPT4_lS4_li.kd
    .uniform_work_group_size: 1
    .uses_dynamic_stack: false
    .vgpr_count:     71
    .vgpr_spill_count: 0
    .wavefront_size: 32
    .workgroup_processor_mode: 1
  - .args:
      - .offset:         0
        .size:           4
        .value_kind:     by_value
      - .address_space:  global
        .offset:         8
        .size:           8
        .value_kind:     global_buffer
      - .offset:         16
        .size:           8
        .value_kind:     by_value
      - .address_space:  global
        .offset:         24
        .size:           8
        .value_kind:     global_buffer
      - .offset:         32
        .size:           8
        .value_kind:     by_value
      - .offset:         40
        .size:           4
        .value_kind:     by_value
      - .offset:         48
        .size:           8
        .value_kind:     by_value
      - .offset:         56
        .size:           4
        .value_kind:     by_value
      - .offset:         64
        .size:           4
        .value_kind:     hidden_block_count_x
      - .offset:         68
        .size:           4
        .value_kind:     hidden_block_count_y
      - .offset:         72
        .size:           4
        .value_kind:     hidden_block_count_z
      - .offset:         76
        .size:           2
        .value_kind:     hidden_group_size_x
      - .offset:         78
        .size:           2
        .value_kind:     hidden_group_size_y
      - .offset:         80
        .size:           2
        .value_kind:     hidden_group_size_z
      - .offset:         82
        .size:           2
        .value_kind:     hidden_remainder_x
      - .offset:         84
        .size:           2
        .value_kind:     hidden_remainder_y
      - .offset:         86
        .size:           2
        .value_kind:     hidden_remainder_z
      - .offset:         104
        .size:           8
        .value_kind:     hidden_global_offset_x
      - .offset:         112
        .size:           8
        .value_kind:     hidden_global_offset_y
      - .offset:         120
        .size:           8
        .value_kind:     hidden_global_offset_z
      - .offset:         128
        .size:           2
        .value_kind:     hidden_grid_dims
    .group_segment_fixed_size: 0
    .kernarg_segment_align: 8
    .kernarg_segment_size: 320
    .language:       OpenCL C
    .language_version:
      - 2
      - 0
    .max_flat_workgroup_size: 256
    .name:           _ZL24rocblas_gemv_scal_kernelILi256EPKdPdEviT0_lT1_lili
    .private_segment_fixed_size: 0
    .sgpr_count:     18
    .sgpr_spill_count: 0
    .symbol:         _ZL24rocblas_gemv_scal_kernelILi256EPKdPdEviT0_lT1_lili.kd
    .uniform_work_group_size: 1
    .uses_dynamic_stack: false
    .vgpr_count:     5
    .vgpr_spill_count: 0
    .wavefront_size: 32
    .workgroup_processor_mode: 1
  - .args:
      - .offset:         0
        .size:           4
        .value_kind:     by_value
      - .offset:         8
        .size:           8
        .value_kind:     by_value
      - .offset:         16
        .size:           8
        .value_kind:     by_value
      - .address_space:  global
        .offset:         24
        .size:           8
        .value_kind:     global_buffer
      - .offset:         32
        .size:           8
        .value_kind:     by_value
      - .offset:         40
        .size:           4
        .value_kind:     by_value
      - .offset:         48
        .size:           8
        .value_kind:     by_value
      - .offset:         56
        .size:           4
        .value_kind:     by_value
      - .offset:         64
        .size:           4
        .value_kind:     hidden_block_count_x
      - .offset:         68
        .size:           4
        .value_kind:     hidden_block_count_y
      - .offset:         72
        .size:           4
        .value_kind:     hidden_block_count_z
      - .offset:         76
        .size:           2
        .value_kind:     hidden_group_size_x
      - .offset:         78
        .size:           2
        .value_kind:     hidden_group_size_y
      - .offset:         80
        .size:           2
        .value_kind:     hidden_group_size_z
      - .offset:         82
        .size:           2
        .value_kind:     hidden_remainder_x
      - .offset:         84
        .size:           2
        .value_kind:     hidden_remainder_y
      - .offset:         86
        .size:           2
        .value_kind:     hidden_remainder_z
      - .offset:         104
        .size:           8
        .value_kind:     hidden_global_offset_x
      - .offset:         112
        .size:           8
        .value_kind:     hidden_global_offset_y
      - .offset:         120
        .size:           8
        .value_kind:     hidden_global_offset_z
      - .offset:         128
        .size:           2
        .value_kind:     hidden_grid_dims
    .group_segment_fixed_size: 0
    .kernarg_segment_align: 8
    .kernarg_segment_size: 320
    .language:       OpenCL C
    .language_version:
      - 2
      - 0
    .max_flat_workgroup_size: 256
    .name:           _ZL24rocblas_gemv_scal_kernelILi256EdPdEviT0_lT1_lili
    .private_segment_fixed_size: 0
    .sgpr_count:     18
    .sgpr_spill_count: 0
    .symbol:         _ZL24rocblas_gemv_scal_kernelILi256EdPdEviT0_lT1_lili.kd
    .uniform_work_group_size: 1
    .uses_dynamic_stack: false
    .vgpr_count:     5
    .vgpr_spill_count: 0
    .wavefront_size: 32
    .workgroup_processor_mode: 1
  - .args:
      - .offset:         0
        .size:           4
        .value_kind:     by_value
      - .offset:         4
        .size:           4
        .value_kind:     by_value
      - .address_space:  global
        .offset:         8
        .size:           8
        .value_kind:     global_buffer
      - .offset:         16
        .size:           8
        .value_kind:     by_value
      - .address_space:  global
        .offset:         24
        .size:           8
        .value_kind:     global_buffer
      - .offset:         32
        .size:           8
        .value_kind:     by_value
      - .offset:         40
        .size:           4
        .value_kind:     by_value
      - .offset:         48
        .size:           8
        .value_kind:     by_value
      - .address_space:  global
        .offset:         56
        .size:           8
        .value_kind:     global_buffer
      - .offset:         64
        .size:           8
        .value_kind:     by_value
      - .offset:         72
        .size:           4
        .value_kind:     by_value
      - .offset:         80
        .size:           8
        .value_kind:     by_value
      - .address_space:  global
        .offset:         88
        .size:           8
        .value_kind:     global_buffer
      - .offset:         96
        .size:           8
        .value_kind:     by_value
      - .offset:         104
        .size:           4
        .value_kind:     by_value
      - .offset:         112
        .size:           8
        .value_kind:     by_value
      - .offset:         120
        .size:           4
        .value_kind:     by_value
      - .offset:         128
        .size:           4
        .value_kind:     hidden_block_count_x
      - .offset:         132
        .size:           4
        .value_kind:     hidden_block_count_y
      - .offset:         136
        .size:           4
        .value_kind:     hidden_block_count_z
      - .offset:         140
        .size:           2
        .value_kind:     hidden_group_size_x
      - .offset:         142
        .size:           2
        .value_kind:     hidden_group_size_y
      - .offset:         144
        .size:           2
        .value_kind:     hidden_group_size_z
      - .offset:         146
        .size:           2
        .value_kind:     hidden_remainder_x
      - .offset:         148
        .size:           2
        .value_kind:     hidden_remainder_y
      - .offset:         150
        .size:           2
        .value_kind:     hidden_remainder_z
      - .offset:         168
        .size:           8
        .value_kind:     hidden_global_offset_x
      - .offset:         176
        .size:           8
        .value_kind:     hidden_global_offset_y
      - .offset:         184
        .size:           8
        .value_kind:     hidden_global_offset_z
      - .offset:         192
        .size:           2
        .value_kind:     hidden_grid_dims
    .group_segment_fixed_size: 8192
    .kernarg_segment_align: 8
    .kernarg_segment_size: 384
    .language:       OpenCL C
    .language_version:
      - 2
      - 0
    .max_flat_workgroup_size: 512
    .name:           _ZL36rocblas_gemvn_double_buffered_kernelILi128ELi4ELi16EdPKddEviiT3_lPKT2_lilS5_lilPT4_lili
    .private_segment_fixed_size: 0
    .sgpr_count:     44
    .sgpr_spill_count: 0
    .symbol:         _ZL36rocblas_gemvn_double_buffered_kernelILi128ELi4ELi16EdPKddEviiT3_lPKT2_lilS5_lilPT4_lili.kd
    .uniform_work_group_size: 1
    .uses_dynamic_stack: false
    .vgpr_count:     174
    .vgpr_spill_count: 0
    .wavefront_size: 32
    .workgroup_processor_mode: 1
  - .args:
      - .offset:         0
        .size:           4
        .value_kind:     by_value
      - .offset:         4
        .size:           4
        .value_kind:     by_value
      - .offset:         8
        .size:           8
        .value_kind:     by_value
      - .offset:         16
        .size:           8
        .value_kind:     by_value
      - .address_space:  global
        .offset:         24
        .size:           8
        .value_kind:     global_buffer
      - .offset:         32
        .size:           8
        .value_kind:     by_value
      - .offset:         40
        .size:           4
        .value_kind:     by_value
      - .offset:         48
        .size:           8
        .value_kind:     by_value
      - .address_space:  global
        .offset:         56
        .size:           8
        .value_kind:     global_buffer
      - .offset:         64
        .size:           8
        .value_kind:     by_value
      - .offset:         72
        .size:           4
        .value_kind:     by_value
      - .offset:         80
        .size:           8
        .value_kind:     by_value
      - .address_space:  global
        .offset:         88
        .size:           8
        .value_kind:     global_buffer
      - .offset:         96
        .size:           8
        .value_kind:     by_value
      - .offset:         104
        .size:           4
        .value_kind:     by_value
      - .offset:         112
        .size:           8
        .value_kind:     by_value
      - .offset:         120
        .size:           4
        .value_kind:     by_value
      - .offset:         128
        .size:           4
        .value_kind:     hidden_block_count_x
      - .offset:         132
        .size:           4
        .value_kind:     hidden_block_count_y
      - .offset:         136
        .size:           4
        .value_kind:     hidden_block_count_z
      - .offset:         140
        .size:           2
        .value_kind:     hidden_group_size_x
      - .offset:         142
        .size:           2
        .value_kind:     hidden_group_size_y
      - .offset:         144
        .size:           2
        .value_kind:     hidden_group_size_z
      - .offset:         146
        .size:           2
        .value_kind:     hidden_remainder_x
      - .offset:         148
        .size:           2
        .value_kind:     hidden_remainder_y
      - .offset:         150
        .size:           2
        .value_kind:     hidden_remainder_z
      - .offset:         168
        .size:           8
        .value_kind:     hidden_global_offset_x
      - .offset:         176
        .size:           8
        .value_kind:     hidden_global_offset_y
      - .offset:         184
        .size:           8
        .value_kind:     hidden_global_offset_z
      - .offset:         192
        .size:           2
        .value_kind:     hidden_grid_dims
    .group_segment_fixed_size: 8192
    .kernarg_segment_align: 8
    .kernarg_segment_size: 384
    .language:       OpenCL C
    .language_version:
      - 2
      - 0
    .max_flat_workgroup_size: 512
    .name:           _ZL36rocblas_gemvn_double_buffered_kernelILi128ELi4ELi16EdddEviiT3_lPKT2_lilS3_lilPT4_lili
    .private_segment_fixed_size: 0
    .sgpr_count:     42
    .sgpr_spill_count: 0
    .symbol:         _ZL36rocblas_gemvn_double_buffered_kernelILi128ELi4ELi16EdddEviiT3_lPKT2_lilS3_lilPT4_lili.kd
    .uniform_work_group_size: 1
    .uses_dynamic_stack: false
    .vgpr_count:     174
    .vgpr_spill_count: 0
    .wavefront_size: 32
    .workgroup_processor_mode: 1
  - .args:
      - .offset:         0
        .size:           4
        .value_kind:     by_value
      - .offset:         4
        .size:           4
        .value_kind:     by_value
      - .address_space:  global
        .offset:         8
        .size:           8
        .value_kind:     global_buffer
      - .offset:         16
        .size:           8
        .value_kind:     by_value
      - .address_space:  global
        .offset:         24
        .size:           8
        .value_kind:     global_buffer
      - .offset:         32
        .size:           8
        .value_kind:     by_value
      - .offset:         40
        .size:           4
        .value_kind:     by_value
      - .offset:         48
        .size:           8
        .value_kind:     by_value
      - .address_space:  global
        .offset:         56
        .size:           8
        .value_kind:     global_buffer
      - .offset:         64
        .size:           8
        .value_kind:     by_value
      - .offset:         72
        .size:           4
        .value_kind:     by_value
      - .offset:         80
        .size:           8
        .value_kind:     by_value
      - .address_space:  global
        .offset:         88
        .size:           8
        .value_kind:     global_buffer
      - .offset:         96
        .size:           8
        .value_kind:     by_value
      - .address_space:  global
        .offset:         104
        .size:           8
        .value_kind:     global_buffer
      - .offset:         112
        .size:           8
        .value_kind:     by_value
      - .offset:         120
        .size:           4
        .value_kind:     by_value
      - .offset:         128
        .size:           8
        .value_kind:     by_value
      - .offset:         136
        .size:           4
        .value_kind:     by_value
      - .offset:         144
        .size:           4
        .value_kind:     hidden_block_count_x
      - .offset:         148
        .size:           4
        .value_kind:     hidden_block_count_y
      - .offset:         152
        .size:           4
        .value_kind:     hidden_block_count_z
      - .offset:         156
        .size:           2
        .value_kind:     hidden_group_size_x
      - .offset:         158
        .size:           2
        .value_kind:     hidden_group_size_y
      - .offset:         160
        .size:           2
        .value_kind:     hidden_group_size_z
      - .offset:         162
        .size:           2
        .value_kind:     hidden_remainder_x
      - .offset:         164
        .size:           2
        .value_kind:     hidden_remainder_y
      - .offset:         166
        .size:           2
        .value_kind:     hidden_remainder_z
      - .offset:         184
        .size:           8
        .value_kind:     hidden_global_offset_x
      - .offset:         192
        .size:           8
        .value_kind:     hidden_global_offset_y
      - .offset:         200
        .size:           8
        .value_kind:     hidden_global_offset_z
      - .offset:         208
        .size:           2
        .value_kind:     hidden_grid_dims
    .group_segment_fixed_size: 16384
    .kernarg_segment_align: 8
    .kernarg_segment_size: 400
    .language:       OpenCL C
    .language_version:
      - 2
      - 0
    .max_flat_workgroup_size: 512
    .name:           _ZL20rocblas_gemvn_kernelILi32ELi16EidPKddEviiT3_lPKT2_lT1_lS5_lS6_lS2_lPT4_lS6_li
    .private_segment_fixed_size: 0
    .sgpr_count:     32
    .sgpr_spill_count: 0
    .symbol:         _ZL20rocblas_gemvn_kernelILi32ELi16EidPKddEviiT3_lPKT2_lT1_lS5_lS6_lS2_lPT4_lS6_li.kd
    .uniform_work_group_size: 1
    .uses_dynamic_stack: false
    .vgpr_count:     61
    .vgpr_spill_count: 0
    .wavefront_size: 32
    .workgroup_processor_mode: 1
  - .args:
      - .offset:         0
        .size:           4
        .value_kind:     by_value
      - .offset:         4
        .size:           4
        .value_kind:     by_value
      - .address_space:  global
        .offset:         8
        .size:           8
        .value_kind:     global_buffer
      - .offset:         16
        .size:           8
        .value_kind:     by_value
      - .address_space:  global
        .offset:         24
        .size:           8
        .value_kind:     global_buffer
      - .offset:         32
        .size:           8
        .value_kind:     by_value
      - .offset:         40
        .size:           8
        .value_kind:     by_value
      - .offset:         48
        .size:           8
        .value_kind:     by_value
      - .address_space:  global
        .offset:         56
        .size:           8
        .value_kind:     global_buffer
      - .offset:         64
        .size:           8
        .value_kind:     by_value
      - .offset:         72
        .size:           8
        .value_kind:     by_value
      - .offset:         80
        .size:           8
        .value_kind:     by_value
      - .address_space:  global
        .offset:         88
        .size:           8
        .value_kind:     global_buffer
      - .offset:         96
        .size:           8
        .value_kind:     by_value
      - .address_space:  global
        .offset:         104
        .size:           8
        .value_kind:     global_buffer
      - .offset:         112
        .size:           8
        .value_kind:     by_value
      - .offset:         120
        .size:           8
        .value_kind:     by_value
      - .offset:         128
        .size:           8
        .value_kind:     by_value
      - .offset:         136
        .size:           4
        .value_kind:     by_value
      - .offset:         144
        .size:           4
        .value_kind:     hidden_block_count_x
      - .offset:         148
        .size:           4
        .value_kind:     hidden_block_count_y
      - .offset:         152
        .size:           4
        .value_kind:     hidden_block_count_z
      - .offset:         156
        .size:           2
        .value_kind:     hidden_group_size_x
      - .offset:         158
        .size:           2
        .value_kind:     hidden_group_size_y
      - .offset:         160
        .size:           2
        .value_kind:     hidden_group_size_z
      - .offset:         162
        .size:           2
        .value_kind:     hidden_remainder_x
      - .offset:         164
        .size:           2
        .value_kind:     hidden_remainder_y
      - .offset:         166
        .size:           2
        .value_kind:     hidden_remainder_z
      - .offset:         184
        .size:           8
        .value_kind:     hidden_global_offset_x
      - .offset:         192
        .size:           8
        .value_kind:     hidden_global_offset_y
      - .offset:         200
        .size:           8
        .value_kind:     hidden_global_offset_z
      - .offset:         208
        .size:           2
        .value_kind:     hidden_grid_dims
    .group_segment_fixed_size: 16384
    .kernarg_segment_align: 8
    .kernarg_segment_size: 400
    .language:       OpenCL C
    .language_version:
      - 2
      - 0
    .max_flat_workgroup_size: 512
    .name:           _ZL20rocblas_gemvn_kernelILi32ELi16EldPKddEviiT3_lPKT2_lT1_lS5_lS6_lS2_lPT4_lS6_li
    .private_segment_fixed_size: 0
    .sgpr_count:     54
    .sgpr_spill_count: 0
    .symbol:         _ZL20rocblas_gemvn_kernelILi32ELi16EldPKddEviiT3_lPKT2_lT1_lS5_lS6_lS2_lPT4_lS6_li.kd
    .uniform_work_group_size: 1
    .uses_dynamic_stack: false
    .vgpr_count:     71
    .vgpr_spill_count: 0
    .wavefront_size: 32
    .workgroup_processor_mode: 1
  - .args:
      - .offset:         0
        .size:           4
        .value_kind:     by_value
      - .offset:         4
        .size:           4
        .value_kind:     by_value
      - .offset:         8
        .size:           8
        .value_kind:     by_value
      - .offset:         16
        .size:           8
        .value_kind:     by_value
      - .address_space:  global
        .offset:         24
        .size:           8
        .value_kind:     global_buffer
      - .offset:         32
        .size:           8
        .value_kind:     by_value
      - .offset:         40
        .size:           4
        .value_kind:     by_value
      - .offset:         48
        .size:           8
        .value_kind:     by_value
      - .address_space:  global
        .offset:         56
        .size:           8
        .value_kind:     global_buffer
      - .offset:         64
        .size:           8
        .value_kind:     by_value
      - .offset:         72
        .size:           4
        .value_kind:     by_value
      - .offset:         80
        .size:           8
        .value_kind:     by_value
      - .offset:         88
        .size:           8
        .value_kind:     by_value
      - .offset:         96
        .size:           8
        .value_kind:     by_value
      - .address_space:  global
        .offset:         104
        .size:           8
        .value_kind:     global_buffer
      - .offset:         112
        .size:           8
        .value_kind:     by_value
      - .offset:         120
        .size:           4
        .value_kind:     by_value
      - .offset:         128
        .size:           8
        .value_kind:     by_value
      - .offset:         136
        .size:           4
        .value_kind:     by_value
      - .offset:         144
        .size:           4
        .value_kind:     hidden_block_count_x
      - .offset:         148
        .size:           4
        .value_kind:     hidden_block_count_y
      - .offset:         152
        .size:           4
        .value_kind:     hidden_block_count_z
      - .offset:         156
        .size:           2
        .value_kind:     hidden_group_size_x
      - .offset:         158
        .size:           2
        .value_kind:     hidden_group_size_y
      - .offset:         160
        .size:           2
        .value_kind:     hidden_group_size_z
      - .offset:         162
        .size:           2
        .value_kind:     hidden_remainder_x
      - .offset:         164
        .size:           2
        .value_kind:     hidden_remainder_y
      - .offset:         166
        .size:           2
        .value_kind:     hidden_remainder_z
      - .offset:         184
        .size:           8
        .value_kind:     hidden_global_offset_x
      - .offset:         192
        .size:           8
        .value_kind:     hidden_global_offset_y
      - .offset:         200
        .size:           8
        .value_kind:     hidden_global_offset_z
      - .offset:         208
        .size:           2
        .value_kind:     hidden_grid_dims
    .group_segment_fixed_size: 16384
    .kernarg_segment_align: 8
    .kernarg_segment_size: 400
    .language:       OpenCL C
    .language_version:
      - 2
      - 0
    .max_flat_workgroup_size: 512
    .name:           _ZL20rocblas_gemvn_kernelILi32ELi16EidddEviiT3_lPKT2_lT1_lS3_lS4_lS0_lPT4_lS4_li
    .private_segment_fixed_size: 0
    .sgpr_count:     32
    .sgpr_spill_count: 0
    .symbol:         _ZL20rocblas_gemvn_kernelILi32ELi16EidddEviiT3_lPKT2_lT1_lS3_lS4_lS0_lPT4_lS4_li.kd
    .uniform_work_group_size: 1
    .uses_dynamic_stack: false
    .vgpr_count:     61
    .vgpr_spill_count: 0
    .wavefront_size: 32
    .workgroup_processor_mode: 1
  - .args:
      - .offset:         0
        .size:           4
        .value_kind:     by_value
      - .offset:         4
        .size:           4
        .value_kind:     by_value
      - .offset:         8
        .size:           8
        .value_kind:     by_value
      - .offset:         16
        .size:           8
        .value_kind:     by_value
      - .address_space:  global
        .offset:         24
        .size:           8
        .value_kind:     global_buffer
      - .offset:         32
        .size:           8
        .value_kind:     by_value
      - .offset:         40
        .size:           8
        .value_kind:     by_value
      - .offset:         48
        .size:           8
        .value_kind:     by_value
      - .address_space:  global
        .offset:         56
        .size:           8
        .value_kind:     global_buffer
      - .offset:         64
        .size:           8
        .value_kind:     by_value
      - .offset:         72
        .size:           8
        .value_kind:     by_value
      - .offset:         80
        .size:           8
        .value_kind:     by_value
      - .offset:         88
        .size:           8
        .value_kind:     by_value
      - .offset:         96
        .size:           8
        .value_kind:     by_value
      - .address_space:  global
        .offset:         104
        .size:           8
        .value_kind:     global_buffer
      - .offset:         112
        .size:           8
        .value_kind:     by_value
      - .offset:         120
        .size:           8
        .value_kind:     by_value
      - .offset:         128
        .size:           8
        .value_kind:     by_value
      - .offset:         136
        .size:           4
        .value_kind:     by_value
      - .offset:         144
        .size:           4
        .value_kind:     hidden_block_count_x
      - .offset:         148
        .size:           4
        .value_kind:     hidden_block_count_y
      - .offset:         152
        .size:           4
        .value_kind:     hidden_block_count_z
      - .offset:         156
        .size:           2
        .value_kind:     hidden_group_size_x
      - .offset:         158
        .size:           2
        .value_kind:     hidden_group_size_y
      - .offset:         160
        .size:           2
        .value_kind:     hidden_group_size_z
      - .offset:         162
        .size:           2
        .value_kind:     hidden_remainder_x
      - .offset:         164
        .size:           2
        .value_kind:     hidden_remainder_y
      - .offset:         166
        .size:           2
        .value_kind:     hidden_remainder_z
      - .offset:         184
        .size:           8
        .value_kind:     hidden_global_offset_x
      - .offset:         192
        .size:           8
        .value_kind:     hidden_global_offset_y
      - .offset:         200
        .size:           8
        .value_kind:     hidden_global_offset_z
      - .offset:         208
        .size:           2
        .value_kind:     hidden_grid_dims
    .group_segment_fixed_size: 16384
    .kernarg_segment_align: 8
    .kernarg_segment_size: 400
    .language:       OpenCL C
    .language_version:
      - 2
      - 0
    .max_flat_workgroup_size: 512
    .name:           _ZL20rocblas_gemvn_kernelILi32ELi16EldddEviiT3_lPKT2_lT1_lS3_lS4_lS0_lPT4_lS4_li
    .private_segment_fixed_size: 0
    .sgpr_count:     47
    .sgpr_spill_count: 0
    .symbol:         _ZL20rocblas_gemvn_kernelILi32ELi16EldddEviiT3_lPKT2_lT1_lS3_lS4_lS0_lPT4_lS4_li.kd
    .uniform_work_group_size: 1
    .uses_dynamic_stack: false
    .vgpr_count:     71
    .vgpr_spill_count: 0
    .wavefront_size: 32
    .workgroup_processor_mode: 1
  - .args:
      - .offset:         0
        .size:           4
        .value_kind:     by_value
      - .offset:         4
        .size:           4
        .value_kind:     by_value
      - .address_space:  global
        .offset:         8
        .size:           8
        .value_kind:     global_buffer
      - .offset:         16
        .size:           8
        .value_kind:     by_value
      - .address_space:  global
        .offset:         24
        .size:           8
        .value_kind:     global_buffer
      - .offset:         32
        .size:           8
        .value_kind:     by_value
      - .offset:         40
        .size:           4
        .value_kind:     by_value
      - .offset:         48
        .size:           8
        .value_kind:     by_value
      - .address_space:  global
        .offset:         56
        .size:           8
        .value_kind:     global_buffer
      - .offset:         64
        .size:           8
        .value_kind:     by_value
      - .offset:         72
        .size:           4
        .value_kind:     by_value
      - .offset:         80
        .size:           8
        .value_kind:     by_value
      - .address_space:  global
        .offset:         88
        .size:           8
        .value_kind:     global_buffer
      - .offset:         96
        .size:           8
        .value_kind:     by_value
      - .address_space:  global
        .offset:         104
        .size:           8
        .value_kind:     global_buffer
      - .offset:         112
        .size:           8
        .value_kind:     by_value
      - .offset:         120
        .size:           4
        .value_kind:     by_value
      - .offset:         128
        .size:           8
        .value_kind:     by_value
      - .offset:         136
        .size:           4
        .value_kind:     by_value
      - .offset:         144
        .size:           4
        .value_kind:     hidden_block_count_x
      - .offset:         148
        .size:           4
        .value_kind:     hidden_block_count_y
      - .offset:         152
        .size:           4
        .value_kind:     hidden_block_count_z
      - .offset:         156
        .size:           2
        .value_kind:     hidden_group_size_x
      - .offset:         158
        .size:           2
        .value_kind:     hidden_group_size_y
      - .offset:         160
        .size:           2
        .value_kind:     hidden_group_size_z
      - .offset:         162
        .size:           2
        .value_kind:     hidden_remainder_x
      - .offset:         164
        .size:           2
        .value_kind:     hidden_remainder_y
      - .offset:         166
        .size:           2
        .value_kind:     hidden_remainder_z
      - .offset:         184
        .size:           8
        .value_kind:     hidden_global_offset_x
      - .offset:         192
        .size:           8
        .value_kind:     hidden_global_offset_y
      - .offset:         200
        .size:           8
        .value_kind:     hidden_global_offset_z
      - .offset:         208
        .size:           2
        .value_kind:     hidden_grid_dims
    .group_segment_fixed_size: 32768
    .kernarg_segment_align: 8
    .kernarg_segment_size: 400
    .language:       OpenCL C
    .language_version:
      - 2
      - 0
    .max_flat_workgroup_size: 1024
    .name:           _ZL20rocblas_gemvn_kernelILi64ELi16EidPKddEviiT3_lPKT2_lT1_lS5_lS6_lS2_lPT4_lS6_li
    .private_segment_fixed_size: 0
    .sgpr_count:     32
    .sgpr_spill_count: 0
    .symbol:         _ZL20rocblas_gemvn_kernelILi64ELi16EidPKddEviiT3_lPKT2_lT1_lS5_lS6_lS2_lPT4_lS6_li.kd
    .uniform_work_group_size: 1
    .uses_dynamic_stack: false
    .vgpr_count:     61
    .vgpr_spill_count: 0
    .wavefront_size: 32
    .workgroup_processor_mode: 1
  - .args:
      - .offset:         0
        .size:           4
        .value_kind:     by_value
      - .offset:         4
        .size:           4
        .value_kind:     by_value
      - .address_space:  global
        .offset:         8
        .size:           8
        .value_kind:     global_buffer
      - .offset:         16
        .size:           8
        .value_kind:     by_value
      - .address_space:  global
        .offset:         24
        .size:           8
        .value_kind:     global_buffer
      - .offset:         32
        .size:           8
        .value_kind:     by_value
      - .offset:         40
        .size:           8
        .value_kind:     by_value
      - .offset:         48
        .size:           8
        .value_kind:     by_value
      - .address_space:  global
        .offset:         56
        .size:           8
        .value_kind:     global_buffer
      - .offset:         64
        .size:           8
        .value_kind:     by_value
      - .offset:         72
        .size:           8
        .value_kind:     by_value
      - .offset:         80
        .size:           8
        .value_kind:     by_value
      - .address_space:  global
        .offset:         88
        .size:           8
        .value_kind:     global_buffer
      - .offset:         96
        .size:           8
        .value_kind:     by_value
      - .address_space:  global
        .offset:         104
        .size:           8
        .value_kind:     global_buffer
      - .offset:         112
        .size:           8
        .value_kind:     by_value
      - .offset:         120
        .size:           8
        .value_kind:     by_value
      - .offset:         128
        .size:           8
        .value_kind:     by_value
      - .offset:         136
        .size:           4
        .value_kind:     by_value
      - .offset:         144
        .size:           4
        .value_kind:     hidden_block_count_x
      - .offset:         148
        .size:           4
        .value_kind:     hidden_block_count_y
      - .offset:         152
        .size:           4
        .value_kind:     hidden_block_count_z
      - .offset:         156
        .size:           2
        .value_kind:     hidden_group_size_x
      - .offset:         158
        .size:           2
        .value_kind:     hidden_group_size_y
      - .offset:         160
        .size:           2
        .value_kind:     hidden_group_size_z
      - .offset:         162
        .size:           2
        .value_kind:     hidden_remainder_x
      - .offset:         164
        .size:           2
        .value_kind:     hidden_remainder_y
      - .offset:         166
        .size:           2
        .value_kind:     hidden_remainder_z
      - .offset:         184
        .size:           8
        .value_kind:     hidden_global_offset_x
      - .offset:         192
        .size:           8
        .value_kind:     hidden_global_offset_y
      - .offset:         200
        .size:           8
        .value_kind:     hidden_global_offset_z
      - .offset:         208
        .size:           2
        .value_kind:     hidden_grid_dims
    .group_segment_fixed_size: 32768
    .kernarg_segment_align: 8
    .kernarg_segment_size: 400
    .language:       OpenCL C
    .language_version:
      - 2
      - 0
    .max_flat_workgroup_size: 1024
    .name:           _ZL20rocblas_gemvn_kernelILi64ELi16EldPKddEviiT3_lPKT2_lT1_lS5_lS6_lS2_lPT4_lS6_li
    .private_segment_fixed_size: 0
    .sgpr_count:     54
    .sgpr_spill_count: 0
    .symbol:         _ZL20rocblas_gemvn_kernelILi64ELi16EldPKddEviiT3_lPKT2_lT1_lS5_lS6_lS2_lPT4_lS6_li.kd
    .uniform_work_group_size: 1
    .uses_dynamic_stack: false
    .vgpr_count:     71
    .vgpr_spill_count: 0
    .wavefront_size: 32
    .workgroup_processor_mode: 1
  - .args:
      - .offset:         0
        .size:           4
        .value_kind:     by_value
      - .offset:         4
        .size:           4
        .value_kind:     by_value
      - .offset:         8
        .size:           8
        .value_kind:     by_value
      - .offset:         16
        .size:           8
        .value_kind:     by_value
      - .address_space:  global
        .offset:         24
        .size:           8
        .value_kind:     global_buffer
      - .offset:         32
        .size:           8
        .value_kind:     by_value
      - .offset:         40
        .size:           4
        .value_kind:     by_value
      - .offset:         48
        .size:           8
        .value_kind:     by_value
      - .address_space:  global
        .offset:         56
        .size:           8
        .value_kind:     global_buffer
      - .offset:         64
        .size:           8
        .value_kind:     by_value
      - .offset:         72
        .size:           4
        .value_kind:     by_value
      - .offset:         80
        .size:           8
        .value_kind:     by_value
      - .offset:         88
        .size:           8
        .value_kind:     by_value
      - .offset:         96
        .size:           8
        .value_kind:     by_value
      - .address_space:  global
        .offset:         104
        .size:           8
        .value_kind:     global_buffer
      - .offset:         112
        .size:           8
        .value_kind:     by_value
      - .offset:         120
        .size:           4
        .value_kind:     by_value
      - .offset:         128
        .size:           8
        .value_kind:     by_value
      - .offset:         136
        .size:           4
        .value_kind:     by_value
      - .offset:         144
        .size:           4
        .value_kind:     hidden_block_count_x
      - .offset:         148
        .size:           4
        .value_kind:     hidden_block_count_y
      - .offset:         152
        .size:           4
        .value_kind:     hidden_block_count_z
      - .offset:         156
        .size:           2
        .value_kind:     hidden_group_size_x
      - .offset:         158
        .size:           2
        .value_kind:     hidden_group_size_y
      - .offset:         160
        .size:           2
        .value_kind:     hidden_group_size_z
      - .offset:         162
        .size:           2
        .value_kind:     hidden_remainder_x
      - .offset:         164
        .size:           2
        .value_kind:     hidden_remainder_y
      - .offset:         166
        .size:           2
        .value_kind:     hidden_remainder_z
      - .offset:         184
        .size:           8
        .value_kind:     hidden_global_offset_x
      - .offset:         192
        .size:           8
        .value_kind:     hidden_global_offset_y
      - .offset:         200
        .size:           8
        .value_kind:     hidden_global_offset_z
      - .offset:         208
        .size:           2
        .value_kind:     hidden_grid_dims
    .group_segment_fixed_size: 32768
    .kernarg_segment_align: 8
    .kernarg_segment_size: 400
    .language:       OpenCL C
    .language_version:
      - 2
      - 0
    .max_flat_workgroup_size: 1024
    .name:           _ZL20rocblas_gemvn_kernelILi64ELi16EidddEviiT3_lPKT2_lT1_lS3_lS4_lS0_lPT4_lS4_li
    .private_segment_fixed_size: 0
    .sgpr_count:     32
    .sgpr_spill_count: 0
    .symbol:         _ZL20rocblas_gemvn_kernelILi64ELi16EidddEviiT3_lPKT2_lT1_lS3_lS4_lS0_lPT4_lS4_li.kd
    .uniform_work_group_size: 1
    .uses_dynamic_stack: false
    .vgpr_count:     61
    .vgpr_spill_count: 0
    .wavefront_size: 32
    .workgroup_processor_mode: 1
  - .args:
      - .offset:         0
        .size:           4
        .value_kind:     by_value
      - .offset:         4
        .size:           4
        .value_kind:     by_value
      - .offset:         8
        .size:           8
        .value_kind:     by_value
      - .offset:         16
        .size:           8
        .value_kind:     by_value
      - .address_space:  global
        .offset:         24
        .size:           8
        .value_kind:     global_buffer
      - .offset:         32
        .size:           8
        .value_kind:     by_value
      - .offset:         40
        .size:           8
        .value_kind:     by_value
      - .offset:         48
        .size:           8
        .value_kind:     by_value
      - .address_space:  global
        .offset:         56
        .size:           8
        .value_kind:     global_buffer
      - .offset:         64
        .size:           8
        .value_kind:     by_value
      - .offset:         72
        .size:           8
        .value_kind:     by_value
      - .offset:         80
        .size:           8
        .value_kind:     by_value
      - .offset:         88
        .size:           8
        .value_kind:     by_value
      - .offset:         96
        .size:           8
        .value_kind:     by_value
      - .address_space:  global
        .offset:         104
        .size:           8
        .value_kind:     global_buffer
      - .offset:         112
        .size:           8
        .value_kind:     by_value
      - .offset:         120
        .size:           8
        .value_kind:     by_value
      - .offset:         128
        .size:           8
        .value_kind:     by_value
      - .offset:         136
        .size:           4
        .value_kind:     by_value
      - .offset:         144
        .size:           4
        .value_kind:     hidden_block_count_x
      - .offset:         148
        .size:           4
        .value_kind:     hidden_block_count_y
      - .offset:         152
        .size:           4
        .value_kind:     hidden_block_count_z
      - .offset:         156
        .size:           2
        .value_kind:     hidden_group_size_x
      - .offset:         158
        .size:           2
        .value_kind:     hidden_group_size_y
      - .offset:         160
        .size:           2
        .value_kind:     hidden_group_size_z
      - .offset:         162
        .size:           2
        .value_kind:     hidden_remainder_x
      - .offset:         164
        .size:           2
        .value_kind:     hidden_remainder_y
      - .offset:         166
        .size:           2
        .value_kind:     hidden_remainder_z
      - .offset:         184
        .size:           8
        .value_kind:     hidden_global_offset_x
      - .offset:         192
        .size:           8
        .value_kind:     hidden_global_offset_y
      - .offset:         200
        .size:           8
        .value_kind:     hidden_global_offset_z
      - .offset:         208
        .size:           2
        .value_kind:     hidden_grid_dims
    .group_segment_fixed_size: 32768
    .kernarg_segment_align: 8
    .kernarg_segment_size: 400
    .language:       OpenCL C
    .language_version:
      - 2
      - 0
    .max_flat_workgroup_size: 1024
    .name:           _ZL20rocblas_gemvn_kernelILi64ELi16EldddEviiT3_lPKT2_lT1_lS3_lS4_lS0_lPT4_lS4_li
    .private_segment_fixed_size: 0
    .sgpr_count:     47
    .sgpr_spill_count: 0
    .symbol:         _ZL20rocblas_gemvn_kernelILi64ELi16EldddEviiT3_lPKT2_lT1_lS3_lS4_lS0_lPT4_lS4_li.kd
    .uniform_work_group_size: 1
    .uses_dynamic_stack: false
    .vgpr_count:     71
    .vgpr_spill_count: 0
    .wavefront_size: 32
    .workgroup_processor_mode: 1
  - .args:
      - .offset:         0
        .size:           4
        .value_kind:     by_value
      - .offset:         4
        .size:           4
        .value_kind:     by_value
      - .address_space:  global
        .offset:         8
        .size:           8
        .value_kind:     global_buffer
      - .offset:         16
        .size:           8
        .value_kind:     by_value
      - .address_space:  global
        .offset:         24
        .size:           8
        .value_kind:     global_buffer
      - .offset:         32
        .size:           8
        .value_kind:     by_value
      - .offset:         40
        .size:           4
        .value_kind:     by_value
      - .offset:         48
        .size:           8
        .value_kind:     by_value
      - .address_space:  global
        .offset:         56
        .size:           8
        .value_kind:     global_buffer
      - .offset:         64
        .size:           8
        .value_kind:     by_value
      - .offset:         72
        .size:           4
        .value_kind:     by_value
      - .offset:         80
        .size:           8
        .value_kind:     by_value
      - .address_space:  global
        .offset:         88
        .size:           8
        .value_kind:     global_buffer
      - .offset:         96
        .size:           8
        .value_kind:     by_value
      - .address_space:  global
        .offset:         104
        .size:           8
        .value_kind:     global_buffer
      - .offset:         112
        .size:           8
        .value_kind:     by_value
      - .offset:         120
        .size:           4
        .value_kind:     by_value
      - .offset:         128
        .size:           8
        .value_kind:     by_value
    .group_segment_fixed_size: 512
    .kernarg_segment_align: 8
    .kernarg_segment_size: 136
    .language:       OpenCL C
    .language_version:
      - 2
      - 0
    .max_flat_workgroup_size: 256
    .name:           _ZL22rocblas_gemvtsm_kernelILb0ELi256EdPKddEviiT2_lPKT1_lilS5_lilS2_lPT3_lil
    .private_segment_fixed_size: 0
    .sgpr_count:     33
    .sgpr_spill_count: 0
    .symbol:         _ZL22rocblas_gemvtsm_kernelILb0ELi256EdPKddEviiT2_lPKT1_lilS5_lilS2_lPT3_lil.kd
    .uniform_work_group_size: 1
    .uses_dynamic_stack: false
    .vgpr_count:     36
    .vgpr_spill_count: 0
    .wavefront_size: 32
    .workgroup_processor_mode: 1
  - .args:
      - .offset:         0
        .size:           4
        .value_kind:     by_value
      - .offset:         4
        .size:           4
        .value_kind:     by_value
      - .offset:         8
        .size:           8
        .value_kind:     by_value
      - .offset:         16
        .size:           8
        .value_kind:     by_value
      - .address_space:  global
        .offset:         24
        .size:           8
        .value_kind:     global_buffer
      - .offset:         32
        .size:           8
        .value_kind:     by_value
      - .offset:         40
        .size:           4
        .value_kind:     by_value
      - .offset:         48
        .size:           8
        .value_kind:     by_value
      - .address_space:  global
        .offset:         56
        .size:           8
        .value_kind:     global_buffer
      - .offset:         64
        .size:           8
        .value_kind:     by_value
      - .offset:         72
        .size:           4
        .value_kind:     by_value
      - .offset:         80
        .size:           8
        .value_kind:     by_value
      - .offset:         88
        .size:           8
        .value_kind:     by_value
      - .offset:         96
        .size:           8
        .value_kind:     by_value
      - .address_space:  global
        .offset:         104
        .size:           8
        .value_kind:     global_buffer
      - .offset:         112
        .size:           8
        .value_kind:     by_value
      - .offset:         120
        .size:           4
        .value_kind:     by_value
      - .offset:         128
        .size:           8
        .value_kind:     by_value
    .group_segment_fixed_size: 512
    .kernarg_segment_align: 8
    .kernarg_segment_size: 136
    .language:       OpenCL C
    .language_version:
      - 2
      - 0
    .max_flat_workgroup_size: 256
    .name:           _ZL22rocblas_gemvtsm_kernelILb0ELi256EdddEviiT2_lPKT1_lilS3_lilS0_lPT3_lil
    .private_segment_fixed_size: 0
    .sgpr_count:     29
    .sgpr_spill_count: 0
    .symbol:         _ZL22rocblas_gemvtsm_kernelILb0ELi256EdddEviiT2_lPKT1_lilS3_lilS0_lPT3_lil.kd
    .uniform_work_group_size: 1
    .uses_dynamic_stack: false
    .vgpr_count:     36
    .vgpr_spill_count: 0
    .wavefront_size: 32
    .workgroup_processor_mode: 1
  - .args:
      - .offset:         0
        .size:           4
        .value_kind:     by_value
      - .offset:         4
        .size:           4
        .value_kind:     by_value
      - .address_space:  global
        .offset:         8
        .size:           8
        .value_kind:     global_buffer
      - .offset:         16
        .size:           8
        .value_kind:     by_value
      - .address_space:  global
        .offset:         24
        .size:           8
        .value_kind:     global_buffer
      - .offset:         32
        .size:           8
        .value_kind:     by_value
      - .offset:         40
        .size:           4
        .value_kind:     by_value
      - .offset:         48
        .size:           8
        .value_kind:     by_value
      - .address_space:  global
        .offset:         56
        .size:           8
        .value_kind:     global_buffer
      - .offset:         64
        .size:           8
        .value_kind:     by_value
      - .offset:         72
        .size:           4
        .value_kind:     by_value
      - .offset:         80
        .size:           8
        .value_kind:     by_value
      - .address_space:  global
        .offset:         88
        .size:           8
        .value_kind:     global_buffer
      - .offset:         96
        .size:           4
        .value_kind:     by_value
      - .offset:         104
        .size:           4
        .value_kind:     hidden_block_count_x
      - .offset:         108
        .size:           4
        .value_kind:     hidden_block_count_y
      - .offset:         112
        .size:           4
        .value_kind:     hidden_block_count_z
      - .offset:         116
        .size:           2
        .value_kind:     hidden_group_size_x
      - .offset:         118
        .size:           2
        .value_kind:     hidden_group_size_y
      - .offset:         120
        .size:           2
        .value_kind:     hidden_group_size_z
      - .offset:         122
        .size:           2
        .value_kind:     hidden_remainder_x
      - .offset:         124
        .size:           2
        .value_kind:     hidden_remainder_y
      - .offset:         126
        .size:           2
        .value_kind:     hidden_remainder_z
      - .offset:         144
        .size:           8
        .value_kind:     hidden_global_offset_x
      - .offset:         152
        .size:           8
        .value_kind:     hidden_global_offset_y
      - .offset:         160
        .size:           8
        .value_kind:     hidden_global_offset_z
      - .offset:         168
        .size:           2
        .value_kind:     hidden_grid_dims
    .group_segment_fixed_size: 256
    .kernarg_segment_align: 8
    .kernarg_segment_size: 360
    .language:       OpenCL C
    .language_version:
      - 2
      - 0
    .max_flat_workgroup_size: 256
    .name:           _ZL23rocblas_gemvt_sn_kernelILb0ELi256ELi4EidPKddEviiT4_lPKT3_lilS5_lilPT5_i
    .private_segment_fixed_size: 0
    .sgpr_count:     56
    .sgpr_spill_count: 0
    .symbol:         _ZL23rocblas_gemvt_sn_kernelILb0ELi256ELi4EidPKddEviiT4_lPKT3_lilS5_lilPT5_i.kd
    .uniform_work_group_size: 1
    .uses_dynamic_stack: false
    .vgpr_count:     70
    .vgpr_spill_count: 0
    .wavefront_size: 32
    .workgroup_processor_mode: 1
  - .args:
      - .offset:         0
        .size:           4
        .value_kind:     by_value
      - .offset:         4
        .size:           4
        .value_kind:     by_value
      - .address_space:  global
        .offset:         8
        .size:           8
        .value_kind:     global_buffer
      - .offset:         16
        .size:           8
        .value_kind:     by_value
      - .address_space:  global
        .offset:         24
        .size:           8
        .value_kind:     global_buffer
      - .offset:         32
        .size:           8
        .value_kind:     by_value
      - .offset:         40
        .size:           4
        .value_kind:     by_value
      - .offset:         48
        .size:           8
        .value_kind:     by_value
      - .address_space:  global
        .offset:         56
        .size:           8
        .value_kind:     global_buffer
      - .offset:         64
        .size:           8
        .value_kind:     by_value
      - .offset:         72
        .size:           4
        .value_kind:     by_value
      - .offset:         80
        .size:           8
        .value_kind:     by_value
      - .address_space:  global
        .offset:         88
        .size:           8
        .value_kind:     global_buffer
      - .offset:         96
        .size:           4
        .value_kind:     by_value
      - .offset:         104
        .size:           4
        .value_kind:     hidden_block_count_x
      - .offset:         108
        .size:           4
        .value_kind:     hidden_block_count_y
      - .offset:         112
        .size:           4
        .value_kind:     hidden_block_count_z
      - .offset:         116
        .size:           2
        .value_kind:     hidden_group_size_x
      - .offset:         118
        .size:           2
        .value_kind:     hidden_group_size_y
      - .offset:         120
        .size:           2
        .value_kind:     hidden_group_size_z
      - .offset:         122
        .size:           2
        .value_kind:     hidden_remainder_x
      - .offset:         124
        .size:           2
        .value_kind:     hidden_remainder_y
      - .offset:         126
        .size:           2
        .value_kind:     hidden_remainder_z
      - .offset:         144
        .size:           8
        .value_kind:     hidden_global_offset_x
      - .offset:         152
        .size:           8
        .value_kind:     hidden_global_offset_y
      - .offset:         160
        .size:           8
        .value_kind:     hidden_global_offset_z
      - .offset:         168
        .size:           2
        .value_kind:     hidden_grid_dims
    .group_segment_fixed_size: 256
    .kernarg_segment_align: 8
    .kernarg_segment_size: 360
    .language:       OpenCL C
    .language_version:
      - 2
      - 0
    .max_flat_workgroup_size: 256
    .name:           _ZL23rocblas_gemvt_sn_kernelILb0ELi256ELi4EldPKddEviiT4_lPKT3_lilS5_lilPT5_i
    .private_segment_fixed_size: 0
    .sgpr_count:     65
    .sgpr_spill_count: 0
    .symbol:         _ZL23rocblas_gemvt_sn_kernelILb0ELi256ELi4EldPKddEviiT4_lPKT3_lilS5_lilPT5_i.kd
    .uniform_work_group_size: 1
    .uses_dynamic_stack: false
    .vgpr_count:     75
    .vgpr_spill_count: 0
    .wavefront_size: 32
    .workgroup_processor_mode: 1
  - .args:
      - .offset:         0
        .size:           4
        .value_kind:     by_value
      - .address_space:  global
        .offset:         8
        .size:           8
        .value_kind:     global_buffer
      - .offset:         16
        .size:           8
        .value_kind:     by_value
      - .address_space:  global
        .offset:         24
        .size:           8
        .value_kind:     global_buffer
      - .offset:         32
        .size:           8
        .value_kind:     by_value
      - .offset:         40
        .size:           4
        .value_kind:     by_value
      - .offset:         48
        .size:           8
        .value_kind:     by_value
      - .actual_access:  read_only
        .address_space:  global
        .offset:         56
        .size:           8
        .value_kind:     global_buffer
      - .offset:         64
        .size:           4
        .value_kind:     by_value
      - .offset:         72
        .size:           4
        .value_kind:     hidden_block_count_x
      - .offset:         76
        .size:           4
        .value_kind:     hidden_block_count_y
      - .offset:         80
        .size:           4
        .value_kind:     hidden_block_count_z
      - .offset:         84
        .size:           2
        .value_kind:     hidden_group_size_x
      - .offset:         86
        .size:           2
        .value_kind:     hidden_group_size_y
      - .offset:         88
        .size:           2
        .value_kind:     hidden_group_size_z
      - .offset:         90
        .size:           2
        .value_kind:     hidden_remainder_x
      - .offset:         92
        .size:           2
        .value_kind:     hidden_remainder_y
      - .offset:         94
        .size:           2
        .value_kind:     hidden_remainder_z
      - .offset:         112
        .size:           8
        .value_kind:     hidden_global_offset_x
      - .offset:         120
        .size:           8
        .value_kind:     hidden_global_offset_y
      - .offset:         128
        .size:           8
        .value_kind:     hidden_global_offset_z
      - .offset:         136
        .size:           2
        .value_kind:     hidden_grid_dims
    .group_segment_fixed_size: 256
    .kernarg_segment_align: 8
    .kernarg_segment_size: 328
    .language:       OpenCL C
    .language_version:
      - 2
      - 0
    .max_flat_workgroup_size: 256
    .name:           _ZL23rocblas_gemvt_sn_reduceILi256ELi8EdPKddEviT2_lPT3_lilPT1_i
    .private_segment_fixed_size: 0
    .sgpr_count:     24
    .sgpr_spill_count: 0
    .symbol:         _ZL23rocblas_gemvt_sn_reduceILi256ELi8EdPKddEviT2_lPT3_lilPT1_i.kd
    .uniform_work_group_size: 1
    .uses_dynamic_stack: false
    .vgpr_count:     22
    .vgpr_spill_count: 0
    .wavefront_size: 32
    .workgroup_processor_mode: 1
  - .args:
      - .offset:         0
        .size:           4
        .value_kind:     by_value
      - .offset:         4
        .size:           4
        .value_kind:     by_value
      - .offset:         8
        .size:           8
        .value_kind:     by_value
      - .offset:         16
        .size:           8
        .value_kind:     by_value
      - .address_space:  global
        .offset:         24
        .size:           8
        .value_kind:     global_buffer
      - .offset:         32
        .size:           8
        .value_kind:     by_value
      - .offset:         40
        .size:           4
        .value_kind:     by_value
      - .offset:         48
        .size:           8
        .value_kind:     by_value
      - .address_space:  global
        .offset:         56
        .size:           8
        .value_kind:     global_buffer
      - .offset:         64
        .size:           8
        .value_kind:     by_value
      - .offset:         72
        .size:           4
        .value_kind:     by_value
      - .offset:         80
        .size:           8
        .value_kind:     by_value
      - .address_space:  global
        .offset:         88
        .size:           8
        .value_kind:     global_buffer
      - .offset:         96
        .size:           4
        .value_kind:     by_value
      - .offset:         104
        .size:           4
        .value_kind:     hidden_block_count_x
      - .offset:         108
        .size:           4
        .value_kind:     hidden_block_count_y
      - .offset:         112
        .size:           4
        .value_kind:     hidden_block_count_z
      - .offset:         116
        .size:           2
        .value_kind:     hidden_group_size_x
      - .offset:         118
        .size:           2
        .value_kind:     hidden_group_size_y
      - .offset:         120
        .size:           2
        .value_kind:     hidden_group_size_z
      - .offset:         122
        .size:           2
        .value_kind:     hidden_remainder_x
      - .offset:         124
        .size:           2
        .value_kind:     hidden_remainder_y
      - .offset:         126
        .size:           2
        .value_kind:     hidden_remainder_z
      - .offset:         144
        .size:           8
        .value_kind:     hidden_global_offset_x
      - .offset:         152
        .size:           8
        .value_kind:     hidden_global_offset_y
      - .offset:         160
        .size:           8
        .value_kind:     hidden_global_offset_z
      - .offset:         168
        .size:           2
        .value_kind:     hidden_grid_dims
    .group_segment_fixed_size: 256
    .kernarg_segment_align: 8
    .kernarg_segment_size: 360
    .language:       OpenCL C
    .language_version:
      - 2
      - 0
    .max_flat_workgroup_size: 256
    .name:           _ZL23rocblas_gemvt_sn_kernelILb0ELi256ELi4EidddEviiT4_lPKT3_lilS3_lilPT5_i
    .private_segment_fixed_size: 0
    .sgpr_count:     56
    .sgpr_spill_count: 0
    .symbol:         _ZL23rocblas_gemvt_sn_kernelILb0ELi256ELi4EidddEviiT4_lPKT3_lilS3_lilPT5_i.kd
    .uniform_work_group_size: 1
    .uses_dynamic_stack: false
    .vgpr_count:     70
    .vgpr_spill_count: 0
    .wavefront_size: 32
    .workgroup_processor_mode: 1
  - .args:
      - .offset:         0
        .size:           4
        .value_kind:     by_value
      - .offset:         4
        .size:           4
        .value_kind:     by_value
      - .offset:         8
        .size:           8
        .value_kind:     by_value
      - .offset:         16
        .size:           8
        .value_kind:     by_value
      - .address_space:  global
        .offset:         24
        .size:           8
        .value_kind:     global_buffer
      - .offset:         32
        .size:           8
        .value_kind:     by_value
      - .offset:         40
        .size:           4
        .value_kind:     by_value
      - .offset:         48
        .size:           8
        .value_kind:     by_value
      - .address_space:  global
        .offset:         56
        .size:           8
        .value_kind:     global_buffer
      - .offset:         64
        .size:           8
        .value_kind:     by_value
      - .offset:         72
        .size:           4
        .value_kind:     by_value
      - .offset:         80
        .size:           8
        .value_kind:     by_value
      - .address_space:  global
        .offset:         88
        .size:           8
        .value_kind:     global_buffer
      - .offset:         96
        .size:           4
        .value_kind:     by_value
      - .offset:         104
        .size:           4
        .value_kind:     hidden_block_count_x
      - .offset:         108
        .size:           4
        .value_kind:     hidden_block_count_y
      - .offset:         112
        .size:           4
        .value_kind:     hidden_block_count_z
      - .offset:         116
        .size:           2
        .value_kind:     hidden_group_size_x
      - .offset:         118
        .size:           2
        .value_kind:     hidden_group_size_y
      - .offset:         120
        .size:           2
        .value_kind:     hidden_group_size_z
      - .offset:         122
        .size:           2
        .value_kind:     hidden_remainder_x
      - .offset:         124
        .size:           2
        .value_kind:     hidden_remainder_y
      - .offset:         126
        .size:           2
        .value_kind:     hidden_remainder_z
      - .offset:         144
        .size:           8
        .value_kind:     hidden_global_offset_x
      - .offset:         152
        .size:           8
        .value_kind:     hidden_global_offset_y
      - .offset:         160
        .size:           8
        .value_kind:     hidden_global_offset_z
      - .offset:         168
        .size:           2
        .value_kind:     hidden_grid_dims
    .group_segment_fixed_size: 256
    .kernarg_segment_align: 8
    .kernarg_segment_size: 360
    .language:       OpenCL C
    .language_version:
      - 2
      - 0
    .max_flat_workgroup_size: 256
    .name:           _ZL23rocblas_gemvt_sn_kernelILb0ELi256ELi4EldddEviiT4_lPKT3_lilS3_lilPT5_i
    .private_segment_fixed_size: 0
    .sgpr_count:     65
    .sgpr_spill_count: 0
    .symbol:         _ZL23rocblas_gemvt_sn_kernelILb0ELi256ELi4EldddEviiT4_lPKT3_lilS3_lilPT5_i.kd
    .uniform_work_group_size: 1
    .uses_dynamic_stack: false
    .vgpr_count:     75
    .vgpr_spill_count: 0
    .wavefront_size: 32
    .workgroup_processor_mode: 1
  - .args:
      - .offset:         0
        .size:           4
        .value_kind:     by_value
      - .offset:         8
        .size:           8
        .value_kind:     by_value
      - .offset:         16
        .size:           8
        .value_kind:     by_value
      - .address_space:  global
        .offset:         24
        .size:           8
        .value_kind:     global_buffer
      - .offset:         32
        .size:           8
        .value_kind:     by_value
      - .offset:         40
        .size:           4
        .value_kind:     by_value
      - .offset:         48
        .size:           8
        .value_kind:     by_value
      - .actual_access:  read_only
        .address_space:  global
        .offset:         56
        .size:           8
        .value_kind:     global_buffer
      - .offset:         64
        .size:           4
        .value_kind:     by_value
      - .offset:         72
        .size:           4
        .value_kind:     hidden_block_count_x
      - .offset:         76
        .size:           4
        .value_kind:     hidden_block_count_y
      - .offset:         80
        .size:           4
        .value_kind:     hidden_block_count_z
      - .offset:         84
        .size:           2
        .value_kind:     hidden_group_size_x
      - .offset:         86
        .size:           2
        .value_kind:     hidden_group_size_y
      - .offset:         88
        .size:           2
        .value_kind:     hidden_group_size_z
      - .offset:         90
        .size:           2
        .value_kind:     hidden_remainder_x
      - .offset:         92
        .size:           2
        .value_kind:     hidden_remainder_y
      - .offset:         94
        .size:           2
        .value_kind:     hidden_remainder_z
      - .offset:         112
        .size:           8
        .value_kind:     hidden_global_offset_x
      - .offset:         120
        .size:           8
        .value_kind:     hidden_global_offset_y
      - .offset:         128
        .size:           8
        .value_kind:     hidden_global_offset_z
      - .offset:         136
        .size:           2
        .value_kind:     hidden_grid_dims
    .group_segment_fixed_size: 256
    .kernarg_segment_align: 8
    .kernarg_segment_size: 328
    .language:       OpenCL C
    .language_version:
      - 2
      - 0
    .max_flat_workgroup_size: 256
    .name:           _ZL23rocblas_gemvt_sn_reduceILi256ELi8EdddEviT2_lPT3_lilPT1_i
    .private_segment_fixed_size: 0
    .sgpr_count:     18
    .sgpr_spill_count: 0
    .symbol:         _ZL23rocblas_gemvt_sn_reduceILi256ELi8EdddEviT2_lPT3_lilPT1_i.kd
    .uniform_work_group_size: 1
    .uses_dynamic_stack: false
    .vgpr_count:     22
    .vgpr_spill_count: 0
    .wavefront_size: 32
    .workgroup_processor_mode: 1
  - .args:
      - .offset:         0
        .size:           4
        .value_kind:     by_value
      - .offset:         4
        .size:           4
        .value_kind:     by_value
      - .address_space:  global
        .offset:         8
        .size:           8
        .value_kind:     global_buffer
      - .offset:         16
        .size:           8
        .value_kind:     by_value
      - .address_space:  global
        .offset:         24
        .size:           8
        .value_kind:     global_buffer
      - .offset:         32
        .size:           8
        .value_kind:     by_value
      - .offset:         40
        .size:           4
        .value_kind:     by_value
      - .offset:         48
        .size:           8
        .value_kind:     by_value
      - .address_space:  global
        .offset:         56
        .size:           8
        .value_kind:     global_buffer
      - .offset:         64
        .size:           8
        .value_kind:     by_value
      - .offset:         72
        .size:           4
        .value_kind:     by_value
      - .offset:         80
        .size:           8
        .value_kind:     by_value
      - .address_space:  global
        .offset:         88
        .size:           8
        .value_kind:     global_buffer
      - .offset:         96
        .size:           8
        .value_kind:     by_value
      - .offset:         104
        .size:           4
        .value_kind:     by_value
      - .offset:         112
        .size:           8
        .value_kind:     by_value
      - .offset:         120
        .size:           4
        .value_kind:     by_value
      - .offset:         128
        .size:           4
        .value_kind:     hidden_block_count_x
      - .offset:         132
        .size:           4
        .value_kind:     hidden_block_count_y
      - .offset:         136
        .size:           4
        .value_kind:     hidden_block_count_z
      - .offset:         140
        .size:           2
        .value_kind:     hidden_group_size_x
      - .offset:         142
        .size:           2
        .value_kind:     hidden_group_size_y
      - .offset:         144
        .size:           2
        .value_kind:     hidden_group_size_z
      - .offset:         146
        .size:           2
        .value_kind:     hidden_remainder_x
      - .offset:         148
        .size:           2
        .value_kind:     hidden_remainder_y
      - .offset:         150
        .size:           2
        .value_kind:     hidden_remainder_z
      - .offset:         168
        .size:           8
        .value_kind:     hidden_global_offset_x
      - .offset:         176
        .size:           8
        .value_kind:     hidden_global_offset_y
      - .offset:         184
        .size:           8
        .value_kind:     hidden_global_offset_z
      - .offset:         192
        .size:           2
        .value_kind:     hidden_grid_dims
    .group_segment_fixed_size: 65536
    .kernarg_segment_align: 8
    .kernarg_segment_size: 384
    .language:       OpenCL C
    .language_version:
      - 2
      - 0
    .max_flat_workgroup_size: 512
    .name:           _ZL36rocblas_gemvt_double_buffered_kernelILb0ELi128ELi4ELi16EdPKddEviiT4_lPKT3_lilS5_lilPT5_lili
    .private_segment_fixed_size: 0
    .sgpr_count:     38
    .sgpr_spill_count: 0
    .symbol:         _ZL36rocblas_gemvt_double_buffered_kernelILb0ELi128ELi4ELi16EdPKddEviiT4_lPKT3_lilS5_lilPT5_lili.kd
    .uniform_work_group_size: 1
    .uses_dynamic_stack: false
    .vgpr_count:     174
    .vgpr_spill_count: 0
    .wavefront_size: 32
    .workgroup_processor_mode: 1
  - .args:
      - .offset:         0
        .size:           4
        .value_kind:     by_value
      - .offset:         4
        .size:           4
        .value_kind:     by_value
      - .offset:         8
        .size:           8
        .value_kind:     by_value
      - .offset:         16
        .size:           8
        .value_kind:     by_value
      - .address_space:  global
        .offset:         24
        .size:           8
        .value_kind:     global_buffer
      - .offset:         32
        .size:           8
        .value_kind:     by_value
      - .offset:         40
        .size:           4
        .value_kind:     by_value
      - .offset:         48
        .size:           8
        .value_kind:     by_value
      - .address_space:  global
        .offset:         56
        .size:           8
        .value_kind:     global_buffer
      - .offset:         64
        .size:           8
        .value_kind:     by_value
      - .offset:         72
        .size:           4
        .value_kind:     by_value
      - .offset:         80
        .size:           8
        .value_kind:     by_value
      - .address_space:  global
        .offset:         88
        .size:           8
        .value_kind:     global_buffer
      - .offset:         96
        .size:           8
        .value_kind:     by_value
      - .offset:         104
        .size:           4
        .value_kind:     by_value
      - .offset:         112
        .size:           8
        .value_kind:     by_value
      - .offset:         120
        .size:           4
        .value_kind:     by_value
      - .offset:         128
        .size:           4
        .value_kind:     hidden_block_count_x
      - .offset:         132
        .size:           4
        .value_kind:     hidden_block_count_y
      - .offset:         136
        .size:           4
        .value_kind:     hidden_block_count_z
      - .offset:         140
        .size:           2
        .value_kind:     hidden_group_size_x
      - .offset:         142
        .size:           2
        .value_kind:     hidden_group_size_y
      - .offset:         144
        .size:           2
        .value_kind:     hidden_group_size_z
      - .offset:         146
        .size:           2
        .value_kind:     hidden_remainder_x
      - .offset:         148
        .size:           2
        .value_kind:     hidden_remainder_y
      - .offset:         150
        .size:           2
        .value_kind:     hidden_remainder_z
      - .offset:         168
        .size:           8
        .value_kind:     hidden_global_offset_x
      - .offset:         176
        .size:           8
        .value_kind:     hidden_global_offset_y
      - .offset:         184
        .size:           8
        .value_kind:     hidden_global_offset_z
      - .offset:         192
        .size:           2
        .value_kind:     hidden_grid_dims
    .group_segment_fixed_size: 65536
    .kernarg_segment_align: 8
    .kernarg_segment_size: 384
    .language:       OpenCL C
    .language_version:
      - 2
      - 0
    .max_flat_workgroup_size: 512
    .name:           _ZL36rocblas_gemvt_double_buffered_kernelILb0ELi128ELi4ELi16EdddEviiT4_lPKT3_lilS3_lilPT5_lili
    .private_segment_fixed_size: 0
    .sgpr_count:     38
    .sgpr_spill_count: 0
    .symbol:         _ZL36rocblas_gemvt_double_buffered_kernelILb0ELi128ELi4ELi16EdddEviiT4_lPKT3_lilS3_lilPT5_lili.kd
    .uniform_work_group_size: 1
    .uses_dynamic_stack: false
    .vgpr_count:     174
    .vgpr_spill_count: 0
    .wavefront_size: 32
    .workgroup_processor_mode: 1
  - .args:
      - .offset:         0
        .size:           4
        .value_kind:     by_value
      - .offset:         4
        .size:           4
        .value_kind:     by_value
      - .address_space:  global
        .offset:         8
        .size:           8
        .value_kind:     global_buffer
      - .offset:         16
        .size:           8
        .value_kind:     by_value
      - .address_space:  global
        .offset:         24
        .size:           8
        .value_kind:     global_buffer
      - .offset:         32
        .size:           8
        .value_kind:     by_value
      - .offset:         40
        .size:           4
        .value_kind:     by_value
      - .offset:         48
        .size:           8
        .value_kind:     by_value
      - .address_space:  global
        .offset:         56
        .size:           8
        .value_kind:     global_buffer
      - .offset:         64
        .size:           8
        .value_kind:     by_value
      - .offset:         72
        .size:           4
        .value_kind:     by_value
      - .offset:         80
        .size:           8
        .value_kind:     by_value
      - .address_space:  global
        .offset:         88
        .size:           8
        .value_kind:     global_buffer
      - .offset:         96
        .size:           8
        .value_kind:     by_value
      - .address_space:  global
        .offset:         104
        .size:           8
        .value_kind:     global_buffer
      - .offset:         112
        .size:           8
        .value_kind:     by_value
      - .offset:         120
        .size:           4
        .value_kind:     by_value
      - .offset:         128
        .size:           8
        .value_kind:     by_value
      - .offset:         136
        .size:           4
        .value_kind:     by_value
    .group_segment_fixed_size: 256
    .kernarg_segment_align: 8
    .kernarg_segment_size: 140
    .language:       OpenCL C
    .language_version:
      - 2
      - 0
    .max_flat_workgroup_size: 256
    .name:           _ZL32rocblas_gemvt_warp_reduce_kernelILb0ELi256EidPKddEviiT3_lPKT2_lT1_lS5_lS6_lS2_lPT4_lS6_li
    .private_segment_fixed_size: 0
    .sgpr_count:     30
    .sgpr_spill_count: 0
    .symbol:         _ZL32rocblas_gemvt_warp_reduce_kernelILb0ELi256EidPKddEviiT3_lPKT2_lT1_lS5_lS6_lS2_lPT4_lS6_li.kd
    .uniform_work_group_size: 1
    .uses_dynamic_stack: false
    .vgpr_count:     14
    .vgpr_spill_count: 0
    .wavefront_size: 32
    .workgroup_processor_mode: 1
  - .args:
      - .offset:         0
        .size:           4
        .value_kind:     by_value
      - .offset:         4
        .size:           4
        .value_kind:     by_value
      - .address_space:  global
        .offset:         8
        .size:           8
        .value_kind:     global_buffer
      - .offset:         16
        .size:           8
        .value_kind:     by_value
      - .address_space:  global
        .offset:         24
        .size:           8
        .value_kind:     global_buffer
      - .offset:         32
        .size:           8
        .value_kind:     by_value
      - .offset:         40
        .size:           8
        .value_kind:     by_value
      - .offset:         48
        .size:           8
        .value_kind:     by_value
      - .address_space:  global
        .offset:         56
        .size:           8
        .value_kind:     global_buffer
      - .offset:         64
        .size:           8
        .value_kind:     by_value
      - .offset:         72
        .size:           8
        .value_kind:     by_value
      - .offset:         80
        .size:           8
        .value_kind:     by_value
      - .address_space:  global
        .offset:         88
        .size:           8
        .value_kind:     global_buffer
      - .offset:         96
        .size:           8
        .value_kind:     by_value
      - .address_space:  global
        .offset:         104
        .size:           8
        .value_kind:     global_buffer
      - .offset:         112
        .size:           8
        .value_kind:     by_value
      - .offset:         120
        .size:           8
        .value_kind:     by_value
      - .offset:         128
        .size:           8
        .value_kind:     by_value
      - .offset:         136
        .size:           4
        .value_kind:     by_value
    .group_segment_fixed_size: 256
    .kernarg_segment_align: 8
    .kernarg_segment_size: 140
    .language:       OpenCL C
    .language_version:
      - 2
      - 0
    .max_flat_workgroup_size: 256
    .name:           _ZL32rocblas_gemvt_warp_reduce_kernelILb0ELi256EldPKddEviiT3_lPKT2_lT1_lS5_lS6_lS2_lPT4_lS6_li
    .private_segment_fixed_size: 0
    .sgpr_count:     54
    .sgpr_spill_count: 0
    .symbol:         _ZL32rocblas_gemvt_warp_reduce_kernelILb0ELi256EldPKddEviiT3_lPKT2_lT1_lS5_lS6_lS2_lPT4_lS6_li.kd
    .uniform_work_group_size: 1
    .uses_dynamic_stack: false
    .vgpr_count:     14
    .vgpr_spill_count: 0
    .wavefront_size: 32
    .workgroup_processor_mode: 1
  - .args:
      - .offset:         0
        .size:           4
        .value_kind:     by_value
      - .offset:         4
        .size:           4
        .value_kind:     by_value
      - .offset:         8
        .size:           8
        .value_kind:     by_value
      - .offset:         16
        .size:           8
        .value_kind:     by_value
      - .address_space:  global
        .offset:         24
        .size:           8
        .value_kind:     global_buffer
      - .offset:         32
        .size:           8
        .value_kind:     by_value
      - .offset:         40
        .size:           4
        .value_kind:     by_value
      - .offset:         48
        .size:           8
        .value_kind:     by_value
      - .address_space:  global
        .offset:         56
        .size:           8
        .value_kind:     global_buffer
      - .offset:         64
        .size:           8
        .value_kind:     by_value
      - .offset:         72
        .size:           4
        .value_kind:     by_value
      - .offset:         80
        .size:           8
        .value_kind:     by_value
      - .offset:         88
        .size:           8
        .value_kind:     by_value
      - .offset:         96
        .size:           8
        .value_kind:     by_value
      - .address_space:  global
        .offset:         104
        .size:           8
        .value_kind:     global_buffer
      - .offset:         112
        .size:           8
        .value_kind:     by_value
      - .offset:         120
        .size:           4
        .value_kind:     by_value
      - .offset:         128
        .size:           8
        .value_kind:     by_value
      - .offset:         136
        .size:           4
        .value_kind:     by_value
    .group_segment_fixed_size: 256
    .kernarg_segment_align: 8
    .kernarg_segment_size: 140
    .language:       OpenCL C
    .language_version:
      - 2
      - 0
    .max_flat_workgroup_size: 256
    .name:           _ZL32rocblas_gemvt_warp_reduce_kernelILb0ELi256EidddEviiT3_lPKT2_lT1_lS3_lS4_lS0_lPT4_lS4_li
    .private_segment_fixed_size: 0
    .sgpr_count:     30
    .sgpr_spill_count: 0
    .symbol:         _ZL32rocblas_gemvt_warp_reduce_kernelILb0ELi256EidddEviiT3_lPKT2_lT1_lS3_lS4_lS0_lPT4_lS4_li.kd
    .uniform_work_group_size: 1
    .uses_dynamic_stack: false
    .vgpr_count:     14
    .vgpr_spill_count: 0
    .wavefront_size: 32
    .workgroup_processor_mode: 1
  - .args:
      - .offset:         0
        .size:           4
        .value_kind:     by_value
      - .offset:         4
        .size:           4
        .value_kind:     by_value
      - .offset:         8
        .size:           8
        .value_kind:     by_value
      - .offset:         16
        .size:           8
        .value_kind:     by_value
      - .address_space:  global
        .offset:         24
        .size:           8
        .value_kind:     global_buffer
      - .offset:         32
        .size:           8
        .value_kind:     by_value
      - .offset:         40
        .size:           8
        .value_kind:     by_value
      - .offset:         48
        .size:           8
        .value_kind:     by_value
      - .address_space:  global
        .offset:         56
        .size:           8
        .value_kind:     global_buffer
      - .offset:         64
        .size:           8
        .value_kind:     by_value
      - .offset:         72
        .size:           8
        .value_kind:     by_value
      - .offset:         80
        .size:           8
        .value_kind:     by_value
      - .offset:         88
        .size:           8
        .value_kind:     by_value
      - .offset:         96
        .size:           8
        .value_kind:     by_value
      - .address_space:  global
        .offset:         104
        .size:           8
        .value_kind:     global_buffer
      - .offset:         112
        .size:           8
        .value_kind:     by_value
      - .offset:         120
        .size:           8
        .value_kind:     by_value
      - .offset:         128
        .size:           8
        .value_kind:     by_value
      - .offset:         136
        .size:           4
        .value_kind:     by_value
    .group_segment_fixed_size: 256
    .kernarg_segment_align: 8
    .kernarg_segment_size: 140
    .language:       OpenCL C
    .language_version:
      - 2
      - 0
    .max_flat_workgroup_size: 256
    .name:           _ZL32rocblas_gemvt_warp_reduce_kernelILb0ELi256EldddEviiT3_lPKT2_lT1_lS3_lS4_lS0_lPT4_lS4_li
    .private_segment_fixed_size: 0
    .sgpr_count:     38
    .sgpr_spill_count: 0
    .symbol:         _ZL32rocblas_gemvt_warp_reduce_kernelILb0ELi256EldddEviiT3_lPKT2_lT1_lS3_lS4_lS0_lPT4_lS4_li.kd
    .uniform_work_group_size: 1
    .uses_dynamic_stack: false
    .vgpr_count:     14
    .vgpr_spill_count: 0
    .wavefront_size: 32
    .workgroup_processor_mode: 1
  - .args:
      - .offset:         0
        .size:           4
        .value_kind:     by_value
      - .offset:         4
        .size:           4
        .value_kind:     by_value
      - .address_space:  global
        .offset:         8
        .size:           8
        .value_kind:     global_buffer
      - .offset:         16
        .size:           8
        .value_kind:     by_value
      - .address_space:  global
        .offset:         24
        .size:           8
        .value_kind:     global_buffer
      - .offset:         32
        .size:           8
        .value_kind:     by_value
      - .offset:         40
        .size:           4
        .value_kind:     by_value
      - .offset:         48
        .size:           8
        .value_kind:     by_value
      - .address_space:  global
        .offset:         56
        .size:           8
        .value_kind:     global_buffer
      - .offset:         64
        .size:           8
        .value_kind:     by_value
      - .offset:         72
        .size:           4
        .value_kind:     by_value
      - .offset:         80
        .size:           8
        .value_kind:     by_value
      - .address_space:  global
        .offset:         88
        .size:           8
        .value_kind:     global_buffer
      - .offset:         96
        .size:           8
        .value_kind:     by_value
      - .address_space:  global
        .offset:         104
        .size:           8
        .value_kind:     global_buffer
      - .offset:         112
        .size:           8
        .value_kind:     by_value
      - .offset:         120
        .size:           4
        .value_kind:     by_value
      - .offset:         128
        .size:           8
        .value_kind:     by_value
      - .offset:         136
        .size:           4
        .value_kind:     by_value
    .group_segment_fixed_size: 2048
    .kernarg_segment_align: 8
    .kernarg_segment_size: 140
    .language:       OpenCL C
    .language_version:
      - 2
      - 0
    .max_flat_workgroup_size: 256
    .name:           _ZL20rocblas_gemvt_kernelILb0ELi256EdPKddEviiT2_lPKT1_lilS5_lilS2_lPT3_lili
    .private_segment_fixed_size: 0
    .sgpr_count:     29
    .sgpr_spill_count: 0
    .symbol:         _ZL20rocblas_gemvt_kernelILb0ELi256EdPKddEviiT2_lPKT1_lilS5_lilS2_lPT3_lili.kd
    .uniform_work_group_size: 1
    .uses_dynamic_stack: false
    .vgpr_count:     13
    .vgpr_spill_count: 0
    .wavefront_size: 32
    .workgroup_processor_mode: 1
  - .args:
      - .offset:         0
        .size:           4
        .value_kind:     by_value
      - .offset:         4
        .size:           4
        .value_kind:     by_value
      - .offset:         8
        .size:           8
        .value_kind:     by_value
      - .offset:         16
        .size:           8
        .value_kind:     by_value
      - .address_space:  global
        .offset:         24
        .size:           8
        .value_kind:     global_buffer
      - .offset:         32
        .size:           8
        .value_kind:     by_value
      - .offset:         40
        .size:           4
        .value_kind:     by_value
      - .offset:         48
        .size:           8
        .value_kind:     by_value
      - .address_space:  global
        .offset:         56
        .size:           8
        .value_kind:     global_buffer
      - .offset:         64
        .size:           8
        .value_kind:     by_value
      - .offset:         72
        .size:           4
        .value_kind:     by_value
      - .offset:         80
        .size:           8
        .value_kind:     by_value
      - .offset:         88
        .size:           8
        .value_kind:     by_value
      - .offset:         96
        .size:           8
        .value_kind:     by_value
      - .address_space:  global
        .offset:         104
        .size:           8
        .value_kind:     global_buffer
      - .offset:         112
        .size:           8
        .value_kind:     by_value
      - .offset:         120
        .size:           4
        .value_kind:     by_value
      - .offset:         128
        .size:           8
        .value_kind:     by_value
      - .offset:         136
        .size:           4
        .value_kind:     by_value
    .group_segment_fixed_size: 2048
    .kernarg_segment_align: 8
    .kernarg_segment_size: 140
    .language:       OpenCL C
    .language_version:
      - 2
      - 0
    .max_flat_workgroup_size: 256
    .name:           _ZL20rocblas_gemvt_kernelILb0ELi256EdddEviiT2_lPKT1_lilS3_lilS0_lPT3_lili
    .private_segment_fixed_size: 0
    .sgpr_count:     30
    .sgpr_spill_count: 0
    .symbol:         _ZL20rocblas_gemvt_kernelILb0ELi256EdddEviiT2_lPKT1_lilS3_lilS0_lPT3_lili.kd
    .uniform_work_group_size: 1
    .uses_dynamic_stack: false
    .vgpr_count:     13
    .vgpr_spill_count: 0
    .wavefront_size: 32
    .workgroup_processor_mode: 1
  - .args:
      - .offset:         0
        .size:           4
        .value_kind:     by_value
      - .offset:         4
        .size:           4
        .value_kind:     by_value
      - .address_space:  global
        .offset:         8
        .size:           8
        .value_kind:     global_buffer
      - .offset:         16
        .size:           8
        .value_kind:     by_value
      - .address_space:  global
        .offset:         24
        .size:           8
        .value_kind:     global_buffer
      - .offset:         32
        .size:           8
        .value_kind:     by_value
      - .offset:         40
        .size:           4
        .value_kind:     by_value
      - .offset:         48
        .size:           8
        .value_kind:     by_value
      - .address_space:  global
        .offset:         56
        .size:           8
        .value_kind:     global_buffer
      - .offset:         64
        .size:           8
        .value_kind:     by_value
      - .offset:         72
        .size:           4
        .value_kind:     by_value
      - .offset:         80
        .size:           8
        .value_kind:     by_value
      - .address_space:  global
        .offset:         88
        .size:           8
        .value_kind:     global_buffer
      - .offset:         96
        .size:           8
        .value_kind:     by_value
      - .address_space:  global
        .offset:         104
        .size:           8
        .value_kind:     global_buffer
      - .offset:         112
        .size:           8
        .value_kind:     by_value
      - .offset:         120
        .size:           4
        .value_kind:     by_value
      - .offset:         128
        .size:           8
        .value_kind:     by_value
      - .offset:         136
        .size:           4
        .value_kind:     by_value
    .group_segment_fixed_size: 256
    .kernarg_segment_align: 8
    .kernarg_segment_size: 140
    .language:       OpenCL C
    .language_version:
      - 2
      - 0
    .max_flat_workgroup_size: 1024
    .name:           _ZL32rocblas_gemvt_warp_reduce_kernelILb0ELi1024EidPKddEviiT3_lPKT2_lT1_lS5_lS6_lS2_lPT4_lS6_li
    .private_segment_fixed_size: 0
    .sgpr_count:     30
    .sgpr_spill_count: 0
    .symbol:         _ZL32rocblas_gemvt_warp_reduce_kernelILb0ELi1024EidPKddEviiT3_lPKT2_lT1_lS5_lS6_lS2_lPT4_lS6_li.kd
    .uniform_work_group_size: 1
    .uses_dynamic_stack: false
    .vgpr_count:     14
    .vgpr_spill_count: 0
    .wavefront_size: 32
    .workgroup_processor_mode: 1
  - .args:
      - .offset:         0
        .size:           4
        .value_kind:     by_value
      - .offset:         4
        .size:           4
        .value_kind:     by_value
      - .address_space:  global
        .offset:         8
        .size:           8
        .value_kind:     global_buffer
      - .offset:         16
        .size:           8
        .value_kind:     by_value
      - .address_space:  global
        .offset:         24
        .size:           8
        .value_kind:     global_buffer
      - .offset:         32
        .size:           8
        .value_kind:     by_value
      - .offset:         40
        .size:           8
        .value_kind:     by_value
      - .offset:         48
        .size:           8
        .value_kind:     by_value
      - .address_space:  global
        .offset:         56
        .size:           8
        .value_kind:     global_buffer
      - .offset:         64
        .size:           8
        .value_kind:     by_value
      - .offset:         72
        .size:           8
        .value_kind:     by_value
      - .offset:         80
        .size:           8
        .value_kind:     by_value
      - .address_space:  global
        .offset:         88
        .size:           8
        .value_kind:     global_buffer
      - .offset:         96
        .size:           8
        .value_kind:     by_value
      - .address_space:  global
        .offset:         104
        .size:           8
        .value_kind:     global_buffer
      - .offset:         112
        .size:           8
        .value_kind:     by_value
      - .offset:         120
        .size:           8
        .value_kind:     by_value
      - .offset:         128
        .size:           8
        .value_kind:     by_value
      - .offset:         136
        .size:           4
        .value_kind:     by_value
    .group_segment_fixed_size: 256
    .kernarg_segment_align: 8
    .kernarg_segment_size: 140
    .language:       OpenCL C
    .language_version:
      - 2
      - 0
    .max_flat_workgroup_size: 1024
    .name:           _ZL32rocblas_gemvt_warp_reduce_kernelILb0ELi1024EldPKddEviiT3_lPKT2_lT1_lS5_lS6_lS2_lPT4_lS6_li
    .private_segment_fixed_size: 0
    .sgpr_count:     54
    .sgpr_spill_count: 0
    .symbol:         _ZL32rocblas_gemvt_warp_reduce_kernelILb0ELi1024EldPKddEviiT3_lPKT2_lT1_lS5_lS6_lS2_lPT4_lS6_li.kd
    .uniform_work_group_size: 1
    .uses_dynamic_stack: false
    .vgpr_count:     14
    .vgpr_spill_count: 0
    .wavefront_size: 32
    .workgroup_processor_mode: 1
  - .args:
      - .offset:         0
        .size:           4
        .value_kind:     by_value
      - .offset:         4
        .size:           4
        .value_kind:     by_value
      - .offset:         8
        .size:           8
        .value_kind:     by_value
      - .offset:         16
        .size:           8
        .value_kind:     by_value
      - .address_space:  global
        .offset:         24
        .size:           8
        .value_kind:     global_buffer
      - .offset:         32
        .size:           8
        .value_kind:     by_value
      - .offset:         40
        .size:           4
        .value_kind:     by_value
      - .offset:         48
        .size:           8
        .value_kind:     by_value
      - .address_space:  global
        .offset:         56
        .size:           8
        .value_kind:     global_buffer
      - .offset:         64
        .size:           8
        .value_kind:     by_value
      - .offset:         72
        .size:           4
        .value_kind:     by_value
      - .offset:         80
        .size:           8
        .value_kind:     by_value
      - .offset:         88
        .size:           8
        .value_kind:     by_value
      - .offset:         96
        .size:           8
        .value_kind:     by_value
      - .address_space:  global
        .offset:         104
        .size:           8
        .value_kind:     global_buffer
      - .offset:         112
        .size:           8
        .value_kind:     by_value
      - .offset:         120
        .size:           4
        .value_kind:     by_value
      - .offset:         128
        .size:           8
        .value_kind:     by_value
      - .offset:         136
        .size:           4
        .value_kind:     by_value
    .group_segment_fixed_size: 256
    .kernarg_segment_align: 8
    .kernarg_segment_size: 140
    .language:       OpenCL C
    .language_version:
      - 2
      - 0
    .max_flat_workgroup_size: 1024
    .name:           _ZL32rocblas_gemvt_warp_reduce_kernelILb0ELi1024EidddEviiT3_lPKT2_lT1_lS3_lS4_lS0_lPT4_lS4_li
    .private_segment_fixed_size: 0
    .sgpr_count:     30
    .sgpr_spill_count: 0
    .symbol:         _ZL32rocblas_gemvt_warp_reduce_kernelILb0ELi1024EidddEviiT3_lPKT2_lT1_lS3_lS4_lS0_lPT4_lS4_li.kd
    .uniform_work_group_size: 1
    .uses_dynamic_stack: false
    .vgpr_count:     14
    .vgpr_spill_count: 0
    .wavefront_size: 32
    .workgroup_processor_mode: 1
  - .args:
      - .offset:         0
        .size:           4
        .value_kind:     by_value
      - .offset:         4
        .size:           4
        .value_kind:     by_value
      - .offset:         8
        .size:           8
        .value_kind:     by_value
      - .offset:         16
        .size:           8
        .value_kind:     by_value
      - .address_space:  global
        .offset:         24
        .size:           8
        .value_kind:     global_buffer
      - .offset:         32
        .size:           8
        .value_kind:     by_value
      - .offset:         40
        .size:           8
        .value_kind:     by_value
      - .offset:         48
        .size:           8
        .value_kind:     by_value
      - .address_space:  global
        .offset:         56
        .size:           8
        .value_kind:     global_buffer
      - .offset:         64
        .size:           8
        .value_kind:     by_value
      - .offset:         72
        .size:           8
        .value_kind:     by_value
      - .offset:         80
        .size:           8
        .value_kind:     by_value
      - .offset:         88
        .size:           8
        .value_kind:     by_value
      - .offset:         96
        .size:           8
        .value_kind:     by_value
      - .address_space:  global
        .offset:         104
        .size:           8
        .value_kind:     global_buffer
      - .offset:         112
        .size:           8
        .value_kind:     by_value
      - .offset:         120
        .size:           8
        .value_kind:     by_value
      - .offset:         128
        .size:           8
        .value_kind:     by_value
      - .offset:         136
        .size:           4
        .value_kind:     by_value
    .group_segment_fixed_size: 256
    .kernarg_segment_align: 8
    .kernarg_segment_size: 140
    .language:       OpenCL C
    .language_version:
      - 2
      - 0
    .max_flat_workgroup_size: 1024
    .name:           _ZL32rocblas_gemvt_warp_reduce_kernelILb0ELi1024EldddEviiT3_lPKT2_lT1_lS3_lS4_lS0_lPT4_lS4_li
    .private_segment_fixed_size: 0
    .sgpr_count:     38
    .sgpr_spill_count: 0
    .symbol:         _ZL32rocblas_gemvt_warp_reduce_kernelILb0ELi1024EldddEviiT3_lPKT2_lT1_lS3_lS4_lS0_lPT4_lS4_li.kd
    .uniform_work_group_size: 1
    .uses_dynamic_stack: false
    .vgpr_count:     14
    .vgpr_spill_count: 0
    .wavefront_size: 32
    .workgroup_processor_mode: 1
  - .args:
      - .offset:         0
        .size:           4
        .value_kind:     by_value
      - .offset:         4
        .size:           4
        .value_kind:     by_value
      - .address_space:  global
        .offset:         8
        .size:           8
        .value_kind:     global_buffer
      - .offset:         16
        .size:           8
        .value_kind:     by_value
      - .address_space:  global
        .offset:         24
        .size:           8
        .value_kind:     global_buffer
      - .offset:         32
        .size:           8
        .value_kind:     by_value
      - .offset:         40
        .size:           4
        .value_kind:     by_value
      - .offset:         48
        .size:           8
        .value_kind:     by_value
      - .address_space:  global
        .offset:         56
        .size:           8
        .value_kind:     global_buffer
      - .offset:         64
        .size:           8
        .value_kind:     by_value
      - .offset:         72
        .size:           4
        .value_kind:     by_value
      - .offset:         80
        .size:           8
        .value_kind:     by_value
      - .address_space:  global
        .offset:         88
        .size:           8
        .value_kind:     global_buffer
      - .offset:         96
        .size:           8
        .value_kind:     by_value
      - .address_space:  global
        .offset:         104
        .size:           8
        .value_kind:     global_buffer
      - .offset:         112
        .size:           8
        .value_kind:     by_value
      - .offset:         120
        .size:           4
        .value_kind:     by_value
      - .offset:         128
        .size:           8
        .value_kind:     by_value
    .group_segment_fixed_size: 512
    .kernarg_segment_align: 8
    .kernarg_segment_size: 136
    .language:       OpenCL C
    .language_version:
      - 2
      - 0
    .max_flat_workgroup_size: 256
    .name:           _ZL22rocblas_gemvtsm_kernelILb1ELi256EdPKddEviiT2_lPKT1_lilS5_lilS2_lPT3_lil
    .private_segment_fixed_size: 0
    .sgpr_count:     33
    .sgpr_spill_count: 0
    .symbol:         _ZL22rocblas_gemvtsm_kernelILb1ELi256EdPKddEviiT2_lPKT1_lilS5_lilS2_lPT3_lil.kd
    .uniform_work_group_size: 1
    .uses_dynamic_stack: false
    .vgpr_count:     36
    .vgpr_spill_count: 0
    .wavefront_size: 32
    .workgroup_processor_mode: 1
  - .args:
      - .offset:         0
        .size:           4
        .value_kind:     by_value
      - .offset:         4
        .size:           4
        .value_kind:     by_value
      - .offset:         8
        .size:           8
        .value_kind:     by_value
      - .offset:         16
        .size:           8
        .value_kind:     by_value
      - .address_space:  global
        .offset:         24
        .size:           8
        .value_kind:     global_buffer
      - .offset:         32
        .size:           8
        .value_kind:     by_value
      - .offset:         40
        .size:           4
        .value_kind:     by_value
      - .offset:         48
        .size:           8
        .value_kind:     by_value
      - .address_space:  global
        .offset:         56
        .size:           8
        .value_kind:     global_buffer
      - .offset:         64
        .size:           8
        .value_kind:     by_value
      - .offset:         72
        .size:           4
        .value_kind:     by_value
      - .offset:         80
        .size:           8
        .value_kind:     by_value
      - .offset:         88
        .size:           8
        .value_kind:     by_value
      - .offset:         96
        .size:           8
        .value_kind:     by_value
      - .address_space:  global
        .offset:         104
        .size:           8
        .value_kind:     global_buffer
      - .offset:         112
        .size:           8
        .value_kind:     by_value
      - .offset:         120
        .size:           4
        .value_kind:     by_value
      - .offset:         128
        .size:           8
        .value_kind:     by_value
    .group_segment_fixed_size: 512
    .kernarg_segment_align: 8
    .kernarg_segment_size: 136
    .language:       OpenCL C
    .language_version:
      - 2
      - 0
    .max_flat_workgroup_size: 256
    .name:           _ZL22rocblas_gemvtsm_kernelILb1ELi256EdddEviiT2_lPKT1_lilS3_lilS0_lPT3_lil
    .private_segment_fixed_size: 0
    .sgpr_count:     29
    .sgpr_spill_count: 0
    .symbol:         _ZL22rocblas_gemvtsm_kernelILb1ELi256EdddEviiT2_lPKT1_lilS3_lilS0_lPT3_lil.kd
    .uniform_work_group_size: 1
    .uses_dynamic_stack: false
    .vgpr_count:     36
    .vgpr_spill_count: 0
    .wavefront_size: 32
    .workgroup_processor_mode: 1
  - .args:
      - .offset:         0
        .size:           4
        .value_kind:     by_value
      - .offset:         4
        .size:           4
        .value_kind:     by_value
      - .address_space:  global
        .offset:         8
        .size:           8
        .value_kind:     global_buffer
      - .offset:         16
        .size:           8
        .value_kind:     by_value
      - .address_space:  global
        .offset:         24
        .size:           8
        .value_kind:     global_buffer
      - .offset:         32
        .size:           8
        .value_kind:     by_value
      - .offset:         40
        .size:           4
        .value_kind:     by_value
      - .offset:         48
        .size:           8
        .value_kind:     by_value
      - .address_space:  global
        .offset:         56
        .size:           8
        .value_kind:     global_buffer
      - .offset:         64
        .size:           8
        .value_kind:     by_value
      - .offset:         72
        .size:           4
        .value_kind:     by_value
      - .offset:         80
        .size:           8
        .value_kind:     by_value
      - .address_space:  global
        .offset:         88
        .size:           8
        .value_kind:     global_buffer
      - .offset:         96
        .size:           4
        .value_kind:     by_value
      - .offset:         104
        .size:           4
        .value_kind:     hidden_block_count_x
      - .offset:         108
        .size:           4
        .value_kind:     hidden_block_count_y
      - .offset:         112
        .size:           4
        .value_kind:     hidden_block_count_z
      - .offset:         116
        .size:           2
        .value_kind:     hidden_group_size_x
      - .offset:         118
        .size:           2
        .value_kind:     hidden_group_size_y
      - .offset:         120
        .size:           2
        .value_kind:     hidden_group_size_z
      - .offset:         122
        .size:           2
        .value_kind:     hidden_remainder_x
      - .offset:         124
        .size:           2
        .value_kind:     hidden_remainder_y
      - .offset:         126
        .size:           2
        .value_kind:     hidden_remainder_z
      - .offset:         144
        .size:           8
        .value_kind:     hidden_global_offset_x
      - .offset:         152
        .size:           8
        .value_kind:     hidden_global_offset_y
      - .offset:         160
        .size:           8
        .value_kind:     hidden_global_offset_z
      - .offset:         168
        .size:           2
        .value_kind:     hidden_grid_dims
    .group_segment_fixed_size: 256
    .kernarg_segment_align: 8
    .kernarg_segment_size: 360
    .language:       OpenCL C
    .language_version:
      - 2
      - 0
    .max_flat_workgroup_size: 256
    .name:           _ZL23rocblas_gemvt_sn_kernelILb1ELi256ELi4EidPKddEviiT4_lPKT3_lilS5_lilPT5_i
    .private_segment_fixed_size: 0
    .sgpr_count:     56
    .sgpr_spill_count: 0
    .symbol:         _ZL23rocblas_gemvt_sn_kernelILb1ELi256ELi4EidPKddEviiT4_lPKT3_lilS5_lilPT5_i.kd
    .uniform_work_group_size: 1
    .uses_dynamic_stack: false
    .vgpr_count:     70
    .vgpr_spill_count: 0
    .wavefront_size: 32
    .workgroup_processor_mode: 1
  - .args:
      - .offset:         0
        .size:           4
        .value_kind:     by_value
      - .offset:         4
        .size:           4
        .value_kind:     by_value
      - .address_space:  global
        .offset:         8
        .size:           8
        .value_kind:     global_buffer
      - .offset:         16
        .size:           8
        .value_kind:     by_value
      - .address_space:  global
        .offset:         24
        .size:           8
        .value_kind:     global_buffer
      - .offset:         32
        .size:           8
        .value_kind:     by_value
      - .offset:         40
        .size:           4
        .value_kind:     by_value
      - .offset:         48
        .size:           8
        .value_kind:     by_value
      - .address_space:  global
        .offset:         56
        .size:           8
        .value_kind:     global_buffer
      - .offset:         64
        .size:           8
        .value_kind:     by_value
      - .offset:         72
        .size:           4
        .value_kind:     by_value
      - .offset:         80
        .size:           8
        .value_kind:     by_value
      - .address_space:  global
        .offset:         88
        .size:           8
        .value_kind:     global_buffer
      - .offset:         96
        .size:           4
        .value_kind:     by_value
      - .offset:         104
        .size:           4
        .value_kind:     hidden_block_count_x
      - .offset:         108
        .size:           4
        .value_kind:     hidden_block_count_y
      - .offset:         112
        .size:           4
        .value_kind:     hidden_block_count_z
      - .offset:         116
        .size:           2
        .value_kind:     hidden_group_size_x
      - .offset:         118
        .size:           2
        .value_kind:     hidden_group_size_y
      - .offset:         120
        .size:           2
        .value_kind:     hidden_group_size_z
      - .offset:         122
        .size:           2
        .value_kind:     hidden_remainder_x
      - .offset:         124
        .size:           2
        .value_kind:     hidden_remainder_y
      - .offset:         126
        .size:           2
        .value_kind:     hidden_remainder_z
      - .offset:         144
        .size:           8
        .value_kind:     hidden_global_offset_x
      - .offset:         152
        .size:           8
        .value_kind:     hidden_global_offset_y
      - .offset:         160
        .size:           8
        .value_kind:     hidden_global_offset_z
      - .offset:         168
        .size:           2
        .value_kind:     hidden_grid_dims
    .group_segment_fixed_size: 256
    .kernarg_segment_align: 8
    .kernarg_segment_size: 360
    .language:       OpenCL C
    .language_version:
      - 2
      - 0
    .max_flat_workgroup_size: 256
    .name:           _ZL23rocblas_gemvt_sn_kernelILb1ELi256ELi4EldPKddEviiT4_lPKT3_lilS5_lilPT5_i
    .private_segment_fixed_size: 0
    .sgpr_count:     65
    .sgpr_spill_count: 0
    .symbol:         _ZL23rocblas_gemvt_sn_kernelILb1ELi256ELi4EldPKddEviiT4_lPKT3_lilS5_lilPT5_i.kd
    .uniform_work_group_size: 1
    .uses_dynamic_stack: false
    .vgpr_count:     75
    .vgpr_spill_count: 0
    .wavefront_size: 32
    .workgroup_processor_mode: 1
  - .args:
      - .offset:         0
        .size:           4
        .value_kind:     by_value
      - .offset:         4
        .size:           4
        .value_kind:     by_value
      - .offset:         8
        .size:           8
        .value_kind:     by_value
      - .offset:         16
        .size:           8
        .value_kind:     by_value
      - .address_space:  global
        .offset:         24
        .size:           8
        .value_kind:     global_buffer
      - .offset:         32
        .size:           8
        .value_kind:     by_value
      - .offset:         40
        .size:           4
        .value_kind:     by_value
      - .offset:         48
        .size:           8
        .value_kind:     by_value
      - .address_space:  global
        .offset:         56
        .size:           8
        .value_kind:     global_buffer
      - .offset:         64
        .size:           8
        .value_kind:     by_value
      - .offset:         72
        .size:           4
        .value_kind:     by_value
      - .offset:         80
        .size:           8
        .value_kind:     by_value
      - .address_space:  global
        .offset:         88
        .size:           8
        .value_kind:     global_buffer
      - .offset:         96
        .size:           4
        .value_kind:     by_value
      - .offset:         104
        .size:           4
        .value_kind:     hidden_block_count_x
      - .offset:         108
        .size:           4
        .value_kind:     hidden_block_count_y
      - .offset:         112
        .size:           4
        .value_kind:     hidden_block_count_z
      - .offset:         116
        .size:           2
        .value_kind:     hidden_group_size_x
      - .offset:         118
        .size:           2
        .value_kind:     hidden_group_size_y
      - .offset:         120
        .size:           2
        .value_kind:     hidden_group_size_z
      - .offset:         122
        .size:           2
        .value_kind:     hidden_remainder_x
      - .offset:         124
        .size:           2
        .value_kind:     hidden_remainder_y
      - .offset:         126
        .size:           2
        .value_kind:     hidden_remainder_z
      - .offset:         144
        .size:           8
        .value_kind:     hidden_global_offset_x
      - .offset:         152
        .size:           8
        .value_kind:     hidden_global_offset_y
      - .offset:         160
        .size:           8
        .value_kind:     hidden_global_offset_z
      - .offset:         168
        .size:           2
        .value_kind:     hidden_grid_dims
    .group_segment_fixed_size: 256
    .kernarg_segment_align: 8
    .kernarg_segment_size: 360
    .language:       OpenCL C
    .language_version:
      - 2
      - 0
    .max_flat_workgroup_size: 256
    .name:           _ZL23rocblas_gemvt_sn_kernelILb1ELi256ELi4EidddEviiT4_lPKT3_lilS3_lilPT5_i
    .private_segment_fixed_size: 0
    .sgpr_count:     56
    .sgpr_spill_count: 0
    .symbol:         _ZL23rocblas_gemvt_sn_kernelILb1ELi256ELi4EidddEviiT4_lPKT3_lilS3_lilPT5_i.kd
    .uniform_work_group_size: 1
    .uses_dynamic_stack: false
    .vgpr_count:     70
    .vgpr_spill_count: 0
    .wavefront_size: 32
    .workgroup_processor_mode: 1
  - .args:
      - .offset:         0
        .size:           4
        .value_kind:     by_value
      - .offset:         4
        .size:           4
        .value_kind:     by_value
      - .offset:         8
        .size:           8
        .value_kind:     by_value
      - .offset:         16
        .size:           8
        .value_kind:     by_value
      - .address_space:  global
        .offset:         24
        .size:           8
        .value_kind:     global_buffer
      - .offset:         32
        .size:           8
        .value_kind:     by_value
      - .offset:         40
        .size:           4
        .value_kind:     by_value
      - .offset:         48
        .size:           8
        .value_kind:     by_value
      - .address_space:  global
        .offset:         56
        .size:           8
        .value_kind:     global_buffer
      - .offset:         64
        .size:           8
        .value_kind:     by_value
      - .offset:         72
        .size:           4
        .value_kind:     by_value
      - .offset:         80
        .size:           8
        .value_kind:     by_value
      - .address_space:  global
        .offset:         88
        .size:           8
        .value_kind:     global_buffer
      - .offset:         96
        .size:           4
        .value_kind:     by_value
      - .offset:         104
        .size:           4
        .value_kind:     hidden_block_count_x
      - .offset:         108
        .size:           4
        .value_kind:     hidden_block_count_y
      - .offset:         112
        .size:           4
        .value_kind:     hidden_block_count_z
      - .offset:         116
        .size:           2
        .value_kind:     hidden_group_size_x
      - .offset:         118
        .size:           2
        .value_kind:     hidden_group_size_y
      - .offset:         120
        .size:           2
        .value_kind:     hidden_group_size_z
      - .offset:         122
        .size:           2
        .value_kind:     hidden_remainder_x
      - .offset:         124
        .size:           2
        .value_kind:     hidden_remainder_y
      - .offset:         126
        .size:           2
        .value_kind:     hidden_remainder_z
      - .offset:         144
        .size:           8
        .value_kind:     hidden_global_offset_x
      - .offset:         152
        .size:           8
        .value_kind:     hidden_global_offset_y
      - .offset:         160
        .size:           8
        .value_kind:     hidden_global_offset_z
      - .offset:         168
        .size:           2
        .value_kind:     hidden_grid_dims
    .group_segment_fixed_size: 256
    .kernarg_segment_align: 8
    .kernarg_segment_size: 360
    .language:       OpenCL C
    .language_version:
      - 2
      - 0
    .max_flat_workgroup_size: 256
    .name:           _ZL23rocblas_gemvt_sn_kernelILb1ELi256ELi4EldddEviiT4_lPKT3_lilS3_lilPT5_i
    .private_segment_fixed_size: 0
    .sgpr_count:     65
    .sgpr_spill_count: 0
    .symbol:         _ZL23rocblas_gemvt_sn_kernelILb1ELi256ELi4EldddEviiT4_lPKT3_lilS3_lilPT5_i.kd
    .uniform_work_group_size: 1
    .uses_dynamic_stack: false
    .vgpr_count:     75
    .vgpr_spill_count: 0
    .wavefront_size: 32
    .workgroup_processor_mode: 1
  - .args:
      - .offset:         0
        .size:           4
        .value_kind:     by_value
      - .offset:         4
        .size:           4
        .value_kind:     by_value
      - .address_space:  global
        .offset:         8
        .size:           8
        .value_kind:     global_buffer
      - .offset:         16
        .size:           8
        .value_kind:     by_value
      - .address_space:  global
        .offset:         24
        .size:           8
        .value_kind:     global_buffer
      - .offset:         32
        .size:           8
        .value_kind:     by_value
      - .offset:         40
        .size:           4
        .value_kind:     by_value
      - .offset:         48
        .size:           8
        .value_kind:     by_value
      - .address_space:  global
        .offset:         56
        .size:           8
        .value_kind:     global_buffer
      - .offset:         64
        .size:           8
        .value_kind:     by_value
      - .offset:         72
        .size:           4
        .value_kind:     by_value
      - .offset:         80
        .size:           8
        .value_kind:     by_value
      - .address_space:  global
        .offset:         88
        .size:           8
        .value_kind:     global_buffer
      - .offset:         96
        .size:           8
        .value_kind:     by_value
      - .offset:         104
        .size:           4
        .value_kind:     by_value
      - .offset:         112
        .size:           8
        .value_kind:     by_value
      - .offset:         120
        .size:           4
        .value_kind:     by_value
      - .offset:         128
        .size:           4
        .value_kind:     hidden_block_count_x
      - .offset:         132
        .size:           4
        .value_kind:     hidden_block_count_y
      - .offset:         136
        .size:           4
        .value_kind:     hidden_block_count_z
      - .offset:         140
        .size:           2
        .value_kind:     hidden_group_size_x
      - .offset:         142
        .size:           2
        .value_kind:     hidden_group_size_y
      - .offset:         144
        .size:           2
        .value_kind:     hidden_group_size_z
      - .offset:         146
        .size:           2
        .value_kind:     hidden_remainder_x
      - .offset:         148
        .size:           2
        .value_kind:     hidden_remainder_y
      - .offset:         150
        .size:           2
        .value_kind:     hidden_remainder_z
      - .offset:         168
        .size:           8
        .value_kind:     hidden_global_offset_x
      - .offset:         176
        .size:           8
        .value_kind:     hidden_global_offset_y
      - .offset:         184
        .size:           8
        .value_kind:     hidden_global_offset_z
      - .offset:         192
        .size:           2
        .value_kind:     hidden_grid_dims
    .group_segment_fixed_size: 65536
    .kernarg_segment_align: 8
    .kernarg_segment_size: 384
    .language:       OpenCL C
    .language_version:
      - 2
      - 0
    .max_flat_workgroup_size: 512
    .name:           _ZL36rocblas_gemvt_double_buffered_kernelILb1ELi128ELi4ELi16EdPKddEviiT4_lPKT3_lilS5_lilPT5_lili
    .private_segment_fixed_size: 0
    .sgpr_count:     38
    .sgpr_spill_count: 0
    .symbol:         _ZL36rocblas_gemvt_double_buffered_kernelILb1ELi128ELi4ELi16EdPKddEviiT4_lPKT3_lilS5_lilPT5_lili.kd
    .uniform_work_group_size: 1
    .uses_dynamic_stack: false
    .vgpr_count:     174
    .vgpr_spill_count: 0
    .wavefront_size: 32
    .workgroup_processor_mode: 1
  - .args:
      - .offset:         0
        .size:           4
        .value_kind:     by_value
      - .offset:         4
        .size:           4
        .value_kind:     by_value
      - .offset:         8
        .size:           8
        .value_kind:     by_value
      - .offset:         16
        .size:           8
        .value_kind:     by_value
      - .address_space:  global
        .offset:         24
        .size:           8
        .value_kind:     global_buffer
      - .offset:         32
        .size:           8
        .value_kind:     by_value
      - .offset:         40
        .size:           4
        .value_kind:     by_value
      - .offset:         48
        .size:           8
        .value_kind:     by_value
      - .address_space:  global
        .offset:         56
        .size:           8
        .value_kind:     global_buffer
      - .offset:         64
        .size:           8
        .value_kind:     by_value
      - .offset:         72
        .size:           4
        .value_kind:     by_value
      - .offset:         80
        .size:           8
        .value_kind:     by_value
      - .address_space:  global
        .offset:         88
        .size:           8
        .value_kind:     global_buffer
      - .offset:         96
        .size:           8
        .value_kind:     by_value
      - .offset:         104
        .size:           4
        .value_kind:     by_value
      - .offset:         112
        .size:           8
        .value_kind:     by_value
      - .offset:         120
        .size:           4
        .value_kind:     by_value
      - .offset:         128
        .size:           4
        .value_kind:     hidden_block_count_x
      - .offset:         132
        .size:           4
        .value_kind:     hidden_block_count_y
      - .offset:         136
        .size:           4
        .value_kind:     hidden_block_count_z
      - .offset:         140
        .size:           2
        .value_kind:     hidden_group_size_x
      - .offset:         142
        .size:           2
        .value_kind:     hidden_group_size_y
      - .offset:         144
        .size:           2
        .value_kind:     hidden_group_size_z
      - .offset:         146
        .size:           2
        .value_kind:     hidden_remainder_x
      - .offset:         148
        .size:           2
        .value_kind:     hidden_remainder_y
      - .offset:         150
        .size:           2
        .value_kind:     hidden_remainder_z
      - .offset:         168
        .size:           8
        .value_kind:     hidden_global_offset_x
      - .offset:         176
        .size:           8
        .value_kind:     hidden_global_offset_y
      - .offset:         184
        .size:           8
        .value_kind:     hidden_global_offset_z
      - .offset:         192
        .size:           2
        .value_kind:     hidden_grid_dims
    .group_segment_fixed_size: 65536
    .kernarg_segment_align: 8
    .kernarg_segment_size: 384
    .language:       OpenCL C
    .language_version:
      - 2
      - 0
    .max_flat_workgroup_size: 512
    .name:           _ZL36rocblas_gemvt_double_buffered_kernelILb1ELi128ELi4ELi16EdddEviiT4_lPKT3_lilS3_lilPT5_lili
    .private_segment_fixed_size: 0
    .sgpr_count:     38
    .sgpr_spill_count: 0
    .symbol:         _ZL36rocblas_gemvt_double_buffered_kernelILb1ELi128ELi4ELi16EdddEviiT4_lPKT3_lilS3_lilPT5_lili.kd
    .uniform_work_group_size: 1
    .uses_dynamic_stack: false
    .vgpr_count:     174
    .vgpr_spill_count: 0
    .wavefront_size: 32
    .workgroup_processor_mode: 1
  - .args:
      - .offset:         0
        .size:           4
        .value_kind:     by_value
      - .offset:         4
        .size:           4
        .value_kind:     by_value
      - .address_space:  global
        .offset:         8
        .size:           8
        .value_kind:     global_buffer
      - .offset:         16
        .size:           8
        .value_kind:     by_value
      - .address_space:  global
        .offset:         24
        .size:           8
        .value_kind:     global_buffer
      - .offset:         32
        .size:           8
        .value_kind:     by_value
      - .offset:         40
        .size:           4
        .value_kind:     by_value
      - .offset:         48
        .size:           8
        .value_kind:     by_value
      - .address_space:  global
        .offset:         56
        .size:           8
        .value_kind:     global_buffer
      - .offset:         64
        .size:           8
        .value_kind:     by_value
      - .offset:         72
        .size:           4
        .value_kind:     by_value
      - .offset:         80
        .size:           8
        .value_kind:     by_value
      - .address_space:  global
        .offset:         88
        .size:           8
        .value_kind:     global_buffer
      - .offset:         96
        .size:           8
        .value_kind:     by_value
      - .address_space:  global
        .offset:         104
        .size:           8
        .value_kind:     global_buffer
      - .offset:         112
        .size:           8
        .value_kind:     by_value
      - .offset:         120
        .size:           4
        .value_kind:     by_value
      - .offset:         128
        .size:           8
        .value_kind:     by_value
      - .offset:         136
        .size:           4
        .value_kind:     by_value
    .group_segment_fixed_size: 2048
    .kernarg_segment_align: 8
    .kernarg_segment_size: 140
    .language:       OpenCL C
    .language_version:
      - 2
      - 0
    .max_flat_workgroup_size: 256
    .name:           _ZL20rocblas_gemvt_kernelILb1ELi256EdPKddEviiT2_lPKT1_lilS5_lilS2_lPT3_lili
    .private_segment_fixed_size: 0
    .sgpr_count:     29
    .sgpr_spill_count: 0
    .symbol:         _ZL20rocblas_gemvt_kernelILb1ELi256EdPKddEviiT2_lPKT1_lilS5_lilS2_lPT3_lili.kd
    .uniform_work_group_size: 1
    .uses_dynamic_stack: false
    .vgpr_count:     13
    .vgpr_spill_count: 0
    .wavefront_size: 32
    .workgroup_processor_mode: 1
  - .args:
      - .offset:         0
        .size:           4
        .value_kind:     by_value
      - .offset:         4
        .size:           4
        .value_kind:     by_value
      - .offset:         8
        .size:           8
        .value_kind:     by_value
      - .offset:         16
        .size:           8
        .value_kind:     by_value
      - .address_space:  global
        .offset:         24
        .size:           8
        .value_kind:     global_buffer
      - .offset:         32
        .size:           8
        .value_kind:     by_value
      - .offset:         40
        .size:           4
        .value_kind:     by_value
      - .offset:         48
        .size:           8
        .value_kind:     by_value
      - .address_space:  global
        .offset:         56
        .size:           8
        .value_kind:     global_buffer
      - .offset:         64
        .size:           8
        .value_kind:     by_value
      - .offset:         72
        .size:           4
        .value_kind:     by_value
      - .offset:         80
        .size:           8
        .value_kind:     by_value
      - .offset:         88
        .size:           8
        .value_kind:     by_value
      - .offset:         96
        .size:           8
        .value_kind:     by_value
      - .address_space:  global
        .offset:         104
        .size:           8
        .value_kind:     global_buffer
      - .offset:         112
        .size:           8
        .value_kind:     by_value
      - .offset:         120
        .size:           4
        .value_kind:     by_value
      - .offset:         128
        .size:           8
        .value_kind:     by_value
      - .offset:         136
        .size:           4
        .value_kind:     by_value
    .group_segment_fixed_size: 2048
    .kernarg_segment_align: 8
    .kernarg_segment_size: 140
    .language:       OpenCL C
    .language_version:
      - 2
      - 0
    .max_flat_workgroup_size: 256
    .name:           _ZL20rocblas_gemvt_kernelILb1ELi256EdddEviiT2_lPKT1_lilS3_lilS0_lPT3_lili
    .private_segment_fixed_size: 0
    .sgpr_count:     30
    .sgpr_spill_count: 0
    .symbol:         _ZL20rocblas_gemvt_kernelILb1ELi256EdddEviiT2_lPKT1_lilS3_lilS0_lPT3_lili.kd
    .uniform_work_group_size: 1
    .uses_dynamic_stack: false
    .vgpr_count:     13
    .vgpr_spill_count: 0
    .wavefront_size: 32
    .workgroup_processor_mode: 1
  - .args:
      - .offset:         0
        .size:           4
        .value_kind:     by_value
      - .offset:         4
        .size:           4
        .value_kind:     by_value
      - .address_space:  global
        .offset:         8
        .size:           8
        .value_kind:     global_buffer
      - .offset:         16
        .size:           8
        .value_kind:     by_value
      - .address_space:  global
        .offset:         24
        .size:           8
        .value_kind:     global_buffer
      - .offset:         32
        .size:           8
        .value_kind:     by_value
      - .offset:         40
        .size:           4
        .value_kind:     by_value
      - .offset:         48
        .size:           8
        .value_kind:     by_value
      - .address_space:  global
        .offset:         56
        .size:           8
        .value_kind:     global_buffer
      - .offset:         64
        .size:           8
        .value_kind:     by_value
      - .offset:         72
        .size:           4
        .value_kind:     by_value
      - .offset:         80
        .size:           8
        .value_kind:     by_value
      - .address_space:  global
        .offset:         88
        .size:           8
        .value_kind:     global_buffer
      - .offset:         96
        .size:           8
        .value_kind:     by_value
      - .address_space:  global
        .offset:         104
        .size:           8
        .value_kind:     global_buffer
      - .offset:         112
        .size:           8
        .value_kind:     by_value
      - .offset:         120
        .size:           4
        .value_kind:     by_value
      - .offset:         128
        .size:           8
        .value_kind:     by_value
      - .offset:         136
        .size:           4
        .value_kind:     by_value
    .group_segment_fixed_size: 256
    .kernarg_segment_align: 8
    .kernarg_segment_size: 140
    .language:       OpenCL C
    .language_version:
      - 2
      - 0
    .max_flat_workgroup_size: 1024
    .name:           _ZL32rocblas_gemvt_warp_reduce_kernelILb1ELi1024EidPKddEviiT3_lPKT2_lT1_lS5_lS6_lS2_lPT4_lS6_li
    .private_segment_fixed_size: 0
    .sgpr_count:     30
    .sgpr_spill_count: 0
    .symbol:         _ZL32rocblas_gemvt_warp_reduce_kernelILb1ELi1024EidPKddEviiT3_lPKT2_lT1_lS5_lS6_lS2_lPT4_lS6_li.kd
    .uniform_work_group_size: 1
    .uses_dynamic_stack: false
    .vgpr_count:     14
    .vgpr_spill_count: 0
    .wavefront_size: 32
    .workgroup_processor_mode: 1
  - .args:
      - .offset:         0
        .size:           4
        .value_kind:     by_value
      - .offset:         4
        .size:           4
        .value_kind:     by_value
      - .address_space:  global
        .offset:         8
        .size:           8
        .value_kind:     global_buffer
      - .offset:         16
        .size:           8
        .value_kind:     by_value
      - .address_space:  global
        .offset:         24
        .size:           8
        .value_kind:     global_buffer
      - .offset:         32
        .size:           8
        .value_kind:     by_value
      - .offset:         40
        .size:           8
        .value_kind:     by_value
      - .offset:         48
        .size:           8
        .value_kind:     by_value
      - .address_space:  global
        .offset:         56
        .size:           8
        .value_kind:     global_buffer
      - .offset:         64
        .size:           8
        .value_kind:     by_value
      - .offset:         72
        .size:           8
        .value_kind:     by_value
      - .offset:         80
        .size:           8
        .value_kind:     by_value
      - .address_space:  global
        .offset:         88
        .size:           8
        .value_kind:     global_buffer
      - .offset:         96
        .size:           8
        .value_kind:     by_value
      - .address_space:  global
        .offset:         104
        .size:           8
        .value_kind:     global_buffer
      - .offset:         112
        .size:           8
        .value_kind:     by_value
      - .offset:         120
        .size:           8
        .value_kind:     by_value
      - .offset:         128
        .size:           8
        .value_kind:     by_value
      - .offset:         136
        .size:           4
        .value_kind:     by_value
    .group_segment_fixed_size: 256
    .kernarg_segment_align: 8
    .kernarg_segment_size: 140
    .language:       OpenCL C
    .language_version:
      - 2
      - 0
    .max_flat_workgroup_size: 1024
    .name:           _ZL32rocblas_gemvt_warp_reduce_kernelILb1ELi1024EldPKddEviiT3_lPKT2_lT1_lS5_lS6_lS2_lPT4_lS6_li
    .private_segment_fixed_size: 0
    .sgpr_count:     54
    .sgpr_spill_count: 0
    .symbol:         _ZL32rocblas_gemvt_warp_reduce_kernelILb1ELi1024EldPKddEviiT3_lPKT2_lT1_lS5_lS6_lS2_lPT4_lS6_li.kd
    .uniform_work_group_size: 1
    .uses_dynamic_stack: false
    .vgpr_count:     14
    .vgpr_spill_count: 0
    .wavefront_size: 32
    .workgroup_processor_mode: 1
  - .args:
      - .offset:         0
        .size:           4
        .value_kind:     by_value
      - .offset:         4
        .size:           4
        .value_kind:     by_value
      - .offset:         8
        .size:           8
        .value_kind:     by_value
      - .offset:         16
        .size:           8
        .value_kind:     by_value
      - .address_space:  global
        .offset:         24
        .size:           8
        .value_kind:     global_buffer
      - .offset:         32
        .size:           8
        .value_kind:     by_value
      - .offset:         40
        .size:           4
        .value_kind:     by_value
      - .offset:         48
        .size:           8
        .value_kind:     by_value
      - .address_space:  global
        .offset:         56
        .size:           8
        .value_kind:     global_buffer
      - .offset:         64
        .size:           8
        .value_kind:     by_value
      - .offset:         72
        .size:           4
        .value_kind:     by_value
      - .offset:         80
        .size:           8
        .value_kind:     by_value
      - .offset:         88
        .size:           8
        .value_kind:     by_value
      - .offset:         96
        .size:           8
        .value_kind:     by_value
      - .address_space:  global
        .offset:         104
        .size:           8
        .value_kind:     global_buffer
      - .offset:         112
        .size:           8
        .value_kind:     by_value
      - .offset:         120
        .size:           4
        .value_kind:     by_value
      - .offset:         128
        .size:           8
        .value_kind:     by_value
      - .offset:         136
        .size:           4
        .value_kind:     by_value
    .group_segment_fixed_size: 256
    .kernarg_segment_align: 8
    .kernarg_segment_size: 140
    .language:       OpenCL C
    .language_version:
      - 2
      - 0
    .max_flat_workgroup_size: 1024
    .name:           _ZL32rocblas_gemvt_warp_reduce_kernelILb1ELi1024EidddEviiT3_lPKT2_lT1_lS3_lS4_lS0_lPT4_lS4_li
    .private_segment_fixed_size: 0
    .sgpr_count:     30
    .sgpr_spill_count: 0
    .symbol:         _ZL32rocblas_gemvt_warp_reduce_kernelILb1ELi1024EidddEviiT3_lPKT2_lT1_lS3_lS4_lS0_lPT4_lS4_li.kd
    .uniform_work_group_size: 1
    .uses_dynamic_stack: false
    .vgpr_count:     14
    .vgpr_spill_count: 0
    .wavefront_size: 32
    .workgroup_processor_mode: 1
  - .args:
      - .offset:         0
        .size:           4
        .value_kind:     by_value
      - .offset:         4
        .size:           4
        .value_kind:     by_value
      - .offset:         8
        .size:           8
        .value_kind:     by_value
      - .offset:         16
        .size:           8
        .value_kind:     by_value
      - .address_space:  global
        .offset:         24
        .size:           8
        .value_kind:     global_buffer
      - .offset:         32
        .size:           8
        .value_kind:     by_value
      - .offset:         40
        .size:           8
        .value_kind:     by_value
      - .offset:         48
        .size:           8
        .value_kind:     by_value
      - .address_space:  global
        .offset:         56
        .size:           8
        .value_kind:     global_buffer
      - .offset:         64
        .size:           8
        .value_kind:     by_value
      - .offset:         72
        .size:           8
        .value_kind:     by_value
      - .offset:         80
        .size:           8
        .value_kind:     by_value
      - .offset:         88
        .size:           8
        .value_kind:     by_value
      - .offset:         96
        .size:           8
        .value_kind:     by_value
      - .address_space:  global
        .offset:         104
        .size:           8
        .value_kind:     global_buffer
      - .offset:         112
        .size:           8
        .value_kind:     by_value
      - .offset:         120
        .size:           8
        .value_kind:     by_value
      - .offset:         128
        .size:           8
        .value_kind:     by_value
      - .offset:         136
        .size:           4
        .value_kind:     by_value
    .group_segment_fixed_size: 256
    .kernarg_segment_align: 8
    .kernarg_segment_size: 140
    .language:       OpenCL C
    .language_version:
      - 2
      - 0
    .max_flat_workgroup_size: 1024
    .name:           _ZL32rocblas_gemvt_warp_reduce_kernelILb1ELi1024EldddEviiT3_lPKT2_lT1_lS3_lS4_lS0_lPT4_lS4_li
    .private_segment_fixed_size: 0
    .sgpr_count:     38
    .sgpr_spill_count: 0
    .symbol:         _ZL32rocblas_gemvt_warp_reduce_kernelILb1ELi1024EldddEviiT3_lPKT2_lT1_lS3_lS4_lS0_lPT4_lS4_li.kd
    .uniform_work_group_size: 1
    .uses_dynamic_stack: false
    .vgpr_count:     14
    .vgpr_spill_count: 0
    .wavefront_size: 32
    .workgroup_processor_mode: 1
  - .args:
      - .offset:         0
        .size:           4
        .value_kind:     by_value
      - .offset:         4
        .size:           4
        .value_kind:     by_value
      - .address_space:  global
        .offset:         8
        .size:           8
        .value_kind:     global_buffer
      - .offset:         16
        .size:           8
        .value_kind:     by_value
      - .address_space:  global
        .offset:         24
        .size:           8
        .value_kind:     global_buffer
      - .offset:         32
        .size:           8
        .value_kind:     by_value
      - .offset:         40
        .size:           4
        .value_kind:     by_value
      - .offset:         48
        .size:           8
        .value_kind:     by_value
      - .address_space:  global
        .offset:         56
        .size:           8
        .value_kind:     global_buffer
      - .offset:         64
        .size:           8
        .value_kind:     by_value
      - .offset:         72
        .size:           4
        .value_kind:     by_value
      - .offset:         80
        .size:           8
        .value_kind:     by_value
      - .address_space:  global
        .offset:         88
        .size:           8
        .value_kind:     global_buffer
      - .offset:         96
        .size:           8
        .value_kind:     by_value
      - .address_space:  global
        .offset:         104
        .size:           8
        .value_kind:     global_buffer
      - .offset:         112
        .size:           8
        .value_kind:     by_value
      - .offset:         120
        .size:           4
        .value_kind:     by_value
      - .offset:         128
        .size:           8
        .value_kind:     by_value
      - .offset:         136
        .size:           4
        .value_kind:     by_value
    .group_segment_fixed_size: 0
    .kernarg_segment_align: 8
    .kernarg_segment_size: 140
    .language:       OpenCL C
    .language_version:
      - 2
      - 0
    .max_flat_workgroup_size: 768
    .name:           _ZL34rocblas_gemvn_sm_mn_batched_kernelILi32ELi24E19rocblas_complex_numIfEPKS1_S1_EviiT2_lPKT1_lilS7_lilS4_lPT3_lili
    .private_segment_fixed_size: 0
    .sgpr_count:     0
    .sgpr_spill_count: 0
    .symbol:         _ZL34rocblas_gemvn_sm_mn_batched_kernelILi32ELi24E19rocblas_complex_numIfEPKS1_S1_EviiT2_lPKT1_lilS7_lilS4_lPT3_lili.kd
    .uniform_work_group_size: 1
    .uses_dynamic_stack: false
    .vgpr_count:     0
    .vgpr_spill_count: 0
    .wavefront_size: 32
    .workgroup_processor_mode: 1
  - .args:
      - .offset:         0
        .size:           4
        .value_kind:     by_value
      - .offset:         4
        .size:           4
        .value_kind:     by_value
      - .offset:         8
        .size:           8
        .value_kind:     by_value
      - .offset:         16
        .size:           8
        .value_kind:     by_value
      - .address_space:  global
        .offset:         24
        .size:           8
        .value_kind:     global_buffer
      - .offset:         32
        .size:           8
        .value_kind:     by_value
      - .offset:         40
        .size:           4
        .value_kind:     by_value
      - .offset:         48
        .size:           8
        .value_kind:     by_value
      - .address_space:  global
        .offset:         56
        .size:           8
        .value_kind:     global_buffer
      - .offset:         64
        .size:           8
        .value_kind:     by_value
      - .offset:         72
        .size:           4
        .value_kind:     by_value
      - .offset:         80
        .size:           8
        .value_kind:     by_value
      - .offset:         88
        .size:           8
        .value_kind:     by_value
      - .offset:         96
        .size:           8
        .value_kind:     by_value
      - .address_space:  global
        .offset:         104
        .size:           8
        .value_kind:     global_buffer
      - .offset:         112
        .size:           8
        .value_kind:     by_value
      - .offset:         120
        .size:           4
        .value_kind:     by_value
      - .offset:         128
        .size:           8
        .value_kind:     by_value
      - .offset:         136
        .size:           4
        .value_kind:     by_value
    .group_segment_fixed_size: 0
    .kernarg_segment_align: 8
    .kernarg_segment_size: 140
    .language:       OpenCL C
    .language_version:
      - 2
      - 0
    .max_flat_workgroup_size: 768
    .name:           _ZL34rocblas_gemvn_sm_mn_batched_kernelILi32ELi24E19rocblas_complex_numIfES1_S1_EviiT2_lPKT1_lilS5_lilS2_lPT3_lili
    .private_segment_fixed_size: 0
    .sgpr_count:     0
    .sgpr_spill_count: 0
    .symbol:         _ZL34rocblas_gemvn_sm_mn_batched_kernelILi32ELi24E19rocblas_complex_numIfES1_S1_EviiT2_lPKT1_lilS5_lilS2_lPT3_lili.kd
    .uniform_work_group_size: 1
    .uses_dynamic_stack: false
    .vgpr_count:     0
    .vgpr_spill_count: 0
    .wavefront_size: 32
    .workgroup_processor_mode: 1
  - .args:
      - .offset:         0
        .size:           4
        .value_kind:     by_value
      - .offset:         4
        .size:           4
        .value_kind:     by_value
      - .address_space:  global
        .offset:         8
        .size:           8
        .value_kind:     global_buffer
      - .offset:         16
        .size:           8
        .value_kind:     by_value
      - .address_space:  global
        .offset:         24
        .size:           8
        .value_kind:     global_buffer
      - .offset:         32
        .size:           8
        .value_kind:     by_value
      - .offset:         40
        .size:           4
        .value_kind:     by_value
      - .offset:         48
        .size:           8
        .value_kind:     by_value
      - .address_space:  global
        .offset:         56
        .size:           8
        .value_kind:     global_buffer
      - .offset:         64
        .size:           8
        .value_kind:     by_value
      - .offset:         72
        .size:           4
        .value_kind:     by_value
      - .offset:         80
        .size:           8
        .value_kind:     by_value
      - .address_space:  global
        .offset:         88
        .size:           8
        .value_kind:     global_buffer
      - .offset:         96
        .size:           8
        .value_kind:     by_value
      - .address_space:  global
        .offset:         104
        .size:           8
        .value_kind:     global_buffer
      - .offset:         112
        .size:           8
        .value_kind:     by_value
      - .offset:         120
        .size:           4
        .value_kind:     by_value
      - .offset:         128
        .size:           8
        .value_kind:     by_value
      - .offset:         136
        .size:           4
        .value_kind:     by_value
      - .offset:         144
        .size:           4
        .value_kind:     hidden_block_count_x
      - .offset:         148
        .size:           4
        .value_kind:     hidden_block_count_y
      - .offset:         152
        .size:           4
        .value_kind:     hidden_block_count_z
      - .offset:         156
        .size:           2
        .value_kind:     hidden_group_size_x
      - .offset:         158
        .size:           2
        .value_kind:     hidden_group_size_y
      - .offset:         160
        .size:           2
        .value_kind:     hidden_group_size_z
      - .offset:         162
        .size:           2
        .value_kind:     hidden_remainder_x
      - .offset:         164
        .size:           2
        .value_kind:     hidden_remainder_y
      - .offset:         166
        .size:           2
        .value_kind:     hidden_remainder_z
      - .offset:         184
        .size:           8
        .value_kind:     hidden_global_offset_x
      - .offset:         192
        .size:           8
        .value_kind:     hidden_global_offset_y
      - .offset:         200
        .size:           8
        .value_kind:     hidden_global_offset_z
      - .offset:         208
        .size:           2
        .value_kind:     hidden_grid_dims
    .group_segment_fixed_size: 8192
    .kernarg_segment_align: 8
    .kernarg_segment_size: 400
    .language:       OpenCL C
    .language_version:
      - 2
      - 0
    .max_flat_workgroup_size: 256
    .name:           _ZL20rocblas_gemvn_kernelILi64ELi4Ei19rocblas_complex_numIfEPKS1_S1_EviiT3_lPKT2_lT1_lS7_lS8_lS4_lPT4_lS8_li
    .private_segment_fixed_size: 0
    .sgpr_count:     31
    .sgpr_spill_count: 0
    .symbol:         _ZL20rocblas_gemvn_kernelILi64ELi4Ei19rocblas_complex_numIfEPKS1_S1_EviiT3_lPKT2_lT1_lS7_lS8_lS4_lPT4_lS8_li.kd
    .uniform_work_group_size: 1
    .uses_dynamic_stack: false
    .vgpr_count:     64
    .vgpr_spill_count: 0
    .wavefront_size: 32
    .workgroup_processor_mode: 1
  - .args:
      - .offset:         0
        .size:           4
        .value_kind:     by_value
      - .offset:         4
        .size:           4
        .value_kind:     by_value
      - .address_space:  global
        .offset:         8
        .size:           8
        .value_kind:     global_buffer
      - .offset:         16
        .size:           8
        .value_kind:     by_value
      - .address_space:  global
        .offset:         24
        .size:           8
        .value_kind:     global_buffer
      - .offset:         32
        .size:           8
        .value_kind:     by_value
      - .offset:         40
        .size:           8
        .value_kind:     by_value
      - .offset:         48
        .size:           8
        .value_kind:     by_value
      - .address_space:  global
        .offset:         56
        .size:           8
        .value_kind:     global_buffer
      - .offset:         64
        .size:           8
        .value_kind:     by_value
      - .offset:         72
        .size:           8
        .value_kind:     by_value
      - .offset:         80
        .size:           8
        .value_kind:     by_value
      - .address_space:  global
        .offset:         88
        .size:           8
        .value_kind:     global_buffer
      - .offset:         96
        .size:           8
        .value_kind:     by_value
      - .address_space:  global
        .offset:         104
        .size:           8
        .value_kind:     global_buffer
      - .offset:         112
        .size:           8
        .value_kind:     by_value
      - .offset:         120
        .size:           8
        .value_kind:     by_value
      - .offset:         128
        .size:           8
        .value_kind:     by_value
      - .offset:         136
        .size:           4
        .value_kind:     by_value
      - .offset:         144
        .size:           4
        .value_kind:     hidden_block_count_x
      - .offset:         148
        .size:           4
        .value_kind:     hidden_block_count_y
      - .offset:         152
        .size:           4
        .value_kind:     hidden_block_count_z
      - .offset:         156
        .size:           2
        .value_kind:     hidden_group_size_x
      - .offset:         158
        .size:           2
        .value_kind:     hidden_group_size_y
      - .offset:         160
        .size:           2
        .value_kind:     hidden_group_size_z
      - .offset:         162
        .size:           2
        .value_kind:     hidden_remainder_x
      - .offset:         164
        .size:           2
        .value_kind:     hidden_remainder_y
      - .offset:         166
        .size:           2
        .value_kind:     hidden_remainder_z
      - .offset:         184
        .size:           8
        .value_kind:     hidden_global_offset_x
      - .offset:         192
        .size:           8
        .value_kind:     hidden_global_offset_y
      - .offset:         200
        .size:           8
        .value_kind:     hidden_global_offset_z
      - .offset:         208
        .size:           2
        .value_kind:     hidden_grid_dims
    .group_segment_fixed_size: 8192
    .kernarg_segment_align: 8
    .kernarg_segment_size: 400
    .language:       OpenCL C
    .language_version:
      - 2
      - 0
    .max_flat_workgroup_size: 256
    .name:           _ZL20rocblas_gemvn_kernelILi64ELi4El19rocblas_complex_numIfEPKS1_S1_EviiT3_lPKT2_lT1_lS7_lS8_lS4_lPT4_lS8_li
    .private_segment_fixed_size: 0
    .sgpr_count:     54
    .sgpr_spill_count: 0
    .symbol:         _ZL20rocblas_gemvn_kernelILi64ELi4El19rocblas_complex_numIfEPKS1_S1_EviiT3_lPKT2_lT1_lS7_lS8_lS4_lPT4_lS8_li.kd
    .uniform_work_group_size: 1
    .uses_dynamic_stack: false
    .vgpr_count:     68
    .vgpr_spill_count: 0
    .wavefront_size: 32
    .workgroup_processor_mode: 1
  - .args:
      - .offset:         0
        .size:           4
        .value_kind:     by_value
      - .offset:         4
        .size:           4
        .value_kind:     by_value
      - .offset:         8
        .size:           8
        .value_kind:     by_value
      - .offset:         16
        .size:           8
        .value_kind:     by_value
      - .address_space:  global
        .offset:         24
        .size:           8
        .value_kind:     global_buffer
      - .offset:         32
        .size:           8
        .value_kind:     by_value
      - .offset:         40
        .size:           4
        .value_kind:     by_value
      - .offset:         48
        .size:           8
        .value_kind:     by_value
      - .address_space:  global
        .offset:         56
        .size:           8
        .value_kind:     global_buffer
      - .offset:         64
        .size:           8
        .value_kind:     by_value
      - .offset:         72
        .size:           4
        .value_kind:     by_value
      - .offset:         80
        .size:           8
        .value_kind:     by_value
      - .offset:         88
        .size:           8
        .value_kind:     by_value
      - .offset:         96
        .size:           8
        .value_kind:     by_value
      - .address_space:  global
        .offset:         104
        .size:           8
        .value_kind:     global_buffer
      - .offset:         112
        .size:           8
        .value_kind:     by_value
      - .offset:         120
        .size:           4
        .value_kind:     by_value
      - .offset:         128
        .size:           8
        .value_kind:     by_value
      - .offset:         136
        .size:           4
        .value_kind:     by_value
      - .offset:         144
        .size:           4
        .value_kind:     hidden_block_count_x
      - .offset:         148
        .size:           4
        .value_kind:     hidden_block_count_y
      - .offset:         152
        .size:           4
        .value_kind:     hidden_block_count_z
      - .offset:         156
        .size:           2
        .value_kind:     hidden_group_size_x
      - .offset:         158
        .size:           2
        .value_kind:     hidden_group_size_y
      - .offset:         160
        .size:           2
        .value_kind:     hidden_group_size_z
      - .offset:         162
        .size:           2
        .value_kind:     hidden_remainder_x
      - .offset:         164
        .size:           2
        .value_kind:     hidden_remainder_y
      - .offset:         166
        .size:           2
        .value_kind:     hidden_remainder_z
      - .offset:         184
        .size:           8
        .value_kind:     hidden_global_offset_x
      - .offset:         192
        .size:           8
        .value_kind:     hidden_global_offset_y
      - .offset:         200
        .size:           8
        .value_kind:     hidden_global_offset_z
      - .offset:         208
        .size:           2
        .value_kind:     hidden_grid_dims
    .group_segment_fixed_size: 8192
    .kernarg_segment_align: 8
    .kernarg_segment_size: 400
    .language:       OpenCL C
    .language_version:
      - 2
      - 0
    .max_flat_workgroup_size: 256
    .name:           _ZL20rocblas_gemvn_kernelILi64ELi4Ei19rocblas_complex_numIfES1_S1_EviiT3_lPKT2_lT1_lS5_lS6_lS2_lPT4_lS6_li
    .private_segment_fixed_size: 0
    .sgpr_count:     31
    .sgpr_spill_count: 0
    .symbol:         _ZL20rocblas_gemvn_kernelILi64ELi4Ei19rocblas_complex_numIfES1_S1_EviiT3_lPKT2_lT1_lS5_lS6_lS2_lPT4_lS6_li.kd
    .uniform_work_group_size: 1
    .uses_dynamic_stack: false
    .vgpr_count:     64
    .vgpr_spill_count: 0
    .wavefront_size: 32
    .workgroup_processor_mode: 1
  - .args:
      - .offset:         0
        .size:           4
        .value_kind:     by_value
      - .offset:         4
        .size:           4
        .value_kind:     by_value
      - .offset:         8
        .size:           8
        .value_kind:     by_value
      - .offset:         16
        .size:           8
        .value_kind:     by_value
      - .address_space:  global
        .offset:         24
        .size:           8
        .value_kind:     global_buffer
      - .offset:         32
        .size:           8
        .value_kind:     by_value
      - .offset:         40
        .size:           8
        .value_kind:     by_value
      - .offset:         48
        .size:           8
        .value_kind:     by_value
      - .address_space:  global
        .offset:         56
        .size:           8
        .value_kind:     global_buffer
      - .offset:         64
        .size:           8
        .value_kind:     by_value
      - .offset:         72
        .size:           8
        .value_kind:     by_value
      - .offset:         80
        .size:           8
        .value_kind:     by_value
      - .offset:         88
        .size:           8
        .value_kind:     by_value
      - .offset:         96
        .size:           8
        .value_kind:     by_value
      - .address_space:  global
        .offset:         104
        .size:           8
        .value_kind:     global_buffer
      - .offset:         112
        .size:           8
        .value_kind:     by_value
      - .offset:         120
        .size:           8
        .value_kind:     by_value
      - .offset:         128
        .size:           8
        .value_kind:     by_value
      - .offset:         136
        .size:           4
        .value_kind:     by_value
      - .offset:         144
        .size:           4
        .value_kind:     hidden_block_count_x
      - .offset:         148
        .size:           4
        .value_kind:     hidden_block_count_y
      - .offset:         152
        .size:           4
        .value_kind:     hidden_block_count_z
      - .offset:         156
        .size:           2
        .value_kind:     hidden_group_size_x
      - .offset:         158
        .size:           2
        .value_kind:     hidden_group_size_y
      - .offset:         160
        .size:           2
        .value_kind:     hidden_group_size_z
      - .offset:         162
        .size:           2
        .value_kind:     hidden_remainder_x
      - .offset:         164
        .size:           2
        .value_kind:     hidden_remainder_y
      - .offset:         166
        .size:           2
        .value_kind:     hidden_remainder_z
      - .offset:         184
        .size:           8
        .value_kind:     hidden_global_offset_x
      - .offset:         192
        .size:           8
        .value_kind:     hidden_global_offset_y
      - .offset:         200
        .size:           8
        .value_kind:     hidden_global_offset_z
      - .offset:         208
        .size:           2
        .value_kind:     hidden_grid_dims
    .group_segment_fixed_size: 8192
    .kernarg_segment_align: 8
    .kernarg_segment_size: 400
    .language:       OpenCL C
    .language_version:
      - 2
      - 0
    .max_flat_workgroup_size: 256
    .name:           _ZL20rocblas_gemvn_kernelILi64ELi4El19rocblas_complex_numIfES1_S1_EviiT3_lPKT2_lT1_lS5_lS6_lS2_lPT4_lS6_li
    .private_segment_fixed_size: 0
    .sgpr_count:     46
    .sgpr_spill_count: 0
    .symbol:         _ZL20rocblas_gemvn_kernelILi64ELi4El19rocblas_complex_numIfES1_S1_EviiT3_lPKT2_lT1_lS5_lS6_lS2_lPT4_lS6_li.kd
    .uniform_work_group_size: 1
    .uses_dynamic_stack: false
    .vgpr_count:     68
    .vgpr_spill_count: 0
    .wavefront_size: 32
    .workgroup_processor_mode: 1
  - .args:
      - .offset:         0
        .size:           4
        .value_kind:     by_value
      - .offset:         4
        .size:           4
        .value_kind:     by_value
      - .address_space:  global
        .offset:         8
        .size:           8
        .value_kind:     global_buffer
      - .offset:         16
        .size:           8
        .value_kind:     by_value
      - .address_space:  global
        .offset:         24
        .size:           8
        .value_kind:     global_buffer
      - .offset:         32
        .size:           8
        .value_kind:     by_value
      - .offset:         40
        .size:           4
        .value_kind:     by_value
      - .offset:         48
        .size:           8
        .value_kind:     by_value
      - .address_space:  global
        .offset:         56
        .size:           8
        .value_kind:     global_buffer
      - .offset:         64
        .size:           8
        .value_kind:     by_value
      - .offset:         72
        .size:           4
        .value_kind:     by_value
      - .offset:         80
        .size:           8
        .value_kind:     by_value
      - .address_space:  global
        .offset:         88
        .size:           8
        .value_kind:     global_buffer
      - .offset:         96
        .size:           8
        .value_kind:     by_value
      - .address_space:  global
        .offset:         104
        .size:           8
        .value_kind:     global_buffer
      - .offset:         112
        .size:           8
        .value_kind:     by_value
      - .offset:         120
        .size:           4
        .value_kind:     by_value
      - .offset:         128
        .size:           8
        .value_kind:     by_value
      - .offset:         136
        .size:           4
        .value_kind:     by_value
      - .offset:         144
        .size:           4
        .value_kind:     hidden_block_count_x
      - .offset:         148
        .size:           4
        .value_kind:     hidden_block_count_y
      - .offset:         152
        .size:           4
        .value_kind:     hidden_block_count_z
      - .offset:         156
        .size:           2
        .value_kind:     hidden_group_size_x
      - .offset:         158
        .size:           2
        .value_kind:     hidden_group_size_y
      - .offset:         160
        .size:           2
        .value_kind:     hidden_group_size_z
      - .offset:         162
        .size:           2
        .value_kind:     hidden_remainder_x
      - .offset:         164
        .size:           2
        .value_kind:     hidden_remainder_y
      - .offset:         166
        .size:           2
        .value_kind:     hidden_remainder_z
      - .offset:         184
        .size:           8
        .value_kind:     hidden_global_offset_x
      - .offset:         192
        .size:           8
        .value_kind:     hidden_global_offset_y
      - .offset:         200
        .size:           8
        .value_kind:     hidden_global_offset_z
      - .offset:         208
        .size:           2
        .value_kind:     hidden_grid_dims
    .group_segment_fixed_size: 16384
    .kernarg_segment_align: 8
    .kernarg_segment_size: 400
    .language:       OpenCL C
    .language_version:
      - 2
      - 0
    .max_flat_workgroup_size: 512
    .name:           _ZL20rocblas_gemvn_kernelILi32ELi16Ei19rocblas_complex_numIfEPKS1_S1_EviiT3_lPKT2_lT1_lS7_lS8_lS4_lPT4_lS8_li
    .private_segment_fixed_size: 0
    .sgpr_count:     31
    .sgpr_spill_count: 0
    .symbol:         _ZL20rocblas_gemvn_kernelILi32ELi16Ei19rocblas_complex_numIfEPKS1_S1_EviiT3_lPKT2_lT1_lS7_lS8_lS4_lPT4_lS8_li.kd
    .uniform_work_group_size: 1
    .uses_dynamic_stack: false
    .vgpr_count:     64
    .vgpr_spill_count: 0
    .wavefront_size: 32
    .workgroup_processor_mode: 1
  - .args:
      - .offset:         0
        .size:           4
        .value_kind:     by_value
      - .offset:         4
        .size:           4
        .value_kind:     by_value
      - .address_space:  global
        .offset:         8
        .size:           8
        .value_kind:     global_buffer
      - .offset:         16
        .size:           8
        .value_kind:     by_value
      - .address_space:  global
        .offset:         24
        .size:           8
        .value_kind:     global_buffer
      - .offset:         32
        .size:           8
        .value_kind:     by_value
      - .offset:         40
        .size:           8
        .value_kind:     by_value
      - .offset:         48
        .size:           8
        .value_kind:     by_value
      - .address_space:  global
        .offset:         56
        .size:           8
        .value_kind:     global_buffer
      - .offset:         64
        .size:           8
        .value_kind:     by_value
      - .offset:         72
        .size:           8
        .value_kind:     by_value
      - .offset:         80
        .size:           8
        .value_kind:     by_value
      - .address_space:  global
        .offset:         88
        .size:           8
        .value_kind:     global_buffer
      - .offset:         96
        .size:           8
        .value_kind:     by_value
      - .address_space:  global
        .offset:         104
        .size:           8
        .value_kind:     global_buffer
      - .offset:         112
        .size:           8
        .value_kind:     by_value
      - .offset:         120
        .size:           8
        .value_kind:     by_value
      - .offset:         128
        .size:           8
        .value_kind:     by_value
      - .offset:         136
        .size:           4
        .value_kind:     by_value
      - .offset:         144
        .size:           4
        .value_kind:     hidden_block_count_x
      - .offset:         148
        .size:           4
        .value_kind:     hidden_block_count_y
      - .offset:         152
        .size:           4
        .value_kind:     hidden_block_count_z
      - .offset:         156
        .size:           2
        .value_kind:     hidden_group_size_x
      - .offset:         158
        .size:           2
        .value_kind:     hidden_group_size_y
      - .offset:         160
        .size:           2
        .value_kind:     hidden_group_size_z
      - .offset:         162
        .size:           2
        .value_kind:     hidden_remainder_x
      - .offset:         164
        .size:           2
        .value_kind:     hidden_remainder_y
      - .offset:         166
        .size:           2
        .value_kind:     hidden_remainder_z
      - .offset:         184
        .size:           8
        .value_kind:     hidden_global_offset_x
      - .offset:         192
        .size:           8
        .value_kind:     hidden_global_offset_y
      - .offset:         200
        .size:           8
        .value_kind:     hidden_global_offset_z
      - .offset:         208
        .size:           2
        .value_kind:     hidden_grid_dims
    .group_segment_fixed_size: 16384
    .kernarg_segment_align: 8
    .kernarg_segment_size: 400
    .language:       OpenCL C
    .language_version:
      - 2
      - 0
    .max_flat_workgroup_size: 512
    .name:           _ZL20rocblas_gemvn_kernelILi32ELi16El19rocblas_complex_numIfEPKS1_S1_EviiT3_lPKT2_lT1_lS7_lS8_lS4_lPT4_lS8_li
    .private_segment_fixed_size: 0
    .sgpr_count:     54
    .sgpr_spill_count: 0
    .symbol:         _ZL20rocblas_gemvn_kernelILi32ELi16El19rocblas_complex_numIfEPKS1_S1_EviiT3_lPKT2_lT1_lS7_lS8_lS4_lPT4_lS8_li.kd
    .uniform_work_group_size: 1
    .uses_dynamic_stack: false
    .vgpr_count:     68
    .vgpr_spill_count: 0
    .wavefront_size: 32
    .workgroup_processor_mode: 1
  - .args:
      - .offset:         0
        .size:           4
        .value_kind:     by_value
      - .offset:         4
        .size:           4
        .value_kind:     by_value
      - .offset:         8
        .size:           8
        .value_kind:     by_value
      - .offset:         16
        .size:           8
        .value_kind:     by_value
      - .address_space:  global
        .offset:         24
        .size:           8
        .value_kind:     global_buffer
      - .offset:         32
        .size:           8
        .value_kind:     by_value
      - .offset:         40
        .size:           4
        .value_kind:     by_value
      - .offset:         48
        .size:           8
        .value_kind:     by_value
      - .address_space:  global
        .offset:         56
        .size:           8
        .value_kind:     global_buffer
      - .offset:         64
        .size:           8
        .value_kind:     by_value
      - .offset:         72
        .size:           4
        .value_kind:     by_value
      - .offset:         80
        .size:           8
        .value_kind:     by_value
      - .offset:         88
        .size:           8
        .value_kind:     by_value
      - .offset:         96
        .size:           8
        .value_kind:     by_value
      - .address_space:  global
        .offset:         104
        .size:           8
        .value_kind:     global_buffer
      - .offset:         112
        .size:           8
        .value_kind:     by_value
      - .offset:         120
        .size:           4
        .value_kind:     by_value
      - .offset:         128
        .size:           8
        .value_kind:     by_value
      - .offset:         136
        .size:           4
        .value_kind:     by_value
      - .offset:         144
        .size:           4
        .value_kind:     hidden_block_count_x
      - .offset:         148
        .size:           4
        .value_kind:     hidden_block_count_y
      - .offset:         152
        .size:           4
        .value_kind:     hidden_block_count_z
      - .offset:         156
        .size:           2
        .value_kind:     hidden_group_size_x
      - .offset:         158
        .size:           2
        .value_kind:     hidden_group_size_y
      - .offset:         160
        .size:           2
        .value_kind:     hidden_group_size_z
      - .offset:         162
        .size:           2
        .value_kind:     hidden_remainder_x
      - .offset:         164
        .size:           2
        .value_kind:     hidden_remainder_y
      - .offset:         166
        .size:           2
        .value_kind:     hidden_remainder_z
      - .offset:         184
        .size:           8
        .value_kind:     hidden_global_offset_x
      - .offset:         192
        .size:           8
        .value_kind:     hidden_global_offset_y
      - .offset:         200
        .size:           8
        .value_kind:     hidden_global_offset_z
      - .offset:         208
        .size:           2
        .value_kind:     hidden_grid_dims
    .group_segment_fixed_size: 16384
    .kernarg_segment_align: 8
    .kernarg_segment_size: 400
    .language:       OpenCL C
    .language_version:
      - 2
      - 0
    .max_flat_workgroup_size: 512
    .name:           _ZL20rocblas_gemvn_kernelILi32ELi16Ei19rocblas_complex_numIfES1_S1_EviiT3_lPKT2_lT1_lS5_lS6_lS2_lPT4_lS6_li
    .private_segment_fixed_size: 0
    .sgpr_count:     31
    .sgpr_spill_count: 0
    .symbol:         _ZL20rocblas_gemvn_kernelILi32ELi16Ei19rocblas_complex_numIfES1_S1_EviiT3_lPKT2_lT1_lS5_lS6_lS2_lPT4_lS6_li.kd
    .uniform_work_group_size: 1
    .uses_dynamic_stack: false
    .vgpr_count:     64
    .vgpr_spill_count: 0
    .wavefront_size: 32
    .workgroup_processor_mode: 1
  - .args:
      - .offset:         0
        .size:           4
        .value_kind:     by_value
      - .offset:         4
        .size:           4
        .value_kind:     by_value
      - .offset:         8
        .size:           8
        .value_kind:     by_value
      - .offset:         16
        .size:           8
        .value_kind:     by_value
      - .address_space:  global
        .offset:         24
        .size:           8
        .value_kind:     global_buffer
      - .offset:         32
        .size:           8
        .value_kind:     by_value
      - .offset:         40
        .size:           8
        .value_kind:     by_value
      - .offset:         48
        .size:           8
        .value_kind:     by_value
      - .address_space:  global
        .offset:         56
        .size:           8
        .value_kind:     global_buffer
      - .offset:         64
        .size:           8
        .value_kind:     by_value
      - .offset:         72
        .size:           8
        .value_kind:     by_value
      - .offset:         80
        .size:           8
        .value_kind:     by_value
      - .offset:         88
        .size:           8
        .value_kind:     by_value
      - .offset:         96
        .size:           8
        .value_kind:     by_value
      - .address_space:  global
        .offset:         104
        .size:           8
        .value_kind:     global_buffer
      - .offset:         112
        .size:           8
        .value_kind:     by_value
      - .offset:         120
        .size:           8
        .value_kind:     by_value
      - .offset:         128
        .size:           8
        .value_kind:     by_value
      - .offset:         136
        .size:           4
        .value_kind:     by_value
      - .offset:         144
        .size:           4
        .value_kind:     hidden_block_count_x
      - .offset:         148
        .size:           4
        .value_kind:     hidden_block_count_y
      - .offset:         152
        .size:           4
        .value_kind:     hidden_block_count_z
      - .offset:         156
        .size:           2
        .value_kind:     hidden_group_size_x
      - .offset:         158
        .size:           2
        .value_kind:     hidden_group_size_y
      - .offset:         160
        .size:           2
        .value_kind:     hidden_group_size_z
      - .offset:         162
        .size:           2
        .value_kind:     hidden_remainder_x
      - .offset:         164
        .size:           2
        .value_kind:     hidden_remainder_y
      - .offset:         166
        .size:           2
        .value_kind:     hidden_remainder_z
      - .offset:         184
        .size:           8
        .value_kind:     hidden_global_offset_x
      - .offset:         192
        .size:           8
        .value_kind:     hidden_global_offset_y
      - .offset:         200
        .size:           8
        .value_kind:     hidden_global_offset_z
      - .offset:         208
        .size:           2
        .value_kind:     hidden_grid_dims
    .group_segment_fixed_size: 16384
    .kernarg_segment_align: 8
    .kernarg_segment_size: 400
    .language:       OpenCL C
    .language_version:
      - 2
      - 0
    .max_flat_workgroup_size: 512
    .name:           _ZL20rocblas_gemvn_kernelILi32ELi16El19rocblas_complex_numIfES1_S1_EviiT3_lPKT2_lT1_lS5_lS6_lS2_lPT4_lS6_li
    .private_segment_fixed_size: 0
    .sgpr_count:     46
    .sgpr_spill_count: 0
    .symbol:         _ZL20rocblas_gemvn_kernelILi32ELi16El19rocblas_complex_numIfES1_S1_EviiT3_lPKT2_lT1_lS5_lS6_lS2_lPT4_lS6_li.kd
    .uniform_work_group_size: 1
    .uses_dynamic_stack: false
    .vgpr_count:     68
    .vgpr_spill_count: 0
    .wavefront_size: 32
    .workgroup_processor_mode: 1
  - .args:
      - .offset:         0
        .size:           4
        .value_kind:     by_value
      - .offset:         4
        .size:           4
        .value_kind:     by_value
      - .address_space:  global
        .offset:         8
        .size:           8
        .value_kind:     global_buffer
      - .offset:         16
        .size:           8
        .value_kind:     by_value
      - .address_space:  global
        .offset:         24
        .size:           8
        .value_kind:     global_buffer
      - .offset:         32
        .size:           8
        .value_kind:     by_value
      - .offset:         40
        .size:           4
        .value_kind:     by_value
      - .offset:         48
        .size:           8
        .value_kind:     by_value
      - .address_space:  global
        .offset:         56
        .size:           8
        .value_kind:     global_buffer
      - .offset:         64
        .size:           8
        .value_kind:     by_value
      - .offset:         72
        .size:           4
        .value_kind:     by_value
      - .offset:         80
        .size:           8
        .value_kind:     by_value
      - .address_space:  global
        .offset:         88
        .size:           8
        .value_kind:     global_buffer
      - .offset:         96
        .size:           8
        .value_kind:     by_value
      - .address_space:  global
        .offset:         104
        .size:           8
        .value_kind:     global_buffer
      - .offset:         112
        .size:           8
        .value_kind:     by_value
      - .offset:         120
        .size:           4
        .value_kind:     by_value
      - .offset:         128
        .size:           8
        .value_kind:     by_value
      - .offset:         136
        .size:           4
        .value_kind:     by_value
      - .offset:         144
        .size:           4
        .value_kind:     hidden_block_count_x
      - .offset:         148
        .size:           4
        .value_kind:     hidden_block_count_y
      - .offset:         152
        .size:           4
        .value_kind:     hidden_block_count_z
      - .offset:         156
        .size:           2
        .value_kind:     hidden_group_size_x
      - .offset:         158
        .size:           2
        .value_kind:     hidden_group_size_y
      - .offset:         160
        .size:           2
        .value_kind:     hidden_group_size_z
      - .offset:         162
        .size:           2
        .value_kind:     hidden_remainder_x
      - .offset:         164
        .size:           2
        .value_kind:     hidden_remainder_y
      - .offset:         166
        .size:           2
        .value_kind:     hidden_remainder_z
      - .offset:         184
        .size:           8
        .value_kind:     hidden_global_offset_x
      - .offset:         192
        .size:           8
        .value_kind:     hidden_global_offset_y
      - .offset:         200
        .size:           8
        .value_kind:     hidden_global_offset_z
      - .offset:         208
        .size:           2
        .value_kind:     hidden_grid_dims
    .group_segment_fixed_size: 32768
    .kernarg_segment_align: 8
    .kernarg_segment_size: 400
    .language:       OpenCL C
    .language_version:
      - 2
      - 0
    .max_flat_workgroup_size: 1024
    .name:           _ZL20rocblas_gemvn_kernelILi64ELi16Ei19rocblas_complex_numIfEPKS1_S1_EviiT3_lPKT2_lT1_lS7_lS8_lS4_lPT4_lS8_li
    .private_segment_fixed_size: 0
    .sgpr_count:     31
    .sgpr_spill_count: 0
    .symbol:         _ZL20rocblas_gemvn_kernelILi64ELi16Ei19rocblas_complex_numIfEPKS1_S1_EviiT3_lPKT2_lT1_lS7_lS8_lS4_lPT4_lS8_li.kd
    .uniform_work_group_size: 1
    .uses_dynamic_stack: false
    .vgpr_count:     64
    .vgpr_spill_count: 0
    .wavefront_size: 32
    .workgroup_processor_mode: 1
  - .args:
      - .offset:         0
        .size:           4
        .value_kind:     by_value
      - .offset:         4
        .size:           4
        .value_kind:     by_value
      - .address_space:  global
        .offset:         8
        .size:           8
        .value_kind:     global_buffer
      - .offset:         16
        .size:           8
        .value_kind:     by_value
      - .address_space:  global
        .offset:         24
        .size:           8
        .value_kind:     global_buffer
      - .offset:         32
        .size:           8
        .value_kind:     by_value
      - .offset:         40
        .size:           8
        .value_kind:     by_value
      - .offset:         48
        .size:           8
        .value_kind:     by_value
      - .address_space:  global
        .offset:         56
        .size:           8
        .value_kind:     global_buffer
      - .offset:         64
        .size:           8
        .value_kind:     by_value
      - .offset:         72
        .size:           8
        .value_kind:     by_value
      - .offset:         80
        .size:           8
        .value_kind:     by_value
      - .address_space:  global
        .offset:         88
        .size:           8
        .value_kind:     global_buffer
      - .offset:         96
        .size:           8
        .value_kind:     by_value
      - .address_space:  global
        .offset:         104
        .size:           8
        .value_kind:     global_buffer
      - .offset:         112
        .size:           8
        .value_kind:     by_value
      - .offset:         120
        .size:           8
        .value_kind:     by_value
      - .offset:         128
        .size:           8
        .value_kind:     by_value
      - .offset:         136
        .size:           4
        .value_kind:     by_value
      - .offset:         144
        .size:           4
        .value_kind:     hidden_block_count_x
      - .offset:         148
        .size:           4
        .value_kind:     hidden_block_count_y
      - .offset:         152
        .size:           4
        .value_kind:     hidden_block_count_z
      - .offset:         156
        .size:           2
        .value_kind:     hidden_group_size_x
      - .offset:         158
        .size:           2
        .value_kind:     hidden_group_size_y
      - .offset:         160
        .size:           2
        .value_kind:     hidden_group_size_z
      - .offset:         162
        .size:           2
        .value_kind:     hidden_remainder_x
      - .offset:         164
        .size:           2
        .value_kind:     hidden_remainder_y
      - .offset:         166
        .size:           2
        .value_kind:     hidden_remainder_z
      - .offset:         184
        .size:           8
        .value_kind:     hidden_global_offset_x
      - .offset:         192
        .size:           8
        .value_kind:     hidden_global_offset_y
      - .offset:         200
        .size:           8
        .value_kind:     hidden_global_offset_z
      - .offset:         208
        .size:           2
        .value_kind:     hidden_grid_dims
    .group_segment_fixed_size: 32768
    .kernarg_segment_align: 8
    .kernarg_segment_size: 400
    .language:       OpenCL C
    .language_version:
      - 2
      - 0
    .max_flat_workgroup_size: 1024
    .name:           _ZL20rocblas_gemvn_kernelILi64ELi16El19rocblas_complex_numIfEPKS1_S1_EviiT3_lPKT2_lT1_lS7_lS8_lS4_lPT4_lS8_li
    .private_segment_fixed_size: 0
    .sgpr_count:     54
    .sgpr_spill_count: 0
    .symbol:         _ZL20rocblas_gemvn_kernelILi64ELi16El19rocblas_complex_numIfEPKS1_S1_EviiT3_lPKT2_lT1_lS7_lS8_lS4_lPT4_lS8_li.kd
    .uniform_work_group_size: 1
    .uses_dynamic_stack: false
    .vgpr_count:     68
    .vgpr_spill_count: 0
    .wavefront_size: 32
    .workgroup_processor_mode: 1
  - .args:
      - .offset:         0
        .size:           4
        .value_kind:     by_value
      - .offset:         4
        .size:           4
        .value_kind:     by_value
      - .offset:         8
        .size:           8
        .value_kind:     by_value
      - .offset:         16
        .size:           8
        .value_kind:     by_value
      - .address_space:  global
        .offset:         24
        .size:           8
        .value_kind:     global_buffer
      - .offset:         32
        .size:           8
        .value_kind:     by_value
      - .offset:         40
        .size:           4
        .value_kind:     by_value
      - .offset:         48
        .size:           8
        .value_kind:     by_value
      - .address_space:  global
        .offset:         56
        .size:           8
        .value_kind:     global_buffer
      - .offset:         64
        .size:           8
        .value_kind:     by_value
      - .offset:         72
        .size:           4
        .value_kind:     by_value
      - .offset:         80
        .size:           8
        .value_kind:     by_value
      - .offset:         88
        .size:           8
        .value_kind:     by_value
      - .offset:         96
        .size:           8
        .value_kind:     by_value
      - .address_space:  global
        .offset:         104
        .size:           8
        .value_kind:     global_buffer
      - .offset:         112
        .size:           8
        .value_kind:     by_value
      - .offset:         120
        .size:           4
        .value_kind:     by_value
      - .offset:         128
        .size:           8
        .value_kind:     by_value
      - .offset:         136
        .size:           4
        .value_kind:     by_value
      - .offset:         144
        .size:           4
        .value_kind:     hidden_block_count_x
      - .offset:         148
        .size:           4
        .value_kind:     hidden_block_count_y
      - .offset:         152
        .size:           4
        .value_kind:     hidden_block_count_z
      - .offset:         156
        .size:           2
        .value_kind:     hidden_group_size_x
      - .offset:         158
        .size:           2
        .value_kind:     hidden_group_size_y
      - .offset:         160
        .size:           2
        .value_kind:     hidden_group_size_z
      - .offset:         162
        .size:           2
        .value_kind:     hidden_remainder_x
      - .offset:         164
        .size:           2
        .value_kind:     hidden_remainder_y
      - .offset:         166
        .size:           2
        .value_kind:     hidden_remainder_z
      - .offset:         184
        .size:           8
        .value_kind:     hidden_global_offset_x
      - .offset:         192
        .size:           8
        .value_kind:     hidden_global_offset_y
      - .offset:         200
        .size:           8
        .value_kind:     hidden_global_offset_z
      - .offset:         208
        .size:           2
        .value_kind:     hidden_grid_dims
    .group_segment_fixed_size: 32768
    .kernarg_segment_align: 8
    .kernarg_segment_size: 400
    .language:       OpenCL C
    .language_version:
      - 2
      - 0
    .max_flat_workgroup_size: 1024
    .name:           _ZL20rocblas_gemvn_kernelILi64ELi16Ei19rocblas_complex_numIfES1_S1_EviiT3_lPKT2_lT1_lS5_lS6_lS2_lPT4_lS6_li
    .private_segment_fixed_size: 0
    .sgpr_count:     31
    .sgpr_spill_count: 0
    .symbol:         _ZL20rocblas_gemvn_kernelILi64ELi16Ei19rocblas_complex_numIfES1_S1_EviiT3_lPKT2_lT1_lS5_lS6_lS2_lPT4_lS6_li.kd
    .uniform_work_group_size: 1
    .uses_dynamic_stack: false
    .vgpr_count:     64
    .vgpr_spill_count: 0
    .wavefront_size: 32
    .workgroup_processor_mode: 1
  - .args:
      - .offset:         0
        .size:           4
        .value_kind:     by_value
      - .offset:         4
        .size:           4
        .value_kind:     by_value
      - .offset:         8
        .size:           8
        .value_kind:     by_value
      - .offset:         16
        .size:           8
        .value_kind:     by_value
      - .address_space:  global
        .offset:         24
        .size:           8
        .value_kind:     global_buffer
      - .offset:         32
        .size:           8
        .value_kind:     by_value
      - .offset:         40
        .size:           8
        .value_kind:     by_value
      - .offset:         48
        .size:           8
        .value_kind:     by_value
      - .address_space:  global
        .offset:         56
        .size:           8
        .value_kind:     global_buffer
      - .offset:         64
        .size:           8
        .value_kind:     by_value
      - .offset:         72
        .size:           8
        .value_kind:     by_value
      - .offset:         80
        .size:           8
        .value_kind:     by_value
      - .offset:         88
        .size:           8
        .value_kind:     by_value
      - .offset:         96
        .size:           8
        .value_kind:     by_value
      - .address_space:  global
        .offset:         104
        .size:           8
        .value_kind:     global_buffer
      - .offset:         112
        .size:           8
        .value_kind:     by_value
      - .offset:         120
        .size:           8
        .value_kind:     by_value
      - .offset:         128
        .size:           8
        .value_kind:     by_value
      - .offset:         136
        .size:           4
        .value_kind:     by_value
      - .offset:         144
        .size:           4
        .value_kind:     hidden_block_count_x
      - .offset:         148
        .size:           4
        .value_kind:     hidden_block_count_y
      - .offset:         152
        .size:           4
        .value_kind:     hidden_block_count_z
      - .offset:         156
        .size:           2
        .value_kind:     hidden_group_size_x
      - .offset:         158
        .size:           2
        .value_kind:     hidden_group_size_y
      - .offset:         160
        .size:           2
        .value_kind:     hidden_group_size_z
      - .offset:         162
        .size:           2
        .value_kind:     hidden_remainder_x
      - .offset:         164
        .size:           2
        .value_kind:     hidden_remainder_y
      - .offset:         166
        .size:           2
        .value_kind:     hidden_remainder_z
      - .offset:         184
        .size:           8
        .value_kind:     hidden_global_offset_x
      - .offset:         192
        .size:           8
        .value_kind:     hidden_global_offset_y
      - .offset:         200
        .size:           8
        .value_kind:     hidden_global_offset_z
      - .offset:         208
        .size:           2
        .value_kind:     hidden_grid_dims
    .group_segment_fixed_size: 32768
    .kernarg_segment_align: 8
    .kernarg_segment_size: 400
    .language:       OpenCL C
    .language_version:
      - 2
      - 0
    .max_flat_workgroup_size: 1024
    .name:           _ZL20rocblas_gemvn_kernelILi64ELi16El19rocblas_complex_numIfES1_S1_EviiT3_lPKT2_lT1_lS5_lS6_lS2_lPT4_lS6_li
    .private_segment_fixed_size: 0
    .sgpr_count:     46
    .sgpr_spill_count: 0
    .symbol:         _ZL20rocblas_gemvn_kernelILi64ELi16El19rocblas_complex_numIfES1_S1_EviiT3_lPKT2_lT1_lS5_lS6_lS2_lPT4_lS6_li.kd
    .uniform_work_group_size: 1
    .uses_dynamic_stack: false
    .vgpr_count:     68
    .vgpr_spill_count: 0
    .wavefront_size: 32
    .workgroup_processor_mode: 1
  - .args:
      - .offset:         0
        .size:           4
        .value_kind:     by_value
      - .offset:         4
        .size:           4
        .value_kind:     by_value
      - .address_space:  global
        .offset:         8
        .size:           8
        .value_kind:     global_buffer
      - .offset:         16
        .size:           8
        .value_kind:     by_value
      - .address_space:  global
        .offset:         24
        .size:           8
        .value_kind:     global_buffer
      - .offset:         32
        .size:           8
        .value_kind:     by_value
      - .offset:         40
        .size:           4
        .value_kind:     by_value
      - .offset:         48
        .size:           8
        .value_kind:     by_value
      - .address_space:  global
        .offset:         56
        .size:           8
        .value_kind:     global_buffer
      - .offset:         64
        .size:           8
        .value_kind:     by_value
      - .offset:         72
        .size:           4
        .value_kind:     by_value
      - .offset:         80
        .size:           8
        .value_kind:     by_value
      - .address_space:  global
        .offset:         88
        .size:           8
        .value_kind:     global_buffer
      - .offset:         96
        .size:           8
        .value_kind:     by_value
      - .address_space:  global
        .offset:         104
        .size:           8
        .value_kind:     global_buffer
      - .offset:         112
        .size:           8
        .value_kind:     by_value
      - .offset:         120
        .size:           4
        .value_kind:     by_value
      - .offset:         128
        .size:           8
        .value_kind:     by_value
    .group_segment_fixed_size: 512
    .kernarg_segment_align: 8
    .kernarg_segment_size: 136
    .language:       OpenCL C
    .language_version:
      - 2
      - 0
    .max_flat_workgroup_size: 256
    .name:           _ZL22rocblas_gemvtsm_kernelILb0ELi256E19rocblas_complex_numIfEPKS1_S1_EviiT2_lPKT1_lilS7_lilS4_lPT3_lil
    .private_segment_fixed_size: 0
    .sgpr_count:     33
    .sgpr_spill_count: 0
    .symbol:         _ZL22rocblas_gemvtsm_kernelILb0ELi256E19rocblas_complex_numIfEPKS1_S1_EviiT2_lPKT1_lilS7_lilS4_lPT3_lil.kd
    .uniform_work_group_size: 1
    .uses_dynamic_stack: false
    .vgpr_count:     51
    .vgpr_spill_count: 0
    .wavefront_size: 32
    .workgroup_processor_mode: 1
  - .args:
      - .offset:         0
        .size:           4
        .value_kind:     by_value
      - .offset:         4
        .size:           4
        .value_kind:     by_value
      - .offset:         8
        .size:           8
        .value_kind:     by_value
      - .offset:         16
        .size:           8
        .value_kind:     by_value
      - .address_space:  global
        .offset:         24
        .size:           8
        .value_kind:     global_buffer
      - .offset:         32
        .size:           8
        .value_kind:     by_value
      - .offset:         40
        .size:           4
        .value_kind:     by_value
      - .offset:         48
        .size:           8
        .value_kind:     by_value
      - .address_space:  global
        .offset:         56
        .size:           8
        .value_kind:     global_buffer
      - .offset:         64
        .size:           8
        .value_kind:     by_value
      - .offset:         72
        .size:           4
        .value_kind:     by_value
      - .offset:         80
        .size:           8
        .value_kind:     by_value
      - .offset:         88
        .size:           8
        .value_kind:     by_value
      - .offset:         96
        .size:           8
        .value_kind:     by_value
      - .address_space:  global
        .offset:         104
        .size:           8
        .value_kind:     global_buffer
      - .offset:         112
        .size:           8
        .value_kind:     by_value
      - .offset:         120
        .size:           4
        .value_kind:     by_value
      - .offset:         128
        .size:           8
        .value_kind:     by_value
    .group_segment_fixed_size: 512
    .kernarg_segment_align: 8
    .kernarg_segment_size: 136
    .language:       OpenCL C
    .language_version:
      - 2
      - 0
    .max_flat_workgroup_size: 256
    .name:           _ZL22rocblas_gemvtsm_kernelILb0ELi256E19rocblas_complex_numIfES1_S1_EviiT2_lPKT1_lilS5_lilS2_lPT3_lil
    .private_segment_fixed_size: 0
    .sgpr_count:     29
    .sgpr_spill_count: 0
    .symbol:         _ZL22rocblas_gemvtsm_kernelILb0ELi256E19rocblas_complex_numIfES1_S1_EviiT2_lPKT1_lilS5_lilS2_lPT3_lil.kd
    .uniform_work_group_size: 1
    .uses_dynamic_stack: false
    .vgpr_count:     51
    .vgpr_spill_count: 0
    .wavefront_size: 32
    .workgroup_processor_mode: 1
  - .args:
      - .offset:         0
        .size:           4
        .value_kind:     by_value
      - .offset:         4
        .size:           4
        .value_kind:     by_value
      - .address_space:  global
        .offset:         8
        .size:           8
        .value_kind:     global_buffer
      - .offset:         16
        .size:           8
        .value_kind:     by_value
      - .address_space:  global
        .offset:         24
        .size:           8
        .value_kind:     global_buffer
      - .offset:         32
        .size:           8
        .value_kind:     by_value
      - .offset:         40
        .size:           4
        .value_kind:     by_value
      - .offset:         48
        .size:           8
        .value_kind:     by_value
      - .address_space:  global
        .offset:         56
        .size:           8
        .value_kind:     global_buffer
      - .offset:         64
        .size:           8
        .value_kind:     by_value
      - .offset:         72
        .size:           4
        .value_kind:     by_value
      - .offset:         80
        .size:           8
        .value_kind:     by_value
      - .address_space:  global
        .offset:         88
        .size:           8
        .value_kind:     global_buffer
      - .offset:         96
        .size:           4
        .value_kind:     by_value
      - .offset:         104
        .size:           4
        .value_kind:     hidden_block_count_x
      - .offset:         108
        .size:           4
        .value_kind:     hidden_block_count_y
      - .offset:         112
        .size:           4
        .value_kind:     hidden_block_count_z
      - .offset:         116
        .size:           2
        .value_kind:     hidden_group_size_x
      - .offset:         118
        .size:           2
        .value_kind:     hidden_group_size_y
      - .offset:         120
        .size:           2
        .value_kind:     hidden_group_size_z
      - .offset:         122
        .size:           2
        .value_kind:     hidden_remainder_x
      - .offset:         124
        .size:           2
        .value_kind:     hidden_remainder_y
      - .offset:         126
        .size:           2
        .value_kind:     hidden_remainder_z
      - .offset:         144
        .size:           8
        .value_kind:     hidden_global_offset_x
      - .offset:         152
        .size:           8
        .value_kind:     hidden_global_offset_y
      - .offset:         160
        .size:           8
        .value_kind:     hidden_global_offset_z
      - .offset:         168
        .size:           2
        .value_kind:     hidden_grid_dims
    .group_segment_fixed_size: 256
    .kernarg_segment_align: 8
    .kernarg_segment_size: 360
    .language:       OpenCL C
    .language_version:
      - 2
      - 0
    .max_flat_workgroup_size: 256
    .name:           _ZL23rocblas_gemvt_sn_kernelILb0ELi256ELi4Ei19rocblas_complex_numIfEPKS1_S1_EviiT4_lPKT3_lilS7_lilPT5_i
    .private_segment_fixed_size: 48
    .sgpr_count:     52
    .sgpr_spill_count: 0
    .symbol:         _ZL23rocblas_gemvt_sn_kernelILb0ELi256ELi4Ei19rocblas_complex_numIfEPKS1_S1_EviiT4_lPKT3_lilS7_lilPT5_i.kd
    .uniform_work_group_size: 1
    .uses_dynamic_stack: false
    .vgpr_count:     84
    .vgpr_spill_count: 0
    .wavefront_size: 32
    .workgroup_processor_mode: 1
  - .args:
      - .offset:         0
        .size:           4
        .value_kind:     by_value
      - .offset:         4
        .size:           4
        .value_kind:     by_value
      - .address_space:  global
        .offset:         8
        .size:           8
        .value_kind:     global_buffer
      - .offset:         16
        .size:           8
        .value_kind:     by_value
      - .address_space:  global
        .offset:         24
        .size:           8
        .value_kind:     global_buffer
      - .offset:         32
        .size:           8
        .value_kind:     by_value
      - .offset:         40
        .size:           4
        .value_kind:     by_value
      - .offset:         48
        .size:           8
        .value_kind:     by_value
      - .address_space:  global
        .offset:         56
        .size:           8
        .value_kind:     global_buffer
      - .offset:         64
        .size:           8
        .value_kind:     by_value
      - .offset:         72
        .size:           4
        .value_kind:     by_value
      - .offset:         80
        .size:           8
        .value_kind:     by_value
      - .address_space:  global
        .offset:         88
        .size:           8
        .value_kind:     global_buffer
      - .offset:         96
        .size:           4
        .value_kind:     by_value
      - .offset:         104
        .size:           4
        .value_kind:     hidden_block_count_x
      - .offset:         108
        .size:           4
        .value_kind:     hidden_block_count_y
      - .offset:         112
        .size:           4
        .value_kind:     hidden_block_count_z
      - .offset:         116
        .size:           2
        .value_kind:     hidden_group_size_x
      - .offset:         118
        .size:           2
        .value_kind:     hidden_group_size_y
      - .offset:         120
        .size:           2
        .value_kind:     hidden_group_size_z
      - .offset:         122
        .size:           2
        .value_kind:     hidden_remainder_x
      - .offset:         124
        .size:           2
        .value_kind:     hidden_remainder_y
      - .offset:         126
        .size:           2
        .value_kind:     hidden_remainder_z
      - .offset:         144
        .size:           8
        .value_kind:     hidden_global_offset_x
      - .offset:         152
        .size:           8
        .value_kind:     hidden_global_offset_y
      - .offset:         160
        .size:           8
        .value_kind:     hidden_global_offset_z
      - .offset:         168
        .size:           2
        .value_kind:     hidden_grid_dims
    .group_segment_fixed_size: 256
    .kernarg_segment_align: 8
    .kernarg_segment_size: 360
    .language:       OpenCL C
    .language_version:
      - 2
      - 0
    .max_flat_workgroup_size: 256
    .name:           _ZL23rocblas_gemvt_sn_kernelILb0ELi256ELi4El19rocblas_complex_numIfEPKS1_S1_EviiT4_lPKT3_lilS7_lilPT5_i
    .private_segment_fixed_size: 48
    .sgpr_count:     58
    .sgpr_spill_count: 0
    .symbol:         _ZL23rocblas_gemvt_sn_kernelILb0ELi256ELi4El19rocblas_complex_numIfEPKS1_S1_EviiT4_lPKT3_lilS7_lilPT5_i.kd
    .uniform_work_group_size: 1
    .uses_dynamic_stack: false
    .vgpr_count:     92
    .vgpr_spill_count: 0
    .wavefront_size: 32
    .workgroup_processor_mode: 1
  - .args:
      - .offset:         0
        .size:           4
        .value_kind:     by_value
      - .address_space:  global
        .offset:         8
        .size:           8
        .value_kind:     global_buffer
      - .offset:         16
        .size:           8
        .value_kind:     by_value
      - .address_space:  global
        .offset:         24
        .size:           8
        .value_kind:     global_buffer
      - .offset:         32
        .size:           8
        .value_kind:     by_value
      - .offset:         40
        .size:           4
        .value_kind:     by_value
      - .offset:         48
        .size:           8
        .value_kind:     by_value
      - .actual_access:  read_only
        .address_space:  global
        .offset:         56
        .size:           8
        .value_kind:     global_buffer
      - .offset:         64
        .size:           4
        .value_kind:     by_value
      - .offset:         72
        .size:           4
        .value_kind:     hidden_block_count_x
      - .offset:         76
        .size:           4
        .value_kind:     hidden_block_count_y
      - .offset:         80
        .size:           4
        .value_kind:     hidden_block_count_z
      - .offset:         84
        .size:           2
        .value_kind:     hidden_group_size_x
      - .offset:         86
        .size:           2
        .value_kind:     hidden_group_size_y
      - .offset:         88
        .size:           2
        .value_kind:     hidden_group_size_z
      - .offset:         90
        .size:           2
        .value_kind:     hidden_remainder_x
      - .offset:         92
        .size:           2
        .value_kind:     hidden_remainder_y
      - .offset:         94
        .size:           2
        .value_kind:     hidden_remainder_z
      - .offset:         112
        .size:           8
        .value_kind:     hidden_global_offset_x
      - .offset:         120
        .size:           8
        .value_kind:     hidden_global_offset_y
      - .offset:         128
        .size:           8
        .value_kind:     hidden_global_offset_z
      - .offset:         136
        .size:           2
        .value_kind:     hidden_grid_dims
    .group_segment_fixed_size: 256
    .kernarg_segment_align: 8
    .kernarg_segment_size: 328
    .language:       OpenCL C
    .language_version:
      - 2
      - 0
    .max_flat_workgroup_size: 256
    .name:           _ZL23rocblas_gemvt_sn_reduceILi256ELi8E19rocblas_complex_numIfEPKS1_S1_EviT2_lPT3_lilPT1_i
    .private_segment_fixed_size: 0
    .sgpr_count:     24
    .sgpr_spill_count: 0
    .symbol:         _ZL23rocblas_gemvt_sn_reduceILi256ELi8E19rocblas_complex_numIfEPKS1_S1_EviT2_lPT3_lilPT1_i.kd
    .uniform_work_group_size: 1
    .uses_dynamic_stack: false
    .vgpr_count:     22
    .vgpr_spill_count: 0
    .wavefront_size: 32
    .workgroup_processor_mode: 1
  - .args:
      - .offset:         0
        .size:           4
        .value_kind:     by_value
      - .offset:         4
        .size:           4
        .value_kind:     by_value
      - .offset:         8
        .size:           8
        .value_kind:     by_value
      - .offset:         16
        .size:           8
        .value_kind:     by_value
      - .address_space:  global
        .offset:         24
        .size:           8
        .value_kind:     global_buffer
      - .offset:         32
        .size:           8
        .value_kind:     by_value
      - .offset:         40
        .size:           4
        .value_kind:     by_value
      - .offset:         48
        .size:           8
        .value_kind:     by_value
      - .address_space:  global
        .offset:         56
        .size:           8
        .value_kind:     global_buffer
      - .offset:         64
        .size:           8
        .value_kind:     by_value
      - .offset:         72
        .size:           4
        .value_kind:     by_value
      - .offset:         80
        .size:           8
        .value_kind:     by_value
      - .address_space:  global
        .offset:         88
        .size:           8
        .value_kind:     global_buffer
      - .offset:         96
        .size:           4
        .value_kind:     by_value
      - .offset:         104
        .size:           4
        .value_kind:     hidden_block_count_x
      - .offset:         108
        .size:           4
        .value_kind:     hidden_block_count_y
      - .offset:         112
        .size:           4
        .value_kind:     hidden_block_count_z
      - .offset:         116
        .size:           2
        .value_kind:     hidden_group_size_x
      - .offset:         118
        .size:           2
        .value_kind:     hidden_group_size_y
      - .offset:         120
        .size:           2
        .value_kind:     hidden_group_size_z
      - .offset:         122
        .size:           2
        .value_kind:     hidden_remainder_x
      - .offset:         124
        .size:           2
        .value_kind:     hidden_remainder_y
      - .offset:         126
        .size:           2
        .value_kind:     hidden_remainder_z
      - .offset:         144
        .size:           8
        .value_kind:     hidden_global_offset_x
      - .offset:         152
        .size:           8
        .value_kind:     hidden_global_offset_y
      - .offset:         160
        .size:           8
        .value_kind:     hidden_global_offset_z
      - .offset:         168
        .size:           2
        .value_kind:     hidden_grid_dims
    .group_segment_fixed_size: 256
    .kernarg_segment_align: 8
    .kernarg_segment_size: 360
    .language:       OpenCL C
    .language_version:
      - 2
      - 0
    .max_flat_workgroup_size: 256
    .name:           _ZL23rocblas_gemvt_sn_kernelILb0ELi256ELi4Ei19rocblas_complex_numIfES1_S1_EviiT4_lPKT3_lilS5_lilPT5_i
    .private_segment_fixed_size: 48
    .sgpr_count:     52
    .sgpr_spill_count: 0
    .symbol:         _ZL23rocblas_gemvt_sn_kernelILb0ELi256ELi4Ei19rocblas_complex_numIfES1_S1_EviiT4_lPKT3_lilS5_lilPT5_i.kd
    .uniform_work_group_size: 1
    .uses_dynamic_stack: false
    .vgpr_count:     84
    .vgpr_spill_count: 0
    .wavefront_size: 32
    .workgroup_processor_mode: 1
  - .args:
      - .offset:         0
        .size:           4
        .value_kind:     by_value
      - .offset:         4
        .size:           4
        .value_kind:     by_value
      - .offset:         8
        .size:           8
        .value_kind:     by_value
      - .offset:         16
        .size:           8
        .value_kind:     by_value
      - .address_space:  global
        .offset:         24
        .size:           8
        .value_kind:     global_buffer
      - .offset:         32
        .size:           8
        .value_kind:     by_value
      - .offset:         40
        .size:           4
        .value_kind:     by_value
      - .offset:         48
        .size:           8
        .value_kind:     by_value
      - .address_space:  global
        .offset:         56
        .size:           8
        .value_kind:     global_buffer
      - .offset:         64
        .size:           8
        .value_kind:     by_value
      - .offset:         72
        .size:           4
        .value_kind:     by_value
      - .offset:         80
        .size:           8
        .value_kind:     by_value
      - .address_space:  global
        .offset:         88
        .size:           8
        .value_kind:     global_buffer
      - .offset:         96
        .size:           4
        .value_kind:     by_value
      - .offset:         104
        .size:           4
        .value_kind:     hidden_block_count_x
      - .offset:         108
        .size:           4
        .value_kind:     hidden_block_count_y
      - .offset:         112
        .size:           4
        .value_kind:     hidden_block_count_z
      - .offset:         116
        .size:           2
        .value_kind:     hidden_group_size_x
      - .offset:         118
        .size:           2
        .value_kind:     hidden_group_size_y
      - .offset:         120
        .size:           2
        .value_kind:     hidden_group_size_z
      - .offset:         122
        .size:           2
        .value_kind:     hidden_remainder_x
      - .offset:         124
        .size:           2
        .value_kind:     hidden_remainder_y
      - .offset:         126
        .size:           2
        .value_kind:     hidden_remainder_z
      - .offset:         144
        .size:           8
        .value_kind:     hidden_global_offset_x
      - .offset:         152
        .size:           8
        .value_kind:     hidden_global_offset_y
      - .offset:         160
        .size:           8
        .value_kind:     hidden_global_offset_z
      - .offset:         168
        .size:           2
        .value_kind:     hidden_grid_dims
    .group_segment_fixed_size: 256
    .kernarg_segment_align: 8
    .kernarg_segment_size: 360
    .language:       OpenCL C
    .language_version:
      - 2
      - 0
    .max_flat_workgroup_size: 256
    .name:           _ZL23rocblas_gemvt_sn_kernelILb0ELi256ELi4El19rocblas_complex_numIfES1_S1_EviiT4_lPKT3_lilS5_lilPT5_i
    .private_segment_fixed_size: 48
    .sgpr_count:     58
    .sgpr_spill_count: 0
    .symbol:         _ZL23rocblas_gemvt_sn_kernelILb0ELi256ELi4El19rocblas_complex_numIfES1_S1_EviiT4_lPKT3_lilS5_lilPT5_i.kd
    .uniform_work_group_size: 1
    .uses_dynamic_stack: false
    .vgpr_count:     92
    .vgpr_spill_count: 0
    .wavefront_size: 32
    .workgroup_processor_mode: 1
  - .args:
      - .offset:         0
        .size:           4
        .value_kind:     by_value
      - .offset:         4
        .size:           8
        .value_kind:     by_value
      - .offset:         16
        .size:           8
        .value_kind:     by_value
      - .address_space:  global
        .offset:         24
        .size:           8
        .value_kind:     global_buffer
      - .offset:         32
        .size:           8
        .value_kind:     by_value
      - .offset:         40
        .size:           4
        .value_kind:     by_value
      - .offset:         48
        .size:           8
        .value_kind:     by_value
      - .actual_access:  read_only
        .address_space:  global
        .offset:         56
        .size:           8
        .value_kind:     global_buffer
      - .offset:         64
        .size:           4
        .value_kind:     by_value
      - .offset:         72
        .size:           4
        .value_kind:     hidden_block_count_x
      - .offset:         76
        .size:           4
        .value_kind:     hidden_block_count_y
      - .offset:         80
        .size:           4
        .value_kind:     hidden_block_count_z
      - .offset:         84
        .size:           2
        .value_kind:     hidden_group_size_x
      - .offset:         86
        .size:           2
        .value_kind:     hidden_group_size_y
      - .offset:         88
        .size:           2
        .value_kind:     hidden_group_size_z
      - .offset:         90
        .size:           2
        .value_kind:     hidden_remainder_x
      - .offset:         92
        .size:           2
        .value_kind:     hidden_remainder_y
      - .offset:         94
        .size:           2
        .value_kind:     hidden_remainder_z
      - .offset:         112
        .size:           8
        .value_kind:     hidden_global_offset_x
      - .offset:         120
        .size:           8
        .value_kind:     hidden_global_offset_y
      - .offset:         128
        .size:           8
        .value_kind:     hidden_global_offset_z
      - .offset:         136
        .size:           2
        .value_kind:     hidden_grid_dims
    .group_segment_fixed_size: 256
    .kernarg_segment_align: 8
    .kernarg_segment_size: 328
    .language:       OpenCL C
    .language_version:
      - 2
      - 0
    .max_flat_workgroup_size: 256
    .name:           _ZL23rocblas_gemvt_sn_reduceILi256ELi8E19rocblas_complex_numIfES1_S1_EviT2_lPT3_lilPT1_i
    .private_segment_fixed_size: 0
    .sgpr_count:     20
    .sgpr_spill_count: 0
    .symbol:         _ZL23rocblas_gemvt_sn_reduceILi256ELi8E19rocblas_complex_numIfES1_S1_EviT2_lPT3_lilPT1_i.kd
    .uniform_work_group_size: 1
    .uses_dynamic_stack: false
    .vgpr_count:     22
    .vgpr_spill_count: 0
    .wavefront_size: 32
    .workgroup_processor_mode: 1
  - .args:
      - .offset:         0
        .size:           4
        .value_kind:     by_value
      - .offset:         4
        .size:           4
        .value_kind:     by_value
      - .address_space:  global
        .offset:         8
        .size:           8
        .value_kind:     global_buffer
      - .offset:         16
        .size:           8
        .value_kind:     by_value
      - .address_space:  global
        .offset:         24
        .size:           8
        .value_kind:     global_buffer
      - .offset:         32
        .size:           8
        .value_kind:     by_value
      - .offset:         40
        .size:           4
        .value_kind:     by_value
      - .offset:         48
        .size:           8
        .value_kind:     by_value
      - .address_space:  global
        .offset:         56
        .size:           8
        .value_kind:     global_buffer
      - .offset:         64
        .size:           8
        .value_kind:     by_value
      - .offset:         72
        .size:           4
        .value_kind:     by_value
      - .offset:         80
        .size:           8
        .value_kind:     by_value
      - .address_space:  global
        .offset:         88
        .size:           8
        .value_kind:     global_buffer
      - .offset:         96
        .size:           8
        .value_kind:     by_value
      - .address_space:  global
        .offset:         104
        .size:           8
        .value_kind:     global_buffer
      - .offset:         112
        .size:           8
        .value_kind:     by_value
      - .offset:         120
        .size:           4
        .value_kind:     by_value
      - .offset:         128
        .size:           8
        .value_kind:     by_value
      - .offset:         136
        .size:           4
        .value_kind:     by_value
    .group_segment_fixed_size: 256
    .kernarg_segment_align: 8
    .kernarg_segment_size: 140
    .language:       OpenCL C
    .language_version:
      - 2
      - 0
    .max_flat_workgroup_size: 256
    .name:           _ZL32rocblas_gemvt_warp_reduce_kernelILb0ELi256Ei19rocblas_complex_numIfEPKS1_S1_EviiT3_lPKT2_lT1_lS7_lS8_lS4_lPT4_lS8_li
    .private_segment_fixed_size: 0
    .sgpr_count:     28
    .sgpr_spill_count: 0
    .symbol:         _ZL32rocblas_gemvt_warp_reduce_kernelILb0ELi256Ei19rocblas_complex_numIfEPKS1_S1_EviiT3_lPKT2_lT1_lS7_lS8_lS4_lPT4_lS8_li.kd
    .uniform_work_group_size: 1
    .uses_dynamic_stack: false
    .vgpr_count:     14
    .vgpr_spill_count: 0
    .wavefront_size: 32
    .workgroup_processor_mode: 1
  - .args:
      - .offset:         0
        .size:           4
        .value_kind:     by_value
      - .offset:         4
        .size:           4
        .value_kind:     by_value
      - .address_space:  global
        .offset:         8
        .size:           8
        .value_kind:     global_buffer
      - .offset:         16
        .size:           8
        .value_kind:     by_value
      - .address_space:  global
        .offset:         24
        .size:           8
        .value_kind:     global_buffer
      - .offset:         32
        .size:           8
        .value_kind:     by_value
      - .offset:         40
        .size:           8
        .value_kind:     by_value
      - .offset:         48
        .size:           8
        .value_kind:     by_value
      - .address_space:  global
        .offset:         56
        .size:           8
        .value_kind:     global_buffer
      - .offset:         64
        .size:           8
        .value_kind:     by_value
      - .offset:         72
        .size:           8
        .value_kind:     by_value
      - .offset:         80
        .size:           8
        .value_kind:     by_value
      - .address_space:  global
        .offset:         88
        .size:           8
        .value_kind:     global_buffer
      - .offset:         96
        .size:           8
        .value_kind:     by_value
      - .address_space:  global
        .offset:         104
        .size:           8
        .value_kind:     global_buffer
      - .offset:         112
        .size:           8
        .value_kind:     by_value
      - .offset:         120
        .size:           8
        .value_kind:     by_value
      - .offset:         128
        .size:           8
        .value_kind:     by_value
      - .offset:         136
        .size:           4
        .value_kind:     by_value
    .group_segment_fixed_size: 256
    .kernarg_segment_align: 8
    .kernarg_segment_size: 140
    .language:       OpenCL C
    .language_version:
      - 2
      - 0
    .max_flat_workgroup_size: 256
    .name:           _ZL32rocblas_gemvt_warp_reduce_kernelILb0ELi256El19rocblas_complex_numIfEPKS1_S1_EviiT3_lPKT2_lT1_lS7_lS8_lS4_lPT4_lS8_li
    .private_segment_fixed_size: 0
    .sgpr_count:     54
    .sgpr_spill_count: 0
    .symbol:         _ZL32rocblas_gemvt_warp_reduce_kernelILb0ELi256El19rocblas_complex_numIfEPKS1_S1_EviiT3_lPKT2_lT1_lS7_lS8_lS4_lPT4_lS8_li.kd
    .uniform_work_group_size: 1
    .uses_dynamic_stack: false
    .vgpr_count:     15
    .vgpr_spill_count: 0
    .wavefront_size: 32
    .workgroup_processor_mode: 1
  - .args:
      - .offset:         0
        .size:           4
        .value_kind:     by_value
      - .offset:         4
        .size:           4
        .value_kind:     by_value
      - .offset:         8
        .size:           8
        .value_kind:     by_value
      - .offset:         16
        .size:           8
        .value_kind:     by_value
      - .address_space:  global
        .offset:         24
        .size:           8
        .value_kind:     global_buffer
      - .offset:         32
        .size:           8
        .value_kind:     by_value
      - .offset:         40
        .size:           4
        .value_kind:     by_value
      - .offset:         48
        .size:           8
        .value_kind:     by_value
      - .address_space:  global
        .offset:         56
        .size:           8
        .value_kind:     global_buffer
      - .offset:         64
        .size:           8
        .value_kind:     by_value
      - .offset:         72
        .size:           4
        .value_kind:     by_value
      - .offset:         80
        .size:           8
        .value_kind:     by_value
      - .offset:         88
        .size:           8
        .value_kind:     by_value
      - .offset:         96
        .size:           8
        .value_kind:     by_value
      - .address_space:  global
        .offset:         104
        .size:           8
        .value_kind:     global_buffer
      - .offset:         112
        .size:           8
        .value_kind:     by_value
      - .offset:         120
        .size:           4
        .value_kind:     by_value
      - .offset:         128
        .size:           8
        .value_kind:     by_value
      - .offset:         136
        .size:           4
        .value_kind:     by_value
    .group_segment_fixed_size: 256
    .kernarg_segment_align: 8
    .kernarg_segment_size: 140
    .language:       OpenCL C
    .language_version:
      - 2
      - 0
    .max_flat_workgroup_size: 256
    .name:           _ZL32rocblas_gemvt_warp_reduce_kernelILb0ELi256Ei19rocblas_complex_numIfES1_S1_EviiT3_lPKT2_lT1_lS5_lS6_lS2_lPT4_lS6_li
    .private_segment_fixed_size: 0
    .sgpr_count:     29
    .sgpr_spill_count: 0
    .symbol:         _ZL32rocblas_gemvt_warp_reduce_kernelILb0ELi256Ei19rocblas_complex_numIfES1_S1_EviiT3_lPKT2_lT1_lS5_lS6_lS2_lPT4_lS6_li.kd
    .uniform_work_group_size: 1
    .uses_dynamic_stack: false
    .vgpr_count:     14
    .vgpr_spill_count: 0
    .wavefront_size: 32
    .workgroup_processor_mode: 1
  - .args:
      - .offset:         0
        .size:           4
        .value_kind:     by_value
      - .offset:         4
        .size:           4
        .value_kind:     by_value
      - .offset:         8
        .size:           8
        .value_kind:     by_value
      - .offset:         16
        .size:           8
        .value_kind:     by_value
      - .address_space:  global
        .offset:         24
        .size:           8
        .value_kind:     global_buffer
      - .offset:         32
        .size:           8
        .value_kind:     by_value
      - .offset:         40
        .size:           8
        .value_kind:     by_value
      - .offset:         48
        .size:           8
        .value_kind:     by_value
      - .address_space:  global
        .offset:         56
        .size:           8
        .value_kind:     global_buffer
      - .offset:         64
        .size:           8
        .value_kind:     by_value
      - .offset:         72
        .size:           8
        .value_kind:     by_value
      - .offset:         80
        .size:           8
        .value_kind:     by_value
      - .offset:         88
        .size:           8
        .value_kind:     by_value
      - .offset:         96
        .size:           8
        .value_kind:     by_value
      - .address_space:  global
        .offset:         104
        .size:           8
        .value_kind:     global_buffer
      - .offset:         112
        .size:           8
        .value_kind:     by_value
      - .offset:         120
        .size:           8
        .value_kind:     by_value
      - .offset:         128
        .size:           8
        .value_kind:     by_value
      - .offset:         136
        .size:           4
        .value_kind:     by_value
    .group_segment_fixed_size: 256
    .kernarg_segment_align: 8
    .kernarg_segment_size: 140
    .language:       OpenCL C
    .language_version:
      - 2
      - 0
    .max_flat_workgroup_size: 256
    .name:           _ZL32rocblas_gemvt_warp_reduce_kernelILb0ELi256El19rocblas_complex_numIfES1_S1_EviiT3_lPKT2_lT1_lS5_lS6_lS2_lPT4_lS6_li
    .private_segment_fixed_size: 0
    .sgpr_count:     37
    .sgpr_spill_count: 0
    .symbol:         _ZL32rocblas_gemvt_warp_reduce_kernelILb0ELi256El19rocblas_complex_numIfES1_S1_EviiT3_lPKT2_lT1_lS5_lS6_lS2_lPT4_lS6_li.kd
    .uniform_work_group_size: 1
    .uses_dynamic_stack: false
    .vgpr_count:     15
    .vgpr_spill_count: 0
    .wavefront_size: 32
    .workgroup_processor_mode: 1
  - .args:
      - .offset:         0
        .size:           4
        .value_kind:     by_value
      - .offset:         4
        .size:           4
        .value_kind:     by_value
      - .address_space:  global
        .offset:         8
        .size:           8
        .value_kind:     global_buffer
      - .offset:         16
        .size:           8
        .value_kind:     by_value
      - .address_space:  global
        .offset:         24
        .size:           8
        .value_kind:     global_buffer
      - .offset:         32
        .size:           8
        .value_kind:     by_value
      - .offset:         40
        .size:           4
        .value_kind:     by_value
      - .offset:         48
        .size:           8
        .value_kind:     by_value
      - .address_space:  global
        .offset:         56
        .size:           8
        .value_kind:     global_buffer
      - .offset:         64
        .size:           8
        .value_kind:     by_value
      - .offset:         72
        .size:           4
        .value_kind:     by_value
      - .offset:         80
        .size:           8
        .value_kind:     by_value
      - .address_space:  global
        .offset:         88
        .size:           8
        .value_kind:     global_buffer
      - .offset:         96
        .size:           8
        .value_kind:     by_value
      - .address_space:  global
        .offset:         104
        .size:           8
        .value_kind:     global_buffer
      - .offset:         112
        .size:           8
        .value_kind:     by_value
      - .offset:         120
        .size:           4
        .value_kind:     by_value
      - .offset:         128
        .size:           8
        .value_kind:     by_value
      - .offset:         136
        .size:           4
        .value_kind:     by_value
    .group_segment_fixed_size: 2048
    .kernarg_segment_align: 8
    .kernarg_segment_size: 140
    .language:       OpenCL C
    .language_version:
      - 2
      - 0
    .max_flat_workgroup_size: 256
    .name:           _ZL20rocblas_gemvt_kernelILb0ELi256E19rocblas_complex_numIfEPKS1_S1_EviiT2_lPKT1_lilS7_lilS4_lPT3_lili
    .private_segment_fixed_size: 0
    .sgpr_count:     28
    .sgpr_spill_count: 0
    .symbol:         _ZL20rocblas_gemvt_kernelILb0ELi256E19rocblas_complex_numIfEPKS1_S1_EviiT2_lPKT1_lilS7_lilS4_lPT3_lili.kd
    .uniform_work_group_size: 1
    .uses_dynamic_stack: false
    .vgpr_count:     14
    .vgpr_spill_count: 0
    .wavefront_size: 32
    .workgroup_processor_mode: 1
  - .args:
      - .offset:         0
        .size:           4
        .value_kind:     by_value
      - .offset:         4
        .size:           4
        .value_kind:     by_value
      - .offset:         8
        .size:           8
        .value_kind:     by_value
      - .offset:         16
        .size:           8
        .value_kind:     by_value
      - .address_space:  global
        .offset:         24
        .size:           8
        .value_kind:     global_buffer
      - .offset:         32
        .size:           8
        .value_kind:     by_value
      - .offset:         40
        .size:           4
        .value_kind:     by_value
      - .offset:         48
        .size:           8
        .value_kind:     by_value
      - .address_space:  global
        .offset:         56
        .size:           8
        .value_kind:     global_buffer
      - .offset:         64
        .size:           8
        .value_kind:     by_value
      - .offset:         72
        .size:           4
        .value_kind:     by_value
      - .offset:         80
        .size:           8
        .value_kind:     by_value
      - .offset:         88
        .size:           8
        .value_kind:     by_value
      - .offset:         96
        .size:           8
        .value_kind:     by_value
      - .address_space:  global
        .offset:         104
        .size:           8
        .value_kind:     global_buffer
      - .offset:         112
        .size:           8
        .value_kind:     by_value
      - .offset:         120
        .size:           4
        .value_kind:     by_value
      - .offset:         128
        .size:           8
        .value_kind:     by_value
      - .offset:         136
        .size:           4
        .value_kind:     by_value
    .group_segment_fixed_size: 2048
    .kernarg_segment_align: 8
    .kernarg_segment_size: 140
    .language:       OpenCL C
    .language_version:
      - 2
      - 0
    .max_flat_workgroup_size: 256
    .name:           _ZL20rocblas_gemvt_kernelILb0ELi256E19rocblas_complex_numIfES1_S1_EviiT2_lPKT1_lilS5_lilS2_lPT3_lili
    .private_segment_fixed_size: 0
    .sgpr_count:     32
    .sgpr_spill_count: 0
    .symbol:         _ZL20rocblas_gemvt_kernelILb0ELi256E19rocblas_complex_numIfES1_S1_EviiT2_lPKT1_lilS5_lilS2_lPT3_lili.kd
    .uniform_work_group_size: 1
    .uses_dynamic_stack: false
    .vgpr_count:     14
    .vgpr_spill_count: 0
    .wavefront_size: 32
    .workgroup_processor_mode: 1
  - .args:
      - .offset:         0
        .size:           4
        .value_kind:     by_value
      - .offset:         4
        .size:           4
        .value_kind:     by_value
      - .address_space:  global
        .offset:         8
        .size:           8
        .value_kind:     global_buffer
      - .offset:         16
        .size:           8
        .value_kind:     by_value
      - .address_space:  global
        .offset:         24
        .size:           8
        .value_kind:     global_buffer
      - .offset:         32
        .size:           8
        .value_kind:     by_value
      - .offset:         40
        .size:           4
        .value_kind:     by_value
      - .offset:         48
        .size:           8
        .value_kind:     by_value
      - .address_space:  global
        .offset:         56
        .size:           8
        .value_kind:     global_buffer
      - .offset:         64
        .size:           8
        .value_kind:     by_value
      - .offset:         72
        .size:           4
        .value_kind:     by_value
      - .offset:         80
        .size:           8
        .value_kind:     by_value
      - .address_space:  global
        .offset:         88
        .size:           8
        .value_kind:     global_buffer
      - .offset:         96
        .size:           8
        .value_kind:     by_value
      - .address_space:  global
        .offset:         104
        .size:           8
        .value_kind:     global_buffer
      - .offset:         112
        .size:           8
        .value_kind:     by_value
      - .offset:         120
        .size:           4
        .value_kind:     by_value
      - .offset:         128
        .size:           8
        .value_kind:     by_value
      - .offset:         136
        .size:           4
        .value_kind:     by_value
    .group_segment_fixed_size: 256
    .kernarg_segment_align: 8
    .kernarg_segment_size: 140
    .language:       OpenCL C
    .language_version:
      - 2
      - 0
    .max_flat_workgroup_size: 1024
    .name:           _ZL32rocblas_gemvt_warp_reduce_kernelILb0ELi1024Ei19rocblas_complex_numIfEPKS1_S1_EviiT3_lPKT2_lT1_lS7_lS8_lS4_lPT4_lS8_li
    .private_segment_fixed_size: 0
    .sgpr_count:     28
    .sgpr_spill_count: 0
    .symbol:         _ZL32rocblas_gemvt_warp_reduce_kernelILb0ELi1024Ei19rocblas_complex_numIfEPKS1_S1_EviiT3_lPKT2_lT1_lS7_lS8_lS4_lPT4_lS8_li.kd
    .uniform_work_group_size: 1
    .uses_dynamic_stack: false
    .vgpr_count:     14
    .vgpr_spill_count: 0
    .wavefront_size: 32
    .workgroup_processor_mode: 1
  - .args:
      - .offset:         0
        .size:           4
        .value_kind:     by_value
      - .offset:         4
        .size:           4
        .value_kind:     by_value
      - .address_space:  global
        .offset:         8
        .size:           8
        .value_kind:     global_buffer
      - .offset:         16
        .size:           8
        .value_kind:     by_value
      - .address_space:  global
        .offset:         24
        .size:           8
        .value_kind:     global_buffer
      - .offset:         32
        .size:           8
        .value_kind:     by_value
      - .offset:         40
        .size:           8
        .value_kind:     by_value
      - .offset:         48
        .size:           8
        .value_kind:     by_value
      - .address_space:  global
        .offset:         56
        .size:           8
        .value_kind:     global_buffer
      - .offset:         64
        .size:           8
        .value_kind:     by_value
      - .offset:         72
        .size:           8
        .value_kind:     by_value
      - .offset:         80
        .size:           8
        .value_kind:     by_value
      - .address_space:  global
        .offset:         88
        .size:           8
        .value_kind:     global_buffer
      - .offset:         96
        .size:           8
        .value_kind:     by_value
      - .address_space:  global
        .offset:         104
        .size:           8
        .value_kind:     global_buffer
      - .offset:         112
        .size:           8
        .value_kind:     by_value
      - .offset:         120
        .size:           8
        .value_kind:     by_value
      - .offset:         128
        .size:           8
        .value_kind:     by_value
      - .offset:         136
        .size:           4
        .value_kind:     by_value
    .group_segment_fixed_size: 256
    .kernarg_segment_align: 8
    .kernarg_segment_size: 140
    .language:       OpenCL C
    .language_version:
      - 2
      - 0
    .max_flat_workgroup_size: 1024
    .name:           _ZL32rocblas_gemvt_warp_reduce_kernelILb0ELi1024El19rocblas_complex_numIfEPKS1_S1_EviiT3_lPKT2_lT1_lS7_lS8_lS4_lPT4_lS8_li
    .private_segment_fixed_size: 0
    .sgpr_count:     54
    .sgpr_spill_count: 0
    .symbol:         _ZL32rocblas_gemvt_warp_reduce_kernelILb0ELi1024El19rocblas_complex_numIfEPKS1_S1_EviiT3_lPKT2_lT1_lS7_lS8_lS4_lPT4_lS8_li.kd
    .uniform_work_group_size: 1
    .uses_dynamic_stack: false
    .vgpr_count:     15
    .vgpr_spill_count: 0
    .wavefront_size: 32
    .workgroup_processor_mode: 1
  - .args:
      - .offset:         0
        .size:           4
        .value_kind:     by_value
      - .offset:         4
        .size:           4
        .value_kind:     by_value
      - .offset:         8
        .size:           8
        .value_kind:     by_value
      - .offset:         16
        .size:           8
        .value_kind:     by_value
      - .address_space:  global
        .offset:         24
        .size:           8
        .value_kind:     global_buffer
      - .offset:         32
        .size:           8
        .value_kind:     by_value
      - .offset:         40
        .size:           4
        .value_kind:     by_value
      - .offset:         48
        .size:           8
        .value_kind:     by_value
      - .address_space:  global
        .offset:         56
        .size:           8
        .value_kind:     global_buffer
      - .offset:         64
        .size:           8
        .value_kind:     by_value
      - .offset:         72
        .size:           4
        .value_kind:     by_value
      - .offset:         80
        .size:           8
        .value_kind:     by_value
      - .offset:         88
        .size:           8
        .value_kind:     by_value
      - .offset:         96
        .size:           8
        .value_kind:     by_value
      - .address_space:  global
        .offset:         104
        .size:           8
        .value_kind:     global_buffer
      - .offset:         112
        .size:           8
        .value_kind:     by_value
      - .offset:         120
        .size:           4
        .value_kind:     by_value
      - .offset:         128
        .size:           8
        .value_kind:     by_value
      - .offset:         136
        .size:           4
        .value_kind:     by_value
    .group_segment_fixed_size: 256
    .kernarg_segment_align: 8
    .kernarg_segment_size: 140
    .language:       OpenCL C
    .language_version:
      - 2
      - 0
    .max_flat_workgroup_size: 1024
    .name:           _ZL32rocblas_gemvt_warp_reduce_kernelILb0ELi1024Ei19rocblas_complex_numIfES1_S1_EviiT3_lPKT2_lT1_lS5_lS6_lS2_lPT4_lS6_li
    .private_segment_fixed_size: 0
    .sgpr_count:     29
    .sgpr_spill_count: 0
    .symbol:         _ZL32rocblas_gemvt_warp_reduce_kernelILb0ELi1024Ei19rocblas_complex_numIfES1_S1_EviiT3_lPKT2_lT1_lS5_lS6_lS2_lPT4_lS6_li.kd
    .uniform_work_group_size: 1
    .uses_dynamic_stack: false
    .vgpr_count:     14
    .vgpr_spill_count: 0
    .wavefront_size: 32
    .workgroup_processor_mode: 1
  - .args:
      - .offset:         0
        .size:           4
        .value_kind:     by_value
      - .offset:         4
        .size:           4
        .value_kind:     by_value
      - .offset:         8
        .size:           8
        .value_kind:     by_value
      - .offset:         16
        .size:           8
        .value_kind:     by_value
      - .address_space:  global
        .offset:         24
        .size:           8
        .value_kind:     global_buffer
      - .offset:         32
        .size:           8
        .value_kind:     by_value
      - .offset:         40
        .size:           8
        .value_kind:     by_value
      - .offset:         48
        .size:           8
        .value_kind:     by_value
      - .address_space:  global
        .offset:         56
        .size:           8
        .value_kind:     global_buffer
      - .offset:         64
        .size:           8
        .value_kind:     by_value
      - .offset:         72
        .size:           8
        .value_kind:     by_value
      - .offset:         80
        .size:           8
        .value_kind:     by_value
      - .offset:         88
        .size:           8
        .value_kind:     by_value
      - .offset:         96
        .size:           8
        .value_kind:     by_value
      - .address_space:  global
        .offset:         104
        .size:           8
        .value_kind:     global_buffer
      - .offset:         112
        .size:           8
        .value_kind:     by_value
      - .offset:         120
        .size:           8
        .value_kind:     by_value
      - .offset:         128
        .size:           8
        .value_kind:     by_value
      - .offset:         136
        .size:           4
        .value_kind:     by_value
    .group_segment_fixed_size: 256
    .kernarg_segment_align: 8
    .kernarg_segment_size: 140
    .language:       OpenCL C
    .language_version:
      - 2
      - 0
    .max_flat_workgroup_size: 1024
    .name:           _ZL32rocblas_gemvt_warp_reduce_kernelILb0ELi1024El19rocblas_complex_numIfES1_S1_EviiT3_lPKT2_lT1_lS5_lS6_lS2_lPT4_lS6_li
    .private_segment_fixed_size: 0
    .sgpr_count:     37
    .sgpr_spill_count: 0
    .symbol:         _ZL32rocblas_gemvt_warp_reduce_kernelILb0ELi1024El19rocblas_complex_numIfES1_S1_EviiT3_lPKT2_lT1_lS5_lS6_lS2_lPT4_lS6_li.kd
    .uniform_work_group_size: 1
    .uses_dynamic_stack: false
    .vgpr_count:     15
    .vgpr_spill_count: 0
    .wavefront_size: 32
    .workgroup_processor_mode: 1
  - .args:
      - .offset:         0
        .size:           4
        .value_kind:     by_value
      - .offset:         4
        .size:           4
        .value_kind:     by_value
      - .address_space:  global
        .offset:         8
        .size:           8
        .value_kind:     global_buffer
      - .offset:         16
        .size:           8
        .value_kind:     by_value
      - .address_space:  global
        .offset:         24
        .size:           8
        .value_kind:     global_buffer
      - .offset:         32
        .size:           8
        .value_kind:     by_value
      - .offset:         40
        .size:           4
        .value_kind:     by_value
      - .offset:         48
        .size:           8
        .value_kind:     by_value
      - .address_space:  global
        .offset:         56
        .size:           8
        .value_kind:     global_buffer
      - .offset:         64
        .size:           8
        .value_kind:     by_value
      - .offset:         72
        .size:           4
        .value_kind:     by_value
      - .offset:         80
        .size:           8
        .value_kind:     by_value
      - .address_space:  global
        .offset:         88
        .size:           8
        .value_kind:     global_buffer
      - .offset:         96
        .size:           8
        .value_kind:     by_value
      - .address_space:  global
        .offset:         104
        .size:           8
        .value_kind:     global_buffer
      - .offset:         112
        .size:           8
        .value_kind:     by_value
      - .offset:         120
        .size:           4
        .value_kind:     by_value
      - .offset:         128
        .size:           8
        .value_kind:     by_value
    .group_segment_fixed_size: 512
    .kernarg_segment_align: 8
    .kernarg_segment_size: 136
    .language:       OpenCL C
    .language_version:
      - 2
      - 0
    .max_flat_workgroup_size: 256
    .name:           _ZL22rocblas_gemvtsm_kernelILb1ELi256E19rocblas_complex_numIfEPKS1_S1_EviiT2_lPKT1_lilS7_lilS4_lPT3_lil
    .private_segment_fixed_size: 0
    .sgpr_count:     33
    .sgpr_spill_count: 0
    .symbol:         _ZL22rocblas_gemvtsm_kernelILb1ELi256E19rocblas_complex_numIfEPKS1_S1_EviiT2_lPKT1_lilS7_lilS4_lPT3_lil.kd
    .uniform_work_group_size: 1
    .uses_dynamic_stack: false
    .vgpr_count:     51
    .vgpr_spill_count: 0
    .wavefront_size: 32
    .workgroup_processor_mode: 1
  - .args:
      - .offset:         0
        .size:           4
        .value_kind:     by_value
      - .offset:         4
        .size:           4
        .value_kind:     by_value
      - .offset:         8
        .size:           8
        .value_kind:     by_value
      - .offset:         16
        .size:           8
        .value_kind:     by_value
      - .address_space:  global
        .offset:         24
        .size:           8
        .value_kind:     global_buffer
      - .offset:         32
        .size:           8
        .value_kind:     by_value
      - .offset:         40
        .size:           4
        .value_kind:     by_value
      - .offset:         48
        .size:           8
        .value_kind:     by_value
      - .address_space:  global
        .offset:         56
        .size:           8
        .value_kind:     global_buffer
      - .offset:         64
        .size:           8
        .value_kind:     by_value
      - .offset:         72
        .size:           4
        .value_kind:     by_value
      - .offset:         80
        .size:           8
        .value_kind:     by_value
      - .offset:         88
        .size:           8
        .value_kind:     by_value
      - .offset:         96
        .size:           8
        .value_kind:     by_value
      - .address_space:  global
        .offset:         104
        .size:           8
        .value_kind:     global_buffer
      - .offset:         112
        .size:           8
        .value_kind:     by_value
      - .offset:         120
        .size:           4
        .value_kind:     by_value
      - .offset:         128
        .size:           8
        .value_kind:     by_value
    .group_segment_fixed_size: 512
    .kernarg_segment_align: 8
    .kernarg_segment_size: 136
    .language:       OpenCL C
    .language_version:
      - 2
      - 0
    .max_flat_workgroup_size: 256
    .name:           _ZL22rocblas_gemvtsm_kernelILb1ELi256E19rocblas_complex_numIfES1_S1_EviiT2_lPKT1_lilS5_lilS2_lPT3_lil
    .private_segment_fixed_size: 0
    .sgpr_count:     29
    .sgpr_spill_count: 0
    .symbol:         _ZL22rocblas_gemvtsm_kernelILb1ELi256E19rocblas_complex_numIfES1_S1_EviiT2_lPKT1_lilS5_lilS2_lPT3_lil.kd
    .uniform_work_group_size: 1
    .uses_dynamic_stack: false
    .vgpr_count:     51
    .vgpr_spill_count: 0
    .wavefront_size: 32
    .workgroup_processor_mode: 1
  - .args:
      - .offset:         0
        .size:           4
        .value_kind:     by_value
      - .offset:         4
        .size:           4
        .value_kind:     by_value
      - .address_space:  global
        .offset:         8
        .size:           8
        .value_kind:     global_buffer
      - .offset:         16
        .size:           8
        .value_kind:     by_value
      - .address_space:  global
        .offset:         24
        .size:           8
        .value_kind:     global_buffer
      - .offset:         32
        .size:           8
        .value_kind:     by_value
      - .offset:         40
        .size:           4
        .value_kind:     by_value
      - .offset:         48
        .size:           8
        .value_kind:     by_value
      - .address_space:  global
        .offset:         56
        .size:           8
        .value_kind:     global_buffer
      - .offset:         64
        .size:           8
        .value_kind:     by_value
      - .offset:         72
        .size:           4
        .value_kind:     by_value
      - .offset:         80
        .size:           8
        .value_kind:     by_value
      - .address_space:  global
        .offset:         88
        .size:           8
        .value_kind:     global_buffer
      - .offset:         96
        .size:           4
        .value_kind:     by_value
      - .offset:         104
        .size:           4
        .value_kind:     hidden_block_count_x
      - .offset:         108
        .size:           4
        .value_kind:     hidden_block_count_y
      - .offset:         112
        .size:           4
        .value_kind:     hidden_block_count_z
      - .offset:         116
        .size:           2
        .value_kind:     hidden_group_size_x
      - .offset:         118
        .size:           2
        .value_kind:     hidden_group_size_y
      - .offset:         120
        .size:           2
        .value_kind:     hidden_group_size_z
      - .offset:         122
        .size:           2
        .value_kind:     hidden_remainder_x
      - .offset:         124
        .size:           2
        .value_kind:     hidden_remainder_y
      - .offset:         126
        .size:           2
        .value_kind:     hidden_remainder_z
      - .offset:         144
        .size:           8
        .value_kind:     hidden_global_offset_x
      - .offset:         152
        .size:           8
        .value_kind:     hidden_global_offset_y
      - .offset:         160
        .size:           8
        .value_kind:     hidden_global_offset_z
      - .offset:         168
        .size:           2
        .value_kind:     hidden_grid_dims
    .group_segment_fixed_size: 256
    .kernarg_segment_align: 8
    .kernarg_segment_size: 360
    .language:       OpenCL C
    .language_version:
      - 2
      - 0
    .max_flat_workgroup_size: 256
    .name:           _ZL23rocblas_gemvt_sn_kernelILb1ELi256ELi4Ei19rocblas_complex_numIfEPKS1_S1_EviiT4_lPKT3_lilS7_lilPT5_i
    .private_segment_fixed_size: 48
    .sgpr_count:     52
    .sgpr_spill_count: 0
    .symbol:         _ZL23rocblas_gemvt_sn_kernelILb1ELi256ELi4Ei19rocblas_complex_numIfEPKS1_S1_EviiT4_lPKT3_lilS7_lilPT5_i.kd
    .uniform_work_group_size: 1
    .uses_dynamic_stack: false
    .vgpr_count:     84
    .vgpr_spill_count: 0
    .wavefront_size: 32
    .workgroup_processor_mode: 1
  - .args:
      - .offset:         0
        .size:           4
        .value_kind:     by_value
      - .offset:         4
        .size:           4
        .value_kind:     by_value
      - .address_space:  global
        .offset:         8
        .size:           8
        .value_kind:     global_buffer
      - .offset:         16
        .size:           8
        .value_kind:     by_value
      - .address_space:  global
        .offset:         24
        .size:           8
        .value_kind:     global_buffer
      - .offset:         32
        .size:           8
        .value_kind:     by_value
      - .offset:         40
        .size:           4
        .value_kind:     by_value
      - .offset:         48
        .size:           8
        .value_kind:     by_value
      - .address_space:  global
        .offset:         56
        .size:           8
        .value_kind:     global_buffer
      - .offset:         64
        .size:           8
        .value_kind:     by_value
      - .offset:         72
        .size:           4
        .value_kind:     by_value
      - .offset:         80
        .size:           8
        .value_kind:     by_value
      - .address_space:  global
        .offset:         88
        .size:           8
        .value_kind:     global_buffer
      - .offset:         96
        .size:           4
        .value_kind:     by_value
      - .offset:         104
        .size:           4
        .value_kind:     hidden_block_count_x
      - .offset:         108
        .size:           4
        .value_kind:     hidden_block_count_y
      - .offset:         112
        .size:           4
        .value_kind:     hidden_block_count_z
      - .offset:         116
        .size:           2
        .value_kind:     hidden_group_size_x
      - .offset:         118
        .size:           2
        .value_kind:     hidden_group_size_y
      - .offset:         120
        .size:           2
        .value_kind:     hidden_group_size_z
      - .offset:         122
        .size:           2
        .value_kind:     hidden_remainder_x
      - .offset:         124
        .size:           2
        .value_kind:     hidden_remainder_y
      - .offset:         126
        .size:           2
        .value_kind:     hidden_remainder_z
      - .offset:         144
        .size:           8
        .value_kind:     hidden_global_offset_x
      - .offset:         152
        .size:           8
        .value_kind:     hidden_global_offset_y
      - .offset:         160
        .size:           8
        .value_kind:     hidden_global_offset_z
      - .offset:         168
        .size:           2
        .value_kind:     hidden_grid_dims
    .group_segment_fixed_size: 256
    .kernarg_segment_align: 8
    .kernarg_segment_size: 360
    .language:       OpenCL C
    .language_version:
      - 2
      - 0
    .max_flat_workgroup_size: 256
    .name:           _ZL23rocblas_gemvt_sn_kernelILb1ELi256ELi4El19rocblas_complex_numIfEPKS1_S1_EviiT4_lPKT3_lilS7_lilPT5_i
    .private_segment_fixed_size: 48
    .sgpr_count:     54
    .sgpr_spill_count: 0
    .symbol:         _ZL23rocblas_gemvt_sn_kernelILb1ELi256ELi4El19rocblas_complex_numIfEPKS1_S1_EviiT4_lPKT3_lilS7_lilPT5_i.kd
    .uniform_work_group_size: 1
    .uses_dynamic_stack: false
    .vgpr_count:     92
    .vgpr_spill_count: 0
    .wavefront_size: 32
    .workgroup_processor_mode: 1
  - .args:
      - .offset:         0
        .size:           4
        .value_kind:     by_value
      - .offset:         4
        .size:           4
        .value_kind:     by_value
      - .offset:         8
        .size:           8
        .value_kind:     by_value
      - .offset:         16
        .size:           8
        .value_kind:     by_value
      - .address_space:  global
        .offset:         24
        .size:           8
        .value_kind:     global_buffer
      - .offset:         32
        .size:           8
        .value_kind:     by_value
      - .offset:         40
        .size:           4
        .value_kind:     by_value
      - .offset:         48
        .size:           8
        .value_kind:     by_value
      - .address_space:  global
        .offset:         56
        .size:           8
        .value_kind:     global_buffer
      - .offset:         64
        .size:           8
        .value_kind:     by_value
      - .offset:         72
        .size:           4
        .value_kind:     by_value
      - .offset:         80
        .size:           8
        .value_kind:     by_value
      - .address_space:  global
        .offset:         88
        .size:           8
        .value_kind:     global_buffer
      - .offset:         96
        .size:           4
        .value_kind:     by_value
      - .offset:         104
        .size:           4
        .value_kind:     hidden_block_count_x
      - .offset:         108
        .size:           4
        .value_kind:     hidden_block_count_y
      - .offset:         112
        .size:           4
        .value_kind:     hidden_block_count_z
      - .offset:         116
        .size:           2
        .value_kind:     hidden_group_size_x
      - .offset:         118
        .size:           2
        .value_kind:     hidden_group_size_y
      - .offset:         120
        .size:           2
        .value_kind:     hidden_group_size_z
      - .offset:         122
        .size:           2
        .value_kind:     hidden_remainder_x
      - .offset:         124
        .size:           2
        .value_kind:     hidden_remainder_y
      - .offset:         126
        .size:           2
        .value_kind:     hidden_remainder_z
      - .offset:         144
        .size:           8
        .value_kind:     hidden_global_offset_x
      - .offset:         152
        .size:           8
        .value_kind:     hidden_global_offset_y
      - .offset:         160
        .size:           8
        .value_kind:     hidden_global_offset_z
      - .offset:         168
        .size:           2
        .value_kind:     hidden_grid_dims
    .group_segment_fixed_size: 256
    .kernarg_segment_align: 8
    .kernarg_segment_size: 360
    .language:       OpenCL C
    .language_version:
      - 2
      - 0
    .max_flat_workgroup_size: 256
    .name:           _ZL23rocblas_gemvt_sn_kernelILb1ELi256ELi4Ei19rocblas_complex_numIfES1_S1_EviiT4_lPKT3_lilS5_lilPT5_i
    .private_segment_fixed_size: 48
    .sgpr_count:     52
    .sgpr_spill_count: 0
    .symbol:         _ZL23rocblas_gemvt_sn_kernelILb1ELi256ELi4Ei19rocblas_complex_numIfES1_S1_EviiT4_lPKT3_lilS5_lilPT5_i.kd
    .uniform_work_group_size: 1
    .uses_dynamic_stack: false
    .vgpr_count:     84
    .vgpr_spill_count: 0
    .wavefront_size: 32
    .workgroup_processor_mode: 1
  - .args:
      - .offset:         0
        .size:           4
        .value_kind:     by_value
      - .offset:         4
        .size:           4
        .value_kind:     by_value
      - .offset:         8
        .size:           8
        .value_kind:     by_value
      - .offset:         16
        .size:           8
        .value_kind:     by_value
      - .address_space:  global
        .offset:         24
        .size:           8
        .value_kind:     global_buffer
      - .offset:         32
        .size:           8
        .value_kind:     by_value
      - .offset:         40
        .size:           4
        .value_kind:     by_value
      - .offset:         48
        .size:           8
        .value_kind:     by_value
      - .address_space:  global
        .offset:         56
        .size:           8
        .value_kind:     global_buffer
      - .offset:         64
        .size:           8
        .value_kind:     by_value
      - .offset:         72
        .size:           4
        .value_kind:     by_value
      - .offset:         80
        .size:           8
        .value_kind:     by_value
      - .address_space:  global
        .offset:         88
        .size:           8
        .value_kind:     global_buffer
      - .offset:         96
        .size:           4
        .value_kind:     by_value
      - .offset:         104
        .size:           4
        .value_kind:     hidden_block_count_x
      - .offset:         108
        .size:           4
        .value_kind:     hidden_block_count_y
      - .offset:         112
        .size:           4
        .value_kind:     hidden_block_count_z
      - .offset:         116
        .size:           2
        .value_kind:     hidden_group_size_x
      - .offset:         118
        .size:           2
        .value_kind:     hidden_group_size_y
      - .offset:         120
        .size:           2
        .value_kind:     hidden_group_size_z
      - .offset:         122
        .size:           2
        .value_kind:     hidden_remainder_x
      - .offset:         124
        .size:           2
        .value_kind:     hidden_remainder_y
      - .offset:         126
        .size:           2
        .value_kind:     hidden_remainder_z
      - .offset:         144
        .size:           8
        .value_kind:     hidden_global_offset_x
      - .offset:         152
        .size:           8
        .value_kind:     hidden_global_offset_y
      - .offset:         160
        .size:           8
        .value_kind:     hidden_global_offset_z
      - .offset:         168
        .size:           2
        .value_kind:     hidden_grid_dims
    .group_segment_fixed_size: 256
    .kernarg_segment_align: 8
    .kernarg_segment_size: 360
    .language:       OpenCL C
    .language_version:
      - 2
      - 0
    .max_flat_workgroup_size: 256
    .name:           _ZL23rocblas_gemvt_sn_kernelILb1ELi256ELi4El19rocblas_complex_numIfES1_S1_EviiT4_lPKT3_lilS5_lilPT5_i
    .private_segment_fixed_size: 48
    .sgpr_count:     54
    .sgpr_spill_count: 0
    .symbol:         _ZL23rocblas_gemvt_sn_kernelILb1ELi256ELi4El19rocblas_complex_numIfES1_S1_EviiT4_lPKT3_lilS5_lilPT5_i.kd
    .uniform_work_group_size: 1
    .uses_dynamic_stack: false
    .vgpr_count:     92
    .vgpr_spill_count: 0
    .wavefront_size: 32
    .workgroup_processor_mode: 1
  - .args:
      - .offset:         0
        .size:           4
        .value_kind:     by_value
      - .offset:         4
        .size:           4
        .value_kind:     by_value
      - .address_space:  global
        .offset:         8
        .size:           8
        .value_kind:     global_buffer
      - .offset:         16
        .size:           8
        .value_kind:     by_value
      - .address_space:  global
        .offset:         24
        .size:           8
        .value_kind:     global_buffer
      - .offset:         32
        .size:           8
        .value_kind:     by_value
      - .offset:         40
        .size:           4
        .value_kind:     by_value
      - .offset:         48
        .size:           8
        .value_kind:     by_value
      - .address_space:  global
        .offset:         56
        .size:           8
        .value_kind:     global_buffer
      - .offset:         64
        .size:           8
        .value_kind:     by_value
      - .offset:         72
        .size:           4
        .value_kind:     by_value
      - .offset:         80
        .size:           8
        .value_kind:     by_value
      - .address_space:  global
        .offset:         88
        .size:           8
        .value_kind:     global_buffer
      - .offset:         96
        .size:           8
        .value_kind:     by_value
      - .address_space:  global
        .offset:         104
        .size:           8
        .value_kind:     global_buffer
      - .offset:         112
        .size:           8
        .value_kind:     by_value
      - .offset:         120
        .size:           4
        .value_kind:     by_value
      - .offset:         128
        .size:           8
        .value_kind:     by_value
      - .offset:         136
        .size:           4
        .value_kind:     by_value
    .group_segment_fixed_size: 2048
    .kernarg_segment_align: 8
    .kernarg_segment_size: 140
    .language:       OpenCL C
    .language_version:
      - 2
      - 0
    .max_flat_workgroup_size: 256
    .name:           _ZL20rocblas_gemvt_kernelILb1ELi256E19rocblas_complex_numIfEPKS1_S1_EviiT2_lPKT1_lilS7_lilS4_lPT3_lili
    .private_segment_fixed_size: 0
    .sgpr_count:     34
    .sgpr_spill_count: 0
    .symbol:         _ZL20rocblas_gemvt_kernelILb1ELi256E19rocblas_complex_numIfEPKS1_S1_EviiT2_lPKT1_lilS7_lilS4_lPT3_lili.kd
    .uniform_work_group_size: 1
    .uses_dynamic_stack: false
    .vgpr_count:     13
    .vgpr_spill_count: 0
    .wavefront_size: 32
    .workgroup_processor_mode: 1
  - .args:
      - .offset:         0
        .size:           4
        .value_kind:     by_value
      - .offset:         4
        .size:           4
        .value_kind:     by_value
      - .offset:         8
        .size:           8
        .value_kind:     by_value
      - .offset:         16
        .size:           8
        .value_kind:     by_value
      - .address_space:  global
        .offset:         24
        .size:           8
        .value_kind:     global_buffer
      - .offset:         32
        .size:           8
        .value_kind:     by_value
      - .offset:         40
        .size:           4
        .value_kind:     by_value
      - .offset:         48
        .size:           8
        .value_kind:     by_value
      - .address_space:  global
        .offset:         56
        .size:           8
        .value_kind:     global_buffer
      - .offset:         64
        .size:           8
        .value_kind:     by_value
      - .offset:         72
        .size:           4
        .value_kind:     by_value
      - .offset:         80
        .size:           8
        .value_kind:     by_value
      - .offset:         88
        .size:           8
        .value_kind:     by_value
      - .offset:         96
        .size:           8
        .value_kind:     by_value
      - .address_space:  global
        .offset:         104
        .size:           8
        .value_kind:     global_buffer
      - .offset:         112
        .size:           8
        .value_kind:     by_value
      - .offset:         120
        .size:           4
        .value_kind:     by_value
      - .offset:         128
        .size:           8
        .value_kind:     by_value
      - .offset:         136
        .size:           4
        .value_kind:     by_value
    .group_segment_fixed_size: 2048
    .kernarg_segment_align: 8
    .kernarg_segment_size: 140
    .language:       OpenCL C
    .language_version:
      - 2
      - 0
    .max_flat_workgroup_size: 256
    .name:           _ZL20rocblas_gemvt_kernelILb1ELi256E19rocblas_complex_numIfES1_S1_EviiT2_lPKT1_lilS5_lilS2_lPT3_lili
    .private_segment_fixed_size: 0
    .sgpr_count:     34
    .sgpr_spill_count: 0
    .symbol:         _ZL20rocblas_gemvt_kernelILb1ELi256E19rocblas_complex_numIfES1_S1_EviiT2_lPKT1_lilS5_lilS2_lPT3_lili.kd
    .uniform_work_group_size: 1
    .uses_dynamic_stack: false
    .vgpr_count:     13
    .vgpr_spill_count: 0
    .wavefront_size: 32
    .workgroup_processor_mode: 1
  - .args:
      - .offset:         0
        .size:           4
        .value_kind:     by_value
      - .offset:         4
        .size:           4
        .value_kind:     by_value
      - .address_space:  global
        .offset:         8
        .size:           8
        .value_kind:     global_buffer
      - .offset:         16
        .size:           8
        .value_kind:     by_value
      - .address_space:  global
        .offset:         24
        .size:           8
        .value_kind:     global_buffer
      - .offset:         32
        .size:           8
        .value_kind:     by_value
      - .offset:         40
        .size:           4
        .value_kind:     by_value
      - .offset:         48
        .size:           8
        .value_kind:     by_value
      - .address_space:  global
        .offset:         56
        .size:           8
        .value_kind:     global_buffer
      - .offset:         64
        .size:           8
        .value_kind:     by_value
      - .offset:         72
        .size:           4
        .value_kind:     by_value
      - .offset:         80
        .size:           8
        .value_kind:     by_value
      - .address_space:  global
        .offset:         88
        .size:           8
        .value_kind:     global_buffer
      - .offset:         96
        .size:           8
        .value_kind:     by_value
      - .address_space:  global
        .offset:         104
        .size:           8
        .value_kind:     global_buffer
      - .offset:         112
        .size:           8
        .value_kind:     by_value
      - .offset:         120
        .size:           4
        .value_kind:     by_value
      - .offset:         128
        .size:           8
        .value_kind:     by_value
      - .offset:         136
        .size:           4
        .value_kind:     by_value
    .group_segment_fixed_size: 256
    .kernarg_segment_align: 8
    .kernarg_segment_size: 140
    .language:       OpenCL C
    .language_version:
      - 2
      - 0
    .max_flat_workgroup_size: 1024
    .name:           _ZL32rocblas_gemvt_warp_reduce_kernelILb1ELi1024Ei19rocblas_complex_numIfEPKS1_S1_EviiT3_lPKT2_lT1_lS7_lS8_lS4_lPT4_lS8_li
    .private_segment_fixed_size: 0
    .sgpr_count:     30
    .sgpr_spill_count: 0
    .symbol:         _ZL32rocblas_gemvt_warp_reduce_kernelILb1ELi1024Ei19rocblas_complex_numIfEPKS1_S1_EviiT3_lPKT2_lT1_lS7_lS8_lS4_lPT4_lS8_li.kd
    .uniform_work_group_size: 1
    .uses_dynamic_stack: false
    .vgpr_count:     13
    .vgpr_spill_count: 0
    .wavefront_size: 32
    .workgroup_processor_mode: 1
  - .args:
      - .offset:         0
        .size:           4
        .value_kind:     by_value
      - .offset:         4
        .size:           4
        .value_kind:     by_value
      - .address_space:  global
        .offset:         8
        .size:           8
        .value_kind:     global_buffer
      - .offset:         16
        .size:           8
        .value_kind:     by_value
      - .address_space:  global
        .offset:         24
        .size:           8
        .value_kind:     global_buffer
      - .offset:         32
        .size:           8
        .value_kind:     by_value
      - .offset:         40
        .size:           8
        .value_kind:     by_value
      - .offset:         48
        .size:           8
        .value_kind:     by_value
      - .address_space:  global
        .offset:         56
        .size:           8
        .value_kind:     global_buffer
      - .offset:         64
        .size:           8
        .value_kind:     by_value
      - .offset:         72
        .size:           8
        .value_kind:     by_value
      - .offset:         80
        .size:           8
        .value_kind:     by_value
      - .address_space:  global
        .offset:         88
        .size:           8
        .value_kind:     global_buffer
      - .offset:         96
        .size:           8
        .value_kind:     by_value
      - .address_space:  global
        .offset:         104
        .size:           8
        .value_kind:     global_buffer
      - .offset:         112
        .size:           8
        .value_kind:     by_value
      - .offset:         120
        .size:           8
        .value_kind:     by_value
      - .offset:         128
        .size:           8
        .value_kind:     by_value
      - .offset:         136
        .size:           4
        .value_kind:     by_value
    .group_segment_fixed_size: 256
    .kernarg_segment_align: 8
    .kernarg_segment_size: 140
    .language:       OpenCL C
    .language_version:
      - 2
      - 0
    .max_flat_workgroup_size: 1024
    .name:           _ZL32rocblas_gemvt_warp_reduce_kernelILb1ELi1024El19rocblas_complex_numIfEPKS1_S1_EviiT3_lPKT2_lT1_lS7_lS8_lS4_lPT4_lS8_li
    .private_segment_fixed_size: 0
    .sgpr_count:     54
    .sgpr_spill_count: 0
    .symbol:         _ZL32rocblas_gemvt_warp_reduce_kernelILb1ELi1024El19rocblas_complex_numIfEPKS1_S1_EviiT3_lPKT2_lT1_lS7_lS8_lS4_lPT4_lS8_li.kd
    .uniform_work_group_size: 1
    .uses_dynamic_stack: false
    .vgpr_count:     14
    .vgpr_spill_count: 0
    .wavefront_size: 32
    .workgroup_processor_mode: 1
  - .args:
      - .offset:         0
        .size:           4
        .value_kind:     by_value
      - .offset:         4
        .size:           4
        .value_kind:     by_value
      - .offset:         8
        .size:           8
        .value_kind:     by_value
      - .offset:         16
        .size:           8
        .value_kind:     by_value
      - .address_space:  global
        .offset:         24
        .size:           8
        .value_kind:     global_buffer
      - .offset:         32
        .size:           8
        .value_kind:     by_value
      - .offset:         40
        .size:           4
        .value_kind:     by_value
      - .offset:         48
        .size:           8
        .value_kind:     by_value
      - .address_space:  global
        .offset:         56
        .size:           8
        .value_kind:     global_buffer
      - .offset:         64
        .size:           8
        .value_kind:     by_value
      - .offset:         72
        .size:           4
        .value_kind:     by_value
      - .offset:         80
        .size:           8
        .value_kind:     by_value
      - .offset:         88
        .size:           8
        .value_kind:     by_value
      - .offset:         96
        .size:           8
        .value_kind:     by_value
      - .address_space:  global
        .offset:         104
        .size:           8
        .value_kind:     global_buffer
      - .offset:         112
        .size:           8
        .value_kind:     by_value
      - .offset:         120
        .size:           4
        .value_kind:     by_value
      - .offset:         128
        .size:           8
        .value_kind:     by_value
      - .offset:         136
        .size:           4
        .value_kind:     by_value
    .group_segment_fixed_size: 256
    .kernarg_segment_align: 8
    .kernarg_segment_size: 140
    .language:       OpenCL C
    .language_version:
      - 2
      - 0
    .max_flat_workgroup_size: 1024
    .name:           _ZL32rocblas_gemvt_warp_reduce_kernelILb1ELi1024Ei19rocblas_complex_numIfES1_S1_EviiT3_lPKT2_lT1_lS5_lS6_lS2_lPT4_lS6_li
    .private_segment_fixed_size: 0
    .sgpr_count:     30
    .sgpr_spill_count: 0
    .symbol:         _ZL32rocblas_gemvt_warp_reduce_kernelILb1ELi1024Ei19rocblas_complex_numIfES1_S1_EviiT3_lPKT2_lT1_lS5_lS6_lS2_lPT4_lS6_li.kd
    .uniform_work_group_size: 1
    .uses_dynamic_stack: false
    .vgpr_count:     13
    .vgpr_spill_count: 0
    .wavefront_size: 32
    .workgroup_processor_mode: 1
  - .args:
      - .offset:         0
        .size:           4
        .value_kind:     by_value
      - .offset:         4
        .size:           4
        .value_kind:     by_value
      - .offset:         8
        .size:           8
        .value_kind:     by_value
      - .offset:         16
        .size:           8
        .value_kind:     by_value
      - .address_space:  global
        .offset:         24
        .size:           8
        .value_kind:     global_buffer
      - .offset:         32
        .size:           8
        .value_kind:     by_value
      - .offset:         40
        .size:           8
        .value_kind:     by_value
      - .offset:         48
        .size:           8
        .value_kind:     by_value
      - .address_space:  global
        .offset:         56
        .size:           8
        .value_kind:     global_buffer
      - .offset:         64
        .size:           8
        .value_kind:     by_value
      - .offset:         72
        .size:           8
        .value_kind:     by_value
      - .offset:         80
        .size:           8
        .value_kind:     by_value
      - .offset:         88
        .size:           8
        .value_kind:     by_value
      - .offset:         96
        .size:           8
        .value_kind:     by_value
      - .address_space:  global
        .offset:         104
        .size:           8
        .value_kind:     global_buffer
      - .offset:         112
        .size:           8
        .value_kind:     by_value
      - .offset:         120
        .size:           8
        .value_kind:     by_value
      - .offset:         128
        .size:           8
        .value_kind:     by_value
      - .offset:         136
        .size:           4
        .value_kind:     by_value
    .group_segment_fixed_size: 256
    .kernarg_segment_align: 8
    .kernarg_segment_size: 140
    .language:       OpenCL C
    .language_version:
      - 2
      - 0
    .max_flat_workgroup_size: 1024
    .name:           _ZL32rocblas_gemvt_warp_reduce_kernelILb1ELi1024El19rocblas_complex_numIfES1_S1_EviiT3_lPKT2_lT1_lS5_lS6_lS2_lPT4_lS6_li
    .private_segment_fixed_size: 0
    .sgpr_count:     40
    .sgpr_spill_count: 0
    .symbol:         _ZL32rocblas_gemvt_warp_reduce_kernelILb1ELi1024El19rocblas_complex_numIfES1_S1_EviiT3_lPKT2_lT1_lS5_lS6_lS2_lPT4_lS6_li.kd
    .uniform_work_group_size: 1
    .uses_dynamic_stack: false
    .vgpr_count:     14
    .vgpr_spill_count: 0
    .wavefront_size: 32
    .workgroup_processor_mode: 1
  - .args:
      - .offset:         0
        .size:           4
        .value_kind:     by_value
      - .offset:         4
        .size:           4
        .value_kind:     by_value
      - .address_space:  global
        .offset:         8
        .size:           8
        .value_kind:     global_buffer
      - .offset:         16
        .size:           8
        .value_kind:     by_value
      - .address_space:  global
        .offset:         24
        .size:           8
        .value_kind:     global_buffer
      - .offset:         32
        .size:           8
        .value_kind:     by_value
      - .offset:         40
        .size:           4
        .value_kind:     by_value
      - .offset:         48
        .size:           8
        .value_kind:     by_value
      - .address_space:  global
        .offset:         56
        .size:           8
        .value_kind:     global_buffer
      - .offset:         64
        .size:           8
        .value_kind:     by_value
      - .offset:         72
        .size:           4
        .value_kind:     by_value
      - .offset:         80
        .size:           8
        .value_kind:     by_value
      - .address_space:  global
        .offset:         88
        .size:           8
        .value_kind:     global_buffer
      - .offset:         96
        .size:           8
        .value_kind:     by_value
      - .address_space:  global
        .offset:         104
        .size:           8
        .value_kind:     global_buffer
      - .offset:         112
        .size:           8
        .value_kind:     by_value
      - .offset:         120
        .size:           4
        .value_kind:     by_value
      - .offset:         128
        .size:           8
        .value_kind:     by_value
      - .offset:         136
        .size:           4
        .value_kind:     by_value
    .group_segment_fixed_size: 0
    .kernarg_segment_align: 8
    .kernarg_segment_size: 140
    .language:       OpenCL C
    .language_version:
      - 2
      - 0
    .max_flat_workgroup_size: 768
    .name:           _ZL34rocblas_gemvn_sm_mn_batched_kernelILi32ELi24E19rocblas_complex_numIdEPKS1_S1_EviiT2_lPKT1_lilS7_lilS4_lPT3_lili
    .private_segment_fixed_size: 0
    .sgpr_count:     0
    .sgpr_spill_count: 0
    .symbol:         _ZL34rocblas_gemvn_sm_mn_batched_kernelILi32ELi24E19rocblas_complex_numIdEPKS1_S1_EviiT2_lPKT1_lilS7_lilS4_lPT3_lili.kd
    .uniform_work_group_size: 1
    .uses_dynamic_stack: false
    .vgpr_count:     0
    .vgpr_spill_count: 0
    .wavefront_size: 32
    .workgroup_processor_mode: 1
  - .args:
      - .offset:         0
        .size:           4
        .value_kind:     by_value
      - .offset:         4
        .size:           4
        .value_kind:     by_value
      - .offset:         8
        .size:           16
        .value_kind:     by_value
      - .offset:         24
        .size:           8
        .value_kind:     by_value
      - .address_space:  global
        .offset:         32
        .size:           8
        .value_kind:     global_buffer
      - .offset:         40
        .size:           8
        .value_kind:     by_value
      - .offset:         48
        .size:           4
        .value_kind:     by_value
      - .offset:         56
        .size:           8
        .value_kind:     by_value
      - .address_space:  global
        .offset:         64
        .size:           8
        .value_kind:     global_buffer
      - .offset:         72
        .size:           8
        .value_kind:     by_value
      - .offset:         80
        .size:           4
        .value_kind:     by_value
      - .offset:         88
        .size:           8
        .value_kind:     by_value
      - .offset:         96
        .size:           16
        .value_kind:     by_value
      - .offset:         112
        .size:           8
        .value_kind:     by_value
      - .address_space:  global
        .offset:         120
        .size:           8
        .value_kind:     global_buffer
      - .offset:         128
        .size:           8
        .value_kind:     by_value
      - .offset:         136
        .size:           4
        .value_kind:     by_value
      - .offset:         144
        .size:           8
        .value_kind:     by_value
      - .offset:         152
        .size:           4
        .value_kind:     by_value
    .group_segment_fixed_size: 0
    .kernarg_segment_align: 8
    .kernarg_segment_size: 156
    .language:       OpenCL C
    .language_version:
      - 2
      - 0
    .max_flat_workgroup_size: 768
    .name:           _ZL34rocblas_gemvn_sm_mn_batched_kernelILi32ELi24E19rocblas_complex_numIdES1_S1_EviiT2_lPKT1_lilS5_lilS2_lPT3_lili
    .private_segment_fixed_size: 0
    .sgpr_count:     0
    .sgpr_spill_count: 0
    .symbol:         _ZL34rocblas_gemvn_sm_mn_batched_kernelILi32ELi24E19rocblas_complex_numIdES1_S1_EviiT2_lPKT1_lilS5_lilS2_lPT3_lili.kd
    .uniform_work_group_size: 1
    .uses_dynamic_stack: false
    .vgpr_count:     0
    .vgpr_spill_count: 0
    .wavefront_size: 32
    .workgroup_processor_mode: 1
  - .args:
      - .offset:         0
        .size:           4
        .value_kind:     by_value
      - .offset:         4
        .size:           4
        .value_kind:     by_value
      - .address_space:  global
        .offset:         8
        .size:           8
        .value_kind:     global_buffer
      - .offset:         16
        .size:           8
        .value_kind:     by_value
      - .address_space:  global
        .offset:         24
        .size:           8
        .value_kind:     global_buffer
      - .offset:         32
        .size:           8
        .value_kind:     by_value
      - .offset:         40
        .size:           4
        .value_kind:     by_value
      - .offset:         48
        .size:           8
        .value_kind:     by_value
      - .address_space:  global
        .offset:         56
        .size:           8
        .value_kind:     global_buffer
      - .offset:         64
        .size:           8
        .value_kind:     by_value
      - .offset:         72
        .size:           4
        .value_kind:     by_value
      - .offset:         80
        .size:           8
        .value_kind:     by_value
      - .address_space:  global
        .offset:         88
        .size:           8
        .value_kind:     global_buffer
      - .offset:         96
        .size:           8
        .value_kind:     by_value
      - .address_space:  global
        .offset:         104
        .size:           8
        .value_kind:     global_buffer
      - .offset:         112
        .size:           8
        .value_kind:     by_value
      - .offset:         120
        .size:           4
        .value_kind:     by_value
      - .offset:         128
        .size:           8
        .value_kind:     by_value
      - .offset:         136
        .size:           4
        .value_kind:     by_value
      - .offset:         144
        .size:           4
        .value_kind:     hidden_block_count_x
      - .offset:         148
        .size:           4
        .value_kind:     hidden_block_count_y
      - .offset:         152
        .size:           4
        .value_kind:     hidden_block_count_z
      - .offset:         156
        .size:           2
        .value_kind:     hidden_group_size_x
      - .offset:         158
        .size:           2
        .value_kind:     hidden_group_size_y
      - .offset:         160
        .size:           2
        .value_kind:     hidden_group_size_z
      - .offset:         162
        .size:           2
        .value_kind:     hidden_remainder_x
      - .offset:         164
        .size:           2
        .value_kind:     hidden_remainder_y
      - .offset:         166
        .size:           2
        .value_kind:     hidden_remainder_z
      - .offset:         184
        .size:           8
        .value_kind:     hidden_global_offset_x
      - .offset:         192
        .size:           8
        .value_kind:     hidden_global_offset_y
      - .offset:         200
        .size:           8
        .value_kind:     hidden_global_offset_z
      - .offset:         208
        .size:           2
        .value_kind:     hidden_grid_dims
    .group_segment_fixed_size: 4096
    .kernarg_segment_align: 8
    .kernarg_segment_size: 400
    .language:       OpenCL C
    .language_version:
      - 2
      - 0
    .max_flat_workgroup_size: 256
    .name:           _ZL20rocblas_gemvn_kernelILi64ELi4Ei19rocblas_complex_numIdEPKS1_S1_EviiT3_lPKT2_lT1_lS7_lS8_lS4_lPT4_lS8_li
    .private_segment_fixed_size: 0
    .sgpr_count:     34
    .sgpr_spill_count: 0
    .symbol:         _ZL20rocblas_gemvn_kernelILi64ELi4Ei19rocblas_complex_numIdEPKS1_S1_EviiT3_lPKT2_lT1_lS7_lS8_lS4_lPT4_lS8_li.kd
    .uniform_work_group_size: 1
    .uses_dynamic_stack: false
    .vgpr_count:     21
    .vgpr_spill_count: 0
    .wavefront_size: 32
    .workgroup_processor_mode: 1
  - .args:
      - .offset:         0
        .size:           4
        .value_kind:     by_value
      - .offset:         4
        .size:           4
        .value_kind:     by_value
      - .address_space:  global
        .offset:         8
        .size:           8
        .value_kind:     global_buffer
      - .offset:         16
        .size:           8
        .value_kind:     by_value
      - .address_space:  global
        .offset:         24
        .size:           8
        .value_kind:     global_buffer
      - .offset:         32
        .size:           8
        .value_kind:     by_value
      - .offset:         40
        .size:           8
        .value_kind:     by_value
      - .offset:         48
        .size:           8
        .value_kind:     by_value
      - .address_space:  global
        .offset:         56
        .size:           8
        .value_kind:     global_buffer
      - .offset:         64
        .size:           8
        .value_kind:     by_value
      - .offset:         72
        .size:           8
        .value_kind:     by_value
      - .offset:         80
        .size:           8
        .value_kind:     by_value
      - .address_space:  global
        .offset:         88
        .size:           8
        .value_kind:     global_buffer
      - .offset:         96
        .size:           8
        .value_kind:     by_value
      - .address_space:  global
        .offset:         104
        .size:           8
        .value_kind:     global_buffer
      - .offset:         112
        .size:           8
        .value_kind:     by_value
      - .offset:         120
        .size:           8
        .value_kind:     by_value
      - .offset:         128
        .size:           8
        .value_kind:     by_value
      - .offset:         136
        .size:           4
        .value_kind:     by_value
      - .offset:         144
        .size:           4
        .value_kind:     hidden_block_count_x
      - .offset:         148
        .size:           4
        .value_kind:     hidden_block_count_y
      - .offset:         152
        .size:           4
        .value_kind:     hidden_block_count_z
      - .offset:         156
        .size:           2
        .value_kind:     hidden_group_size_x
      - .offset:         158
        .size:           2
        .value_kind:     hidden_group_size_y
      - .offset:         160
        .size:           2
        .value_kind:     hidden_group_size_z
      - .offset:         162
        .size:           2
        .value_kind:     hidden_remainder_x
      - .offset:         164
        .size:           2
        .value_kind:     hidden_remainder_y
      - .offset:         166
        .size:           2
        .value_kind:     hidden_remainder_z
      - .offset:         184
        .size:           8
        .value_kind:     hidden_global_offset_x
      - .offset:         192
        .size:           8
        .value_kind:     hidden_global_offset_y
      - .offset:         200
        .size:           8
        .value_kind:     hidden_global_offset_z
      - .offset:         208
        .size:           2
        .value_kind:     hidden_grid_dims
    .group_segment_fixed_size: 4096
    .kernarg_segment_align: 8
    .kernarg_segment_size: 400
    .language:       OpenCL C
    .language_version:
      - 2
      - 0
    .max_flat_workgroup_size: 256
    .name:           _ZL20rocblas_gemvn_kernelILi64ELi4El19rocblas_complex_numIdEPKS1_S1_EviiT3_lPKT2_lT1_lS7_lS8_lS4_lPT4_lS8_li
    .private_segment_fixed_size: 0
    .sgpr_count:     54
    .sgpr_spill_count: 0
    .symbol:         _ZL20rocblas_gemvn_kernelILi64ELi4El19rocblas_complex_numIdEPKS1_S1_EviiT3_lPKT2_lT1_lS7_lS8_lS4_lPT4_lS8_li.kd
    .uniform_work_group_size: 1
    .uses_dynamic_stack: false
    .vgpr_count:     21
    .vgpr_spill_count: 0
    .wavefront_size: 32
    .workgroup_processor_mode: 1
  - .args:
      - .offset:         0
        .size:           4
        .value_kind:     by_value
      - .offset:         4
        .size:           4
        .value_kind:     by_value
      - .offset:         8
        .size:           16
        .value_kind:     by_value
      - .offset:         24
        .size:           8
        .value_kind:     by_value
      - .address_space:  global
        .offset:         32
        .size:           8
        .value_kind:     global_buffer
      - .offset:         40
        .size:           8
        .value_kind:     by_value
      - .offset:         48
        .size:           4
        .value_kind:     by_value
      - .offset:         56
        .size:           8
        .value_kind:     by_value
      - .address_space:  global
        .offset:         64
        .size:           8
        .value_kind:     global_buffer
      - .offset:         72
        .size:           8
        .value_kind:     by_value
      - .offset:         80
        .size:           4
        .value_kind:     by_value
      - .offset:         88
        .size:           8
        .value_kind:     by_value
      - .offset:         96
        .size:           16
        .value_kind:     by_value
      - .offset:         112
        .size:           8
        .value_kind:     by_value
      - .address_space:  global
        .offset:         120
        .size:           8
        .value_kind:     global_buffer
      - .offset:         128
        .size:           8
        .value_kind:     by_value
      - .offset:         136
        .size:           4
        .value_kind:     by_value
      - .offset:         144
        .size:           8
        .value_kind:     by_value
      - .offset:         152
        .size:           4
        .value_kind:     by_value
      - .offset:         160
        .size:           4
        .value_kind:     hidden_block_count_x
      - .offset:         164
        .size:           4
        .value_kind:     hidden_block_count_y
      - .offset:         168
        .size:           4
        .value_kind:     hidden_block_count_z
      - .offset:         172
        .size:           2
        .value_kind:     hidden_group_size_x
      - .offset:         174
        .size:           2
        .value_kind:     hidden_group_size_y
      - .offset:         176
        .size:           2
        .value_kind:     hidden_group_size_z
      - .offset:         178
        .size:           2
        .value_kind:     hidden_remainder_x
      - .offset:         180
        .size:           2
        .value_kind:     hidden_remainder_y
      - .offset:         182
        .size:           2
        .value_kind:     hidden_remainder_z
      - .offset:         200
        .size:           8
        .value_kind:     hidden_global_offset_x
      - .offset:         208
        .size:           8
        .value_kind:     hidden_global_offset_y
      - .offset:         216
        .size:           8
        .value_kind:     hidden_global_offset_z
      - .offset:         224
        .size:           2
        .value_kind:     hidden_grid_dims
    .group_segment_fixed_size: 4096
    .kernarg_segment_align: 8
    .kernarg_segment_size: 416
    .language:       OpenCL C
    .language_version:
      - 2
      - 0
    .max_flat_workgroup_size: 256
    .name:           _ZL20rocblas_gemvn_kernelILi64ELi4Ei19rocblas_complex_numIdES1_S1_EviiT3_lPKT2_lT1_lS5_lS6_lS2_lPT4_lS6_li
    .private_segment_fixed_size: 0
    .sgpr_count:     36
    .sgpr_spill_count: 0
    .symbol:         _ZL20rocblas_gemvn_kernelILi64ELi4Ei19rocblas_complex_numIdES1_S1_EviiT3_lPKT2_lT1_lS5_lS6_lS2_lPT4_lS6_li.kd
    .uniform_work_group_size: 1
    .uses_dynamic_stack: false
    .vgpr_count:     21
    .vgpr_spill_count: 0
    .wavefront_size: 32
    .workgroup_processor_mode: 1
  - .args:
      - .offset:         0
        .size:           4
        .value_kind:     by_value
      - .offset:         4
        .size:           4
        .value_kind:     by_value
      - .offset:         8
        .size:           16
        .value_kind:     by_value
      - .offset:         24
        .size:           8
        .value_kind:     by_value
      - .address_space:  global
        .offset:         32
        .size:           8
        .value_kind:     global_buffer
      - .offset:         40
        .size:           8
        .value_kind:     by_value
      - .offset:         48
        .size:           8
        .value_kind:     by_value
      - .offset:         56
        .size:           8
        .value_kind:     by_value
      - .address_space:  global
        .offset:         64
        .size:           8
        .value_kind:     global_buffer
      - .offset:         72
        .size:           8
        .value_kind:     by_value
      - .offset:         80
        .size:           8
        .value_kind:     by_value
      - .offset:         88
        .size:           8
        .value_kind:     by_value
      - .offset:         96
        .size:           16
        .value_kind:     by_value
      - .offset:         112
        .size:           8
        .value_kind:     by_value
      - .address_space:  global
        .offset:         120
        .size:           8
        .value_kind:     global_buffer
      - .offset:         128
        .size:           8
        .value_kind:     by_value
      - .offset:         136
        .size:           8
        .value_kind:     by_value
      - .offset:         144
        .size:           8
        .value_kind:     by_value
      - .offset:         152
        .size:           4
        .value_kind:     by_value
      - .offset:         160
        .size:           4
        .value_kind:     hidden_block_count_x
      - .offset:         164
        .size:           4
        .value_kind:     hidden_block_count_y
      - .offset:         168
        .size:           4
        .value_kind:     hidden_block_count_z
      - .offset:         172
        .size:           2
        .value_kind:     hidden_group_size_x
      - .offset:         174
        .size:           2
        .value_kind:     hidden_group_size_y
      - .offset:         176
        .size:           2
        .value_kind:     hidden_group_size_z
      - .offset:         178
        .size:           2
        .value_kind:     hidden_remainder_x
      - .offset:         180
        .size:           2
        .value_kind:     hidden_remainder_y
      - .offset:         182
        .size:           2
        .value_kind:     hidden_remainder_z
      - .offset:         200
        .size:           8
        .value_kind:     hidden_global_offset_x
      - .offset:         208
        .size:           8
        .value_kind:     hidden_global_offset_y
      - .offset:         216
        .size:           8
        .value_kind:     hidden_global_offset_z
      - .offset:         224
        .size:           2
        .value_kind:     hidden_grid_dims
    .group_segment_fixed_size: 4096
    .kernarg_segment_align: 8
    .kernarg_segment_size: 416
    .language:       OpenCL C
    .language_version:
      - 2
      - 0
    .max_flat_workgroup_size: 256
    .name:           _ZL20rocblas_gemvn_kernelILi64ELi4El19rocblas_complex_numIdES1_S1_EviiT3_lPKT2_lT1_lS5_lS6_lS2_lPT4_lS6_li
    .private_segment_fixed_size: 0
    .sgpr_count:     47
    .sgpr_spill_count: 0
    .symbol:         _ZL20rocblas_gemvn_kernelILi64ELi4El19rocblas_complex_numIdES1_S1_EviiT3_lPKT2_lT1_lS5_lS6_lS2_lPT4_lS6_li.kd
    .uniform_work_group_size: 1
    .uses_dynamic_stack: false
    .vgpr_count:     21
    .vgpr_spill_count: 0
    .wavefront_size: 32
    .workgroup_processor_mode: 1
  - .args:
      - .offset:         0
        .size:           4
        .value_kind:     by_value
      - .offset:         4
        .size:           4
        .value_kind:     by_value
      - .address_space:  global
        .offset:         8
        .size:           8
        .value_kind:     global_buffer
      - .offset:         16
        .size:           8
        .value_kind:     by_value
      - .address_space:  global
        .offset:         24
        .size:           8
        .value_kind:     global_buffer
      - .offset:         32
        .size:           8
        .value_kind:     by_value
      - .offset:         40
        .size:           4
        .value_kind:     by_value
      - .offset:         48
        .size:           8
        .value_kind:     by_value
      - .address_space:  global
        .offset:         56
        .size:           8
        .value_kind:     global_buffer
      - .offset:         64
        .size:           8
        .value_kind:     by_value
      - .offset:         72
        .size:           4
        .value_kind:     by_value
      - .offset:         80
        .size:           8
        .value_kind:     by_value
      - .address_space:  global
        .offset:         88
        .size:           8
        .value_kind:     global_buffer
      - .offset:         96
        .size:           8
        .value_kind:     by_value
      - .address_space:  global
        .offset:         104
        .size:           8
        .value_kind:     global_buffer
      - .offset:         112
        .size:           8
        .value_kind:     by_value
      - .offset:         120
        .size:           4
        .value_kind:     by_value
      - .offset:         128
        .size:           8
        .value_kind:     by_value
      - .offset:         136
        .size:           4
        .value_kind:     by_value
      - .offset:         144
        .size:           4
        .value_kind:     hidden_block_count_x
      - .offset:         148
        .size:           4
        .value_kind:     hidden_block_count_y
      - .offset:         152
        .size:           4
        .value_kind:     hidden_block_count_z
      - .offset:         156
        .size:           2
        .value_kind:     hidden_group_size_x
      - .offset:         158
        .size:           2
        .value_kind:     hidden_group_size_y
      - .offset:         160
        .size:           2
        .value_kind:     hidden_group_size_z
      - .offset:         162
        .size:           2
        .value_kind:     hidden_remainder_x
      - .offset:         164
        .size:           2
        .value_kind:     hidden_remainder_y
      - .offset:         166
        .size:           2
        .value_kind:     hidden_remainder_z
      - .offset:         184
        .size:           8
        .value_kind:     hidden_global_offset_x
      - .offset:         192
        .size:           8
        .value_kind:     hidden_global_offset_y
      - .offset:         200
        .size:           8
        .value_kind:     hidden_global_offset_z
      - .offset:         208
        .size:           2
        .value_kind:     hidden_grid_dims
    .group_segment_fixed_size: 8192
    .kernarg_segment_align: 8
    .kernarg_segment_size: 400
    .language:       OpenCL C
    .language_version:
      - 2
      - 0
    .max_flat_workgroup_size: 512
    .name:           _ZL20rocblas_gemvn_kernelILi32ELi16Ei19rocblas_complex_numIdEPKS1_S1_EviiT3_lPKT2_lT1_lS7_lS8_lS4_lPT4_lS8_li
    .private_segment_fixed_size: 0
    .sgpr_count:     34
    .sgpr_spill_count: 0
    .symbol:         _ZL20rocblas_gemvn_kernelILi32ELi16Ei19rocblas_complex_numIdEPKS1_S1_EviiT3_lPKT2_lT1_lS7_lS8_lS4_lPT4_lS8_li.kd
    .uniform_work_group_size: 1
    .uses_dynamic_stack: false
    .vgpr_count:     21
    .vgpr_spill_count: 0
    .wavefront_size: 32
    .workgroup_processor_mode: 1
  - .args:
      - .offset:         0
        .size:           4
        .value_kind:     by_value
      - .offset:         4
        .size:           4
        .value_kind:     by_value
      - .address_space:  global
        .offset:         8
        .size:           8
        .value_kind:     global_buffer
      - .offset:         16
        .size:           8
        .value_kind:     by_value
      - .address_space:  global
        .offset:         24
        .size:           8
        .value_kind:     global_buffer
      - .offset:         32
        .size:           8
        .value_kind:     by_value
      - .offset:         40
        .size:           8
        .value_kind:     by_value
      - .offset:         48
        .size:           8
        .value_kind:     by_value
      - .address_space:  global
        .offset:         56
        .size:           8
        .value_kind:     global_buffer
      - .offset:         64
        .size:           8
        .value_kind:     by_value
      - .offset:         72
        .size:           8
        .value_kind:     by_value
      - .offset:         80
        .size:           8
        .value_kind:     by_value
      - .address_space:  global
        .offset:         88
        .size:           8
        .value_kind:     global_buffer
      - .offset:         96
        .size:           8
        .value_kind:     by_value
      - .address_space:  global
        .offset:         104
        .size:           8
        .value_kind:     global_buffer
      - .offset:         112
        .size:           8
        .value_kind:     by_value
      - .offset:         120
        .size:           8
        .value_kind:     by_value
      - .offset:         128
        .size:           8
        .value_kind:     by_value
      - .offset:         136
        .size:           4
        .value_kind:     by_value
      - .offset:         144
        .size:           4
        .value_kind:     hidden_block_count_x
      - .offset:         148
        .size:           4
        .value_kind:     hidden_block_count_y
      - .offset:         152
        .size:           4
        .value_kind:     hidden_block_count_z
      - .offset:         156
        .size:           2
        .value_kind:     hidden_group_size_x
      - .offset:         158
        .size:           2
        .value_kind:     hidden_group_size_y
      - .offset:         160
        .size:           2
        .value_kind:     hidden_group_size_z
      - .offset:         162
        .size:           2
        .value_kind:     hidden_remainder_x
      - .offset:         164
        .size:           2
        .value_kind:     hidden_remainder_y
      - .offset:         166
        .size:           2
        .value_kind:     hidden_remainder_z
      - .offset:         184
        .size:           8
        .value_kind:     hidden_global_offset_x
      - .offset:         192
        .size:           8
        .value_kind:     hidden_global_offset_y
      - .offset:         200
        .size:           8
        .value_kind:     hidden_global_offset_z
      - .offset:         208
        .size:           2
        .value_kind:     hidden_grid_dims
    .group_segment_fixed_size: 8192
    .kernarg_segment_align: 8
    .kernarg_segment_size: 400
    .language:       OpenCL C
    .language_version:
      - 2
      - 0
    .max_flat_workgroup_size: 512
    .name:           _ZL20rocblas_gemvn_kernelILi32ELi16El19rocblas_complex_numIdEPKS1_S1_EviiT3_lPKT2_lT1_lS7_lS8_lS4_lPT4_lS8_li
    .private_segment_fixed_size: 0
    .sgpr_count:     54
    .sgpr_spill_count: 0
    .symbol:         _ZL20rocblas_gemvn_kernelILi32ELi16El19rocblas_complex_numIdEPKS1_S1_EviiT3_lPKT2_lT1_lS7_lS8_lS4_lPT4_lS8_li.kd
    .uniform_work_group_size: 1
    .uses_dynamic_stack: false
    .vgpr_count:     21
    .vgpr_spill_count: 0
    .wavefront_size: 32
    .workgroup_processor_mode: 1
  - .args:
      - .offset:         0
        .size:           4
        .value_kind:     by_value
      - .offset:         4
        .size:           4
        .value_kind:     by_value
      - .offset:         8
        .size:           16
        .value_kind:     by_value
      - .offset:         24
        .size:           8
        .value_kind:     by_value
      - .address_space:  global
        .offset:         32
        .size:           8
        .value_kind:     global_buffer
      - .offset:         40
        .size:           8
        .value_kind:     by_value
      - .offset:         48
        .size:           4
        .value_kind:     by_value
      - .offset:         56
        .size:           8
        .value_kind:     by_value
      - .address_space:  global
        .offset:         64
        .size:           8
        .value_kind:     global_buffer
      - .offset:         72
        .size:           8
        .value_kind:     by_value
      - .offset:         80
        .size:           4
        .value_kind:     by_value
      - .offset:         88
        .size:           8
        .value_kind:     by_value
      - .offset:         96
        .size:           16
        .value_kind:     by_value
      - .offset:         112
        .size:           8
        .value_kind:     by_value
      - .address_space:  global
        .offset:         120
        .size:           8
        .value_kind:     global_buffer
      - .offset:         128
        .size:           8
        .value_kind:     by_value
      - .offset:         136
        .size:           4
        .value_kind:     by_value
      - .offset:         144
        .size:           8
        .value_kind:     by_value
      - .offset:         152
        .size:           4
        .value_kind:     by_value
      - .offset:         160
        .size:           4
        .value_kind:     hidden_block_count_x
      - .offset:         164
        .size:           4
        .value_kind:     hidden_block_count_y
      - .offset:         168
        .size:           4
        .value_kind:     hidden_block_count_z
      - .offset:         172
        .size:           2
        .value_kind:     hidden_group_size_x
      - .offset:         174
        .size:           2
        .value_kind:     hidden_group_size_y
      - .offset:         176
        .size:           2
        .value_kind:     hidden_group_size_z
      - .offset:         178
        .size:           2
        .value_kind:     hidden_remainder_x
      - .offset:         180
        .size:           2
        .value_kind:     hidden_remainder_y
      - .offset:         182
        .size:           2
        .value_kind:     hidden_remainder_z
      - .offset:         200
        .size:           8
        .value_kind:     hidden_global_offset_x
      - .offset:         208
        .size:           8
        .value_kind:     hidden_global_offset_y
      - .offset:         216
        .size:           8
        .value_kind:     hidden_global_offset_z
      - .offset:         224
        .size:           2
        .value_kind:     hidden_grid_dims
    .group_segment_fixed_size: 8192
    .kernarg_segment_align: 8
    .kernarg_segment_size: 416
    .language:       OpenCL C
    .language_version:
      - 2
      - 0
    .max_flat_workgroup_size: 512
    .name:           _ZL20rocblas_gemvn_kernelILi32ELi16Ei19rocblas_complex_numIdES1_S1_EviiT3_lPKT2_lT1_lS5_lS6_lS2_lPT4_lS6_li
    .private_segment_fixed_size: 0
    .sgpr_count:     36
    .sgpr_spill_count: 0
    .symbol:         _ZL20rocblas_gemvn_kernelILi32ELi16Ei19rocblas_complex_numIdES1_S1_EviiT3_lPKT2_lT1_lS5_lS6_lS2_lPT4_lS6_li.kd
    .uniform_work_group_size: 1
    .uses_dynamic_stack: false
    .vgpr_count:     21
    .vgpr_spill_count: 0
    .wavefront_size: 32
    .workgroup_processor_mode: 1
  - .args:
      - .offset:         0
        .size:           4
        .value_kind:     by_value
      - .offset:         4
        .size:           4
        .value_kind:     by_value
      - .offset:         8
        .size:           16
        .value_kind:     by_value
      - .offset:         24
        .size:           8
        .value_kind:     by_value
      - .address_space:  global
        .offset:         32
        .size:           8
        .value_kind:     global_buffer
      - .offset:         40
        .size:           8
        .value_kind:     by_value
      - .offset:         48
        .size:           8
        .value_kind:     by_value
      - .offset:         56
        .size:           8
        .value_kind:     by_value
      - .address_space:  global
        .offset:         64
        .size:           8
        .value_kind:     global_buffer
      - .offset:         72
        .size:           8
        .value_kind:     by_value
      - .offset:         80
        .size:           8
        .value_kind:     by_value
      - .offset:         88
        .size:           8
        .value_kind:     by_value
      - .offset:         96
        .size:           16
        .value_kind:     by_value
      - .offset:         112
        .size:           8
        .value_kind:     by_value
      - .address_space:  global
        .offset:         120
        .size:           8
        .value_kind:     global_buffer
      - .offset:         128
        .size:           8
        .value_kind:     by_value
      - .offset:         136
        .size:           8
        .value_kind:     by_value
      - .offset:         144
        .size:           8
        .value_kind:     by_value
      - .offset:         152
        .size:           4
        .value_kind:     by_value
      - .offset:         160
        .size:           4
        .value_kind:     hidden_block_count_x
      - .offset:         164
        .size:           4
        .value_kind:     hidden_block_count_y
      - .offset:         168
        .size:           4
        .value_kind:     hidden_block_count_z
      - .offset:         172
        .size:           2
        .value_kind:     hidden_group_size_x
      - .offset:         174
        .size:           2
        .value_kind:     hidden_group_size_y
      - .offset:         176
        .size:           2
        .value_kind:     hidden_group_size_z
      - .offset:         178
        .size:           2
        .value_kind:     hidden_remainder_x
      - .offset:         180
        .size:           2
        .value_kind:     hidden_remainder_y
      - .offset:         182
        .size:           2
        .value_kind:     hidden_remainder_z
      - .offset:         200
        .size:           8
        .value_kind:     hidden_global_offset_x
      - .offset:         208
        .size:           8
        .value_kind:     hidden_global_offset_y
      - .offset:         216
        .size:           8
        .value_kind:     hidden_global_offset_z
      - .offset:         224
        .size:           2
        .value_kind:     hidden_grid_dims
    .group_segment_fixed_size: 8192
    .kernarg_segment_align: 8
    .kernarg_segment_size: 416
    .language:       OpenCL C
    .language_version:
      - 2
      - 0
    .max_flat_workgroup_size: 512
    .name:           _ZL20rocblas_gemvn_kernelILi32ELi16El19rocblas_complex_numIdES1_S1_EviiT3_lPKT2_lT1_lS5_lS6_lS2_lPT4_lS6_li
    .private_segment_fixed_size: 0
    .sgpr_count:     47
    .sgpr_spill_count: 0
    .symbol:         _ZL20rocblas_gemvn_kernelILi32ELi16El19rocblas_complex_numIdES1_S1_EviiT3_lPKT2_lT1_lS5_lS6_lS2_lPT4_lS6_li.kd
    .uniform_work_group_size: 1
    .uses_dynamic_stack: false
    .vgpr_count:     21
    .vgpr_spill_count: 0
    .wavefront_size: 32
    .workgroup_processor_mode: 1
  - .args:
      - .offset:         0
        .size:           4
        .value_kind:     by_value
      - .offset:         4
        .size:           4
        .value_kind:     by_value
      - .address_space:  global
        .offset:         8
        .size:           8
        .value_kind:     global_buffer
      - .offset:         16
        .size:           8
        .value_kind:     by_value
      - .address_space:  global
        .offset:         24
        .size:           8
        .value_kind:     global_buffer
      - .offset:         32
        .size:           8
        .value_kind:     by_value
      - .offset:         40
        .size:           4
        .value_kind:     by_value
      - .offset:         48
        .size:           8
        .value_kind:     by_value
      - .address_space:  global
        .offset:         56
        .size:           8
        .value_kind:     global_buffer
      - .offset:         64
        .size:           8
        .value_kind:     by_value
      - .offset:         72
        .size:           4
        .value_kind:     by_value
      - .offset:         80
        .size:           8
        .value_kind:     by_value
      - .address_space:  global
        .offset:         88
        .size:           8
        .value_kind:     global_buffer
      - .offset:         96
        .size:           8
        .value_kind:     by_value
      - .address_space:  global
        .offset:         104
        .size:           8
        .value_kind:     global_buffer
      - .offset:         112
        .size:           8
        .value_kind:     by_value
      - .offset:         120
        .size:           4
        .value_kind:     by_value
      - .offset:         128
        .size:           8
        .value_kind:     by_value
      - .offset:         136
        .size:           4
        .value_kind:     by_value
      - .offset:         144
        .size:           4
        .value_kind:     hidden_block_count_x
      - .offset:         148
        .size:           4
        .value_kind:     hidden_block_count_y
      - .offset:         152
        .size:           4
        .value_kind:     hidden_block_count_z
      - .offset:         156
        .size:           2
        .value_kind:     hidden_group_size_x
      - .offset:         158
        .size:           2
        .value_kind:     hidden_group_size_y
      - .offset:         160
        .size:           2
        .value_kind:     hidden_group_size_z
      - .offset:         162
        .size:           2
        .value_kind:     hidden_remainder_x
      - .offset:         164
        .size:           2
        .value_kind:     hidden_remainder_y
      - .offset:         166
        .size:           2
        .value_kind:     hidden_remainder_z
      - .offset:         184
        .size:           8
        .value_kind:     hidden_global_offset_x
      - .offset:         192
        .size:           8
        .value_kind:     hidden_global_offset_y
      - .offset:         200
        .size:           8
        .value_kind:     hidden_global_offset_z
      - .offset:         208
        .size:           2
        .value_kind:     hidden_grid_dims
    .group_segment_fixed_size: 16384
    .kernarg_segment_align: 8
    .kernarg_segment_size: 400
    .language:       OpenCL C
    .language_version:
      - 2
      - 0
    .max_flat_workgroup_size: 1024
    .name:           _ZL20rocblas_gemvn_kernelILi64ELi16Ei19rocblas_complex_numIdEPKS1_S1_EviiT3_lPKT2_lT1_lS7_lS8_lS4_lPT4_lS8_li
    .private_segment_fixed_size: 0
    .sgpr_count:     34
    .sgpr_spill_count: 0
    .symbol:         _ZL20rocblas_gemvn_kernelILi64ELi16Ei19rocblas_complex_numIdEPKS1_S1_EviiT3_lPKT2_lT1_lS7_lS8_lS4_lPT4_lS8_li.kd
    .uniform_work_group_size: 1
    .uses_dynamic_stack: false
    .vgpr_count:     21
    .vgpr_spill_count: 0
    .wavefront_size: 32
    .workgroup_processor_mode: 1
  - .args:
      - .offset:         0
        .size:           4
        .value_kind:     by_value
      - .offset:         4
        .size:           4
        .value_kind:     by_value
      - .address_space:  global
        .offset:         8
        .size:           8
        .value_kind:     global_buffer
      - .offset:         16
        .size:           8
        .value_kind:     by_value
      - .address_space:  global
        .offset:         24
        .size:           8
        .value_kind:     global_buffer
      - .offset:         32
        .size:           8
        .value_kind:     by_value
      - .offset:         40
        .size:           8
        .value_kind:     by_value
      - .offset:         48
        .size:           8
        .value_kind:     by_value
      - .address_space:  global
        .offset:         56
        .size:           8
        .value_kind:     global_buffer
      - .offset:         64
        .size:           8
        .value_kind:     by_value
      - .offset:         72
        .size:           8
        .value_kind:     by_value
      - .offset:         80
        .size:           8
        .value_kind:     by_value
      - .address_space:  global
        .offset:         88
        .size:           8
        .value_kind:     global_buffer
      - .offset:         96
        .size:           8
        .value_kind:     by_value
      - .address_space:  global
        .offset:         104
        .size:           8
        .value_kind:     global_buffer
      - .offset:         112
        .size:           8
        .value_kind:     by_value
      - .offset:         120
        .size:           8
        .value_kind:     by_value
      - .offset:         128
        .size:           8
        .value_kind:     by_value
      - .offset:         136
        .size:           4
        .value_kind:     by_value
      - .offset:         144
        .size:           4
        .value_kind:     hidden_block_count_x
      - .offset:         148
        .size:           4
        .value_kind:     hidden_block_count_y
      - .offset:         152
        .size:           4
        .value_kind:     hidden_block_count_z
      - .offset:         156
        .size:           2
        .value_kind:     hidden_group_size_x
      - .offset:         158
        .size:           2
        .value_kind:     hidden_group_size_y
      - .offset:         160
        .size:           2
        .value_kind:     hidden_group_size_z
      - .offset:         162
        .size:           2
        .value_kind:     hidden_remainder_x
      - .offset:         164
        .size:           2
        .value_kind:     hidden_remainder_y
      - .offset:         166
        .size:           2
        .value_kind:     hidden_remainder_z
      - .offset:         184
        .size:           8
        .value_kind:     hidden_global_offset_x
      - .offset:         192
        .size:           8
        .value_kind:     hidden_global_offset_y
      - .offset:         200
        .size:           8
        .value_kind:     hidden_global_offset_z
      - .offset:         208
        .size:           2
        .value_kind:     hidden_grid_dims
    .group_segment_fixed_size: 16384
    .kernarg_segment_align: 8
    .kernarg_segment_size: 400
    .language:       OpenCL C
    .language_version:
      - 2
      - 0
    .max_flat_workgroup_size: 1024
    .name:           _ZL20rocblas_gemvn_kernelILi64ELi16El19rocblas_complex_numIdEPKS1_S1_EviiT3_lPKT2_lT1_lS7_lS8_lS4_lPT4_lS8_li
    .private_segment_fixed_size: 0
    .sgpr_count:     54
    .sgpr_spill_count: 0
    .symbol:         _ZL20rocblas_gemvn_kernelILi64ELi16El19rocblas_complex_numIdEPKS1_S1_EviiT3_lPKT2_lT1_lS7_lS8_lS4_lPT4_lS8_li.kd
    .uniform_work_group_size: 1
    .uses_dynamic_stack: false
    .vgpr_count:     21
    .vgpr_spill_count: 0
    .wavefront_size: 32
    .workgroup_processor_mode: 1
  - .args:
      - .offset:         0
        .size:           4
        .value_kind:     by_value
      - .offset:         4
        .size:           4
        .value_kind:     by_value
      - .offset:         8
        .size:           16
        .value_kind:     by_value
      - .offset:         24
        .size:           8
        .value_kind:     by_value
      - .address_space:  global
        .offset:         32
        .size:           8
        .value_kind:     global_buffer
      - .offset:         40
        .size:           8
        .value_kind:     by_value
      - .offset:         48
        .size:           4
        .value_kind:     by_value
      - .offset:         56
        .size:           8
        .value_kind:     by_value
      - .address_space:  global
        .offset:         64
        .size:           8
        .value_kind:     global_buffer
      - .offset:         72
        .size:           8
        .value_kind:     by_value
      - .offset:         80
        .size:           4
        .value_kind:     by_value
      - .offset:         88
        .size:           8
        .value_kind:     by_value
      - .offset:         96
        .size:           16
        .value_kind:     by_value
      - .offset:         112
        .size:           8
        .value_kind:     by_value
      - .address_space:  global
        .offset:         120
        .size:           8
        .value_kind:     global_buffer
      - .offset:         128
        .size:           8
        .value_kind:     by_value
      - .offset:         136
        .size:           4
        .value_kind:     by_value
      - .offset:         144
        .size:           8
        .value_kind:     by_value
      - .offset:         152
        .size:           4
        .value_kind:     by_value
      - .offset:         160
        .size:           4
        .value_kind:     hidden_block_count_x
      - .offset:         164
        .size:           4
        .value_kind:     hidden_block_count_y
      - .offset:         168
        .size:           4
        .value_kind:     hidden_block_count_z
      - .offset:         172
        .size:           2
        .value_kind:     hidden_group_size_x
      - .offset:         174
        .size:           2
        .value_kind:     hidden_group_size_y
      - .offset:         176
        .size:           2
        .value_kind:     hidden_group_size_z
      - .offset:         178
        .size:           2
        .value_kind:     hidden_remainder_x
      - .offset:         180
        .size:           2
        .value_kind:     hidden_remainder_y
      - .offset:         182
        .size:           2
        .value_kind:     hidden_remainder_z
      - .offset:         200
        .size:           8
        .value_kind:     hidden_global_offset_x
      - .offset:         208
        .size:           8
        .value_kind:     hidden_global_offset_y
      - .offset:         216
        .size:           8
        .value_kind:     hidden_global_offset_z
      - .offset:         224
        .size:           2
        .value_kind:     hidden_grid_dims
    .group_segment_fixed_size: 16384
    .kernarg_segment_align: 8
    .kernarg_segment_size: 416
    .language:       OpenCL C
    .language_version:
      - 2
      - 0
    .max_flat_workgroup_size: 1024
    .name:           _ZL20rocblas_gemvn_kernelILi64ELi16Ei19rocblas_complex_numIdES1_S1_EviiT3_lPKT2_lT1_lS5_lS6_lS2_lPT4_lS6_li
    .private_segment_fixed_size: 0
    .sgpr_count:     36
    .sgpr_spill_count: 0
    .symbol:         _ZL20rocblas_gemvn_kernelILi64ELi16Ei19rocblas_complex_numIdES1_S1_EviiT3_lPKT2_lT1_lS5_lS6_lS2_lPT4_lS6_li.kd
    .uniform_work_group_size: 1
    .uses_dynamic_stack: false
    .vgpr_count:     21
    .vgpr_spill_count: 0
    .wavefront_size: 32
    .workgroup_processor_mode: 1
  - .args:
      - .offset:         0
        .size:           4
        .value_kind:     by_value
      - .offset:         4
        .size:           4
        .value_kind:     by_value
      - .offset:         8
        .size:           16
        .value_kind:     by_value
      - .offset:         24
        .size:           8
        .value_kind:     by_value
      - .address_space:  global
        .offset:         32
        .size:           8
        .value_kind:     global_buffer
      - .offset:         40
        .size:           8
        .value_kind:     by_value
      - .offset:         48
        .size:           8
        .value_kind:     by_value
      - .offset:         56
        .size:           8
        .value_kind:     by_value
      - .address_space:  global
        .offset:         64
        .size:           8
        .value_kind:     global_buffer
      - .offset:         72
        .size:           8
        .value_kind:     by_value
      - .offset:         80
        .size:           8
        .value_kind:     by_value
      - .offset:         88
        .size:           8
        .value_kind:     by_value
      - .offset:         96
        .size:           16
        .value_kind:     by_value
      - .offset:         112
        .size:           8
        .value_kind:     by_value
      - .address_space:  global
        .offset:         120
        .size:           8
        .value_kind:     global_buffer
      - .offset:         128
        .size:           8
        .value_kind:     by_value
      - .offset:         136
        .size:           8
        .value_kind:     by_value
      - .offset:         144
        .size:           8
        .value_kind:     by_value
      - .offset:         152
        .size:           4
        .value_kind:     by_value
      - .offset:         160
        .size:           4
        .value_kind:     hidden_block_count_x
      - .offset:         164
        .size:           4
        .value_kind:     hidden_block_count_y
      - .offset:         168
        .size:           4
        .value_kind:     hidden_block_count_z
      - .offset:         172
        .size:           2
        .value_kind:     hidden_group_size_x
      - .offset:         174
        .size:           2
        .value_kind:     hidden_group_size_y
      - .offset:         176
        .size:           2
        .value_kind:     hidden_group_size_z
      - .offset:         178
        .size:           2
        .value_kind:     hidden_remainder_x
      - .offset:         180
        .size:           2
        .value_kind:     hidden_remainder_y
      - .offset:         182
        .size:           2
        .value_kind:     hidden_remainder_z
      - .offset:         200
        .size:           8
        .value_kind:     hidden_global_offset_x
      - .offset:         208
        .size:           8
        .value_kind:     hidden_global_offset_y
      - .offset:         216
        .size:           8
        .value_kind:     hidden_global_offset_z
      - .offset:         224
        .size:           2
        .value_kind:     hidden_grid_dims
    .group_segment_fixed_size: 16384
    .kernarg_segment_align: 8
    .kernarg_segment_size: 416
    .language:       OpenCL C
    .language_version:
      - 2
      - 0
    .max_flat_workgroup_size: 1024
    .name:           _ZL20rocblas_gemvn_kernelILi64ELi16El19rocblas_complex_numIdES1_S1_EviiT3_lPKT2_lT1_lS5_lS6_lS2_lPT4_lS6_li
    .private_segment_fixed_size: 0
    .sgpr_count:     47
    .sgpr_spill_count: 0
    .symbol:         _ZL20rocblas_gemvn_kernelILi64ELi16El19rocblas_complex_numIdES1_S1_EviiT3_lPKT2_lT1_lS5_lS6_lS2_lPT4_lS6_li.kd
    .uniform_work_group_size: 1
    .uses_dynamic_stack: false
    .vgpr_count:     21
    .vgpr_spill_count: 0
    .wavefront_size: 32
    .workgroup_processor_mode: 1
  - .args:
      - .offset:         0
        .size:           4
        .value_kind:     by_value
      - .offset:         4
        .size:           4
        .value_kind:     by_value
      - .address_space:  global
        .offset:         8
        .size:           8
        .value_kind:     global_buffer
      - .offset:         16
        .size:           8
        .value_kind:     by_value
      - .address_space:  global
        .offset:         24
        .size:           8
        .value_kind:     global_buffer
      - .offset:         32
        .size:           8
        .value_kind:     by_value
      - .offset:         40
        .size:           4
        .value_kind:     by_value
      - .offset:         48
        .size:           8
        .value_kind:     by_value
      - .address_space:  global
        .offset:         56
        .size:           8
        .value_kind:     global_buffer
      - .offset:         64
        .size:           8
        .value_kind:     by_value
      - .offset:         72
        .size:           4
        .value_kind:     by_value
      - .offset:         80
        .size:           8
        .value_kind:     by_value
      - .address_space:  global
        .offset:         88
        .size:           8
        .value_kind:     global_buffer
      - .offset:         96
        .size:           8
        .value_kind:     by_value
      - .address_space:  global
        .offset:         104
        .size:           8
        .value_kind:     global_buffer
      - .offset:         112
        .size:           8
        .value_kind:     by_value
      - .offset:         120
        .size:           4
        .value_kind:     by_value
      - .offset:         128
        .size:           8
        .value_kind:     by_value
    .group_segment_fixed_size: 1024
    .kernarg_segment_align: 8
    .kernarg_segment_size: 136
    .language:       OpenCL C
    .language_version:
      - 2
      - 0
    .max_flat_workgroup_size: 256
    .name:           _ZL22rocblas_gemvtsm_kernelILb0ELi256E19rocblas_complex_numIdEPKS1_S1_EviiT2_lPKT1_lilS7_lilS4_lPT3_lil
    .private_segment_fixed_size: 0
    .sgpr_count:     38
    .sgpr_spill_count: 0
    .symbol:         _ZL22rocblas_gemvtsm_kernelILb0ELi256E19rocblas_complex_numIdEPKS1_S1_EviiT2_lPKT1_lilS7_lilS4_lPT3_lil.kd
    .uniform_work_group_size: 1
    .uses_dynamic_stack: false
    .vgpr_count:     62
    .vgpr_spill_count: 0
    .wavefront_size: 32
    .workgroup_processor_mode: 1
  - .args:
      - .offset:         0
        .size:           4
        .value_kind:     by_value
      - .offset:         4
        .size:           4
        .value_kind:     by_value
      - .offset:         8
        .size:           16
        .value_kind:     by_value
      - .offset:         24
        .size:           8
        .value_kind:     by_value
      - .address_space:  global
        .offset:         32
        .size:           8
        .value_kind:     global_buffer
      - .offset:         40
        .size:           8
        .value_kind:     by_value
      - .offset:         48
        .size:           4
        .value_kind:     by_value
      - .offset:         56
        .size:           8
        .value_kind:     by_value
      - .address_space:  global
        .offset:         64
        .size:           8
        .value_kind:     global_buffer
      - .offset:         72
        .size:           8
        .value_kind:     by_value
      - .offset:         80
        .size:           4
        .value_kind:     by_value
      - .offset:         88
        .size:           8
        .value_kind:     by_value
      - .offset:         96
        .size:           16
        .value_kind:     by_value
      - .offset:         112
        .size:           8
        .value_kind:     by_value
      - .address_space:  global
        .offset:         120
        .size:           8
        .value_kind:     global_buffer
      - .offset:         128
        .size:           8
        .value_kind:     by_value
      - .offset:         136
        .size:           4
        .value_kind:     by_value
      - .offset:         144
        .size:           8
        .value_kind:     by_value
    .group_segment_fixed_size: 1024
    .kernarg_segment_align: 8
    .kernarg_segment_size: 152
    .language:       OpenCL C
    .language_version:
      - 2
      - 0
    .max_flat_workgroup_size: 256
    .name:           _ZL22rocblas_gemvtsm_kernelILb0ELi256E19rocblas_complex_numIdES1_S1_EviiT2_lPKT1_lilS5_lilS2_lPT3_lil
    .private_segment_fixed_size: 0
    .sgpr_count:     33
    .sgpr_spill_count: 0
    .symbol:         _ZL22rocblas_gemvtsm_kernelILb0ELi256E19rocblas_complex_numIdES1_S1_EviiT2_lPKT1_lilS5_lilS2_lPT3_lil.kd
    .uniform_work_group_size: 1
    .uses_dynamic_stack: false
    .vgpr_count:     62
    .vgpr_spill_count: 0
    .wavefront_size: 32
    .workgroup_processor_mode: 1
  - .args:
      - .offset:         0
        .size:           4
        .value_kind:     by_value
      - .offset:         4
        .size:           4
        .value_kind:     by_value
      - .address_space:  global
        .offset:         8
        .size:           8
        .value_kind:     global_buffer
      - .offset:         16
        .size:           8
        .value_kind:     by_value
      - .address_space:  global
        .offset:         24
        .size:           8
        .value_kind:     global_buffer
      - .offset:         32
        .size:           8
        .value_kind:     by_value
      - .offset:         40
        .size:           4
        .value_kind:     by_value
      - .offset:         48
        .size:           8
        .value_kind:     by_value
      - .address_space:  global
        .offset:         56
        .size:           8
        .value_kind:     global_buffer
      - .offset:         64
        .size:           8
        .value_kind:     by_value
      - .offset:         72
        .size:           4
        .value_kind:     by_value
      - .offset:         80
        .size:           8
        .value_kind:     by_value
      - .address_space:  global
        .offset:         88
        .size:           8
        .value_kind:     global_buffer
      - .offset:         96
        .size:           4
        .value_kind:     by_value
      - .offset:         104
        .size:           4
        .value_kind:     hidden_block_count_x
      - .offset:         108
        .size:           4
        .value_kind:     hidden_block_count_y
      - .offset:         112
        .size:           4
        .value_kind:     hidden_block_count_z
      - .offset:         116
        .size:           2
        .value_kind:     hidden_group_size_x
      - .offset:         118
        .size:           2
        .value_kind:     hidden_group_size_y
      - .offset:         120
        .size:           2
        .value_kind:     hidden_group_size_z
      - .offset:         122
        .size:           2
        .value_kind:     hidden_remainder_x
      - .offset:         124
        .size:           2
        .value_kind:     hidden_remainder_y
      - .offset:         126
        .size:           2
        .value_kind:     hidden_remainder_z
      - .offset:         144
        .size:           8
        .value_kind:     hidden_global_offset_x
      - .offset:         152
        .size:           8
        .value_kind:     hidden_global_offset_y
      - .offset:         160
        .size:           8
        .value_kind:     hidden_global_offset_z
      - .offset:         168
        .size:           2
        .value_kind:     hidden_grid_dims
    .group_segment_fixed_size: 512
    .kernarg_segment_align: 8
    .kernarg_segment_size: 360
    .language:       OpenCL C
    .language_version:
      - 2
      - 0
    .max_flat_workgroup_size: 256
    .name:           _ZL23rocblas_gemvt_sn_kernelILb0ELi256ELi4Ei19rocblas_complex_numIdEPKS1_S1_EviiT4_lPKT3_lilS7_lilPT5_i
    .private_segment_fixed_size: 80
    .sgpr_count:     54
    .sgpr_spill_count: 0
    .symbol:         _ZL23rocblas_gemvt_sn_kernelILb0ELi256ELi4Ei19rocblas_complex_numIdEPKS1_S1_EviiT4_lPKT3_lilS7_lilPT5_i.kd
    .uniform_work_group_size: 1
    .uses_dynamic_stack: false
    .vgpr_count:     128
    .vgpr_spill_count: 0
    .wavefront_size: 32
    .workgroup_processor_mode: 1
  - .args:
      - .offset:         0
        .size:           4
        .value_kind:     by_value
      - .offset:         4
        .size:           4
        .value_kind:     by_value
      - .address_space:  global
        .offset:         8
        .size:           8
        .value_kind:     global_buffer
      - .offset:         16
        .size:           8
        .value_kind:     by_value
      - .address_space:  global
        .offset:         24
        .size:           8
        .value_kind:     global_buffer
      - .offset:         32
        .size:           8
        .value_kind:     by_value
      - .offset:         40
        .size:           4
        .value_kind:     by_value
      - .offset:         48
        .size:           8
        .value_kind:     by_value
      - .address_space:  global
        .offset:         56
        .size:           8
        .value_kind:     global_buffer
      - .offset:         64
        .size:           8
        .value_kind:     by_value
      - .offset:         72
        .size:           4
        .value_kind:     by_value
      - .offset:         80
        .size:           8
        .value_kind:     by_value
      - .address_space:  global
        .offset:         88
        .size:           8
        .value_kind:     global_buffer
      - .offset:         96
        .size:           4
        .value_kind:     by_value
      - .offset:         104
        .size:           4
        .value_kind:     hidden_block_count_x
      - .offset:         108
        .size:           4
        .value_kind:     hidden_block_count_y
      - .offset:         112
        .size:           4
        .value_kind:     hidden_block_count_z
      - .offset:         116
        .size:           2
        .value_kind:     hidden_group_size_x
      - .offset:         118
        .size:           2
        .value_kind:     hidden_group_size_y
      - .offset:         120
        .size:           2
        .value_kind:     hidden_group_size_z
      - .offset:         122
        .size:           2
        .value_kind:     hidden_remainder_x
      - .offset:         124
        .size:           2
        .value_kind:     hidden_remainder_y
      - .offset:         126
        .size:           2
        .value_kind:     hidden_remainder_z
      - .offset:         144
        .size:           8
        .value_kind:     hidden_global_offset_x
      - .offset:         152
        .size:           8
        .value_kind:     hidden_global_offset_y
      - .offset:         160
        .size:           8
        .value_kind:     hidden_global_offset_z
      - .offset:         168
        .size:           2
        .value_kind:     hidden_grid_dims
    .group_segment_fixed_size: 512
    .kernarg_segment_align: 8
    .kernarg_segment_size: 360
    .language:       OpenCL C
    .language_version:
      - 2
      - 0
    .max_flat_workgroup_size: 256
    .name:           _ZL23rocblas_gemvt_sn_kernelILb0ELi256ELi4El19rocblas_complex_numIdEPKS1_S1_EviiT4_lPKT3_lilS7_lilPT5_i
    .private_segment_fixed_size: 80
    .sgpr_count:     63
    .sgpr_spill_count: 0
    .symbol:         _ZL23rocblas_gemvt_sn_kernelILb0ELi256ELi4El19rocblas_complex_numIdEPKS1_S1_EviiT4_lPKT3_lilS7_lilPT5_i.kd
    .uniform_work_group_size: 1
    .uses_dynamic_stack: false
    .vgpr_count:     132
    .vgpr_spill_count: 0
    .wavefront_size: 32
    .workgroup_processor_mode: 1
  - .args:
      - .offset:         0
        .size:           4
        .value_kind:     by_value
      - .address_space:  global
        .offset:         8
        .size:           8
        .value_kind:     global_buffer
      - .offset:         16
        .size:           8
        .value_kind:     by_value
      - .address_space:  global
        .offset:         24
        .size:           8
        .value_kind:     global_buffer
      - .offset:         32
        .size:           8
        .value_kind:     by_value
      - .offset:         40
        .size:           4
        .value_kind:     by_value
      - .offset:         48
        .size:           8
        .value_kind:     by_value
      - .actual_access:  read_only
        .address_space:  global
        .offset:         56
        .size:           8
        .value_kind:     global_buffer
      - .offset:         64
        .size:           4
        .value_kind:     by_value
      - .offset:         72
        .size:           4
        .value_kind:     hidden_block_count_x
      - .offset:         76
        .size:           4
        .value_kind:     hidden_block_count_y
      - .offset:         80
        .size:           4
        .value_kind:     hidden_block_count_z
      - .offset:         84
        .size:           2
        .value_kind:     hidden_group_size_x
      - .offset:         86
        .size:           2
        .value_kind:     hidden_group_size_y
      - .offset:         88
        .size:           2
        .value_kind:     hidden_group_size_z
      - .offset:         90
        .size:           2
        .value_kind:     hidden_remainder_x
      - .offset:         92
        .size:           2
        .value_kind:     hidden_remainder_y
      - .offset:         94
        .size:           2
        .value_kind:     hidden_remainder_z
      - .offset:         112
        .size:           8
        .value_kind:     hidden_global_offset_x
      - .offset:         120
        .size:           8
        .value_kind:     hidden_global_offset_y
      - .offset:         128
        .size:           8
        .value_kind:     hidden_global_offset_z
      - .offset:         136
        .size:           2
        .value_kind:     hidden_grid_dims
    .group_segment_fixed_size: 512
    .kernarg_segment_align: 8
    .kernarg_segment_size: 328
    .language:       OpenCL C
    .language_version:
      - 2
      - 0
    .max_flat_workgroup_size: 256
    .name:           _ZL23rocblas_gemvt_sn_reduceILi256ELi8E19rocblas_complex_numIdEPKS1_S1_EviT2_lPT3_lilPT1_i
    .private_segment_fixed_size: 0
    .sgpr_count:     26
    .sgpr_spill_count: 0
    .symbol:         _ZL23rocblas_gemvt_sn_reduceILi256ELi8E19rocblas_complex_numIdEPKS1_S1_EviT2_lPT3_lilPT1_i.kd
    .uniform_work_group_size: 1
    .uses_dynamic_stack: false
    .vgpr_count:     40
    .vgpr_spill_count: 0
    .wavefront_size: 32
    .workgroup_processor_mode: 1
  - .args:
      - .offset:         0
        .size:           4
        .value_kind:     by_value
      - .offset:         4
        .size:           4
        .value_kind:     by_value
      - .offset:         8
        .size:           16
        .value_kind:     by_value
      - .offset:         24
        .size:           8
        .value_kind:     by_value
      - .address_space:  global
        .offset:         32
        .size:           8
        .value_kind:     global_buffer
      - .offset:         40
        .size:           8
        .value_kind:     by_value
      - .offset:         48
        .size:           4
        .value_kind:     by_value
      - .offset:         56
        .size:           8
        .value_kind:     by_value
      - .address_space:  global
        .offset:         64
        .size:           8
        .value_kind:     global_buffer
      - .offset:         72
        .size:           8
        .value_kind:     by_value
      - .offset:         80
        .size:           4
        .value_kind:     by_value
      - .offset:         88
        .size:           8
        .value_kind:     by_value
      - .address_space:  global
        .offset:         96
        .size:           8
        .value_kind:     global_buffer
      - .offset:         104
        .size:           4
        .value_kind:     by_value
      - .offset:         112
        .size:           4
        .value_kind:     hidden_block_count_x
      - .offset:         116
        .size:           4
        .value_kind:     hidden_block_count_y
      - .offset:         120
        .size:           4
        .value_kind:     hidden_block_count_z
      - .offset:         124
        .size:           2
        .value_kind:     hidden_group_size_x
      - .offset:         126
        .size:           2
        .value_kind:     hidden_group_size_y
      - .offset:         128
        .size:           2
        .value_kind:     hidden_group_size_z
      - .offset:         130
        .size:           2
        .value_kind:     hidden_remainder_x
      - .offset:         132
        .size:           2
        .value_kind:     hidden_remainder_y
      - .offset:         134
        .size:           2
        .value_kind:     hidden_remainder_z
      - .offset:         152
        .size:           8
        .value_kind:     hidden_global_offset_x
      - .offset:         160
        .size:           8
        .value_kind:     hidden_global_offset_y
      - .offset:         168
        .size:           8
        .value_kind:     hidden_global_offset_z
      - .offset:         176
        .size:           2
        .value_kind:     hidden_grid_dims
    .group_segment_fixed_size: 512
    .kernarg_segment_align: 8
    .kernarg_segment_size: 368
    .language:       OpenCL C
    .language_version:
      - 2
      - 0
    .max_flat_workgroup_size: 256
    .name:           _ZL23rocblas_gemvt_sn_kernelILb0ELi256ELi4Ei19rocblas_complex_numIdES1_S1_EviiT4_lPKT3_lilS5_lilPT5_i
    .private_segment_fixed_size: 80
    .sgpr_count:     54
    .sgpr_spill_count: 0
    .symbol:         _ZL23rocblas_gemvt_sn_kernelILb0ELi256ELi4Ei19rocblas_complex_numIdES1_S1_EviiT4_lPKT3_lilS5_lilPT5_i.kd
    .uniform_work_group_size: 1
    .uses_dynamic_stack: false
    .vgpr_count:     128
    .vgpr_spill_count: 0
    .wavefront_size: 32
    .workgroup_processor_mode: 1
  - .args:
      - .offset:         0
        .size:           4
        .value_kind:     by_value
      - .offset:         4
        .size:           4
        .value_kind:     by_value
      - .offset:         8
        .size:           16
        .value_kind:     by_value
      - .offset:         24
        .size:           8
        .value_kind:     by_value
      - .address_space:  global
        .offset:         32
        .size:           8
        .value_kind:     global_buffer
      - .offset:         40
        .size:           8
        .value_kind:     by_value
      - .offset:         48
        .size:           4
        .value_kind:     by_value
      - .offset:         56
        .size:           8
        .value_kind:     by_value
      - .address_space:  global
        .offset:         64
        .size:           8
        .value_kind:     global_buffer
      - .offset:         72
        .size:           8
        .value_kind:     by_value
      - .offset:         80
        .size:           4
        .value_kind:     by_value
      - .offset:         88
        .size:           8
        .value_kind:     by_value
      - .address_space:  global
        .offset:         96
        .size:           8
        .value_kind:     global_buffer
      - .offset:         104
        .size:           4
        .value_kind:     by_value
      - .offset:         112
        .size:           4
        .value_kind:     hidden_block_count_x
      - .offset:         116
        .size:           4
        .value_kind:     hidden_block_count_y
      - .offset:         120
        .size:           4
        .value_kind:     hidden_block_count_z
      - .offset:         124
        .size:           2
        .value_kind:     hidden_group_size_x
      - .offset:         126
        .size:           2
        .value_kind:     hidden_group_size_y
      - .offset:         128
        .size:           2
        .value_kind:     hidden_group_size_z
      - .offset:         130
        .size:           2
        .value_kind:     hidden_remainder_x
      - .offset:         132
        .size:           2
        .value_kind:     hidden_remainder_y
      - .offset:         134
        .size:           2
        .value_kind:     hidden_remainder_z
      - .offset:         152
        .size:           8
        .value_kind:     hidden_global_offset_x
      - .offset:         160
        .size:           8
        .value_kind:     hidden_global_offset_y
      - .offset:         168
        .size:           8
        .value_kind:     hidden_global_offset_z
      - .offset:         176
        .size:           2
        .value_kind:     hidden_grid_dims
    .group_segment_fixed_size: 512
    .kernarg_segment_align: 8
    .kernarg_segment_size: 368
    .language:       OpenCL C
    .language_version:
      - 2
      - 0
    .max_flat_workgroup_size: 256
    .name:           _ZL23rocblas_gemvt_sn_kernelILb0ELi256ELi4El19rocblas_complex_numIdES1_S1_EviiT4_lPKT3_lilS5_lilPT5_i
    .private_segment_fixed_size: 80
    .sgpr_count:     63
    .sgpr_spill_count: 0
    .symbol:         _ZL23rocblas_gemvt_sn_kernelILb0ELi256ELi4El19rocblas_complex_numIdES1_S1_EviiT4_lPKT3_lilS5_lilPT5_i.kd
    .uniform_work_group_size: 1
    .uses_dynamic_stack: false
    .vgpr_count:     132
    .vgpr_spill_count: 0
    .wavefront_size: 32
    .workgroup_processor_mode: 1
  - .args:
      - .offset:         0
        .size:           4
        .value_kind:     by_value
      - .offset:         8
        .size:           16
        .value_kind:     by_value
      - .offset:         24
        .size:           8
        .value_kind:     by_value
      - .address_space:  global
        .offset:         32
        .size:           8
        .value_kind:     global_buffer
      - .offset:         40
        .size:           8
        .value_kind:     by_value
      - .offset:         48
        .size:           4
        .value_kind:     by_value
      - .offset:         56
        .size:           8
        .value_kind:     by_value
      - .actual_access:  read_only
        .address_space:  global
        .offset:         64
        .size:           8
        .value_kind:     global_buffer
      - .offset:         72
        .size:           4
        .value_kind:     by_value
      - .offset:         80
        .size:           4
        .value_kind:     hidden_block_count_x
      - .offset:         84
        .size:           4
        .value_kind:     hidden_block_count_y
      - .offset:         88
        .size:           4
        .value_kind:     hidden_block_count_z
      - .offset:         92
        .size:           2
        .value_kind:     hidden_group_size_x
      - .offset:         94
        .size:           2
        .value_kind:     hidden_group_size_y
      - .offset:         96
        .size:           2
        .value_kind:     hidden_group_size_z
      - .offset:         98
        .size:           2
        .value_kind:     hidden_remainder_x
      - .offset:         100
        .size:           2
        .value_kind:     hidden_remainder_y
      - .offset:         102
        .size:           2
        .value_kind:     hidden_remainder_z
      - .offset:         120
        .size:           8
        .value_kind:     hidden_global_offset_x
      - .offset:         128
        .size:           8
        .value_kind:     hidden_global_offset_y
      - .offset:         136
        .size:           8
        .value_kind:     hidden_global_offset_z
      - .offset:         144
        .size:           2
        .value_kind:     hidden_grid_dims
    .group_segment_fixed_size: 512
    .kernarg_segment_align: 8
    .kernarg_segment_size: 336
    .language:       OpenCL C
    .language_version:
      - 2
      - 0
    .max_flat_workgroup_size: 256
    .name:           _ZL23rocblas_gemvt_sn_reduceILi256ELi8E19rocblas_complex_numIdES1_S1_EviT2_lPT3_lilPT1_i
    .private_segment_fixed_size: 0
    .sgpr_count:     18
    .sgpr_spill_count: 0
    .symbol:         _ZL23rocblas_gemvt_sn_reduceILi256ELi8E19rocblas_complex_numIdES1_S1_EviT2_lPT3_lilPT1_i.kd
    .uniform_work_group_size: 1
    .uses_dynamic_stack: false
    .vgpr_count:     40
    .vgpr_spill_count: 0
    .wavefront_size: 32
    .workgroup_processor_mode: 1
  - .args:
      - .offset:         0
        .size:           4
        .value_kind:     by_value
      - .offset:         4
        .size:           4
        .value_kind:     by_value
      - .address_space:  global
        .offset:         8
        .size:           8
        .value_kind:     global_buffer
      - .offset:         16
        .size:           8
        .value_kind:     by_value
      - .address_space:  global
        .offset:         24
        .size:           8
        .value_kind:     global_buffer
      - .offset:         32
        .size:           8
        .value_kind:     by_value
      - .offset:         40
        .size:           4
        .value_kind:     by_value
      - .offset:         48
        .size:           8
        .value_kind:     by_value
      - .address_space:  global
        .offset:         56
        .size:           8
        .value_kind:     global_buffer
      - .offset:         64
        .size:           8
        .value_kind:     by_value
      - .offset:         72
        .size:           4
        .value_kind:     by_value
      - .offset:         80
        .size:           8
        .value_kind:     by_value
      - .address_space:  global
        .offset:         88
        .size:           8
        .value_kind:     global_buffer
      - .offset:         96
        .size:           8
        .value_kind:     by_value
      - .address_space:  global
        .offset:         104
        .size:           8
        .value_kind:     global_buffer
      - .offset:         112
        .size:           8
        .value_kind:     by_value
      - .offset:         120
        .size:           4
        .value_kind:     by_value
      - .offset:         128
        .size:           8
        .value_kind:     by_value
      - .offset:         136
        .size:           4
        .value_kind:     by_value
    .group_segment_fixed_size: 512
    .kernarg_segment_align: 8
    .kernarg_segment_size: 140
    .language:       OpenCL C
    .language_version:
      - 2
      - 0
    .max_flat_workgroup_size: 256
    .name:           _ZL32rocblas_gemvt_warp_reduce_kernelILb0ELi256Ei19rocblas_complex_numIdEPKS1_S1_EviiT3_lPKT2_lT1_lS7_lS8_lS4_lPT4_lS8_li
    .private_segment_fixed_size: 0
    .sgpr_count:     42
    .sgpr_spill_count: 0
    .symbol:         _ZL32rocblas_gemvt_warp_reduce_kernelILb0ELi256Ei19rocblas_complex_numIdEPKS1_S1_EviiT3_lPKT2_lT1_lS7_lS8_lS4_lPT4_lS8_li.kd
    .uniform_work_group_size: 1
    .uses_dynamic_stack: false
    .vgpr_count:     21
    .vgpr_spill_count: 0
    .wavefront_size: 32
    .workgroup_processor_mode: 1
  - .args:
      - .offset:         0
        .size:           4
        .value_kind:     by_value
      - .offset:         4
        .size:           4
        .value_kind:     by_value
      - .address_space:  global
        .offset:         8
        .size:           8
        .value_kind:     global_buffer
      - .offset:         16
        .size:           8
        .value_kind:     by_value
      - .address_space:  global
        .offset:         24
        .size:           8
        .value_kind:     global_buffer
      - .offset:         32
        .size:           8
        .value_kind:     by_value
      - .offset:         40
        .size:           8
        .value_kind:     by_value
      - .offset:         48
        .size:           8
        .value_kind:     by_value
      - .address_space:  global
        .offset:         56
        .size:           8
        .value_kind:     global_buffer
      - .offset:         64
        .size:           8
        .value_kind:     by_value
      - .offset:         72
        .size:           8
        .value_kind:     by_value
      - .offset:         80
        .size:           8
        .value_kind:     by_value
      - .address_space:  global
        .offset:         88
        .size:           8
        .value_kind:     global_buffer
      - .offset:         96
        .size:           8
        .value_kind:     by_value
      - .address_space:  global
        .offset:         104
        .size:           8
        .value_kind:     global_buffer
      - .offset:         112
        .size:           8
        .value_kind:     by_value
      - .offset:         120
        .size:           8
        .value_kind:     by_value
      - .offset:         128
        .size:           8
        .value_kind:     by_value
      - .offset:         136
        .size:           4
        .value_kind:     by_value
    .group_segment_fixed_size: 512
    .kernarg_segment_align: 8
    .kernarg_segment_size: 140
    .language:       OpenCL C
    .language_version:
      - 2
      - 0
    .max_flat_workgroup_size: 256
    .name:           _ZL32rocblas_gemvt_warp_reduce_kernelILb0ELi256El19rocblas_complex_numIdEPKS1_S1_EviiT3_lPKT2_lT1_lS7_lS8_lS4_lPT4_lS8_li
    .private_segment_fixed_size: 0
    .sgpr_count:     54
    .sgpr_spill_count: 0
    .symbol:         _ZL32rocblas_gemvt_warp_reduce_kernelILb0ELi256El19rocblas_complex_numIdEPKS1_S1_EviiT3_lPKT2_lT1_lS7_lS8_lS4_lPT4_lS8_li.kd
    .uniform_work_group_size: 1
    .uses_dynamic_stack: false
    .vgpr_count:     21
    .vgpr_spill_count: 0
    .wavefront_size: 32
    .workgroup_processor_mode: 1
  - .args:
      - .offset:         0
        .size:           4
        .value_kind:     by_value
      - .offset:         4
        .size:           4
        .value_kind:     by_value
      - .offset:         8
        .size:           16
        .value_kind:     by_value
      - .offset:         24
        .size:           8
        .value_kind:     by_value
      - .address_space:  global
        .offset:         32
        .size:           8
        .value_kind:     global_buffer
      - .offset:         40
        .size:           8
        .value_kind:     by_value
      - .offset:         48
        .size:           4
        .value_kind:     by_value
      - .offset:         56
        .size:           8
        .value_kind:     by_value
      - .address_space:  global
        .offset:         64
        .size:           8
        .value_kind:     global_buffer
      - .offset:         72
        .size:           8
        .value_kind:     by_value
      - .offset:         80
        .size:           4
        .value_kind:     by_value
      - .offset:         88
        .size:           8
        .value_kind:     by_value
      - .offset:         96
        .size:           16
        .value_kind:     by_value
      - .offset:         112
        .size:           8
        .value_kind:     by_value
      - .address_space:  global
        .offset:         120
        .size:           8
        .value_kind:     global_buffer
      - .offset:         128
        .size:           8
        .value_kind:     by_value
      - .offset:         136
        .size:           4
        .value_kind:     by_value
      - .offset:         144
        .size:           8
        .value_kind:     by_value
      - .offset:         152
        .size:           4
        .value_kind:     by_value
    .group_segment_fixed_size: 512
    .kernarg_segment_align: 8
    .kernarg_segment_size: 156
    .language:       OpenCL C
    .language_version:
      - 2
      - 0
    .max_flat_workgroup_size: 256
    .name:           _ZL32rocblas_gemvt_warp_reduce_kernelILb0ELi256Ei19rocblas_complex_numIdES1_S1_EviiT3_lPKT2_lT1_lS5_lS6_lS2_lPT4_lS6_li
    .private_segment_fixed_size: 0
    .sgpr_count:     38
    .sgpr_spill_count: 0
    .symbol:         _ZL32rocblas_gemvt_warp_reduce_kernelILb0ELi256Ei19rocblas_complex_numIdES1_S1_EviiT3_lPKT2_lT1_lS5_lS6_lS2_lPT4_lS6_li.kd
    .uniform_work_group_size: 1
    .uses_dynamic_stack: false
    .vgpr_count:     21
    .vgpr_spill_count: 0
    .wavefront_size: 32
    .workgroup_processor_mode: 1
  - .args:
      - .offset:         0
        .size:           4
        .value_kind:     by_value
      - .offset:         4
        .size:           4
        .value_kind:     by_value
      - .offset:         8
        .size:           16
        .value_kind:     by_value
      - .offset:         24
        .size:           8
        .value_kind:     by_value
      - .address_space:  global
        .offset:         32
        .size:           8
        .value_kind:     global_buffer
      - .offset:         40
        .size:           8
        .value_kind:     by_value
      - .offset:         48
        .size:           8
        .value_kind:     by_value
      - .offset:         56
        .size:           8
        .value_kind:     by_value
      - .address_space:  global
        .offset:         64
        .size:           8
        .value_kind:     global_buffer
      - .offset:         72
        .size:           8
        .value_kind:     by_value
      - .offset:         80
        .size:           8
        .value_kind:     by_value
      - .offset:         88
        .size:           8
        .value_kind:     by_value
      - .offset:         96
        .size:           16
        .value_kind:     by_value
      - .offset:         112
        .size:           8
        .value_kind:     by_value
      - .address_space:  global
        .offset:         120
        .size:           8
        .value_kind:     global_buffer
      - .offset:         128
        .size:           8
        .value_kind:     by_value
      - .offset:         136
        .size:           8
        .value_kind:     by_value
      - .offset:         144
        .size:           8
        .value_kind:     by_value
      - .offset:         152
        .size:           4
        .value_kind:     by_value
    .group_segment_fixed_size: 512
    .kernarg_segment_align: 8
    .kernarg_segment_size: 156
    .language:       OpenCL C
    .language_version:
      - 2
      - 0
    .max_flat_workgroup_size: 256
    .name:           _ZL32rocblas_gemvt_warp_reduce_kernelILb0ELi256El19rocblas_complex_numIdES1_S1_EviiT3_lPKT2_lT1_lS5_lS6_lS2_lPT4_lS6_li
    .private_segment_fixed_size: 0
    .sgpr_count:     46
    .sgpr_spill_count: 0
    .symbol:         _ZL32rocblas_gemvt_warp_reduce_kernelILb0ELi256El19rocblas_complex_numIdES1_S1_EviiT3_lPKT2_lT1_lS5_lS6_lS2_lPT4_lS6_li.kd
    .uniform_work_group_size: 1
    .uses_dynamic_stack: false
    .vgpr_count:     21
    .vgpr_spill_count: 0
    .wavefront_size: 32
    .workgroup_processor_mode: 1
  - .args:
      - .offset:         0
        .size:           4
        .value_kind:     by_value
      - .offset:         4
        .size:           4
        .value_kind:     by_value
      - .address_space:  global
        .offset:         8
        .size:           8
        .value_kind:     global_buffer
      - .offset:         16
        .size:           8
        .value_kind:     by_value
      - .address_space:  global
        .offset:         24
        .size:           8
        .value_kind:     global_buffer
      - .offset:         32
        .size:           8
        .value_kind:     by_value
      - .offset:         40
        .size:           4
        .value_kind:     by_value
      - .offset:         48
        .size:           8
        .value_kind:     by_value
      - .address_space:  global
        .offset:         56
        .size:           8
        .value_kind:     global_buffer
      - .offset:         64
        .size:           8
        .value_kind:     by_value
      - .offset:         72
        .size:           4
        .value_kind:     by_value
      - .offset:         80
        .size:           8
        .value_kind:     by_value
      - .address_space:  global
        .offset:         88
        .size:           8
        .value_kind:     global_buffer
      - .offset:         96
        .size:           8
        .value_kind:     by_value
      - .address_space:  global
        .offset:         104
        .size:           8
        .value_kind:     global_buffer
      - .offset:         112
        .size:           8
        .value_kind:     by_value
      - .offset:         120
        .size:           4
        .value_kind:     by_value
      - .offset:         128
        .size:           8
        .value_kind:     by_value
      - .offset:         136
        .size:           4
        .value_kind:     by_value
    .group_segment_fixed_size: 4096
    .kernarg_segment_align: 8
    .kernarg_segment_size: 140
    .language:       OpenCL C
    .language_version:
      - 2
      - 0
    .max_flat_workgroup_size: 256
    .name:           _ZL20rocblas_gemvt_kernelILb0ELi256E19rocblas_complex_numIdEPKS1_S1_EviiT2_lPKT1_lilS7_lilS4_lPT3_lili
    .private_segment_fixed_size: 0
    .sgpr_count:     40
    .sgpr_spill_count: 0
    .symbol:         _ZL20rocblas_gemvt_kernelILb0ELi256E19rocblas_complex_numIdEPKS1_S1_EviiT2_lPKT1_lilS7_lilS4_lPT3_lili.kd
    .uniform_work_group_size: 1
    .uses_dynamic_stack: false
    .vgpr_count:     20
    .vgpr_spill_count: 0
    .wavefront_size: 32
    .workgroup_processor_mode: 1
  - .args:
      - .offset:         0
        .size:           4
        .value_kind:     by_value
      - .offset:         4
        .size:           4
        .value_kind:     by_value
      - .offset:         8
        .size:           16
        .value_kind:     by_value
      - .offset:         24
        .size:           8
        .value_kind:     by_value
      - .address_space:  global
        .offset:         32
        .size:           8
        .value_kind:     global_buffer
      - .offset:         40
        .size:           8
        .value_kind:     by_value
      - .offset:         48
        .size:           4
        .value_kind:     by_value
      - .offset:         56
        .size:           8
        .value_kind:     by_value
      - .address_space:  global
        .offset:         64
        .size:           8
        .value_kind:     global_buffer
      - .offset:         72
        .size:           8
        .value_kind:     by_value
      - .offset:         80
        .size:           4
        .value_kind:     by_value
      - .offset:         88
        .size:           8
        .value_kind:     by_value
      - .offset:         96
        .size:           16
        .value_kind:     by_value
      - .offset:         112
        .size:           8
        .value_kind:     by_value
      - .address_space:  global
        .offset:         120
        .size:           8
        .value_kind:     global_buffer
      - .offset:         128
        .size:           8
        .value_kind:     by_value
      - .offset:         136
        .size:           4
        .value_kind:     by_value
      - .offset:         144
        .size:           8
        .value_kind:     by_value
      - .offset:         152
        .size:           4
        .value_kind:     by_value
    .group_segment_fixed_size: 4096
    .kernarg_segment_align: 8
    .kernarg_segment_size: 156
    .language:       OpenCL C
    .language_version:
      - 2
      - 0
    .max_flat_workgroup_size: 256
    .name:           _ZL20rocblas_gemvt_kernelILb0ELi256E19rocblas_complex_numIdES1_S1_EviiT2_lPKT1_lilS5_lilS2_lPT3_lili
    .private_segment_fixed_size: 0
    .sgpr_count:     42
    .sgpr_spill_count: 0
    .symbol:         _ZL20rocblas_gemvt_kernelILb0ELi256E19rocblas_complex_numIdES1_S1_EviiT2_lPKT1_lilS5_lilS2_lPT3_lili.kd
    .uniform_work_group_size: 1
    .uses_dynamic_stack: false
    .vgpr_count:     20
    .vgpr_spill_count: 0
    .wavefront_size: 32
    .workgroup_processor_mode: 1
  - .args:
      - .offset:         0
        .size:           4
        .value_kind:     by_value
      - .offset:         4
        .size:           4
        .value_kind:     by_value
      - .address_space:  global
        .offset:         8
        .size:           8
        .value_kind:     global_buffer
      - .offset:         16
        .size:           8
        .value_kind:     by_value
      - .address_space:  global
        .offset:         24
        .size:           8
        .value_kind:     global_buffer
      - .offset:         32
        .size:           8
        .value_kind:     by_value
      - .offset:         40
        .size:           4
        .value_kind:     by_value
      - .offset:         48
        .size:           8
        .value_kind:     by_value
      - .address_space:  global
        .offset:         56
        .size:           8
        .value_kind:     global_buffer
      - .offset:         64
        .size:           8
        .value_kind:     by_value
      - .offset:         72
        .size:           4
        .value_kind:     by_value
      - .offset:         80
        .size:           8
        .value_kind:     by_value
      - .address_space:  global
        .offset:         88
        .size:           8
        .value_kind:     global_buffer
      - .offset:         96
        .size:           8
        .value_kind:     by_value
      - .address_space:  global
        .offset:         104
        .size:           8
        .value_kind:     global_buffer
      - .offset:         112
        .size:           8
        .value_kind:     by_value
      - .offset:         120
        .size:           4
        .value_kind:     by_value
      - .offset:         128
        .size:           8
        .value_kind:     by_value
      - .offset:         136
        .size:           4
        .value_kind:     by_value
    .group_segment_fixed_size: 512
    .kernarg_segment_align: 8
    .kernarg_segment_size: 140
    .language:       OpenCL C
    .language_version:
      - 2
      - 0
    .max_flat_workgroup_size: 1024
    .name:           _ZL32rocblas_gemvt_warp_reduce_kernelILb0ELi1024Ei19rocblas_complex_numIdEPKS1_S1_EviiT3_lPKT2_lT1_lS7_lS8_lS4_lPT4_lS8_li
    .private_segment_fixed_size: 0
    .sgpr_count:     42
    .sgpr_spill_count: 0
    .symbol:         _ZL32rocblas_gemvt_warp_reduce_kernelILb0ELi1024Ei19rocblas_complex_numIdEPKS1_S1_EviiT3_lPKT2_lT1_lS7_lS8_lS4_lPT4_lS8_li.kd
    .uniform_work_group_size: 1
    .uses_dynamic_stack: false
    .vgpr_count:     21
    .vgpr_spill_count: 0
    .wavefront_size: 32
    .workgroup_processor_mode: 1
  - .args:
      - .offset:         0
        .size:           4
        .value_kind:     by_value
      - .offset:         4
        .size:           4
        .value_kind:     by_value
      - .address_space:  global
        .offset:         8
        .size:           8
        .value_kind:     global_buffer
      - .offset:         16
        .size:           8
        .value_kind:     by_value
      - .address_space:  global
        .offset:         24
        .size:           8
        .value_kind:     global_buffer
      - .offset:         32
        .size:           8
        .value_kind:     by_value
      - .offset:         40
        .size:           8
        .value_kind:     by_value
      - .offset:         48
        .size:           8
        .value_kind:     by_value
      - .address_space:  global
        .offset:         56
        .size:           8
        .value_kind:     global_buffer
      - .offset:         64
        .size:           8
        .value_kind:     by_value
      - .offset:         72
        .size:           8
        .value_kind:     by_value
      - .offset:         80
        .size:           8
        .value_kind:     by_value
      - .address_space:  global
        .offset:         88
        .size:           8
        .value_kind:     global_buffer
      - .offset:         96
        .size:           8
        .value_kind:     by_value
      - .address_space:  global
        .offset:         104
        .size:           8
        .value_kind:     global_buffer
      - .offset:         112
        .size:           8
        .value_kind:     by_value
      - .offset:         120
        .size:           8
        .value_kind:     by_value
      - .offset:         128
        .size:           8
        .value_kind:     by_value
      - .offset:         136
        .size:           4
        .value_kind:     by_value
    .group_segment_fixed_size: 512
    .kernarg_segment_align: 8
    .kernarg_segment_size: 140
    .language:       OpenCL C
    .language_version:
      - 2
      - 0
    .max_flat_workgroup_size: 1024
    .name:           _ZL32rocblas_gemvt_warp_reduce_kernelILb0ELi1024El19rocblas_complex_numIdEPKS1_S1_EviiT3_lPKT2_lT1_lS7_lS8_lS4_lPT4_lS8_li
    .private_segment_fixed_size: 0
    .sgpr_count:     54
    .sgpr_spill_count: 0
    .symbol:         _ZL32rocblas_gemvt_warp_reduce_kernelILb0ELi1024El19rocblas_complex_numIdEPKS1_S1_EviiT3_lPKT2_lT1_lS7_lS8_lS4_lPT4_lS8_li.kd
    .uniform_work_group_size: 1
    .uses_dynamic_stack: false
    .vgpr_count:     21
    .vgpr_spill_count: 0
    .wavefront_size: 32
    .workgroup_processor_mode: 1
  - .args:
      - .offset:         0
        .size:           4
        .value_kind:     by_value
      - .offset:         4
        .size:           4
        .value_kind:     by_value
      - .offset:         8
        .size:           16
        .value_kind:     by_value
      - .offset:         24
        .size:           8
        .value_kind:     by_value
      - .address_space:  global
        .offset:         32
        .size:           8
        .value_kind:     global_buffer
      - .offset:         40
        .size:           8
        .value_kind:     by_value
      - .offset:         48
        .size:           4
        .value_kind:     by_value
      - .offset:         56
        .size:           8
        .value_kind:     by_value
      - .address_space:  global
        .offset:         64
        .size:           8
        .value_kind:     global_buffer
      - .offset:         72
        .size:           8
        .value_kind:     by_value
      - .offset:         80
        .size:           4
        .value_kind:     by_value
      - .offset:         88
        .size:           8
        .value_kind:     by_value
      - .offset:         96
        .size:           16
        .value_kind:     by_value
      - .offset:         112
        .size:           8
        .value_kind:     by_value
      - .address_space:  global
        .offset:         120
        .size:           8
        .value_kind:     global_buffer
      - .offset:         128
        .size:           8
        .value_kind:     by_value
      - .offset:         136
        .size:           4
        .value_kind:     by_value
      - .offset:         144
        .size:           8
        .value_kind:     by_value
      - .offset:         152
        .size:           4
        .value_kind:     by_value
    .group_segment_fixed_size: 512
    .kernarg_segment_align: 8
    .kernarg_segment_size: 156
    .language:       OpenCL C
    .language_version:
      - 2
      - 0
    .max_flat_workgroup_size: 1024
    .name:           _ZL32rocblas_gemvt_warp_reduce_kernelILb0ELi1024Ei19rocblas_complex_numIdES1_S1_EviiT3_lPKT2_lT1_lS5_lS6_lS2_lPT4_lS6_li
    .private_segment_fixed_size: 0
    .sgpr_count:     38
    .sgpr_spill_count: 0
    .symbol:         _ZL32rocblas_gemvt_warp_reduce_kernelILb0ELi1024Ei19rocblas_complex_numIdES1_S1_EviiT3_lPKT2_lT1_lS5_lS6_lS2_lPT4_lS6_li.kd
    .uniform_work_group_size: 1
    .uses_dynamic_stack: false
    .vgpr_count:     21
    .vgpr_spill_count: 0
    .wavefront_size: 32
    .workgroup_processor_mode: 1
  - .args:
      - .offset:         0
        .size:           4
        .value_kind:     by_value
      - .offset:         4
        .size:           4
        .value_kind:     by_value
      - .offset:         8
        .size:           16
        .value_kind:     by_value
      - .offset:         24
        .size:           8
        .value_kind:     by_value
      - .address_space:  global
        .offset:         32
        .size:           8
        .value_kind:     global_buffer
      - .offset:         40
        .size:           8
        .value_kind:     by_value
      - .offset:         48
        .size:           8
        .value_kind:     by_value
      - .offset:         56
        .size:           8
        .value_kind:     by_value
      - .address_space:  global
        .offset:         64
        .size:           8
        .value_kind:     global_buffer
      - .offset:         72
        .size:           8
        .value_kind:     by_value
      - .offset:         80
        .size:           8
        .value_kind:     by_value
      - .offset:         88
        .size:           8
        .value_kind:     by_value
      - .offset:         96
        .size:           16
        .value_kind:     by_value
      - .offset:         112
        .size:           8
        .value_kind:     by_value
      - .address_space:  global
        .offset:         120
        .size:           8
        .value_kind:     global_buffer
      - .offset:         128
        .size:           8
        .value_kind:     by_value
      - .offset:         136
        .size:           8
        .value_kind:     by_value
      - .offset:         144
        .size:           8
        .value_kind:     by_value
      - .offset:         152
        .size:           4
        .value_kind:     by_value
    .group_segment_fixed_size: 512
    .kernarg_segment_align: 8
    .kernarg_segment_size: 156
    .language:       OpenCL C
    .language_version:
      - 2
      - 0
    .max_flat_workgroup_size: 1024
    .name:           _ZL32rocblas_gemvt_warp_reduce_kernelILb0ELi1024El19rocblas_complex_numIdES1_S1_EviiT3_lPKT2_lT1_lS5_lS6_lS2_lPT4_lS6_li
    .private_segment_fixed_size: 0
    .sgpr_count:     46
    .sgpr_spill_count: 0
    .symbol:         _ZL32rocblas_gemvt_warp_reduce_kernelILb0ELi1024El19rocblas_complex_numIdES1_S1_EviiT3_lPKT2_lT1_lS5_lS6_lS2_lPT4_lS6_li.kd
    .uniform_work_group_size: 1
    .uses_dynamic_stack: false
    .vgpr_count:     21
    .vgpr_spill_count: 0
    .wavefront_size: 32
    .workgroup_processor_mode: 1
  - .args:
      - .offset:         0
        .size:           4
        .value_kind:     by_value
      - .offset:         4
        .size:           4
        .value_kind:     by_value
      - .address_space:  global
        .offset:         8
        .size:           8
        .value_kind:     global_buffer
      - .offset:         16
        .size:           8
        .value_kind:     by_value
      - .address_space:  global
        .offset:         24
        .size:           8
        .value_kind:     global_buffer
      - .offset:         32
        .size:           8
        .value_kind:     by_value
      - .offset:         40
        .size:           4
        .value_kind:     by_value
      - .offset:         48
        .size:           8
        .value_kind:     by_value
      - .address_space:  global
        .offset:         56
        .size:           8
        .value_kind:     global_buffer
      - .offset:         64
        .size:           8
        .value_kind:     by_value
      - .offset:         72
        .size:           4
        .value_kind:     by_value
      - .offset:         80
        .size:           8
        .value_kind:     by_value
      - .address_space:  global
        .offset:         88
        .size:           8
        .value_kind:     global_buffer
      - .offset:         96
        .size:           8
        .value_kind:     by_value
      - .address_space:  global
        .offset:         104
        .size:           8
        .value_kind:     global_buffer
      - .offset:         112
        .size:           8
        .value_kind:     by_value
      - .offset:         120
        .size:           4
        .value_kind:     by_value
      - .offset:         128
        .size:           8
        .value_kind:     by_value
    .group_segment_fixed_size: 1024
    .kernarg_segment_align: 8
    .kernarg_segment_size: 136
    .language:       OpenCL C
    .language_version:
      - 2
      - 0
    .max_flat_workgroup_size: 256
    .name:           _ZL22rocblas_gemvtsm_kernelILb1ELi256E19rocblas_complex_numIdEPKS1_S1_EviiT2_lPKT1_lilS7_lilS4_lPT3_lil
    .private_segment_fixed_size: 0
    .sgpr_count:     38
    .sgpr_spill_count: 0
    .symbol:         _ZL22rocblas_gemvtsm_kernelILb1ELi256E19rocblas_complex_numIdEPKS1_S1_EviiT2_lPKT1_lilS7_lilS4_lPT3_lil.kd
    .uniform_work_group_size: 1
    .uses_dynamic_stack: false
    .vgpr_count:     62
    .vgpr_spill_count: 0
    .wavefront_size: 32
    .workgroup_processor_mode: 1
  - .args:
      - .offset:         0
        .size:           4
        .value_kind:     by_value
      - .offset:         4
        .size:           4
        .value_kind:     by_value
      - .offset:         8
        .size:           16
        .value_kind:     by_value
      - .offset:         24
        .size:           8
        .value_kind:     by_value
      - .address_space:  global
        .offset:         32
        .size:           8
        .value_kind:     global_buffer
      - .offset:         40
        .size:           8
        .value_kind:     by_value
      - .offset:         48
        .size:           4
        .value_kind:     by_value
      - .offset:         56
        .size:           8
        .value_kind:     by_value
      - .address_space:  global
        .offset:         64
        .size:           8
        .value_kind:     global_buffer
      - .offset:         72
        .size:           8
        .value_kind:     by_value
      - .offset:         80
        .size:           4
        .value_kind:     by_value
      - .offset:         88
        .size:           8
        .value_kind:     by_value
      - .offset:         96
        .size:           16
        .value_kind:     by_value
      - .offset:         112
        .size:           8
        .value_kind:     by_value
      - .address_space:  global
        .offset:         120
        .size:           8
        .value_kind:     global_buffer
      - .offset:         128
        .size:           8
        .value_kind:     by_value
      - .offset:         136
        .size:           4
        .value_kind:     by_value
      - .offset:         144
        .size:           8
        .value_kind:     by_value
    .group_segment_fixed_size: 1024
    .kernarg_segment_align: 8
    .kernarg_segment_size: 152
    .language:       OpenCL C
    .language_version:
      - 2
      - 0
    .max_flat_workgroup_size: 256
    .name:           _ZL22rocblas_gemvtsm_kernelILb1ELi256E19rocblas_complex_numIdES1_S1_EviiT2_lPKT1_lilS5_lilS2_lPT3_lil
    .private_segment_fixed_size: 0
    .sgpr_count:     33
    .sgpr_spill_count: 0
    .symbol:         _ZL22rocblas_gemvtsm_kernelILb1ELi256E19rocblas_complex_numIdES1_S1_EviiT2_lPKT1_lilS5_lilS2_lPT3_lil.kd
    .uniform_work_group_size: 1
    .uses_dynamic_stack: false
    .vgpr_count:     62
    .vgpr_spill_count: 0
    .wavefront_size: 32
    .workgroup_processor_mode: 1
  - .args:
      - .offset:         0
        .size:           4
        .value_kind:     by_value
      - .offset:         4
        .size:           4
        .value_kind:     by_value
      - .address_space:  global
        .offset:         8
        .size:           8
        .value_kind:     global_buffer
      - .offset:         16
        .size:           8
        .value_kind:     by_value
      - .address_space:  global
        .offset:         24
        .size:           8
        .value_kind:     global_buffer
      - .offset:         32
        .size:           8
        .value_kind:     by_value
      - .offset:         40
        .size:           4
        .value_kind:     by_value
      - .offset:         48
        .size:           8
        .value_kind:     by_value
      - .address_space:  global
        .offset:         56
        .size:           8
        .value_kind:     global_buffer
      - .offset:         64
        .size:           8
        .value_kind:     by_value
      - .offset:         72
        .size:           4
        .value_kind:     by_value
      - .offset:         80
        .size:           8
        .value_kind:     by_value
      - .address_space:  global
        .offset:         88
        .size:           8
        .value_kind:     global_buffer
      - .offset:         96
        .size:           4
        .value_kind:     by_value
      - .offset:         104
        .size:           4
        .value_kind:     hidden_block_count_x
      - .offset:         108
        .size:           4
        .value_kind:     hidden_block_count_y
      - .offset:         112
        .size:           4
        .value_kind:     hidden_block_count_z
      - .offset:         116
        .size:           2
        .value_kind:     hidden_group_size_x
      - .offset:         118
        .size:           2
        .value_kind:     hidden_group_size_y
      - .offset:         120
        .size:           2
        .value_kind:     hidden_group_size_z
      - .offset:         122
        .size:           2
        .value_kind:     hidden_remainder_x
      - .offset:         124
        .size:           2
        .value_kind:     hidden_remainder_y
      - .offset:         126
        .size:           2
        .value_kind:     hidden_remainder_z
      - .offset:         144
        .size:           8
        .value_kind:     hidden_global_offset_x
      - .offset:         152
        .size:           8
        .value_kind:     hidden_global_offset_y
      - .offset:         160
        .size:           8
        .value_kind:     hidden_global_offset_z
      - .offset:         168
        .size:           2
        .value_kind:     hidden_grid_dims
    .group_segment_fixed_size: 512
    .kernarg_segment_align: 8
    .kernarg_segment_size: 360
    .language:       OpenCL C
    .language_version:
      - 2
      - 0
    .max_flat_workgroup_size: 256
    .name:           _ZL23rocblas_gemvt_sn_kernelILb1ELi256ELi4Ei19rocblas_complex_numIdEPKS1_S1_EviiT4_lPKT3_lilS7_lilPT5_i
    .private_segment_fixed_size: 80
    .sgpr_count:     54
    .sgpr_spill_count: 0
    .symbol:         _ZL23rocblas_gemvt_sn_kernelILb1ELi256ELi4Ei19rocblas_complex_numIdEPKS1_S1_EviiT4_lPKT3_lilS7_lilPT5_i.kd
    .uniform_work_group_size: 1
    .uses_dynamic_stack: false
    .vgpr_count:     128
    .vgpr_spill_count: 0
    .wavefront_size: 32
    .workgroup_processor_mode: 1
  - .args:
      - .offset:         0
        .size:           4
        .value_kind:     by_value
      - .offset:         4
        .size:           4
        .value_kind:     by_value
      - .address_space:  global
        .offset:         8
        .size:           8
        .value_kind:     global_buffer
      - .offset:         16
        .size:           8
        .value_kind:     by_value
      - .address_space:  global
        .offset:         24
        .size:           8
        .value_kind:     global_buffer
      - .offset:         32
        .size:           8
        .value_kind:     by_value
      - .offset:         40
        .size:           4
        .value_kind:     by_value
      - .offset:         48
        .size:           8
        .value_kind:     by_value
      - .address_space:  global
        .offset:         56
        .size:           8
        .value_kind:     global_buffer
      - .offset:         64
        .size:           8
        .value_kind:     by_value
      - .offset:         72
        .size:           4
        .value_kind:     by_value
      - .offset:         80
        .size:           8
        .value_kind:     by_value
      - .address_space:  global
        .offset:         88
        .size:           8
        .value_kind:     global_buffer
      - .offset:         96
        .size:           4
        .value_kind:     by_value
      - .offset:         104
        .size:           4
        .value_kind:     hidden_block_count_x
      - .offset:         108
        .size:           4
        .value_kind:     hidden_block_count_y
      - .offset:         112
        .size:           4
        .value_kind:     hidden_block_count_z
      - .offset:         116
        .size:           2
        .value_kind:     hidden_group_size_x
      - .offset:         118
        .size:           2
        .value_kind:     hidden_group_size_y
      - .offset:         120
        .size:           2
        .value_kind:     hidden_group_size_z
      - .offset:         122
        .size:           2
        .value_kind:     hidden_remainder_x
      - .offset:         124
        .size:           2
        .value_kind:     hidden_remainder_y
      - .offset:         126
        .size:           2
        .value_kind:     hidden_remainder_z
      - .offset:         144
        .size:           8
        .value_kind:     hidden_global_offset_x
      - .offset:         152
        .size:           8
        .value_kind:     hidden_global_offset_y
      - .offset:         160
        .size:           8
        .value_kind:     hidden_global_offset_z
      - .offset:         168
        .size:           2
        .value_kind:     hidden_grid_dims
    .group_segment_fixed_size: 512
    .kernarg_segment_align: 8
    .kernarg_segment_size: 360
    .language:       OpenCL C
    .language_version:
      - 2
      - 0
    .max_flat_workgroup_size: 256
    .name:           _ZL23rocblas_gemvt_sn_kernelILb1ELi256ELi4El19rocblas_complex_numIdEPKS1_S1_EviiT4_lPKT3_lilS7_lilPT5_i
    .private_segment_fixed_size: 80
    .sgpr_count:     63
    .sgpr_spill_count: 0
    .symbol:         _ZL23rocblas_gemvt_sn_kernelILb1ELi256ELi4El19rocblas_complex_numIdEPKS1_S1_EviiT4_lPKT3_lilS7_lilPT5_i.kd
    .uniform_work_group_size: 1
    .uses_dynamic_stack: false
    .vgpr_count:     132
    .vgpr_spill_count: 0
    .wavefront_size: 32
    .workgroup_processor_mode: 1
  - .args:
      - .offset:         0
        .size:           4
        .value_kind:     by_value
      - .offset:         4
        .size:           4
        .value_kind:     by_value
      - .offset:         8
        .size:           16
        .value_kind:     by_value
      - .offset:         24
        .size:           8
        .value_kind:     by_value
      - .address_space:  global
        .offset:         32
        .size:           8
        .value_kind:     global_buffer
      - .offset:         40
        .size:           8
        .value_kind:     by_value
      - .offset:         48
        .size:           4
        .value_kind:     by_value
      - .offset:         56
        .size:           8
        .value_kind:     by_value
      - .address_space:  global
        .offset:         64
        .size:           8
        .value_kind:     global_buffer
      - .offset:         72
        .size:           8
        .value_kind:     by_value
      - .offset:         80
        .size:           4
        .value_kind:     by_value
      - .offset:         88
        .size:           8
        .value_kind:     by_value
      - .address_space:  global
        .offset:         96
        .size:           8
        .value_kind:     global_buffer
      - .offset:         104
        .size:           4
        .value_kind:     by_value
      - .offset:         112
        .size:           4
        .value_kind:     hidden_block_count_x
      - .offset:         116
        .size:           4
        .value_kind:     hidden_block_count_y
      - .offset:         120
        .size:           4
        .value_kind:     hidden_block_count_z
      - .offset:         124
        .size:           2
        .value_kind:     hidden_group_size_x
      - .offset:         126
        .size:           2
        .value_kind:     hidden_group_size_y
      - .offset:         128
        .size:           2
        .value_kind:     hidden_group_size_z
      - .offset:         130
        .size:           2
        .value_kind:     hidden_remainder_x
      - .offset:         132
        .size:           2
        .value_kind:     hidden_remainder_y
      - .offset:         134
        .size:           2
        .value_kind:     hidden_remainder_z
      - .offset:         152
        .size:           8
        .value_kind:     hidden_global_offset_x
      - .offset:         160
        .size:           8
        .value_kind:     hidden_global_offset_y
      - .offset:         168
        .size:           8
        .value_kind:     hidden_global_offset_z
      - .offset:         176
        .size:           2
        .value_kind:     hidden_grid_dims
    .group_segment_fixed_size: 512
    .kernarg_segment_align: 8
    .kernarg_segment_size: 368
    .language:       OpenCL C
    .language_version:
      - 2
      - 0
    .max_flat_workgroup_size: 256
    .name:           _ZL23rocblas_gemvt_sn_kernelILb1ELi256ELi4Ei19rocblas_complex_numIdES1_S1_EviiT4_lPKT3_lilS5_lilPT5_i
    .private_segment_fixed_size: 80
    .sgpr_count:     54
    .sgpr_spill_count: 0
    .symbol:         _ZL23rocblas_gemvt_sn_kernelILb1ELi256ELi4Ei19rocblas_complex_numIdES1_S1_EviiT4_lPKT3_lilS5_lilPT5_i.kd
    .uniform_work_group_size: 1
    .uses_dynamic_stack: false
    .vgpr_count:     128
    .vgpr_spill_count: 0
    .wavefront_size: 32
    .workgroup_processor_mode: 1
  - .args:
      - .offset:         0
        .size:           4
        .value_kind:     by_value
      - .offset:         4
        .size:           4
        .value_kind:     by_value
      - .offset:         8
        .size:           16
        .value_kind:     by_value
      - .offset:         24
        .size:           8
        .value_kind:     by_value
      - .address_space:  global
        .offset:         32
        .size:           8
        .value_kind:     global_buffer
      - .offset:         40
        .size:           8
        .value_kind:     by_value
      - .offset:         48
        .size:           4
        .value_kind:     by_value
      - .offset:         56
        .size:           8
        .value_kind:     by_value
      - .address_space:  global
        .offset:         64
        .size:           8
        .value_kind:     global_buffer
      - .offset:         72
        .size:           8
        .value_kind:     by_value
      - .offset:         80
        .size:           4
        .value_kind:     by_value
      - .offset:         88
        .size:           8
        .value_kind:     by_value
      - .address_space:  global
        .offset:         96
        .size:           8
        .value_kind:     global_buffer
      - .offset:         104
        .size:           4
        .value_kind:     by_value
      - .offset:         112
        .size:           4
        .value_kind:     hidden_block_count_x
      - .offset:         116
        .size:           4
        .value_kind:     hidden_block_count_y
      - .offset:         120
        .size:           4
        .value_kind:     hidden_block_count_z
      - .offset:         124
        .size:           2
        .value_kind:     hidden_group_size_x
      - .offset:         126
        .size:           2
        .value_kind:     hidden_group_size_y
      - .offset:         128
        .size:           2
        .value_kind:     hidden_group_size_z
      - .offset:         130
        .size:           2
        .value_kind:     hidden_remainder_x
      - .offset:         132
        .size:           2
        .value_kind:     hidden_remainder_y
      - .offset:         134
        .size:           2
        .value_kind:     hidden_remainder_z
      - .offset:         152
        .size:           8
        .value_kind:     hidden_global_offset_x
      - .offset:         160
        .size:           8
        .value_kind:     hidden_global_offset_y
      - .offset:         168
        .size:           8
        .value_kind:     hidden_global_offset_z
      - .offset:         176
        .size:           2
        .value_kind:     hidden_grid_dims
    .group_segment_fixed_size: 512
    .kernarg_segment_align: 8
    .kernarg_segment_size: 368
    .language:       OpenCL C
    .language_version:
      - 2
      - 0
    .max_flat_workgroup_size: 256
    .name:           _ZL23rocblas_gemvt_sn_kernelILb1ELi256ELi4El19rocblas_complex_numIdES1_S1_EviiT4_lPKT3_lilS5_lilPT5_i
    .private_segment_fixed_size: 80
    .sgpr_count:     63
    .sgpr_spill_count: 0
    .symbol:         _ZL23rocblas_gemvt_sn_kernelILb1ELi256ELi4El19rocblas_complex_numIdES1_S1_EviiT4_lPKT3_lilS5_lilPT5_i.kd
    .uniform_work_group_size: 1
    .uses_dynamic_stack: false
    .vgpr_count:     132
    .vgpr_spill_count: 0
    .wavefront_size: 32
    .workgroup_processor_mode: 1
  - .args:
      - .offset:         0
        .size:           4
        .value_kind:     by_value
      - .offset:         4
        .size:           4
        .value_kind:     by_value
      - .address_space:  global
        .offset:         8
        .size:           8
        .value_kind:     global_buffer
      - .offset:         16
        .size:           8
        .value_kind:     by_value
      - .address_space:  global
        .offset:         24
        .size:           8
        .value_kind:     global_buffer
      - .offset:         32
        .size:           8
        .value_kind:     by_value
      - .offset:         40
        .size:           4
        .value_kind:     by_value
      - .offset:         48
        .size:           8
        .value_kind:     by_value
      - .address_space:  global
        .offset:         56
        .size:           8
        .value_kind:     global_buffer
      - .offset:         64
        .size:           8
        .value_kind:     by_value
      - .offset:         72
        .size:           4
        .value_kind:     by_value
      - .offset:         80
        .size:           8
        .value_kind:     by_value
      - .address_space:  global
        .offset:         88
        .size:           8
        .value_kind:     global_buffer
      - .offset:         96
        .size:           8
        .value_kind:     by_value
      - .address_space:  global
        .offset:         104
        .size:           8
        .value_kind:     global_buffer
      - .offset:         112
        .size:           8
        .value_kind:     by_value
      - .offset:         120
        .size:           4
        .value_kind:     by_value
      - .offset:         128
        .size:           8
        .value_kind:     by_value
      - .offset:         136
        .size:           4
        .value_kind:     by_value
    .group_segment_fixed_size: 4096
    .kernarg_segment_align: 8
    .kernarg_segment_size: 140
    .language:       OpenCL C
    .language_version:
      - 2
      - 0
    .max_flat_workgroup_size: 256
    .name:           _ZL20rocblas_gemvt_kernelILb1ELi256E19rocblas_complex_numIdEPKS1_S1_EviiT2_lPKT1_lilS7_lilS4_lPT3_lili
    .private_segment_fixed_size: 0
    .sgpr_count:     40
    .sgpr_spill_count: 0
    .symbol:         _ZL20rocblas_gemvt_kernelILb1ELi256E19rocblas_complex_numIdEPKS1_S1_EviiT2_lPKT1_lilS7_lilS4_lPT3_lili.kd
    .uniform_work_group_size: 1
    .uses_dynamic_stack: false
    .vgpr_count:     20
    .vgpr_spill_count: 0
    .wavefront_size: 32
    .workgroup_processor_mode: 1
  - .args:
      - .offset:         0
        .size:           4
        .value_kind:     by_value
      - .offset:         4
        .size:           4
        .value_kind:     by_value
      - .offset:         8
        .size:           16
        .value_kind:     by_value
      - .offset:         24
        .size:           8
        .value_kind:     by_value
      - .address_space:  global
        .offset:         32
        .size:           8
        .value_kind:     global_buffer
      - .offset:         40
        .size:           8
        .value_kind:     by_value
      - .offset:         48
        .size:           4
        .value_kind:     by_value
      - .offset:         56
        .size:           8
        .value_kind:     by_value
      - .address_space:  global
        .offset:         64
        .size:           8
        .value_kind:     global_buffer
      - .offset:         72
        .size:           8
        .value_kind:     by_value
      - .offset:         80
        .size:           4
        .value_kind:     by_value
      - .offset:         88
        .size:           8
        .value_kind:     by_value
      - .offset:         96
        .size:           16
        .value_kind:     by_value
      - .offset:         112
        .size:           8
        .value_kind:     by_value
      - .address_space:  global
        .offset:         120
        .size:           8
        .value_kind:     global_buffer
      - .offset:         128
        .size:           8
        .value_kind:     by_value
      - .offset:         136
        .size:           4
        .value_kind:     by_value
      - .offset:         144
        .size:           8
        .value_kind:     by_value
      - .offset:         152
        .size:           4
        .value_kind:     by_value
    .group_segment_fixed_size: 4096
    .kernarg_segment_align: 8
    .kernarg_segment_size: 156
    .language:       OpenCL C
    .language_version:
      - 2
      - 0
    .max_flat_workgroup_size: 256
    .name:           _ZL20rocblas_gemvt_kernelILb1ELi256E19rocblas_complex_numIdES1_S1_EviiT2_lPKT1_lilS5_lilS2_lPT3_lili
    .private_segment_fixed_size: 0
    .sgpr_count:     42
    .sgpr_spill_count: 0
    .symbol:         _ZL20rocblas_gemvt_kernelILb1ELi256E19rocblas_complex_numIdES1_S1_EviiT2_lPKT1_lilS5_lilS2_lPT3_lili.kd
    .uniform_work_group_size: 1
    .uses_dynamic_stack: false
    .vgpr_count:     20
    .vgpr_spill_count: 0
    .wavefront_size: 32
    .workgroup_processor_mode: 1
  - .args:
      - .offset:         0
        .size:           4
        .value_kind:     by_value
      - .offset:         4
        .size:           4
        .value_kind:     by_value
      - .address_space:  global
        .offset:         8
        .size:           8
        .value_kind:     global_buffer
      - .offset:         16
        .size:           8
        .value_kind:     by_value
      - .address_space:  global
        .offset:         24
        .size:           8
        .value_kind:     global_buffer
      - .offset:         32
        .size:           8
        .value_kind:     by_value
      - .offset:         40
        .size:           4
        .value_kind:     by_value
      - .offset:         48
        .size:           8
        .value_kind:     by_value
      - .address_space:  global
        .offset:         56
        .size:           8
        .value_kind:     global_buffer
      - .offset:         64
        .size:           8
        .value_kind:     by_value
      - .offset:         72
        .size:           4
        .value_kind:     by_value
      - .offset:         80
        .size:           8
        .value_kind:     by_value
      - .address_space:  global
        .offset:         88
        .size:           8
        .value_kind:     global_buffer
      - .offset:         96
        .size:           8
        .value_kind:     by_value
      - .address_space:  global
        .offset:         104
        .size:           8
        .value_kind:     global_buffer
      - .offset:         112
        .size:           8
        .value_kind:     by_value
      - .offset:         120
        .size:           4
        .value_kind:     by_value
      - .offset:         128
        .size:           8
        .value_kind:     by_value
      - .offset:         136
        .size:           4
        .value_kind:     by_value
    .group_segment_fixed_size: 512
    .kernarg_segment_align: 8
    .kernarg_segment_size: 140
    .language:       OpenCL C
    .language_version:
      - 2
      - 0
    .max_flat_workgroup_size: 1024
    .name:           _ZL32rocblas_gemvt_warp_reduce_kernelILb1ELi1024Ei19rocblas_complex_numIdEPKS1_S1_EviiT3_lPKT2_lT1_lS7_lS8_lS4_lPT4_lS8_li
    .private_segment_fixed_size: 0
    .sgpr_count:     42
    .sgpr_spill_count: 0
    .symbol:         _ZL32rocblas_gemvt_warp_reduce_kernelILb1ELi1024Ei19rocblas_complex_numIdEPKS1_S1_EviiT3_lPKT2_lT1_lS7_lS8_lS4_lPT4_lS8_li.kd
    .uniform_work_group_size: 1
    .uses_dynamic_stack: false
    .vgpr_count:     21
    .vgpr_spill_count: 0
    .wavefront_size: 32
    .workgroup_processor_mode: 1
  - .args:
      - .offset:         0
        .size:           4
        .value_kind:     by_value
      - .offset:         4
        .size:           4
        .value_kind:     by_value
      - .address_space:  global
        .offset:         8
        .size:           8
        .value_kind:     global_buffer
      - .offset:         16
        .size:           8
        .value_kind:     by_value
      - .address_space:  global
        .offset:         24
        .size:           8
        .value_kind:     global_buffer
      - .offset:         32
        .size:           8
        .value_kind:     by_value
      - .offset:         40
        .size:           8
        .value_kind:     by_value
      - .offset:         48
        .size:           8
        .value_kind:     by_value
      - .address_space:  global
        .offset:         56
        .size:           8
        .value_kind:     global_buffer
      - .offset:         64
        .size:           8
        .value_kind:     by_value
      - .offset:         72
        .size:           8
        .value_kind:     by_value
      - .offset:         80
        .size:           8
        .value_kind:     by_value
      - .address_space:  global
        .offset:         88
        .size:           8
        .value_kind:     global_buffer
      - .offset:         96
        .size:           8
        .value_kind:     by_value
      - .address_space:  global
        .offset:         104
        .size:           8
        .value_kind:     global_buffer
      - .offset:         112
        .size:           8
        .value_kind:     by_value
      - .offset:         120
        .size:           8
        .value_kind:     by_value
      - .offset:         128
        .size:           8
        .value_kind:     by_value
      - .offset:         136
        .size:           4
        .value_kind:     by_value
    .group_segment_fixed_size: 512
    .kernarg_segment_align: 8
    .kernarg_segment_size: 140
    .language:       OpenCL C
    .language_version:
      - 2
      - 0
    .max_flat_workgroup_size: 1024
    .name:           _ZL32rocblas_gemvt_warp_reduce_kernelILb1ELi1024El19rocblas_complex_numIdEPKS1_S1_EviiT3_lPKT2_lT1_lS7_lS8_lS4_lPT4_lS8_li
    .private_segment_fixed_size: 0
    .sgpr_count:     54
    .sgpr_spill_count: 0
    .symbol:         _ZL32rocblas_gemvt_warp_reduce_kernelILb1ELi1024El19rocblas_complex_numIdEPKS1_S1_EviiT3_lPKT2_lT1_lS7_lS8_lS4_lPT4_lS8_li.kd
    .uniform_work_group_size: 1
    .uses_dynamic_stack: false
    .vgpr_count:     21
    .vgpr_spill_count: 0
    .wavefront_size: 32
    .workgroup_processor_mode: 1
  - .args:
      - .offset:         0
        .size:           4
        .value_kind:     by_value
      - .offset:         4
        .size:           4
        .value_kind:     by_value
      - .offset:         8
        .size:           16
        .value_kind:     by_value
      - .offset:         24
        .size:           8
        .value_kind:     by_value
      - .address_space:  global
        .offset:         32
        .size:           8
        .value_kind:     global_buffer
      - .offset:         40
        .size:           8
        .value_kind:     by_value
      - .offset:         48
        .size:           4
        .value_kind:     by_value
      - .offset:         56
        .size:           8
        .value_kind:     by_value
      - .address_space:  global
        .offset:         64
        .size:           8
        .value_kind:     global_buffer
      - .offset:         72
        .size:           8
        .value_kind:     by_value
      - .offset:         80
        .size:           4
        .value_kind:     by_value
      - .offset:         88
        .size:           8
        .value_kind:     by_value
      - .offset:         96
        .size:           16
        .value_kind:     by_value
      - .offset:         112
        .size:           8
        .value_kind:     by_value
      - .address_space:  global
        .offset:         120
        .size:           8
        .value_kind:     global_buffer
      - .offset:         128
        .size:           8
        .value_kind:     by_value
      - .offset:         136
        .size:           4
        .value_kind:     by_value
      - .offset:         144
        .size:           8
        .value_kind:     by_value
      - .offset:         152
        .size:           4
        .value_kind:     by_value
    .group_segment_fixed_size: 512
    .kernarg_segment_align: 8
    .kernarg_segment_size: 156
    .language:       OpenCL C
    .language_version:
      - 2
      - 0
    .max_flat_workgroup_size: 1024
    .name:           _ZL32rocblas_gemvt_warp_reduce_kernelILb1ELi1024Ei19rocblas_complex_numIdES1_S1_EviiT3_lPKT2_lT1_lS5_lS6_lS2_lPT4_lS6_li
    .private_segment_fixed_size: 0
    .sgpr_count:     38
    .sgpr_spill_count: 0
    .symbol:         _ZL32rocblas_gemvt_warp_reduce_kernelILb1ELi1024Ei19rocblas_complex_numIdES1_S1_EviiT3_lPKT2_lT1_lS5_lS6_lS2_lPT4_lS6_li.kd
    .uniform_work_group_size: 1
    .uses_dynamic_stack: false
    .vgpr_count:     21
    .vgpr_spill_count: 0
    .wavefront_size: 32
    .workgroup_processor_mode: 1
  - .args:
      - .offset:         0
        .size:           4
        .value_kind:     by_value
      - .offset:         4
        .size:           4
        .value_kind:     by_value
      - .offset:         8
        .size:           16
        .value_kind:     by_value
      - .offset:         24
        .size:           8
        .value_kind:     by_value
      - .address_space:  global
        .offset:         32
        .size:           8
        .value_kind:     global_buffer
      - .offset:         40
        .size:           8
        .value_kind:     by_value
      - .offset:         48
        .size:           8
        .value_kind:     by_value
      - .offset:         56
        .size:           8
        .value_kind:     by_value
      - .address_space:  global
        .offset:         64
        .size:           8
        .value_kind:     global_buffer
      - .offset:         72
        .size:           8
        .value_kind:     by_value
      - .offset:         80
        .size:           8
        .value_kind:     by_value
      - .offset:         88
        .size:           8
        .value_kind:     by_value
      - .offset:         96
        .size:           16
        .value_kind:     by_value
      - .offset:         112
        .size:           8
        .value_kind:     by_value
      - .address_space:  global
        .offset:         120
        .size:           8
        .value_kind:     global_buffer
      - .offset:         128
        .size:           8
        .value_kind:     by_value
      - .offset:         136
        .size:           8
        .value_kind:     by_value
      - .offset:         144
        .size:           8
        .value_kind:     by_value
      - .offset:         152
        .size:           4
        .value_kind:     by_value
    .group_segment_fixed_size: 512
    .kernarg_segment_align: 8
    .kernarg_segment_size: 156
    .language:       OpenCL C
    .language_version:
      - 2
      - 0
    .max_flat_workgroup_size: 1024
    .name:           _ZL32rocblas_gemvt_warp_reduce_kernelILb1ELi1024El19rocblas_complex_numIdES1_S1_EviiT3_lPKT2_lT1_lS5_lS6_lS2_lPT4_lS6_li
    .private_segment_fixed_size: 0
    .sgpr_count:     46
    .sgpr_spill_count: 0
    .symbol:         _ZL32rocblas_gemvt_warp_reduce_kernelILb1ELi1024El19rocblas_complex_numIdES1_S1_EviiT3_lPKT2_lT1_lS5_lS6_lS2_lPT4_lS6_li.kd
    .uniform_work_group_size: 1
    .uses_dynamic_stack: false
    .vgpr_count:     21
    .vgpr_spill_count: 0
    .wavefront_size: 32
    .workgroup_processor_mode: 1
  - .args:
      - .offset:         0
        .size:           4
        .value_kind:     by_value
      - .offset:         4
        .size:           4
        .value_kind:     by_value
      - .address_space:  global
        .offset:         8
        .size:           8
        .value_kind:     global_buffer
      - .offset:         16
        .size:           8
        .value_kind:     by_value
      - .address_space:  global
        .offset:         24
        .size:           8
        .value_kind:     global_buffer
      - .offset:         32
        .size:           8
        .value_kind:     by_value
      - .offset:         40
        .size:           4
        .value_kind:     by_value
      - .offset:         48
        .size:           8
        .value_kind:     by_value
      - .address_space:  global
        .offset:         56
        .size:           8
        .value_kind:     global_buffer
      - .offset:         64
        .size:           8
        .value_kind:     by_value
      - .offset:         72
        .size:           4
        .value_kind:     by_value
      - .offset:         80
        .size:           8
        .value_kind:     by_value
      - .address_space:  global
        .offset:         88
        .size:           8
        .value_kind:     global_buffer
      - .offset:         96
        .size:           8
        .value_kind:     by_value
      - .address_space:  global
        .offset:         104
        .size:           8
        .value_kind:     global_buffer
      - .offset:         112
        .size:           8
        .value_kind:     by_value
      - .offset:         120
        .size:           4
        .value_kind:     by_value
      - .offset:         128
        .size:           8
        .value_kind:     by_value
      - .offset:         136
        .size:           4
        .value_kind:     by_value
    .group_segment_fixed_size: 0
    .kernarg_segment_align: 8
    .kernarg_segment_size: 140
    .language:       OpenCL C
    .language_version:
      - 2
      - 0
    .max_flat_workgroup_size: 768
    .name:           _ZL34rocblas_gemvn_sm_mn_batched_kernelILi32ELi24EPKfS1_KPfEviiT2_lPKT1_lilS7_lilS4_lPT3_lili
    .private_segment_fixed_size: 0
    .sgpr_count:     0
    .sgpr_spill_count: 0
    .symbol:         _ZL34rocblas_gemvn_sm_mn_batched_kernelILi32ELi24EPKfS1_KPfEviiT2_lPKT1_lilS7_lilS4_lPT3_lili.kd
    .uniform_work_group_size: 1
    .uses_dynamic_stack: false
    .vgpr_count:     0
    .vgpr_spill_count: 0
    .wavefront_size: 32
    .workgroup_processor_mode: 1
  - .args:
      - .offset:         0
        .size:           4
        .value_kind:     by_value
      - .offset:         4
        .size:           4
        .value_kind:     by_value
      - .offset:         8
        .size:           4
        .value_kind:     by_value
      - .offset:         16
        .size:           8
        .value_kind:     by_value
      - .address_space:  global
        .offset:         24
        .size:           8
        .value_kind:     global_buffer
      - .offset:         32
        .size:           8
        .value_kind:     by_value
      - .offset:         40
        .size:           4
        .value_kind:     by_value
      - .offset:         48
        .size:           8
        .value_kind:     by_value
      - .address_space:  global
        .offset:         56
        .size:           8
        .value_kind:     global_buffer
      - .offset:         64
        .size:           8
        .value_kind:     by_value
      - .offset:         72
        .size:           4
        .value_kind:     by_value
      - .offset:         80
        .size:           8
        .value_kind:     by_value
      - .offset:         88
        .size:           4
        .value_kind:     by_value
      - .offset:         96
        .size:           8
        .value_kind:     by_value
      - .address_space:  global
        .offset:         104
        .size:           8
        .value_kind:     global_buffer
      - .offset:         112
        .size:           8
        .value_kind:     by_value
      - .offset:         120
        .size:           4
        .value_kind:     by_value
      - .offset:         128
        .size:           8
        .value_kind:     by_value
      - .offset:         136
        .size:           4
        .value_kind:     by_value
    .group_segment_fixed_size: 0
    .kernarg_segment_align: 8
    .kernarg_segment_size: 140
    .language:       OpenCL C
    .language_version:
      - 2
      - 0
    .max_flat_workgroup_size: 768
    .name:           _ZL34rocblas_gemvn_sm_mn_batched_kernelILi32ELi24EPKffKPfEviiT2_lPKT1_lilS7_lilS4_lPT3_lili
    .private_segment_fixed_size: 0
    .sgpr_count:     0
    .sgpr_spill_count: 0
    .symbol:         _ZL34rocblas_gemvn_sm_mn_batched_kernelILi32ELi24EPKffKPfEviiT2_lPKT1_lilS7_lilS4_lPT3_lili.kd
    .uniform_work_group_size: 1
    .uses_dynamic_stack: false
    .vgpr_count:     0
    .vgpr_spill_count: 0
    .wavefront_size: 32
    .workgroup_processor_mode: 1
  - .args:
      - .offset:         0
        .size:           4
        .value_kind:     by_value
      - .offset:         4
        .size:           4
        .value_kind:     by_value
      - .address_space:  global
        .offset:         8
        .size:           8
        .value_kind:     global_buffer
      - .offset:         16
        .size:           8
        .value_kind:     by_value
      - .address_space:  global
        .offset:         24
        .size:           8
        .value_kind:     global_buffer
      - .offset:         32
        .size:           8
        .value_kind:     by_value
      - .offset:         40
        .size:           4
        .value_kind:     by_value
      - .offset:         48
        .size:           8
        .value_kind:     by_value
      - .address_space:  global
        .offset:         56
        .size:           8
        .value_kind:     global_buffer
      - .offset:         64
        .size:           8
        .value_kind:     by_value
      - .offset:         72
        .size:           4
        .value_kind:     by_value
      - .offset:         80
        .size:           8
        .value_kind:     by_value
      - .address_space:  global
        .offset:         88
        .size:           8
        .value_kind:     global_buffer
      - .offset:         96
        .size:           8
        .value_kind:     by_value
      - .address_space:  global
        .offset:         104
        .size:           8
        .value_kind:     global_buffer
      - .offset:         112
        .size:           8
        .value_kind:     by_value
      - .offset:         120
        .size:           4
        .value_kind:     by_value
      - .offset:         128
        .size:           8
        .value_kind:     by_value
      - .offset:         136
        .size:           4
        .value_kind:     by_value
      - .offset:         144
        .size:           4
        .value_kind:     hidden_block_count_x
      - .offset:         148
        .size:           4
        .value_kind:     hidden_block_count_y
      - .offset:         152
        .size:           4
        .value_kind:     hidden_block_count_z
      - .offset:         156
        .size:           2
        .value_kind:     hidden_group_size_x
      - .offset:         158
        .size:           2
        .value_kind:     hidden_group_size_y
      - .offset:         160
        .size:           2
        .value_kind:     hidden_group_size_z
      - .offset:         162
        .size:           2
        .value_kind:     hidden_remainder_x
      - .offset:         164
        .size:           2
        .value_kind:     hidden_remainder_y
      - .offset:         166
        .size:           2
        .value_kind:     hidden_remainder_z
      - .offset:         184
        .size:           8
        .value_kind:     hidden_global_offset_x
      - .offset:         192
        .size:           8
        .value_kind:     hidden_global_offset_y
      - .offset:         200
        .size:           8
        .value_kind:     hidden_global_offset_z
      - .offset:         208
        .size:           2
        .value_kind:     hidden_grid_dims
    .group_segment_fixed_size: 4096
    .kernarg_segment_align: 8
    .kernarg_segment_size: 400
    .language:       OpenCL C
    .language_version:
      - 2
      - 0
    .max_flat_workgroup_size: 256
    .name:           _ZL20rocblas_gemvn_kernelILi64ELi4EiPKfS1_KPfEviiT3_lPKT2_lT1_lS7_lS8_lS4_lPT4_lS8_li
    .private_segment_fixed_size: 0
    .sgpr_count:     30
    .sgpr_spill_count: 0
    .symbol:         _ZL20rocblas_gemvn_kernelILi64ELi4EiPKfS1_KPfEviiT3_lPKT2_lT1_lS7_lS8_lS4_lPT4_lS8_li.kd
    .uniform_work_group_size: 1
    .uses_dynamic_stack: false
    .vgpr_count:     41
    .vgpr_spill_count: 0
    .wavefront_size: 32
    .workgroup_processor_mode: 1
  - .args:
      - .offset:         0
        .size:           4
        .value_kind:     by_value
      - .offset:         4
        .size:           4
        .value_kind:     by_value
      - .address_space:  global
        .offset:         8
        .size:           8
        .value_kind:     global_buffer
      - .offset:         16
        .size:           8
        .value_kind:     by_value
      - .address_space:  global
        .offset:         24
        .size:           8
        .value_kind:     global_buffer
      - .offset:         32
        .size:           8
        .value_kind:     by_value
      - .offset:         40
        .size:           8
        .value_kind:     by_value
      - .offset:         48
        .size:           8
        .value_kind:     by_value
      - .address_space:  global
        .offset:         56
        .size:           8
        .value_kind:     global_buffer
      - .offset:         64
        .size:           8
        .value_kind:     by_value
      - .offset:         72
        .size:           8
        .value_kind:     by_value
      - .offset:         80
        .size:           8
        .value_kind:     by_value
      - .address_space:  global
        .offset:         88
        .size:           8
        .value_kind:     global_buffer
      - .offset:         96
        .size:           8
        .value_kind:     by_value
      - .address_space:  global
        .offset:         104
        .size:           8
        .value_kind:     global_buffer
      - .offset:         112
        .size:           8
        .value_kind:     by_value
      - .offset:         120
        .size:           8
        .value_kind:     by_value
      - .offset:         128
        .size:           8
        .value_kind:     by_value
      - .offset:         136
        .size:           4
        .value_kind:     by_value
      - .offset:         144
        .size:           4
        .value_kind:     hidden_block_count_x
      - .offset:         148
        .size:           4
        .value_kind:     hidden_block_count_y
      - .offset:         152
        .size:           4
        .value_kind:     hidden_block_count_z
      - .offset:         156
        .size:           2
        .value_kind:     hidden_group_size_x
      - .offset:         158
        .size:           2
        .value_kind:     hidden_group_size_y
      - .offset:         160
        .size:           2
        .value_kind:     hidden_group_size_z
      - .offset:         162
        .size:           2
        .value_kind:     hidden_remainder_x
      - .offset:         164
        .size:           2
        .value_kind:     hidden_remainder_y
      - .offset:         166
        .size:           2
        .value_kind:     hidden_remainder_z
      - .offset:         184
        .size:           8
        .value_kind:     hidden_global_offset_x
      - .offset:         192
        .size:           8
        .value_kind:     hidden_global_offset_y
      - .offset:         200
        .size:           8
        .value_kind:     hidden_global_offset_z
      - .offset:         208
        .size:           2
        .value_kind:     hidden_grid_dims
    .group_segment_fixed_size: 4096
    .kernarg_segment_align: 8
    .kernarg_segment_size: 400
    .language:       OpenCL C
    .language_version:
      - 2
      - 0
    .max_flat_workgroup_size: 256
    .name:           _ZL20rocblas_gemvn_kernelILi64ELi4ElPKfS1_KPfEviiT3_lPKT2_lT1_lS7_lS8_lS4_lPT4_lS8_li
    .private_segment_fixed_size: 0
    .sgpr_count:     37
    .sgpr_spill_count: 0
    .symbol:         _ZL20rocblas_gemvn_kernelILi64ELi4ElPKfS1_KPfEviiT3_lPKT2_lT1_lS7_lS8_lS4_lPT4_lS8_li.kd
    .uniform_work_group_size: 1
    .uses_dynamic_stack: false
    .vgpr_count:     51
    .vgpr_spill_count: 0
    .wavefront_size: 32
    .workgroup_processor_mode: 1
  - .args:
      - .offset:         0
        .size:           4
        .value_kind:     by_value
      - .offset:         4
        .size:           4
        .value_kind:     by_value
      - .offset:         8
        .size:           4
        .value_kind:     by_value
      - .offset:         16
        .size:           8
        .value_kind:     by_value
      - .address_space:  global
        .offset:         24
        .size:           8
        .value_kind:     global_buffer
      - .offset:         32
        .size:           8
        .value_kind:     by_value
      - .offset:         40
        .size:           4
        .value_kind:     by_value
      - .offset:         48
        .size:           8
        .value_kind:     by_value
      - .address_space:  global
        .offset:         56
        .size:           8
        .value_kind:     global_buffer
      - .offset:         64
        .size:           8
        .value_kind:     by_value
      - .offset:         72
        .size:           4
        .value_kind:     by_value
      - .offset:         80
        .size:           8
        .value_kind:     by_value
      - .offset:         88
        .size:           4
        .value_kind:     by_value
      - .offset:         96
        .size:           8
        .value_kind:     by_value
      - .address_space:  global
        .offset:         104
        .size:           8
        .value_kind:     global_buffer
      - .offset:         112
        .size:           8
        .value_kind:     by_value
      - .offset:         120
        .size:           4
        .value_kind:     by_value
      - .offset:         128
        .size:           8
        .value_kind:     by_value
      - .offset:         136
        .size:           4
        .value_kind:     by_value
      - .offset:         144
        .size:           4
        .value_kind:     hidden_block_count_x
      - .offset:         148
        .size:           4
        .value_kind:     hidden_block_count_y
      - .offset:         152
        .size:           4
        .value_kind:     hidden_block_count_z
      - .offset:         156
        .size:           2
        .value_kind:     hidden_group_size_x
      - .offset:         158
        .size:           2
        .value_kind:     hidden_group_size_y
      - .offset:         160
        .size:           2
        .value_kind:     hidden_group_size_z
      - .offset:         162
        .size:           2
        .value_kind:     hidden_remainder_x
      - .offset:         164
        .size:           2
        .value_kind:     hidden_remainder_y
      - .offset:         166
        .size:           2
        .value_kind:     hidden_remainder_z
      - .offset:         184
        .size:           8
        .value_kind:     hidden_global_offset_x
      - .offset:         192
        .size:           8
        .value_kind:     hidden_global_offset_y
      - .offset:         200
        .size:           8
        .value_kind:     hidden_global_offset_z
      - .offset:         208
        .size:           2
        .value_kind:     hidden_grid_dims
    .group_segment_fixed_size: 4096
    .kernarg_segment_align: 8
    .kernarg_segment_size: 400
    .language:       OpenCL C
    .language_version:
      - 2
      - 0
    .max_flat_workgroup_size: 256
    .name:           _ZL20rocblas_gemvn_kernelILi64ELi4EiPKffKPfEviiT3_lPKT2_lT1_lS7_lS8_lS4_lPT4_lS8_li
    .private_segment_fixed_size: 0
    .sgpr_count:     30
    .sgpr_spill_count: 0
    .symbol:         _ZL20rocblas_gemvn_kernelILi64ELi4EiPKffKPfEviiT3_lPKT2_lT1_lS7_lS8_lS4_lPT4_lS8_li.kd
    .uniform_work_group_size: 1
    .uses_dynamic_stack: false
    .vgpr_count:     41
    .vgpr_spill_count: 0
    .wavefront_size: 32
    .workgroup_processor_mode: 1
  - .args:
      - .offset:         0
        .size:           4
        .value_kind:     by_value
      - .offset:         4
        .size:           4
        .value_kind:     by_value
      - .offset:         8
        .size:           4
        .value_kind:     by_value
      - .offset:         16
        .size:           8
        .value_kind:     by_value
      - .address_space:  global
        .offset:         24
        .size:           8
        .value_kind:     global_buffer
      - .offset:         32
        .size:           8
        .value_kind:     by_value
      - .offset:         40
        .size:           8
        .value_kind:     by_value
      - .offset:         48
        .size:           8
        .value_kind:     by_value
      - .address_space:  global
        .offset:         56
        .size:           8
        .value_kind:     global_buffer
      - .offset:         64
        .size:           8
        .value_kind:     by_value
      - .offset:         72
        .size:           8
        .value_kind:     by_value
      - .offset:         80
        .size:           8
        .value_kind:     by_value
      - .offset:         88
        .size:           4
        .value_kind:     by_value
      - .offset:         96
        .size:           8
        .value_kind:     by_value
      - .address_space:  global
        .offset:         104
        .size:           8
        .value_kind:     global_buffer
      - .offset:         112
        .size:           8
        .value_kind:     by_value
      - .offset:         120
        .size:           8
        .value_kind:     by_value
      - .offset:         128
        .size:           8
        .value_kind:     by_value
      - .offset:         136
        .size:           4
        .value_kind:     by_value
      - .offset:         144
        .size:           4
        .value_kind:     hidden_block_count_x
      - .offset:         148
        .size:           4
        .value_kind:     hidden_block_count_y
      - .offset:         152
        .size:           4
        .value_kind:     hidden_block_count_z
      - .offset:         156
        .size:           2
        .value_kind:     hidden_group_size_x
      - .offset:         158
        .size:           2
        .value_kind:     hidden_group_size_y
      - .offset:         160
        .size:           2
        .value_kind:     hidden_group_size_z
      - .offset:         162
        .size:           2
        .value_kind:     hidden_remainder_x
      - .offset:         164
        .size:           2
        .value_kind:     hidden_remainder_y
      - .offset:         166
        .size:           2
        .value_kind:     hidden_remainder_z
      - .offset:         184
        .size:           8
        .value_kind:     hidden_global_offset_x
      - .offset:         192
        .size:           8
        .value_kind:     hidden_global_offset_y
      - .offset:         200
        .size:           8
        .value_kind:     hidden_global_offset_z
      - .offset:         208
        .size:           2
        .value_kind:     hidden_grid_dims
    .group_segment_fixed_size: 4096
    .kernarg_segment_align: 8
    .kernarg_segment_size: 400
    .language:       OpenCL C
    .language_version:
      - 2
      - 0
    .max_flat_workgroup_size: 256
    .name:           _ZL20rocblas_gemvn_kernelILi64ELi4ElPKffKPfEviiT3_lPKT2_lT1_lS7_lS8_lS4_lPT4_lS8_li
    .private_segment_fixed_size: 0
    .sgpr_count:     37
    .sgpr_spill_count: 0
    .symbol:         _ZL20rocblas_gemvn_kernelILi64ELi4ElPKffKPfEviiT3_lPKT2_lT1_lS7_lS8_lS4_lPT4_lS8_li.kd
    .uniform_work_group_size: 1
    .uses_dynamic_stack: false
    .vgpr_count:     51
    .vgpr_spill_count: 0
    .wavefront_size: 32
    .workgroup_processor_mode: 1
  - .args:
      - .offset:         0
        .size:           4
        .value_kind:     by_value
      - .address_space:  global
        .offset:         8
        .size:           8
        .value_kind:     global_buffer
      - .offset:         16
        .size:           8
        .value_kind:     by_value
      - .address_space:  global
        .offset:         24
        .size:           8
        .value_kind:     global_buffer
      - .offset:         32
        .size:           8
        .value_kind:     by_value
      - .offset:         40
        .size:           4
        .value_kind:     by_value
      - .offset:         48
        .size:           8
        .value_kind:     by_value
      - .offset:         56
        .size:           4
        .value_kind:     by_value
      - .offset:         64
        .size:           4
        .value_kind:     hidden_block_count_x
      - .offset:         68
        .size:           4
        .value_kind:     hidden_block_count_y
      - .offset:         72
        .size:           4
        .value_kind:     hidden_block_count_z
      - .offset:         76
        .size:           2
        .value_kind:     hidden_group_size_x
      - .offset:         78
        .size:           2
        .value_kind:     hidden_group_size_y
      - .offset:         80
        .size:           2
        .value_kind:     hidden_group_size_z
      - .offset:         82
        .size:           2
        .value_kind:     hidden_remainder_x
      - .offset:         84
        .size:           2
        .value_kind:     hidden_remainder_y
      - .offset:         86
        .size:           2
        .value_kind:     hidden_remainder_z
      - .offset:         104
        .size:           8
        .value_kind:     hidden_global_offset_x
      - .offset:         112
        .size:           8
        .value_kind:     hidden_global_offset_y
      - .offset:         120
        .size:           8
        .value_kind:     hidden_global_offset_z
      - .offset:         128
        .size:           2
        .value_kind:     hidden_grid_dims
    .group_segment_fixed_size: 0
    .kernarg_segment_align: 8
    .kernarg_segment_size: 320
    .language:       OpenCL C
    .language_version:
      - 2
      - 0
    .max_flat_workgroup_size: 256
    .name:           _ZL24rocblas_gemv_scal_kernelILi256EPKfPKPfEviT0_lT1_lili
    .private_segment_fixed_size: 0
    .sgpr_count:     18
    .sgpr_spill_count: 0
    .symbol:         _ZL24rocblas_gemv_scal_kernelILi256EPKfPKPfEviT0_lT1_lili.kd
    .uniform_work_group_size: 1
    .uses_dynamic_stack: false
    .vgpr_count:     6
    .vgpr_spill_count: 0
    .wavefront_size: 32
    .workgroup_processor_mode: 1
  - .args:
      - .offset:         0
        .size:           4
        .value_kind:     by_value
      - .offset:         4
        .size:           4
        .value_kind:     by_value
      - .offset:         8
        .size:           8
        .value_kind:     by_value
      - .address_space:  global
        .offset:         16
        .size:           8
        .value_kind:     global_buffer
      - .offset:         24
        .size:           8
        .value_kind:     by_value
      - .offset:         32
        .size:           4
        .value_kind:     by_value
      - .offset:         40
        .size:           8
        .value_kind:     by_value
      - .offset:         48
        .size:           4
        .value_kind:     by_value
      - .offset:         56
        .size:           4
        .value_kind:     hidden_block_count_x
      - .offset:         60
        .size:           4
        .value_kind:     hidden_block_count_y
      - .offset:         64
        .size:           4
        .value_kind:     hidden_block_count_z
      - .offset:         68
        .size:           2
        .value_kind:     hidden_group_size_x
      - .offset:         70
        .size:           2
        .value_kind:     hidden_group_size_y
      - .offset:         72
        .size:           2
        .value_kind:     hidden_group_size_z
      - .offset:         74
        .size:           2
        .value_kind:     hidden_remainder_x
      - .offset:         76
        .size:           2
        .value_kind:     hidden_remainder_y
      - .offset:         78
        .size:           2
        .value_kind:     hidden_remainder_z
      - .offset:         96
        .size:           8
        .value_kind:     hidden_global_offset_x
      - .offset:         104
        .size:           8
        .value_kind:     hidden_global_offset_y
      - .offset:         112
        .size:           8
        .value_kind:     hidden_global_offset_z
      - .offset:         120
        .size:           2
        .value_kind:     hidden_grid_dims
    .group_segment_fixed_size: 0
    .kernarg_segment_align: 8
    .kernarg_segment_size: 312
    .language:       OpenCL C
    .language_version:
      - 2
      - 0
    .max_flat_workgroup_size: 256
    .name:           _ZL24rocblas_gemv_scal_kernelILi256EfPKPfEviT0_lT1_lili
    .private_segment_fixed_size: 0
    .sgpr_count:     18
    .sgpr_spill_count: 0
    .symbol:         _ZL24rocblas_gemv_scal_kernelILi256EfPKPfEviT0_lT1_lili.kd
    .uniform_work_group_size: 1
    .uses_dynamic_stack: false
    .vgpr_count:     6
    .vgpr_spill_count: 0
    .wavefront_size: 32
    .workgroup_processor_mode: 1
  - .args:
      - .offset:         0
        .size:           4
        .value_kind:     by_value
      - .offset:         4
        .size:           4
        .value_kind:     by_value
      - .address_space:  global
        .offset:         8
        .size:           8
        .value_kind:     global_buffer
      - .offset:         16
        .size:           8
        .value_kind:     by_value
      - .address_space:  global
        .offset:         24
        .size:           8
        .value_kind:     global_buffer
      - .offset:         32
        .size:           8
        .value_kind:     by_value
      - .offset:         40
        .size:           4
        .value_kind:     by_value
      - .offset:         48
        .size:           8
        .value_kind:     by_value
      - .address_space:  global
        .offset:         56
        .size:           8
        .value_kind:     global_buffer
      - .offset:         64
        .size:           8
        .value_kind:     by_value
      - .offset:         72
        .size:           4
        .value_kind:     by_value
      - .offset:         80
        .size:           8
        .value_kind:     by_value
      - .address_space:  global
        .offset:         88
        .size:           8
        .value_kind:     global_buffer
      - .offset:         96
        .size:           8
        .value_kind:     by_value
      - .offset:         104
        .size:           4
        .value_kind:     by_value
      - .offset:         112
        .size:           8
        .value_kind:     by_value
      - .offset:         120
        .size:           4
        .value_kind:     by_value
      - .offset:         128
        .size:           4
        .value_kind:     hidden_block_count_x
      - .offset:         132
        .size:           4
        .value_kind:     hidden_block_count_y
      - .offset:         136
        .size:           4
        .value_kind:     hidden_block_count_z
      - .offset:         140
        .size:           2
        .value_kind:     hidden_group_size_x
      - .offset:         142
        .size:           2
        .value_kind:     hidden_group_size_y
      - .offset:         144
        .size:           2
        .value_kind:     hidden_group_size_z
      - .offset:         146
        .size:           2
        .value_kind:     hidden_remainder_x
      - .offset:         148
        .size:           2
        .value_kind:     hidden_remainder_y
      - .offset:         150
        .size:           2
        .value_kind:     hidden_remainder_z
      - .offset:         168
        .size:           8
        .value_kind:     hidden_global_offset_x
      - .offset:         176
        .size:           8
        .value_kind:     hidden_global_offset_y
      - .offset:         184
        .size:           8
        .value_kind:     hidden_global_offset_z
      - .offset:         192
        .size:           2
        .value_kind:     hidden_grid_dims
    .group_segment_fixed_size: 8192
    .kernarg_segment_align: 8
    .kernarg_segment_size: 384
    .language:       OpenCL C
    .language_version:
      - 2
      - 0
    .max_flat_workgroup_size: 1024
    .name:           _ZL36rocblas_gemvn_double_buffered_kernelILi128ELi8ELi8EPKfS1_KPfEviiT3_lPKT2_lilS7_lilPT4_lili
    .private_segment_fixed_size: 0
    .sgpr_count:     32
    .sgpr_spill_count: 0
    .symbol:         _ZL36rocblas_gemvn_double_buffered_kernelILi128ELi8ELi8EPKfS1_KPfEviiT3_lPKT2_lilS7_lilPT4_lili.kd
    .uniform_work_group_size: 1
    .uses_dynamic_stack: false
    .vgpr_count:     68
    .vgpr_spill_count: 0
    .wavefront_size: 32
    .workgroup_processor_mode: 1
  - .args:
      - .offset:         0
        .size:           4
        .value_kind:     by_value
      - .offset:         4
        .size:           4
        .value_kind:     by_value
      - .offset:         8
        .size:           4
        .value_kind:     by_value
      - .offset:         16
        .size:           8
        .value_kind:     by_value
      - .address_space:  global
        .offset:         24
        .size:           8
        .value_kind:     global_buffer
      - .offset:         32
        .size:           8
        .value_kind:     by_value
      - .offset:         40
        .size:           4
        .value_kind:     by_value
      - .offset:         48
        .size:           8
        .value_kind:     by_value
      - .address_space:  global
        .offset:         56
        .size:           8
        .value_kind:     global_buffer
      - .offset:         64
        .size:           8
        .value_kind:     by_value
      - .offset:         72
        .size:           4
        .value_kind:     by_value
      - .offset:         80
        .size:           8
        .value_kind:     by_value
      - .address_space:  global
        .offset:         88
        .size:           8
        .value_kind:     global_buffer
      - .offset:         96
        .size:           8
        .value_kind:     by_value
      - .offset:         104
        .size:           4
        .value_kind:     by_value
      - .offset:         112
        .size:           8
        .value_kind:     by_value
      - .offset:         120
        .size:           4
        .value_kind:     by_value
      - .offset:         128
        .size:           4
        .value_kind:     hidden_block_count_x
      - .offset:         132
        .size:           4
        .value_kind:     hidden_block_count_y
      - .offset:         136
        .size:           4
        .value_kind:     hidden_block_count_z
      - .offset:         140
        .size:           2
        .value_kind:     hidden_group_size_x
      - .offset:         142
        .size:           2
        .value_kind:     hidden_group_size_y
      - .offset:         144
        .size:           2
        .value_kind:     hidden_group_size_z
      - .offset:         146
        .size:           2
        .value_kind:     hidden_remainder_x
      - .offset:         148
        .size:           2
        .value_kind:     hidden_remainder_y
      - .offset:         150
        .size:           2
        .value_kind:     hidden_remainder_z
      - .offset:         168
        .size:           8
        .value_kind:     hidden_global_offset_x
      - .offset:         176
        .size:           8
        .value_kind:     hidden_global_offset_y
      - .offset:         184
        .size:           8
        .value_kind:     hidden_global_offset_z
      - .offset:         192
        .size:           2
        .value_kind:     hidden_grid_dims
    .group_segment_fixed_size: 8192
    .kernarg_segment_align: 8
    .kernarg_segment_size: 384
    .language:       OpenCL C
    .language_version:
      - 2
      - 0
    .max_flat_workgroup_size: 1024
    .name:           _ZL36rocblas_gemvn_double_buffered_kernelILi128ELi8ELi8EPKffKPfEviiT3_lPKT2_lilS7_lilPT4_lili
    .private_segment_fixed_size: 0
    .sgpr_count:     34
    .sgpr_spill_count: 0
    .symbol:         _ZL36rocblas_gemvn_double_buffered_kernelILi128ELi8ELi8EPKffKPfEviiT3_lPKT2_lilS7_lilPT4_lili.kd
    .uniform_work_group_size: 1
    .uses_dynamic_stack: false
    .vgpr_count:     68
    .vgpr_spill_count: 0
    .wavefront_size: 32
    .workgroup_processor_mode: 1
  - .args:
      - .offset:         0
        .size:           4
        .value_kind:     by_value
      - .offset:         4
        .size:           4
        .value_kind:     by_value
      - .address_space:  global
        .offset:         8
        .size:           8
        .value_kind:     global_buffer
      - .offset:         16
        .size:           8
        .value_kind:     by_value
      - .address_space:  global
        .offset:         24
        .size:           8
        .value_kind:     global_buffer
      - .offset:         32
        .size:           8
        .value_kind:     by_value
      - .offset:         40
        .size:           4
        .value_kind:     by_value
      - .offset:         48
        .size:           8
        .value_kind:     by_value
      - .address_space:  global
        .offset:         56
        .size:           8
        .value_kind:     global_buffer
      - .offset:         64
        .size:           8
        .value_kind:     by_value
      - .offset:         72
        .size:           4
        .value_kind:     by_value
      - .offset:         80
        .size:           8
        .value_kind:     by_value
      - .address_space:  global
        .offset:         88
        .size:           8
        .value_kind:     global_buffer
      - .offset:         96
        .size:           8
        .value_kind:     by_value
      - .address_space:  global
        .offset:         104
        .size:           8
        .value_kind:     global_buffer
      - .offset:         112
        .size:           8
        .value_kind:     by_value
      - .offset:         120
        .size:           4
        .value_kind:     by_value
      - .offset:         128
        .size:           8
        .value_kind:     by_value
      - .offset:         136
        .size:           4
        .value_kind:     by_value
      - .offset:         144
        .size:           4
        .value_kind:     hidden_block_count_x
      - .offset:         148
        .size:           4
        .value_kind:     hidden_block_count_y
      - .offset:         152
        .size:           4
        .value_kind:     hidden_block_count_z
      - .offset:         156
        .size:           2
        .value_kind:     hidden_group_size_x
      - .offset:         158
        .size:           2
        .value_kind:     hidden_group_size_y
      - .offset:         160
        .size:           2
        .value_kind:     hidden_group_size_z
      - .offset:         162
        .size:           2
        .value_kind:     hidden_remainder_x
      - .offset:         164
        .size:           2
        .value_kind:     hidden_remainder_y
      - .offset:         166
        .size:           2
        .value_kind:     hidden_remainder_z
      - .offset:         184
        .size:           8
        .value_kind:     hidden_global_offset_x
      - .offset:         192
        .size:           8
        .value_kind:     hidden_global_offset_y
      - .offset:         200
        .size:           8
        .value_kind:     hidden_global_offset_z
      - .offset:         208
        .size:           2
        .value_kind:     hidden_grid_dims
    .group_segment_fixed_size: 8192
    .kernarg_segment_align: 8
    .kernarg_segment_size: 400
    .language:       OpenCL C
    .language_version:
      - 2
      - 0
    .max_flat_workgroup_size: 512
    .name:           _ZL20rocblas_gemvn_kernelILi32ELi16EiPKfS1_KPfEviiT3_lPKT2_lT1_lS7_lS8_lS4_lPT4_lS8_li
    .private_segment_fixed_size: 0
    .sgpr_count:     30
    .sgpr_spill_count: 0
    .symbol:         _ZL20rocblas_gemvn_kernelILi32ELi16EiPKfS1_KPfEviiT3_lPKT2_lT1_lS7_lS8_lS4_lPT4_lS8_li.kd
    .uniform_work_group_size: 1
    .uses_dynamic_stack: false
    .vgpr_count:     41
    .vgpr_spill_count: 0
    .wavefront_size: 32
    .workgroup_processor_mode: 1
  - .args:
      - .offset:         0
        .size:           4
        .value_kind:     by_value
      - .offset:         4
        .size:           4
        .value_kind:     by_value
      - .address_space:  global
        .offset:         8
        .size:           8
        .value_kind:     global_buffer
      - .offset:         16
        .size:           8
        .value_kind:     by_value
      - .address_space:  global
        .offset:         24
        .size:           8
        .value_kind:     global_buffer
      - .offset:         32
        .size:           8
        .value_kind:     by_value
      - .offset:         40
        .size:           8
        .value_kind:     by_value
      - .offset:         48
        .size:           8
        .value_kind:     by_value
      - .address_space:  global
        .offset:         56
        .size:           8
        .value_kind:     global_buffer
      - .offset:         64
        .size:           8
        .value_kind:     by_value
      - .offset:         72
        .size:           8
        .value_kind:     by_value
      - .offset:         80
        .size:           8
        .value_kind:     by_value
      - .address_space:  global
        .offset:         88
        .size:           8
        .value_kind:     global_buffer
      - .offset:         96
        .size:           8
        .value_kind:     by_value
      - .address_space:  global
        .offset:         104
        .size:           8
        .value_kind:     global_buffer
      - .offset:         112
        .size:           8
        .value_kind:     by_value
      - .offset:         120
        .size:           8
        .value_kind:     by_value
      - .offset:         128
        .size:           8
        .value_kind:     by_value
      - .offset:         136
        .size:           4
        .value_kind:     by_value
      - .offset:         144
        .size:           4
        .value_kind:     hidden_block_count_x
      - .offset:         148
        .size:           4
        .value_kind:     hidden_block_count_y
      - .offset:         152
        .size:           4
        .value_kind:     hidden_block_count_z
      - .offset:         156
        .size:           2
        .value_kind:     hidden_group_size_x
      - .offset:         158
        .size:           2
        .value_kind:     hidden_group_size_y
      - .offset:         160
        .size:           2
        .value_kind:     hidden_group_size_z
      - .offset:         162
        .size:           2
        .value_kind:     hidden_remainder_x
      - .offset:         164
        .size:           2
        .value_kind:     hidden_remainder_y
      - .offset:         166
        .size:           2
        .value_kind:     hidden_remainder_z
      - .offset:         184
        .size:           8
        .value_kind:     hidden_global_offset_x
      - .offset:         192
        .size:           8
        .value_kind:     hidden_global_offset_y
      - .offset:         200
        .size:           8
        .value_kind:     hidden_global_offset_z
      - .offset:         208
        .size:           2
        .value_kind:     hidden_grid_dims
    .group_segment_fixed_size: 8192
    .kernarg_segment_align: 8
    .kernarg_segment_size: 400
    .language:       OpenCL C
    .language_version:
      - 2
      - 0
    .max_flat_workgroup_size: 512
    .name:           _ZL20rocblas_gemvn_kernelILi32ELi16ElPKfS1_KPfEviiT3_lPKT2_lT1_lS7_lS8_lS4_lPT4_lS8_li
    .private_segment_fixed_size: 0
    .sgpr_count:     37
    .sgpr_spill_count: 0
    .symbol:         _ZL20rocblas_gemvn_kernelILi32ELi16ElPKfS1_KPfEviiT3_lPKT2_lT1_lS7_lS8_lS4_lPT4_lS8_li.kd
    .uniform_work_group_size: 1
    .uses_dynamic_stack: false
    .vgpr_count:     51
    .vgpr_spill_count: 0
    .wavefront_size: 32
    .workgroup_processor_mode: 1
  - .args:
      - .offset:         0
        .size:           4
        .value_kind:     by_value
      - .offset:         4
        .size:           4
        .value_kind:     by_value
      - .offset:         8
        .size:           4
        .value_kind:     by_value
      - .offset:         16
        .size:           8
        .value_kind:     by_value
      - .address_space:  global
        .offset:         24
        .size:           8
        .value_kind:     global_buffer
      - .offset:         32
        .size:           8
        .value_kind:     by_value
      - .offset:         40
        .size:           4
        .value_kind:     by_value
      - .offset:         48
        .size:           8
        .value_kind:     by_value
      - .address_space:  global
        .offset:         56
        .size:           8
        .value_kind:     global_buffer
      - .offset:         64
        .size:           8
        .value_kind:     by_value
      - .offset:         72
        .size:           4
        .value_kind:     by_value
      - .offset:         80
        .size:           8
        .value_kind:     by_value
      - .offset:         88
        .size:           4
        .value_kind:     by_value
      - .offset:         96
        .size:           8
        .value_kind:     by_value
      - .address_space:  global
        .offset:         104
        .size:           8
        .value_kind:     global_buffer
      - .offset:         112
        .size:           8
        .value_kind:     by_value
      - .offset:         120
        .size:           4
        .value_kind:     by_value
      - .offset:         128
        .size:           8
        .value_kind:     by_value
      - .offset:         136
        .size:           4
        .value_kind:     by_value
      - .offset:         144
        .size:           4
        .value_kind:     hidden_block_count_x
      - .offset:         148
        .size:           4
        .value_kind:     hidden_block_count_y
      - .offset:         152
        .size:           4
        .value_kind:     hidden_block_count_z
      - .offset:         156
        .size:           2
        .value_kind:     hidden_group_size_x
      - .offset:         158
        .size:           2
        .value_kind:     hidden_group_size_y
      - .offset:         160
        .size:           2
        .value_kind:     hidden_group_size_z
      - .offset:         162
        .size:           2
        .value_kind:     hidden_remainder_x
      - .offset:         164
        .size:           2
        .value_kind:     hidden_remainder_y
      - .offset:         166
        .size:           2
        .value_kind:     hidden_remainder_z
      - .offset:         184
        .size:           8
        .value_kind:     hidden_global_offset_x
      - .offset:         192
        .size:           8
        .value_kind:     hidden_global_offset_y
      - .offset:         200
        .size:           8
        .value_kind:     hidden_global_offset_z
      - .offset:         208
        .size:           2
        .value_kind:     hidden_grid_dims
    .group_segment_fixed_size: 8192
    .kernarg_segment_align: 8
    .kernarg_segment_size: 400
    .language:       OpenCL C
    .language_version:
      - 2
      - 0
    .max_flat_workgroup_size: 512
    .name:           _ZL20rocblas_gemvn_kernelILi32ELi16EiPKffKPfEviiT3_lPKT2_lT1_lS7_lS8_lS4_lPT4_lS8_li
    .private_segment_fixed_size: 0
    .sgpr_count:     30
    .sgpr_spill_count: 0
    .symbol:         _ZL20rocblas_gemvn_kernelILi32ELi16EiPKffKPfEviiT3_lPKT2_lT1_lS7_lS8_lS4_lPT4_lS8_li.kd
    .uniform_work_group_size: 1
    .uses_dynamic_stack: false
    .vgpr_count:     41
    .vgpr_spill_count: 0
    .wavefront_size: 32
    .workgroup_processor_mode: 1
  - .args:
      - .offset:         0
        .size:           4
        .value_kind:     by_value
      - .offset:         4
        .size:           4
        .value_kind:     by_value
      - .offset:         8
        .size:           4
        .value_kind:     by_value
      - .offset:         16
        .size:           8
        .value_kind:     by_value
      - .address_space:  global
        .offset:         24
        .size:           8
        .value_kind:     global_buffer
      - .offset:         32
        .size:           8
        .value_kind:     by_value
      - .offset:         40
        .size:           8
        .value_kind:     by_value
      - .offset:         48
        .size:           8
        .value_kind:     by_value
      - .address_space:  global
        .offset:         56
        .size:           8
        .value_kind:     global_buffer
      - .offset:         64
        .size:           8
        .value_kind:     by_value
      - .offset:         72
        .size:           8
        .value_kind:     by_value
      - .offset:         80
        .size:           8
        .value_kind:     by_value
      - .offset:         88
        .size:           4
        .value_kind:     by_value
      - .offset:         96
        .size:           8
        .value_kind:     by_value
      - .address_space:  global
        .offset:         104
        .size:           8
        .value_kind:     global_buffer
      - .offset:         112
        .size:           8
        .value_kind:     by_value
      - .offset:         120
        .size:           8
        .value_kind:     by_value
      - .offset:         128
        .size:           8
        .value_kind:     by_value
      - .offset:         136
        .size:           4
        .value_kind:     by_value
      - .offset:         144
        .size:           4
        .value_kind:     hidden_block_count_x
      - .offset:         148
        .size:           4
        .value_kind:     hidden_block_count_y
      - .offset:         152
        .size:           4
        .value_kind:     hidden_block_count_z
      - .offset:         156
        .size:           2
        .value_kind:     hidden_group_size_x
      - .offset:         158
        .size:           2
        .value_kind:     hidden_group_size_y
      - .offset:         160
        .size:           2
        .value_kind:     hidden_group_size_z
      - .offset:         162
        .size:           2
        .value_kind:     hidden_remainder_x
      - .offset:         164
        .size:           2
        .value_kind:     hidden_remainder_y
      - .offset:         166
        .size:           2
        .value_kind:     hidden_remainder_z
      - .offset:         184
        .size:           8
        .value_kind:     hidden_global_offset_x
      - .offset:         192
        .size:           8
        .value_kind:     hidden_global_offset_y
      - .offset:         200
        .size:           8
        .value_kind:     hidden_global_offset_z
      - .offset:         208
        .size:           2
        .value_kind:     hidden_grid_dims
    .group_segment_fixed_size: 8192
    .kernarg_segment_align: 8
    .kernarg_segment_size: 400
    .language:       OpenCL C
    .language_version:
      - 2
      - 0
    .max_flat_workgroup_size: 512
    .name:           _ZL20rocblas_gemvn_kernelILi32ELi16ElPKffKPfEviiT3_lPKT2_lT1_lS7_lS8_lS4_lPT4_lS8_li
    .private_segment_fixed_size: 0
    .sgpr_count:     37
    .sgpr_spill_count: 0
    .symbol:         _ZL20rocblas_gemvn_kernelILi32ELi16ElPKffKPfEviiT3_lPKT2_lT1_lS7_lS8_lS4_lPT4_lS8_li.kd
    .uniform_work_group_size: 1
    .uses_dynamic_stack: false
    .vgpr_count:     51
    .vgpr_spill_count: 0
    .wavefront_size: 32
    .workgroup_processor_mode: 1
  - .args:
      - .offset:         0
        .size:           4
        .value_kind:     by_value
      - .offset:         4
        .size:           4
        .value_kind:     by_value
      - .address_space:  global
        .offset:         8
        .size:           8
        .value_kind:     global_buffer
      - .offset:         16
        .size:           8
        .value_kind:     by_value
      - .address_space:  global
        .offset:         24
        .size:           8
        .value_kind:     global_buffer
      - .offset:         32
        .size:           8
        .value_kind:     by_value
      - .offset:         40
        .size:           4
        .value_kind:     by_value
      - .offset:         48
        .size:           8
        .value_kind:     by_value
      - .address_space:  global
        .offset:         56
        .size:           8
        .value_kind:     global_buffer
      - .offset:         64
        .size:           8
        .value_kind:     by_value
      - .offset:         72
        .size:           4
        .value_kind:     by_value
      - .offset:         80
        .size:           8
        .value_kind:     by_value
      - .address_space:  global
        .offset:         88
        .size:           8
        .value_kind:     global_buffer
      - .offset:         96
        .size:           8
        .value_kind:     by_value
      - .address_space:  global
        .offset:         104
        .size:           8
        .value_kind:     global_buffer
      - .offset:         112
        .size:           8
        .value_kind:     by_value
      - .offset:         120
        .size:           4
        .value_kind:     by_value
      - .offset:         128
        .size:           8
        .value_kind:     by_value
      - .offset:         136
        .size:           4
        .value_kind:     by_value
      - .offset:         144
        .size:           4
        .value_kind:     hidden_block_count_x
      - .offset:         148
        .size:           4
        .value_kind:     hidden_block_count_y
      - .offset:         152
        .size:           4
        .value_kind:     hidden_block_count_z
      - .offset:         156
        .size:           2
        .value_kind:     hidden_group_size_x
      - .offset:         158
        .size:           2
        .value_kind:     hidden_group_size_y
      - .offset:         160
        .size:           2
        .value_kind:     hidden_group_size_z
      - .offset:         162
        .size:           2
        .value_kind:     hidden_remainder_x
      - .offset:         164
        .size:           2
        .value_kind:     hidden_remainder_y
      - .offset:         166
        .size:           2
        .value_kind:     hidden_remainder_z
      - .offset:         184
        .size:           8
        .value_kind:     hidden_global_offset_x
      - .offset:         192
        .size:           8
        .value_kind:     hidden_global_offset_y
      - .offset:         200
        .size:           8
        .value_kind:     hidden_global_offset_z
      - .offset:         208
        .size:           2
        .value_kind:     hidden_grid_dims
    .group_segment_fixed_size: 16384
    .kernarg_segment_align: 8
    .kernarg_segment_size: 400
    .language:       OpenCL C
    .language_version:
      - 2
      - 0
    .max_flat_workgroup_size: 1024
    .name:           _ZL20rocblas_gemvn_kernelILi64ELi16EiPKfS1_KPfEviiT3_lPKT2_lT1_lS7_lS8_lS4_lPT4_lS8_li
    .private_segment_fixed_size: 0
    .sgpr_count:     30
    .sgpr_spill_count: 0
    .symbol:         _ZL20rocblas_gemvn_kernelILi64ELi16EiPKfS1_KPfEviiT3_lPKT2_lT1_lS7_lS8_lS4_lPT4_lS8_li.kd
    .uniform_work_group_size: 1
    .uses_dynamic_stack: false
    .vgpr_count:     41
    .vgpr_spill_count: 0
    .wavefront_size: 32
    .workgroup_processor_mode: 1
  - .args:
      - .offset:         0
        .size:           4
        .value_kind:     by_value
      - .offset:         4
        .size:           4
        .value_kind:     by_value
      - .address_space:  global
        .offset:         8
        .size:           8
        .value_kind:     global_buffer
      - .offset:         16
        .size:           8
        .value_kind:     by_value
      - .address_space:  global
        .offset:         24
        .size:           8
        .value_kind:     global_buffer
      - .offset:         32
        .size:           8
        .value_kind:     by_value
      - .offset:         40
        .size:           8
        .value_kind:     by_value
      - .offset:         48
        .size:           8
        .value_kind:     by_value
      - .address_space:  global
        .offset:         56
        .size:           8
        .value_kind:     global_buffer
      - .offset:         64
        .size:           8
        .value_kind:     by_value
      - .offset:         72
        .size:           8
        .value_kind:     by_value
      - .offset:         80
        .size:           8
        .value_kind:     by_value
      - .address_space:  global
        .offset:         88
        .size:           8
        .value_kind:     global_buffer
      - .offset:         96
        .size:           8
        .value_kind:     by_value
      - .address_space:  global
        .offset:         104
        .size:           8
        .value_kind:     global_buffer
      - .offset:         112
        .size:           8
        .value_kind:     by_value
      - .offset:         120
        .size:           8
        .value_kind:     by_value
      - .offset:         128
        .size:           8
        .value_kind:     by_value
      - .offset:         136
        .size:           4
        .value_kind:     by_value
      - .offset:         144
        .size:           4
        .value_kind:     hidden_block_count_x
      - .offset:         148
        .size:           4
        .value_kind:     hidden_block_count_y
      - .offset:         152
        .size:           4
        .value_kind:     hidden_block_count_z
      - .offset:         156
        .size:           2
        .value_kind:     hidden_group_size_x
      - .offset:         158
        .size:           2
        .value_kind:     hidden_group_size_y
      - .offset:         160
        .size:           2
        .value_kind:     hidden_group_size_z
      - .offset:         162
        .size:           2
        .value_kind:     hidden_remainder_x
      - .offset:         164
        .size:           2
        .value_kind:     hidden_remainder_y
      - .offset:         166
        .size:           2
        .value_kind:     hidden_remainder_z
      - .offset:         184
        .size:           8
        .value_kind:     hidden_global_offset_x
      - .offset:         192
        .size:           8
        .value_kind:     hidden_global_offset_y
      - .offset:         200
        .size:           8
        .value_kind:     hidden_global_offset_z
      - .offset:         208
        .size:           2
        .value_kind:     hidden_grid_dims
    .group_segment_fixed_size: 16384
    .kernarg_segment_align: 8
    .kernarg_segment_size: 400
    .language:       OpenCL C
    .language_version:
      - 2
      - 0
    .max_flat_workgroup_size: 1024
    .name:           _ZL20rocblas_gemvn_kernelILi64ELi16ElPKfS1_KPfEviiT3_lPKT2_lT1_lS7_lS8_lS4_lPT4_lS8_li
    .private_segment_fixed_size: 0
    .sgpr_count:     37
    .sgpr_spill_count: 0
    .symbol:         _ZL20rocblas_gemvn_kernelILi64ELi16ElPKfS1_KPfEviiT3_lPKT2_lT1_lS7_lS8_lS4_lPT4_lS8_li.kd
    .uniform_work_group_size: 1
    .uses_dynamic_stack: false
    .vgpr_count:     51
    .vgpr_spill_count: 0
    .wavefront_size: 32
    .workgroup_processor_mode: 1
  - .args:
      - .offset:         0
        .size:           4
        .value_kind:     by_value
      - .offset:         4
        .size:           4
        .value_kind:     by_value
      - .offset:         8
        .size:           4
        .value_kind:     by_value
      - .offset:         16
        .size:           8
        .value_kind:     by_value
      - .address_space:  global
        .offset:         24
        .size:           8
        .value_kind:     global_buffer
      - .offset:         32
        .size:           8
        .value_kind:     by_value
      - .offset:         40
        .size:           4
        .value_kind:     by_value
      - .offset:         48
        .size:           8
        .value_kind:     by_value
      - .address_space:  global
        .offset:         56
        .size:           8
        .value_kind:     global_buffer
      - .offset:         64
        .size:           8
        .value_kind:     by_value
      - .offset:         72
        .size:           4
        .value_kind:     by_value
      - .offset:         80
        .size:           8
        .value_kind:     by_value
      - .offset:         88
        .size:           4
        .value_kind:     by_value
      - .offset:         96
        .size:           8
        .value_kind:     by_value
      - .address_space:  global
        .offset:         104
        .size:           8
        .value_kind:     global_buffer
      - .offset:         112
        .size:           8
        .value_kind:     by_value
      - .offset:         120
        .size:           4
        .value_kind:     by_value
      - .offset:         128
        .size:           8
        .value_kind:     by_value
      - .offset:         136
        .size:           4
        .value_kind:     by_value
      - .offset:         144
        .size:           4
        .value_kind:     hidden_block_count_x
      - .offset:         148
        .size:           4
        .value_kind:     hidden_block_count_y
      - .offset:         152
        .size:           4
        .value_kind:     hidden_block_count_z
      - .offset:         156
        .size:           2
        .value_kind:     hidden_group_size_x
      - .offset:         158
        .size:           2
        .value_kind:     hidden_group_size_y
      - .offset:         160
        .size:           2
        .value_kind:     hidden_group_size_z
      - .offset:         162
        .size:           2
        .value_kind:     hidden_remainder_x
      - .offset:         164
        .size:           2
        .value_kind:     hidden_remainder_y
      - .offset:         166
        .size:           2
        .value_kind:     hidden_remainder_z
      - .offset:         184
        .size:           8
        .value_kind:     hidden_global_offset_x
      - .offset:         192
        .size:           8
        .value_kind:     hidden_global_offset_y
      - .offset:         200
        .size:           8
        .value_kind:     hidden_global_offset_z
      - .offset:         208
        .size:           2
        .value_kind:     hidden_grid_dims
    .group_segment_fixed_size: 16384
    .kernarg_segment_align: 8
    .kernarg_segment_size: 400
    .language:       OpenCL C
    .language_version:
      - 2
      - 0
    .max_flat_workgroup_size: 1024
    .name:           _ZL20rocblas_gemvn_kernelILi64ELi16EiPKffKPfEviiT3_lPKT2_lT1_lS7_lS8_lS4_lPT4_lS8_li
    .private_segment_fixed_size: 0
    .sgpr_count:     30
    .sgpr_spill_count: 0
    .symbol:         _ZL20rocblas_gemvn_kernelILi64ELi16EiPKffKPfEviiT3_lPKT2_lT1_lS7_lS8_lS4_lPT4_lS8_li.kd
    .uniform_work_group_size: 1
    .uses_dynamic_stack: false
    .vgpr_count:     41
    .vgpr_spill_count: 0
    .wavefront_size: 32
    .workgroup_processor_mode: 1
  - .args:
      - .offset:         0
        .size:           4
        .value_kind:     by_value
      - .offset:         4
        .size:           4
        .value_kind:     by_value
      - .offset:         8
        .size:           4
        .value_kind:     by_value
      - .offset:         16
        .size:           8
        .value_kind:     by_value
      - .address_space:  global
        .offset:         24
        .size:           8
        .value_kind:     global_buffer
      - .offset:         32
        .size:           8
        .value_kind:     by_value
      - .offset:         40
        .size:           8
        .value_kind:     by_value
      - .offset:         48
        .size:           8
        .value_kind:     by_value
      - .address_space:  global
        .offset:         56
        .size:           8
        .value_kind:     global_buffer
      - .offset:         64
        .size:           8
        .value_kind:     by_value
      - .offset:         72
        .size:           8
        .value_kind:     by_value
      - .offset:         80
        .size:           8
        .value_kind:     by_value
      - .offset:         88
        .size:           4
        .value_kind:     by_value
      - .offset:         96
        .size:           8
        .value_kind:     by_value
      - .address_space:  global
        .offset:         104
        .size:           8
        .value_kind:     global_buffer
      - .offset:         112
        .size:           8
        .value_kind:     by_value
      - .offset:         120
        .size:           8
        .value_kind:     by_value
      - .offset:         128
        .size:           8
        .value_kind:     by_value
      - .offset:         136
        .size:           4
        .value_kind:     by_value
      - .offset:         144
        .size:           4
        .value_kind:     hidden_block_count_x
      - .offset:         148
        .size:           4
        .value_kind:     hidden_block_count_y
      - .offset:         152
        .size:           4
        .value_kind:     hidden_block_count_z
      - .offset:         156
        .size:           2
        .value_kind:     hidden_group_size_x
      - .offset:         158
        .size:           2
        .value_kind:     hidden_group_size_y
      - .offset:         160
        .size:           2
        .value_kind:     hidden_group_size_z
      - .offset:         162
        .size:           2
        .value_kind:     hidden_remainder_x
      - .offset:         164
        .size:           2
        .value_kind:     hidden_remainder_y
      - .offset:         166
        .size:           2
        .value_kind:     hidden_remainder_z
      - .offset:         184
        .size:           8
        .value_kind:     hidden_global_offset_x
      - .offset:         192
        .size:           8
        .value_kind:     hidden_global_offset_y
      - .offset:         200
        .size:           8
        .value_kind:     hidden_global_offset_z
      - .offset:         208
        .size:           2
        .value_kind:     hidden_grid_dims
    .group_segment_fixed_size: 16384
    .kernarg_segment_align: 8
    .kernarg_segment_size: 400
    .language:       OpenCL C
    .language_version:
      - 2
      - 0
    .max_flat_workgroup_size: 1024
    .name:           _ZL20rocblas_gemvn_kernelILi64ELi16ElPKffKPfEviiT3_lPKT2_lT1_lS7_lS8_lS4_lPT4_lS8_li
    .private_segment_fixed_size: 0
    .sgpr_count:     37
    .sgpr_spill_count: 0
    .symbol:         _ZL20rocblas_gemvn_kernelILi64ELi16ElPKffKPfEviiT3_lPKT2_lT1_lS7_lS8_lS4_lPT4_lS8_li.kd
    .uniform_work_group_size: 1
    .uses_dynamic_stack: false
    .vgpr_count:     51
    .vgpr_spill_count: 0
    .wavefront_size: 32
    .workgroup_processor_mode: 1
  - .args:
      - .offset:         0
        .size:           4
        .value_kind:     by_value
      - .offset:         4
        .size:           4
        .value_kind:     by_value
      - .address_space:  global
        .offset:         8
        .size:           8
        .value_kind:     global_buffer
      - .offset:         16
        .size:           8
        .value_kind:     by_value
      - .address_space:  global
        .offset:         24
        .size:           8
        .value_kind:     global_buffer
      - .offset:         32
        .size:           8
        .value_kind:     by_value
      - .offset:         40
        .size:           4
        .value_kind:     by_value
      - .offset:         48
        .size:           8
        .value_kind:     by_value
      - .address_space:  global
        .offset:         56
        .size:           8
        .value_kind:     global_buffer
      - .offset:         64
        .size:           8
        .value_kind:     by_value
      - .offset:         72
        .size:           4
        .value_kind:     by_value
      - .offset:         80
        .size:           8
        .value_kind:     by_value
      - .address_space:  global
        .offset:         88
        .size:           8
        .value_kind:     global_buffer
      - .offset:         96
        .size:           8
        .value_kind:     by_value
      - .address_space:  global
        .offset:         104
        .size:           8
        .value_kind:     global_buffer
      - .offset:         112
        .size:           8
        .value_kind:     by_value
      - .offset:         120
        .size:           4
        .value_kind:     by_value
      - .offset:         128
        .size:           8
        .value_kind:     by_value
    .group_segment_fixed_size: 256
    .kernarg_segment_align: 8
    .kernarg_segment_size: 136
    .language:       OpenCL C
    .language_version:
      - 2
      - 0
    .max_flat_workgroup_size: 256
    .name:           _ZL22rocblas_gemvtsm_kernelILb0ELi256EPKfS1_KPfEviiT2_lPKT1_lilS7_lilS4_lPT3_lil
    .private_segment_fixed_size: 0
    .sgpr_count:     24
    .sgpr_spill_count: 0
    .symbol:         _ZL22rocblas_gemvtsm_kernelILb0ELi256EPKfS1_KPfEviiT2_lPKT1_lilS7_lilS4_lPT3_lil.kd
    .uniform_work_group_size: 1
    .uses_dynamic_stack: false
    .vgpr_count:     24
    .vgpr_spill_count: 0
    .wavefront_size: 32
    .workgroup_processor_mode: 1
  - .args:
      - .offset:         0
        .size:           4
        .value_kind:     by_value
      - .offset:         4
        .size:           4
        .value_kind:     by_value
      - .offset:         8
        .size:           4
        .value_kind:     by_value
      - .offset:         16
        .size:           8
        .value_kind:     by_value
      - .address_space:  global
        .offset:         24
        .size:           8
        .value_kind:     global_buffer
      - .offset:         32
        .size:           8
        .value_kind:     by_value
      - .offset:         40
        .size:           4
        .value_kind:     by_value
      - .offset:         48
        .size:           8
        .value_kind:     by_value
      - .address_space:  global
        .offset:         56
        .size:           8
        .value_kind:     global_buffer
      - .offset:         64
        .size:           8
        .value_kind:     by_value
      - .offset:         72
        .size:           4
        .value_kind:     by_value
      - .offset:         80
        .size:           8
        .value_kind:     by_value
      - .offset:         88
        .size:           4
        .value_kind:     by_value
      - .offset:         96
        .size:           8
        .value_kind:     by_value
      - .address_space:  global
        .offset:         104
        .size:           8
        .value_kind:     global_buffer
      - .offset:         112
        .size:           8
        .value_kind:     by_value
      - .offset:         120
        .size:           4
        .value_kind:     by_value
      - .offset:         128
        .size:           8
        .value_kind:     by_value
    .group_segment_fixed_size: 256
    .kernarg_segment_align: 8
    .kernarg_segment_size: 136
    .language:       OpenCL C
    .language_version:
      - 2
      - 0
    .max_flat_workgroup_size: 256
    .name:           _ZL22rocblas_gemvtsm_kernelILb0ELi256EPKffKPfEviiT2_lPKT1_lilS7_lilS4_lPT3_lil
    .private_segment_fixed_size: 0
    .sgpr_count:     22
    .sgpr_spill_count: 0
    .symbol:         _ZL22rocblas_gemvtsm_kernelILb0ELi256EPKffKPfEviiT2_lPKT1_lilS7_lilS4_lPT3_lil.kd
    .uniform_work_group_size: 1
    .uses_dynamic_stack: false
    .vgpr_count:     24
    .vgpr_spill_count: 0
    .wavefront_size: 32
    .workgroup_processor_mode: 1
  - .args:
      - .offset:         0
        .size:           4
        .value_kind:     by_value
      - .offset:         4
        .size:           4
        .value_kind:     by_value
      - .address_space:  global
        .offset:         8
        .size:           8
        .value_kind:     global_buffer
      - .offset:         16
        .size:           8
        .value_kind:     by_value
      - .address_space:  global
        .offset:         24
        .size:           8
        .value_kind:     global_buffer
      - .offset:         32
        .size:           8
        .value_kind:     by_value
      - .offset:         40
        .size:           4
        .value_kind:     by_value
      - .offset:         48
        .size:           8
        .value_kind:     by_value
      - .address_space:  global
        .offset:         56
        .size:           8
        .value_kind:     global_buffer
      - .offset:         64
        .size:           8
        .value_kind:     by_value
      - .offset:         72
        .size:           4
        .value_kind:     by_value
      - .offset:         80
        .size:           8
        .value_kind:     by_value
      - .address_space:  global
        .offset:         88
        .size:           8
        .value_kind:     global_buffer
      - .offset:         96
        .size:           4
        .value_kind:     by_value
      - .offset:         104
        .size:           4
        .value_kind:     hidden_block_count_x
      - .offset:         108
        .size:           4
        .value_kind:     hidden_block_count_y
      - .offset:         112
        .size:           4
        .value_kind:     hidden_block_count_z
      - .offset:         116
        .size:           2
        .value_kind:     hidden_group_size_x
      - .offset:         118
        .size:           2
        .value_kind:     hidden_group_size_y
      - .offset:         120
        .size:           2
        .value_kind:     hidden_group_size_z
      - .offset:         122
        .size:           2
        .value_kind:     hidden_remainder_x
      - .offset:         124
        .size:           2
        .value_kind:     hidden_remainder_y
      - .offset:         126
        .size:           2
        .value_kind:     hidden_remainder_z
      - .offset:         144
        .size:           8
        .value_kind:     hidden_global_offset_x
      - .offset:         152
        .size:           8
        .value_kind:     hidden_global_offset_y
      - .offset:         160
        .size:           8
        .value_kind:     hidden_global_offset_z
      - .offset:         168
        .size:           2
        .value_kind:     hidden_grid_dims
    .group_segment_fixed_size: 128
    .kernarg_segment_align: 8
    .kernarg_segment_size: 360
    .language:       OpenCL C
    .language_version:
      - 2
      - 0
    .max_flat_workgroup_size: 256
    .name:           _ZL23rocblas_gemvt_sn_kernelILb0ELi256ELi4EiPKfS1_fEviiT4_lPKT3_lilS5_lilPT5_i
    .private_segment_fixed_size: 0
    .sgpr_count:     46
    .sgpr_spill_count: 0
    .symbol:         _ZL23rocblas_gemvt_sn_kernelILb0ELi256ELi4EiPKfS1_fEviiT4_lPKT3_lilS5_lilPT5_i.kd
    .uniform_work_group_size: 1
    .uses_dynamic_stack: false
    .vgpr_count:     51
    .vgpr_spill_count: 0
    .wavefront_size: 32
    .workgroup_processor_mode: 1
  - .args:
      - .offset:         0
        .size:           4
        .value_kind:     by_value
      - .offset:         4
        .size:           4
        .value_kind:     by_value
      - .address_space:  global
        .offset:         8
        .size:           8
        .value_kind:     global_buffer
      - .offset:         16
        .size:           8
        .value_kind:     by_value
      - .address_space:  global
        .offset:         24
        .size:           8
        .value_kind:     global_buffer
      - .offset:         32
        .size:           8
        .value_kind:     by_value
      - .offset:         40
        .size:           4
        .value_kind:     by_value
      - .offset:         48
        .size:           8
        .value_kind:     by_value
      - .address_space:  global
        .offset:         56
        .size:           8
        .value_kind:     global_buffer
      - .offset:         64
        .size:           8
        .value_kind:     by_value
      - .offset:         72
        .size:           4
        .value_kind:     by_value
      - .offset:         80
        .size:           8
        .value_kind:     by_value
      - .address_space:  global
        .offset:         88
        .size:           8
        .value_kind:     global_buffer
      - .offset:         96
        .size:           4
        .value_kind:     by_value
      - .offset:         104
        .size:           4
        .value_kind:     hidden_block_count_x
      - .offset:         108
        .size:           4
        .value_kind:     hidden_block_count_y
      - .offset:         112
        .size:           4
        .value_kind:     hidden_block_count_z
      - .offset:         116
        .size:           2
        .value_kind:     hidden_group_size_x
      - .offset:         118
        .size:           2
        .value_kind:     hidden_group_size_y
      - .offset:         120
        .size:           2
        .value_kind:     hidden_group_size_z
      - .offset:         122
        .size:           2
        .value_kind:     hidden_remainder_x
      - .offset:         124
        .size:           2
        .value_kind:     hidden_remainder_y
      - .offset:         126
        .size:           2
        .value_kind:     hidden_remainder_z
      - .offset:         144
        .size:           8
        .value_kind:     hidden_global_offset_x
      - .offset:         152
        .size:           8
        .value_kind:     hidden_global_offset_y
      - .offset:         160
        .size:           8
        .value_kind:     hidden_global_offset_z
      - .offset:         168
        .size:           2
        .value_kind:     hidden_grid_dims
    .group_segment_fixed_size: 128
    .kernarg_segment_align: 8
    .kernarg_segment_size: 360
    .language:       OpenCL C
    .language_version:
      - 2
      - 0
    .max_flat_workgroup_size: 256
    .name:           _ZL23rocblas_gemvt_sn_kernelILb0ELi256ELi4ElPKfS1_fEviiT4_lPKT3_lilS5_lilPT5_i
    .private_segment_fixed_size: 0
    .sgpr_count:     48
    .sgpr_spill_count: 0
    .symbol:         _ZL23rocblas_gemvt_sn_kernelILb0ELi256ELi4ElPKfS1_fEviiT4_lPKT3_lilS5_lilPT5_i.kd
    .uniform_work_group_size: 1
    .uses_dynamic_stack: false
    .vgpr_count:     57
    .vgpr_spill_count: 0
    .wavefront_size: 32
    .workgroup_processor_mode: 1
  - .args:
      - .offset:         0
        .size:           4
        .value_kind:     by_value
      - .offset:         4
        .size:           4
        .value_kind:     by_value
      - .offset:         8
        .size:           4
        .value_kind:     by_value
      - .offset:         16
        .size:           8
        .value_kind:     by_value
      - .address_space:  global
        .offset:         24
        .size:           8
        .value_kind:     global_buffer
      - .offset:         32
        .size:           8
        .value_kind:     by_value
      - .offset:         40
        .size:           4
        .value_kind:     by_value
      - .offset:         48
        .size:           8
        .value_kind:     by_value
      - .address_space:  global
        .offset:         56
        .size:           8
        .value_kind:     global_buffer
      - .offset:         64
        .size:           8
        .value_kind:     by_value
      - .offset:         72
        .size:           4
        .value_kind:     by_value
      - .offset:         80
        .size:           8
        .value_kind:     by_value
      - .address_space:  global
        .offset:         88
        .size:           8
        .value_kind:     global_buffer
      - .offset:         96
        .size:           4
        .value_kind:     by_value
      - .offset:         104
        .size:           4
        .value_kind:     hidden_block_count_x
      - .offset:         108
        .size:           4
        .value_kind:     hidden_block_count_y
      - .offset:         112
        .size:           4
        .value_kind:     hidden_block_count_z
      - .offset:         116
        .size:           2
        .value_kind:     hidden_group_size_x
      - .offset:         118
        .size:           2
        .value_kind:     hidden_group_size_y
      - .offset:         120
        .size:           2
        .value_kind:     hidden_group_size_z
      - .offset:         122
        .size:           2
        .value_kind:     hidden_remainder_x
      - .offset:         124
        .size:           2
        .value_kind:     hidden_remainder_y
      - .offset:         126
        .size:           2
        .value_kind:     hidden_remainder_z
      - .offset:         144
        .size:           8
        .value_kind:     hidden_global_offset_x
      - .offset:         152
        .size:           8
        .value_kind:     hidden_global_offset_y
      - .offset:         160
        .size:           8
        .value_kind:     hidden_global_offset_z
      - .offset:         168
        .size:           2
        .value_kind:     hidden_grid_dims
    .group_segment_fixed_size: 128
    .kernarg_segment_align: 8
    .kernarg_segment_size: 360
    .language:       OpenCL C
    .language_version:
      - 2
      - 0
    .max_flat_workgroup_size: 256
    .name:           _ZL23rocblas_gemvt_sn_kernelILb0ELi256ELi4EiPKfffEviiT4_lPKT3_lilS5_lilPT5_i
    .private_segment_fixed_size: 0
    .sgpr_count:     46
    .sgpr_spill_count: 0
    .symbol:         _ZL23rocblas_gemvt_sn_kernelILb0ELi256ELi4EiPKfffEviiT4_lPKT3_lilS5_lilPT5_i.kd
    .uniform_work_group_size: 1
    .uses_dynamic_stack: false
    .vgpr_count:     51
    .vgpr_spill_count: 0
    .wavefront_size: 32
    .workgroup_processor_mode: 1
  - .args:
      - .offset:         0
        .size:           4
        .value_kind:     by_value
      - .offset:         4
        .size:           4
        .value_kind:     by_value
      - .offset:         8
        .size:           4
        .value_kind:     by_value
      - .offset:         16
        .size:           8
        .value_kind:     by_value
      - .address_space:  global
        .offset:         24
        .size:           8
        .value_kind:     global_buffer
      - .offset:         32
        .size:           8
        .value_kind:     by_value
      - .offset:         40
        .size:           4
        .value_kind:     by_value
      - .offset:         48
        .size:           8
        .value_kind:     by_value
      - .address_space:  global
        .offset:         56
        .size:           8
        .value_kind:     global_buffer
      - .offset:         64
        .size:           8
        .value_kind:     by_value
      - .offset:         72
        .size:           4
        .value_kind:     by_value
      - .offset:         80
        .size:           8
        .value_kind:     by_value
      - .address_space:  global
        .offset:         88
        .size:           8
        .value_kind:     global_buffer
      - .offset:         96
        .size:           4
        .value_kind:     by_value
      - .offset:         104
        .size:           4
        .value_kind:     hidden_block_count_x
      - .offset:         108
        .size:           4
        .value_kind:     hidden_block_count_y
      - .offset:         112
        .size:           4
        .value_kind:     hidden_block_count_z
      - .offset:         116
        .size:           2
        .value_kind:     hidden_group_size_x
      - .offset:         118
        .size:           2
        .value_kind:     hidden_group_size_y
      - .offset:         120
        .size:           2
        .value_kind:     hidden_group_size_z
      - .offset:         122
        .size:           2
        .value_kind:     hidden_remainder_x
      - .offset:         124
        .size:           2
        .value_kind:     hidden_remainder_y
      - .offset:         126
        .size:           2
        .value_kind:     hidden_remainder_z
      - .offset:         144
        .size:           8
        .value_kind:     hidden_global_offset_x
      - .offset:         152
        .size:           8
        .value_kind:     hidden_global_offset_y
      - .offset:         160
        .size:           8
        .value_kind:     hidden_global_offset_z
      - .offset:         168
        .size:           2
        .value_kind:     hidden_grid_dims
    .group_segment_fixed_size: 128
    .kernarg_segment_align: 8
    .kernarg_segment_size: 360
    .language:       OpenCL C
    .language_version:
      - 2
      - 0
    .max_flat_workgroup_size: 256
    .name:           _ZL23rocblas_gemvt_sn_kernelILb0ELi256ELi4ElPKfffEviiT4_lPKT3_lilS5_lilPT5_i
    .private_segment_fixed_size: 0
    .sgpr_count:     48
    .sgpr_spill_count: 0
    .symbol:         _ZL23rocblas_gemvt_sn_kernelILb0ELi256ELi4ElPKfffEviiT4_lPKT3_lilS5_lilPT5_i.kd
    .uniform_work_group_size: 1
    .uses_dynamic_stack: false
    .vgpr_count:     57
    .vgpr_spill_count: 0
    .wavefront_size: 32
    .workgroup_processor_mode: 1
  - .args:
      - .offset:         0
        .size:           4
        .value_kind:     by_value
      - .offset:         4
        .size:           4
        .value_kind:     by_value
      - .address_space:  global
        .offset:         8
        .size:           8
        .value_kind:     global_buffer
      - .offset:         16
        .size:           8
        .value_kind:     by_value
      - .address_space:  global
        .offset:         24
        .size:           8
        .value_kind:     global_buffer
      - .offset:         32
        .size:           8
        .value_kind:     by_value
      - .offset:         40
        .size:           4
        .value_kind:     by_value
      - .offset:         48
        .size:           8
        .value_kind:     by_value
      - .address_space:  global
        .offset:         56
        .size:           8
        .value_kind:     global_buffer
      - .offset:         64
        .size:           8
        .value_kind:     by_value
      - .offset:         72
        .size:           4
        .value_kind:     by_value
      - .offset:         80
        .size:           8
        .value_kind:     by_value
      - .address_space:  global
        .offset:         88
        .size:           8
        .value_kind:     global_buffer
      - .offset:         96
        .size:           8
        .value_kind:     by_value
      - .offset:         104
        .size:           4
        .value_kind:     by_value
      - .offset:         112
        .size:           8
        .value_kind:     by_value
      - .offset:         120
        .size:           4
        .value_kind:     by_value
      - .offset:         128
        .size:           4
        .value_kind:     hidden_block_count_x
      - .offset:         132
        .size:           4
        .value_kind:     hidden_block_count_y
      - .offset:         136
        .size:           4
        .value_kind:     hidden_block_count_z
      - .offset:         140
        .size:           2
        .value_kind:     hidden_group_size_x
      - .offset:         142
        .size:           2
        .value_kind:     hidden_group_size_y
      - .offset:         144
        .size:           2
        .value_kind:     hidden_group_size_z
      - .offset:         146
        .size:           2
        .value_kind:     hidden_remainder_x
      - .offset:         148
        .size:           2
        .value_kind:     hidden_remainder_y
      - .offset:         150
        .size:           2
        .value_kind:     hidden_remainder_z
      - .offset:         168
        .size:           8
        .value_kind:     hidden_global_offset_x
      - .offset:         176
        .size:           8
        .value_kind:     hidden_global_offset_y
      - .offset:         184
        .size:           8
        .value_kind:     hidden_global_offset_z
      - .offset:         192
        .size:           2
        .value_kind:     hidden_grid_dims
    .group_segment_fixed_size: 32768
    .kernarg_segment_align: 8
    .kernarg_segment_size: 384
    .language:       OpenCL C
    .language_version:
      - 2
      - 0
    .max_flat_workgroup_size: 1024
    .name:           _ZL36rocblas_gemvt_double_buffered_kernelILb0ELi128ELi8ELi8EPKfS1_KPfEviiT4_lPKT3_lilS7_lilPT5_lili
    .private_segment_fixed_size: 0
    .sgpr_count:     28
    .sgpr_spill_count: 0
    .symbol:         _ZL36rocblas_gemvt_double_buffered_kernelILb0ELi128ELi8ELi8EPKfS1_KPfEviiT4_lPKT3_lilS7_lilPT5_lili.kd
    .uniform_work_group_size: 1
    .uses_dynamic_stack: false
    .vgpr_count:     69
    .vgpr_spill_count: 0
    .wavefront_size: 32
    .workgroup_processor_mode: 1
  - .args:
      - .offset:         0
        .size:           4
        .value_kind:     by_value
      - .offset:         4
        .size:           4
        .value_kind:     by_value
      - .offset:         8
        .size:           4
        .value_kind:     by_value
      - .offset:         16
        .size:           8
        .value_kind:     by_value
      - .address_space:  global
        .offset:         24
        .size:           8
        .value_kind:     global_buffer
      - .offset:         32
        .size:           8
        .value_kind:     by_value
      - .offset:         40
        .size:           4
        .value_kind:     by_value
      - .offset:         48
        .size:           8
        .value_kind:     by_value
      - .address_space:  global
        .offset:         56
        .size:           8
        .value_kind:     global_buffer
      - .offset:         64
        .size:           8
        .value_kind:     by_value
      - .offset:         72
        .size:           4
        .value_kind:     by_value
      - .offset:         80
        .size:           8
        .value_kind:     by_value
      - .address_space:  global
        .offset:         88
        .size:           8
        .value_kind:     global_buffer
      - .offset:         96
        .size:           8
        .value_kind:     by_value
      - .offset:         104
        .size:           4
        .value_kind:     by_value
      - .offset:         112
        .size:           8
        .value_kind:     by_value
      - .offset:         120
        .size:           4
        .value_kind:     by_value
      - .offset:         128
        .size:           4
        .value_kind:     hidden_block_count_x
      - .offset:         132
        .size:           4
        .value_kind:     hidden_block_count_y
      - .offset:         136
        .size:           4
        .value_kind:     hidden_block_count_z
      - .offset:         140
        .size:           2
        .value_kind:     hidden_group_size_x
      - .offset:         142
        .size:           2
        .value_kind:     hidden_group_size_y
      - .offset:         144
        .size:           2
        .value_kind:     hidden_group_size_z
      - .offset:         146
        .size:           2
        .value_kind:     hidden_remainder_x
      - .offset:         148
        .size:           2
        .value_kind:     hidden_remainder_y
      - .offset:         150
        .size:           2
        .value_kind:     hidden_remainder_z
      - .offset:         168
        .size:           8
        .value_kind:     hidden_global_offset_x
      - .offset:         176
        .size:           8
        .value_kind:     hidden_global_offset_y
      - .offset:         184
        .size:           8
        .value_kind:     hidden_global_offset_z
      - .offset:         192
        .size:           2
        .value_kind:     hidden_grid_dims
    .group_segment_fixed_size: 32768
    .kernarg_segment_align: 8
    .kernarg_segment_size: 384
    .language:       OpenCL C
    .language_version:
      - 2
      - 0
    .max_flat_workgroup_size: 1024
    .name:           _ZL36rocblas_gemvt_double_buffered_kernelILb0ELi128ELi8ELi8EPKffKPfEviiT4_lPKT3_lilS7_lilPT5_lili
    .private_segment_fixed_size: 0
    .sgpr_count:     30
    .sgpr_spill_count: 0
    .symbol:         _ZL36rocblas_gemvt_double_buffered_kernelILb0ELi128ELi8ELi8EPKffKPfEviiT4_lPKT3_lilS7_lilPT5_lili.kd
    .uniform_work_group_size: 1
    .uses_dynamic_stack: false
    .vgpr_count:     69
    .vgpr_spill_count: 0
    .wavefront_size: 32
    .workgroup_processor_mode: 1
  - .args:
      - .offset:         0
        .size:           4
        .value_kind:     by_value
      - .offset:         4
        .size:           4
        .value_kind:     by_value
      - .address_space:  global
        .offset:         8
        .size:           8
        .value_kind:     global_buffer
      - .offset:         16
        .size:           8
        .value_kind:     by_value
      - .address_space:  global
        .offset:         24
        .size:           8
        .value_kind:     global_buffer
      - .offset:         32
        .size:           8
        .value_kind:     by_value
      - .offset:         40
        .size:           4
        .value_kind:     by_value
      - .offset:         48
        .size:           8
        .value_kind:     by_value
      - .address_space:  global
        .offset:         56
        .size:           8
        .value_kind:     global_buffer
      - .offset:         64
        .size:           8
        .value_kind:     by_value
      - .offset:         72
        .size:           4
        .value_kind:     by_value
      - .offset:         80
        .size:           8
        .value_kind:     by_value
      - .address_space:  global
        .offset:         88
        .size:           8
        .value_kind:     global_buffer
      - .offset:         96
        .size:           8
        .value_kind:     by_value
      - .address_space:  global
        .offset:         104
        .size:           8
        .value_kind:     global_buffer
      - .offset:         112
        .size:           8
        .value_kind:     by_value
      - .offset:         120
        .size:           4
        .value_kind:     by_value
      - .offset:         128
        .size:           8
        .value_kind:     by_value
      - .offset:         136
        .size:           4
        .value_kind:     by_value
    .group_segment_fixed_size: 128
    .kernarg_segment_align: 8
    .kernarg_segment_size: 140
    .language:       OpenCL C
    .language_version:
      - 2
      - 0
    .max_flat_workgroup_size: 256
    .name:           _ZL32rocblas_gemvt_warp_reduce_kernelILb0ELi256EiPKfS1_KPfEviiT3_lPKT2_lT1_lS7_lS8_lS4_lPT4_lS8_li
    .private_segment_fixed_size: 0
    .sgpr_count:     26
    .sgpr_spill_count: 0
    .symbol:         _ZL32rocblas_gemvt_warp_reduce_kernelILb0ELi256EiPKfS1_KPfEviiT3_lPKT2_lT1_lS7_lS8_lS4_lPT4_lS8_li.kd
    .uniform_work_group_size: 1
    .uses_dynamic_stack: false
    .vgpr_count:     11
    .vgpr_spill_count: 0
    .wavefront_size: 32
    .workgroup_processor_mode: 1
  - .args:
      - .offset:         0
        .size:           4
        .value_kind:     by_value
      - .offset:         4
        .size:           4
        .value_kind:     by_value
      - .address_space:  global
        .offset:         8
        .size:           8
        .value_kind:     global_buffer
      - .offset:         16
        .size:           8
        .value_kind:     by_value
      - .address_space:  global
        .offset:         24
        .size:           8
        .value_kind:     global_buffer
      - .offset:         32
        .size:           8
        .value_kind:     by_value
      - .offset:         40
        .size:           8
        .value_kind:     by_value
      - .offset:         48
        .size:           8
        .value_kind:     by_value
      - .address_space:  global
        .offset:         56
        .size:           8
        .value_kind:     global_buffer
      - .offset:         64
        .size:           8
        .value_kind:     by_value
      - .offset:         72
        .size:           8
        .value_kind:     by_value
      - .offset:         80
        .size:           8
        .value_kind:     by_value
      - .address_space:  global
        .offset:         88
        .size:           8
        .value_kind:     global_buffer
      - .offset:         96
        .size:           8
        .value_kind:     by_value
      - .address_space:  global
        .offset:         104
        .size:           8
        .value_kind:     global_buffer
      - .offset:         112
        .size:           8
        .value_kind:     by_value
      - .offset:         120
        .size:           8
        .value_kind:     by_value
      - .offset:         128
        .size:           8
        .value_kind:     by_value
      - .offset:         136
        .size:           4
        .value_kind:     by_value
    .group_segment_fixed_size: 128
    .kernarg_segment_align: 8
    .kernarg_segment_size: 140
    .language:       OpenCL C
    .language_version:
      - 2
      - 0
    .max_flat_workgroup_size: 256
    .name:           _ZL32rocblas_gemvt_warp_reduce_kernelILb0ELi256ElPKfS1_KPfEviiT3_lPKT2_lT1_lS7_lS8_lS4_lPT4_lS8_li
    .private_segment_fixed_size: 0
    .sgpr_count:     33
    .sgpr_spill_count: 0
    .symbol:         _ZL32rocblas_gemvt_warp_reduce_kernelILb0ELi256ElPKfS1_KPfEviiT3_lPKT2_lT1_lS7_lS8_lS4_lPT4_lS8_li.kd
    .uniform_work_group_size: 1
    .uses_dynamic_stack: false
    .vgpr_count:     11
    .vgpr_spill_count: 0
    .wavefront_size: 32
    .workgroup_processor_mode: 1
  - .args:
      - .offset:         0
        .size:           4
        .value_kind:     by_value
      - .offset:         4
        .size:           4
        .value_kind:     by_value
      - .offset:         8
        .size:           4
        .value_kind:     by_value
      - .offset:         16
        .size:           8
        .value_kind:     by_value
      - .address_space:  global
        .offset:         24
        .size:           8
        .value_kind:     global_buffer
      - .offset:         32
        .size:           8
        .value_kind:     by_value
      - .offset:         40
        .size:           4
        .value_kind:     by_value
      - .offset:         48
        .size:           8
        .value_kind:     by_value
      - .address_space:  global
        .offset:         56
        .size:           8
        .value_kind:     global_buffer
      - .offset:         64
        .size:           8
        .value_kind:     by_value
      - .offset:         72
        .size:           4
        .value_kind:     by_value
      - .offset:         80
        .size:           8
        .value_kind:     by_value
      - .offset:         88
        .size:           4
        .value_kind:     by_value
      - .offset:         96
        .size:           8
        .value_kind:     by_value
      - .address_space:  global
        .offset:         104
        .size:           8
        .value_kind:     global_buffer
      - .offset:         112
        .size:           8
        .value_kind:     by_value
      - .offset:         120
        .size:           4
        .value_kind:     by_value
      - .offset:         128
        .size:           8
        .value_kind:     by_value
      - .offset:         136
        .size:           4
        .value_kind:     by_value
    .group_segment_fixed_size: 128
    .kernarg_segment_align: 8
    .kernarg_segment_size: 140
    .language:       OpenCL C
    .language_version:
      - 2
      - 0
    .max_flat_workgroup_size: 256
    .name:           _ZL32rocblas_gemvt_warp_reduce_kernelILb0ELi256EiPKffKPfEviiT3_lPKT2_lT1_lS7_lS8_lS4_lPT4_lS8_li
    .private_segment_fixed_size: 0
    .sgpr_count:     22
    .sgpr_spill_count: 0
    .symbol:         _ZL32rocblas_gemvt_warp_reduce_kernelILb0ELi256EiPKffKPfEviiT3_lPKT2_lT1_lS7_lS8_lS4_lPT4_lS8_li.kd
    .uniform_work_group_size: 1
    .uses_dynamic_stack: false
    .vgpr_count:     11
    .vgpr_spill_count: 0
    .wavefront_size: 32
    .workgroup_processor_mode: 1
  - .args:
      - .offset:         0
        .size:           4
        .value_kind:     by_value
      - .offset:         4
        .size:           4
        .value_kind:     by_value
      - .offset:         8
        .size:           4
        .value_kind:     by_value
      - .offset:         16
        .size:           8
        .value_kind:     by_value
      - .address_space:  global
        .offset:         24
        .size:           8
        .value_kind:     global_buffer
      - .offset:         32
        .size:           8
        .value_kind:     by_value
      - .offset:         40
        .size:           8
        .value_kind:     by_value
      - .offset:         48
        .size:           8
        .value_kind:     by_value
      - .address_space:  global
        .offset:         56
        .size:           8
        .value_kind:     global_buffer
      - .offset:         64
        .size:           8
        .value_kind:     by_value
      - .offset:         72
        .size:           8
        .value_kind:     by_value
      - .offset:         80
        .size:           8
        .value_kind:     by_value
      - .offset:         88
        .size:           4
        .value_kind:     by_value
      - .offset:         96
        .size:           8
        .value_kind:     by_value
      - .address_space:  global
        .offset:         104
        .size:           8
        .value_kind:     global_buffer
      - .offset:         112
        .size:           8
        .value_kind:     by_value
      - .offset:         120
        .size:           8
        .value_kind:     by_value
      - .offset:         128
        .size:           8
        .value_kind:     by_value
      - .offset:         136
        .size:           4
        .value_kind:     by_value
    .group_segment_fixed_size: 128
    .kernarg_segment_align: 8
    .kernarg_segment_size: 140
    .language:       OpenCL C
    .language_version:
      - 2
      - 0
    .max_flat_workgroup_size: 256
    .name:           _ZL32rocblas_gemvt_warp_reduce_kernelILb0ELi256ElPKffKPfEviiT3_lPKT2_lT1_lS7_lS8_lS4_lPT4_lS8_li
    .private_segment_fixed_size: 0
    .sgpr_count:     28
    .sgpr_spill_count: 0
    .symbol:         _ZL32rocblas_gemvt_warp_reduce_kernelILb0ELi256ElPKffKPfEviiT3_lPKT2_lT1_lS7_lS8_lS4_lPT4_lS8_li.kd
    .uniform_work_group_size: 1
    .uses_dynamic_stack: false
    .vgpr_count:     11
    .vgpr_spill_count: 0
    .wavefront_size: 32
    .workgroup_processor_mode: 1
  - .args:
      - .offset:         0
        .size:           4
        .value_kind:     by_value
      - .offset:         4
        .size:           4
        .value_kind:     by_value
      - .address_space:  global
        .offset:         8
        .size:           8
        .value_kind:     global_buffer
      - .offset:         16
        .size:           8
        .value_kind:     by_value
      - .address_space:  global
        .offset:         24
        .size:           8
        .value_kind:     global_buffer
      - .offset:         32
        .size:           8
        .value_kind:     by_value
      - .offset:         40
        .size:           4
        .value_kind:     by_value
      - .offset:         48
        .size:           8
        .value_kind:     by_value
      - .address_space:  global
        .offset:         56
        .size:           8
        .value_kind:     global_buffer
      - .offset:         64
        .size:           8
        .value_kind:     by_value
      - .offset:         72
        .size:           4
        .value_kind:     by_value
      - .offset:         80
        .size:           8
        .value_kind:     by_value
      - .address_space:  global
        .offset:         88
        .size:           8
        .value_kind:     global_buffer
      - .offset:         96
        .size:           8
        .value_kind:     by_value
      - .address_space:  global
        .offset:         104
        .size:           8
        .value_kind:     global_buffer
      - .offset:         112
        .size:           8
        .value_kind:     by_value
      - .offset:         120
        .size:           4
        .value_kind:     by_value
      - .offset:         128
        .size:           8
        .value_kind:     by_value
      - .offset:         136
        .size:           4
        .value_kind:     by_value
    .group_segment_fixed_size: 1024
    .kernarg_segment_align: 8
    .kernarg_segment_size: 140
    .language:       OpenCL C
    .language_version:
      - 2
      - 0
    .max_flat_workgroup_size: 256
    .name:           _ZL20rocblas_gemvt_kernelILb0ELi256EPKfS1_KPfEviiT2_lPKT1_lilS7_lilS4_lPT3_lili
    .private_segment_fixed_size: 0
    .sgpr_count:     26
    .sgpr_spill_count: 0
    .symbol:         _ZL20rocblas_gemvt_kernelILb0ELi256EPKfS1_KPfEviiT2_lPKT1_lilS7_lilS4_lPT3_lili.kd
    .uniform_work_group_size: 1
    .uses_dynamic_stack: false
    .vgpr_count:     10
    .vgpr_spill_count: 0
    .wavefront_size: 32
    .workgroup_processor_mode: 1
  - .args:
      - .offset:         0
        .size:           4
        .value_kind:     by_value
      - .offset:         4
        .size:           4
        .value_kind:     by_value
      - .offset:         8
        .size:           4
        .value_kind:     by_value
      - .offset:         16
        .size:           8
        .value_kind:     by_value
      - .address_space:  global
        .offset:         24
        .size:           8
        .value_kind:     global_buffer
      - .offset:         32
        .size:           8
        .value_kind:     by_value
      - .offset:         40
        .size:           4
        .value_kind:     by_value
      - .offset:         48
        .size:           8
        .value_kind:     by_value
      - .address_space:  global
        .offset:         56
        .size:           8
        .value_kind:     global_buffer
      - .offset:         64
        .size:           8
        .value_kind:     by_value
      - .offset:         72
        .size:           4
        .value_kind:     by_value
      - .offset:         80
        .size:           8
        .value_kind:     by_value
      - .offset:         88
        .size:           4
        .value_kind:     by_value
      - .offset:         96
        .size:           8
        .value_kind:     by_value
      - .address_space:  global
        .offset:         104
        .size:           8
        .value_kind:     global_buffer
      - .offset:         112
        .size:           8
        .value_kind:     by_value
      - .offset:         120
        .size:           4
        .value_kind:     by_value
      - .offset:         128
        .size:           8
        .value_kind:     by_value
      - .offset:         136
        .size:           4
        .value_kind:     by_value
    .group_segment_fixed_size: 1024
    .kernarg_segment_align: 8
    .kernarg_segment_size: 140
    .language:       OpenCL C
    .language_version:
      - 2
      - 0
    .max_flat_workgroup_size: 256
    .name:           _ZL20rocblas_gemvt_kernelILb0ELi256EPKffKPfEviiT2_lPKT1_lilS7_lilS4_lPT3_lili
    .private_segment_fixed_size: 0
    .sgpr_count:     22
    .sgpr_spill_count: 0
    .symbol:         _ZL20rocblas_gemvt_kernelILb0ELi256EPKffKPfEviiT2_lPKT1_lilS7_lilS4_lPT3_lili.kd
    .uniform_work_group_size: 1
    .uses_dynamic_stack: false
    .vgpr_count:     10
    .vgpr_spill_count: 0
    .wavefront_size: 32
    .workgroup_processor_mode: 1
  - .args:
      - .offset:         0
        .size:           4
        .value_kind:     by_value
      - .offset:         4
        .size:           4
        .value_kind:     by_value
      - .address_space:  global
        .offset:         8
        .size:           8
        .value_kind:     global_buffer
      - .offset:         16
        .size:           8
        .value_kind:     by_value
      - .address_space:  global
        .offset:         24
        .size:           8
        .value_kind:     global_buffer
      - .offset:         32
        .size:           8
        .value_kind:     by_value
      - .offset:         40
        .size:           4
        .value_kind:     by_value
      - .offset:         48
        .size:           8
        .value_kind:     by_value
      - .address_space:  global
        .offset:         56
        .size:           8
        .value_kind:     global_buffer
      - .offset:         64
        .size:           8
        .value_kind:     by_value
      - .offset:         72
        .size:           4
        .value_kind:     by_value
      - .offset:         80
        .size:           8
        .value_kind:     by_value
      - .address_space:  global
        .offset:         88
        .size:           8
        .value_kind:     global_buffer
      - .offset:         96
        .size:           8
        .value_kind:     by_value
      - .address_space:  global
        .offset:         104
        .size:           8
        .value_kind:     global_buffer
      - .offset:         112
        .size:           8
        .value_kind:     by_value
      - .offset:         120
        .size:           4
        .value_kind:     by_value
      - .offset:         128
        .size:           8
        .value_kind:     by_value
      - .offset:         136
        .size:           4
        .value_kind:     by_value
    .group_segment_fixed_size: 128
    .kernarg_segment_align: 8
    .kernarg_segment_size: 140
    .language:       OpenCL C
    .language_version:
      - 2
      - 0
    .max_flat_workgroup_size: 1024
    .name:           _ZL32rocblas_gemvt_warp_reduce_kernelILb0ELi1024EiPKfS1_KPfEviiT3_lPKT2_lT1_lS7_lS8_lS4_lPT4_lS8_li
    .private_segment_fixed_size: 0
    .sgpr_count:     26
    .sgpr_spill_count: 0
    .symbol:         _ZL32rocblas_gemvt_warp_reduce_kernelILb0ELi1024EiPKfS1_KPfEviiT3_lPKT2_lT1_lS7_lS8_lS4_lPT4_lS8_li.kd
    .uniform_work_group_size: 1
    .uses_dynamic_stack: false
    .vgpr_count:     11
    .vgpr_spill_count: 0
    .wavefront_size: 32
    .workgroup_processor_mode: 1
  - .args:
      - .offset:         0
        .size:           4
        .value_kind:     by_value
      - .offset:         4
        .size:           4
        .value_kind:     by_value
      - .address_space:  global
        .offset:         8
        .size:           8
        .value_kind:     global_buffer
      - .offset:         16
        .size:           8
        .value_kind:     by_value
      - .address_space:  global
        .offset:         24
        .size:           8
        .value_kind:     global_buffer
      - .offset:         32
        .size:           8
        .value_kind:     by_value
      - .offset:         40
        .size:           8
        .value_kind:     by_value
      - .offset:         48
        .size:           8
        .value_kind:     by_value
      - .address_space:  global
        .offset:         56
        .size:           8
        .value_kind:     global_buffer
      - .offset:         64
        .size:           8
        .value_kind:     by_value
      - .offset:         72
        .size:           8
        .value_kind:     by_value
      - .offset:         80
        .size:           8
        .value_kind:     by_value
      - .address_space:  global
        .offset:         88
        .size:           8
        .value_kind:     global_buffer
      - .offset:         96
        .size:           8
        .value_kind:     by_value
      - .address_space:  global
        .offset:         104
        .size:           8
        .value_kind:     global_buffer
      - .offset:         112
        .size:           8
        .value_kind:     by_value
      - .offset:         120
        .size:           8
        .value_kind:     by_value
      - .offset:         128
        .size:           8
        .value_kind:     by_value
      - .offset:         136
        .size:           4
        .value_kind:     by_value
    .group_segment_fixed_size: 128
    .kernarg_segment_align: 8
    .kernarg_segment_size: 140
    .language:       OpenCL C
    .language_version:
      - 2
      - 0
    .max_flat_workgroup_size: 1024
    .name:           _ZL32rocblas_gemvt_warp_reduce_kernelILb0ELi1024ElPKfS1_KPfEviiT3_lPKT2_lT1_lS7_lS8_lS4_lPT4_lS8_li
    .private_segment_fixed_size: 0
    .sgpr_count:     33
    .sgpr_spill_count: 0
    .symbol:         _ZL32rocblas_gemvt_warp_reduce_kernelILb0ELi1024ElPKfS1_KPfEviiT3_lPKT2_lT1_lS7_lS8_lS4_lPT4_lS8_li.kd
    .uniform_work_group_size: 1
    .uses_dynamic_stack: false
    .vgpr_count:     11
    .vgpr_spill_count: 0
    .wavefront_size: 32
    .workgroup_processor_mode: 1
  - .args:
      - .offset:         0
        .size:           4
        .value_kind:     by_value
      - .offset:         4
        .size:           4
        .value_kind:     by_value
      - .offset:         8
        .size:           4
        .value_kind:     by_value
      - .offset:         16
        .size:           8
        .value_kind:     by_value
      - .address_space:  global
        .offset:         24
        .size:           8
        .value_kind:     global_buffer
      - .offset:         32
        .size:           8
        .value_kind:     by_value
      - .offset:         40
        .size:           4
        .value_kind:     by_value
      - .offset:         48
        .size:           8
        .value_kind:     by_value
      - .address_space:  global
        .offset:         56
        .size:           8
        .value_kind:     global_buffer
      - .offset:         64
        .size:           8
        .value_kind:     by_value
      - .offset:         72
        .size:           4
        .value_kind:     by_value
      - .offset:         80
        .size:           8
        .value_kind:     by_value
      - .offset:         88
        .size:           4
        .value_kind:     by_value
      - .offset:         96
        .size:           8
        .value_kind:     by_value
      - .address_space:  global
        .offset:         104
        .size:           8
        .value_kind:     global_buffer
      - .offset:         112
        .size:           8
        .value_kind:     by_value
      - .offset:         120
        .size:           4
        .value_kind:     by_value
      - .offset:         128
        .size:           8
        .value_kind:     by_value
      - .offset:         136
        .size:           4
        .value_kind:     by_value
    .group_segment_fixed_size: 128
    .kernarg_segment_align: 8
    .kernarg_segment_size: 140
    .language:       OpenCL C
    .language_version:
      - 2
      - 0
    .max_flat_workgroup_size: 1024
    .name:           _ZL32rocblas_gemvt_warp_reduce_kernelILb0ELi1024EiPKffKPfEviiT3_lPKT2_lT1_lS7_lS8_lS4_lPT4_lS8_li
    .private_segment_fixed_size: 0
    .sgpr_count:     22
    .sgpr_spill_count: 0
    .symbol:         _ZL32rocblas_gemvt_warp_reduce_kernelILb0ELi1024EiPKffKPfEviiT3_lPKT2_lT1_lS7_lS8_lS4_lPT4_lS8_li.kd
    .uniform_work_group_size: 1
    .uses_dynamic_stack: false
    .vgpr_count:     11
    .vgpr_spill_count: 0
    .wavefront_size: 32
    .workgroup_processor_mode: 1
  - .args:
      - .offset:         0
        .size:           4
        .value_kind:     by_value
      - .offset:         4
        .size:           4
        .value_kind:     by_value
      - .offset:         8
        .size:           4
        .value_kind:     by_value
      - .offset:         16
        .size:           8
        .value_kind:     by_value
      - .address_space:  global
        .offset:         24
        .size:           8
        .value_kind:     global_buffer
      - .offset:         32
        .size:           8
        .value_kind:     by_value
      - .offset:         40
        .size:           8
        .value_kind:     by_value
      - .offset:         48
        .size:           8
        .value_kind:     by_value
      - .address_space:  global
        .offset:         56
        .size:           8
        .value_kind:     global_buffer
      - .offset:         64
        .size:           8
        .value_kind:     by_value
      - .offset:         72
        .size:           8
        .value_kind:     by_value
      - .offset:         80
        .size:           8
        .value_kind:     by_value
      - .offset:         88
        .size:           4
        .value_kind:     by_value
      - .offset:         96
        .size:           8
        .value_kind:     by_value
      - .address_space:  global
        .offset:         104
        .size:           8
        .value_kind:     global_buffer
      - .offset:         112
        .size:           8
        .value_kind:     by_value
      - .offset:         120
        .size:           8
        .value_kind:     by_value
      - .offset:         128
        .size:           8
        .value_kind:     by_value
      - .offset:         136
        .size:           4
        .value_kind:     by_value
    .group_segment_fixed_size: 128
    .kernarg_segment_align: 8
    .kernarg_segment_size: 140
    .language:       OpenCL C
    .language_version:
      - 2
      - 0
    .max_flat_workgroup_size: 1024
    .name:           _ZL32rocblas_gemvt_warp_reduce_kernelILb0ELi1024ElPKffKPfEviiT3_lPKT2_lT1_lS7_lS8_lS4_lPT4_lS8_li
    .private_segment_fixed_size: 0
    .sgpr_count:     28
    .sgpr_spill_count: 0
    .symbol:         _ZL32rocblas_gemvt_warp_reduce_kernelILb0ELi1024ElPKffKPfEviiT3_lPKT2_lT1_lS7_lS8_lS4_lPT4_lS8_li.kd
    .uniform_work_group_size: 1
    .uses_dynamic_stack: false
    .vgpr_count:     11
    .vgpr_spill_count: 0
    .wavefront_size: 32
    .workgroup_processor_mode: 1
  - .args:
      - .offset:         0
        .size:           4
        .value_kind:     by_value
      - .offset:         4
        .size:           4
        .value_kind:     by_value
      - .address_space:  global
        .offset:         8
        .size:           8
        .value_kind:     global_buffer
      - .offset:         16
        .size:           8
        .value_kind:     by_value
      - .address_space:  global
        .offset:         24
        .size:           8
        .value_kind:     global_buffer
      - .offset:         32
        .size:           8
        .value_kind:     by_value
      - .offset:         40
        .size:           4
        .value_kind:     by_value
      - .offset:         48
        .size:           8
        .value_kind:     by_value
      - .address_space:  global
        .offset:         56
        .size:           8
        .value_kind:     global_buffer
      - .offset:         64
        .size:           8
        .value_kind:     by_value
      - .offset:         72
        .size:           4
        .value_kind:     by_value
      - .offset:         80
        .size:           8
        .value_kind:     by_value
      - .address_space:  global
        .offset:         88
        .size:           8
        .value_kind:     global_buffer
      - .offset:         96
        .size:           8
        .value_kind:     by_value
      - .address_space:  global
        .offset:         104
        .size:           8
        .value_kind:     global_buffer
      - .offset:         112
        .size:           8
        .value_kind:     by_value
      - .offset:         120
        .size:           4
        .value_kind:     by_value
      - .offset:         128
        .size:           8
        .value_kind:     by_value
    .group_segment_fixed_size: 256
    .kernarg_segment_align: 8
    .kernarg_segment_size: 136
    .language:       OpenCL C
    .language_version:
      - 2
      - 0
    .max_flat_workgroup_size: 256
    .name:           _ZL22rocblas_gemvtsm_kernelILb1ELi256EPKfS1_KPfEviiT2_lPKT1_lilS7_lilS4_lPT3_lil
    .private_segment_fixed_size: 0
    .sgpr_count:     24
    .sgpr_spill_count: 0
    .symbol:         _ZL22rocblas_gemvtsm_kernelILb1ELi256EPKfS1_KPfEviiT2_lPKT1_lilS7_lilS4_lPT3_lil.kd
    .uniform_work_group_size: 1
    .uses_dynamic_stack: false
    .vgpr_count:     24
    .vgpr_spill_count: 0
    .wavefront_size: 32
    .workgroup_processor_mode: 1
  - .args:
      - .offset:         0
        .size:           4
        .value_kind:     by_value
      - .offset:         4
        .size:           4
        .value_kind:     by_value
      - .offset:         8
        .size:           4
        .value_kind:     by_value
      - .offset:         16
        .size:           8
        .value_kind:     by_value
      - .address_space:  global
        .offset:         24
        .size:           8
        .value_kind:     global_buffer
      - .offset:         32
        .size:           8
        .value_kind:     by_value
      - .offset:         40
        .size:           4
        .value_kind:     by_value
      - .offset:         48
        .size:           8
        .value_kind:     by_value
      - .address_space:  global
        .offset:         56
        .size:           8
        .value_kind:     global_buffer
      - .offset:         64
        .size:           8
        .value_kind:     by_value
      - .offset:         72
        .size:           4
        .value_kind:     by_value
      - .offset:         80
        .size:           8
        .value_kind:     by_value
      - .offset:         88
        .size:           4
        .value_kind:     by_value
      - .offset:         96
        .size:           8
        .value_kind:     by_value
      - .address_space:  global
        .offset:         104
        .size:           8
        .value_kind:     global_buffer
      - .offset:         112
        .size:           8
        .value_kind:     by_value
      - .offset:         120
        .size:           4
        .value_kind:     by_value
      - .offset:         128
        .size:           8
        .value_kind:     by_value
    .group_segment_fixed_size: 256
    .kernarg_segment_align: 8
    .kernarg_segment_size: 136
    .language:       OpenCL C
    .language_version:
      - 2
      - 0
    .max_flat_workgroup_size: 256
    .name:           _ZL22rocblas_gemvtsm_kernelILb1ELi256EPKffKPfEviiT2_lPKT1_lilS7_lilS4_lPT3_lil
    .private_segment_fixed_size: 0
    .sgpr_count:     22
    .sgpr_spill_count: 0
    .symbol:         _ZL22rocblas_gemvtsm_kernelILb1ELi256EPKffKPfEviiT2_lPKT1_lilS7_lilS4_lPT3_lil.kd
    .uniform_work_group_size: 1
    .uses_dynamic_stack: false
    .vgpr_count:     24
    .vgpr_spill_count: 0
    .wavefront_size: 32
    .workgroup_processor_mode: 1
  - .args:
      - .offset:         0
        .size:           4
        .value_kind:     by_value
      - .offset:         4
        .size:           4
        .value_kind:     by_value
      - .address_space:  global
        .offset:         8
        .size:           8
        .value_kind:     global_buffer
      - .offset:         16
        .size:           8
        .value_kind:     by_value
      - .address_space:  global
        .offset:         24
        .size:           8
        .value_kind:     global_buffer
      - .offset:         32
        .size:           8
        .value_kind:     by_value
      - .offset:         40
        .size:           4
        .value_kind:     by_value
      - .offset:         48
        .size:           8
        .value_kind:     by_value
      - .address_space:  global
        .offset:         56
        .size:           8
        .value_kind:     global_buffer
      - .offset:         64
        .size:           8
        .value_kind:     by_value
      - .offset:         72
        .size:           4
        .value_kind:     by_value
      - .offset:         80
        .size:           8
        .value_kind:     by_value
      - .address_space:  global
        .offset:         88
        .size:           8
        .value_kind:     global_buffer
      - .offset:         96
        .size:           4
        .value_kind:     by_value
      - .offset:         104
        .size:           4
        .value_kind:     hidden_block_count_x
      - .offset:         108
        .size:           4
        .value_kind:     hidden_block_count_y
      - .offset:         112
        .size:           4
        .value_kind:     hidden_block_count_z
      - .offset:         116
        .size:           2
        .value_kind:     hidden_group_size_x
      - .offset:         118
        .size:           2
        .value_kind:     hidden_group_size_y
      - .offset:         120
        .size:           2
        .value_kind:     hidden_group_size_z
      - .offset:         122
        .size:           2
        .value_kind:     hidden_remainder_x
      - .offset:         124
        .size:           2
        .value_kind:     hidden_remainder_y
      - .offset:         126
        .size:           2
        .value_kind:     hidden_remainder_z
      - .offset:         144
        .size:           8
        .value_kind:     hidden_global_offset_x
      - .offset:         152
        .size:           8
        .value_kind:     hidden_global_offset_y
      - .offset:         160
        .size:           8
        .value_kind:     hidden_global_offset_z
      - .offset:         168
        .size:           2
        .value_kind:     hidden_grid_dims
    .group_segment_fixed_size: 128
    .kernarg_segment_align: 8
    .kernarg_segment_size: 360
    .language:       OpenCL C
    .language_version:
      - 2
      - 0
    .max_flat_workgroup_size: 256
    .name:           _ZL23rocblas_gemvt_sn_kernelILb1ELi256ELi4EiPKfS1_fEviiT4_lPKT3_lilS5_lilPT5_i
    .private_segment_fixed_size: 0
    .sgpr_count:     46
    .sgpr_spill_count: 0
    .symbol:         _ZL23rocblas_gemvt_sn_kernelILb1ELi256ELi4EiPKfS1_fEviiT4_lPKT3_lilS5_lilPT5_i.kd
    .uniform_work_group_size: 1
    .uses_dynamic_stack: false
    .vgpr_count:     51
    .vgpr_spill_count: 0
    .wavefront_size: 32
    .workgroup_processor_mode: 1
  - .args:
      - .offset:         0
        .size:           4
        .value_kind:     by_value
      - .offset:         4
        .size:           4
        .value_kind:     by_value
      - .address_space:  global
        .offset:         8
        .size:           8
        .value_kind:     global_buffer
      - .offset:         16
        .size:           8
        .value_kind:     by_value
      - .address_space:  global
        .offset:         24
        .size:           8
        .value_kind:     global_buffer
      - .offset:         32
        .size:           8
        .value_kind:     by_value
      - .offset:         40
        .size:           4
        .value_kind:     by_value
      - .offset:         48
        .size:           8
        .value_kind:     by_value
      - .address_space:  global
        .offset:         56
        .size:           8
        .value_kind:     global_buffer
      - .offset:         64
        .size:           8
        .value_kind:     by_value
      - .offset:         72
        .size:           4
        .value_kind:     by_value
      - .offset:         80
        .size:           8
        .value_kind:     by_value
      - .address_space:  global
        .offset:         88
        .size:           8
        .value_kind:     global_buffer
      - .offset:         96
        .size:           4
        .value_kind:     by_value
      - .offset:         104
        .size:           4
        .value_kind:     hidden_block_count_x
      - .offset:         108
        .size:           4
        .value_kind:     hidden_block_count_y
      - .offset:         112
        .size:           4
        .value_kind:     hidden_block_count_z
      - .offset:         116
        .size:           2
        .value_kind:     hidden_group_size_x
      - .offset:         118
        .size:           2
        .value_kind:     hidden_group_size_y
      - .offset:         120
        .size:           2
        .value_kind:     hidden_group_size_z
      - .offset:         122
        .size:           2
        .value_kind:     hidden_remainder_x
      - .offset:         124
        .size:           2
        .value_kind:     hidden_remainder_y
      - .offset:         126
        .size:           2
        .value_kind:     hidden_remainder_z
      - .offset:         144
        .size:           8
        .value_kind:     hidden_global_offset_x
      - .offset:         152
        .size:           8
        .value_kind:     hidden_global_offset_y
      - .offset:         160
        .size:           8
        .value_kind:     hidden_global_offset_z
      - .offset:         168
        .size:           2
        .value_kind:     hidden_grid_dims
    .group_segment_fixed_size: 128
    .kernarg_segment_align: 8
    .kernarg_segment_size: 360
    .language:       OpenCL C
    .language_version:
      - 2
      - 0
    .max_flat_workgroup_size: 256
    .name:           _ZL23rocblas_gemvt_sn_kernelILb1ELi256ELi4ElPKfS1_fEviiT4_lPKT3_lilS5_lilPT5_i
    .private_segment_fixed_size: 0
    .sgpr_count:     48
    .sgpr_spill_count: 0
    .symbol:         _ZL23rocblas_gemvt_sn_kernelILb1ELi256ELi4ElPKfS1_fEviiT4_lPKT3_lilS5_lilPT5_i.kd
    .uniform_work_group_size: 1
    .uses_dynamic_stack: false
    .vgpr_count:     57
    .vgpr_spill_count: 0
    .wavefront_size: 32
    .workgroup_processor_mode: 1
  - .args:
      - .offset:         0
        .size:           4
        .value_kind:     by_value
      - .offset:         4
        .size:           4
        .value_kind:     by_value
      - .offset:         8
        .size:           4
        .value_kind:     by_value
      - .offset:         16
        .size:           8
        .value_kind:     by_value
      - .address_space:  global
        .offset:         24
        .size:           8
        .value_kind:     global_buffer
      - .offset:         32
        .size:           8
        .value_kind:     by_value
      - .offset:         40
        .size:           4
        .value_kind:     by_value
      - .offset:         48
        .size:           8
        .value_kind:     by_value
      - .address_space:  global
        .offset:         56
        .size:           8
        .value_kind:     global_buffer
      - .offset:         64
        .size:           8
        .value_kind:     by_value
      - .offset:         72
        .size:           4
        .value_kind:     by_value
      - .offset:         80
        .size:           8
        .value_kind:     by_value
      - .address_space:  global
        .offset:         88
        .size:           8
        .value_kind:     global_buffer
      - .offset:         96
        .size:           4
        .value_kind:     by_value
      - .offset:         104
        .size:           4
        .value_kind:     hidden_block_count_x
      - .offset:         108
        .size:           4
        .value_kind:     hidden_block_count_y
      - .offset:         112
        .size:           4
        .value_kind:     hidden_block_count_z
      - .offset:         116
        .size:           2
        .value_kind:     hidden_group_size_x
      - .offset:         118
        .size:           2
        .value_kind:     hidden_group_size_y
      - .offset:         120
        .size:           2
        .value_kind:     hidden_group_size_z
      - .offset:         122
        .size:           2
        .value_kind:     hidden_remainder_x
      - .offset:         124
        .size:           2
        .value_kind:     hidden_remainder_y
      - .offset:         126
        .size:           2
        .value_kind:     hidden_remainder_z
      - .offset:         144
        .size:           8
        .value_kind:     hidden_global_offset_x
      - .offset:         152
        .size:           8
        .value_kind:     hidden_global_offset_y
      - .offset:         160
        .size:           8
        .value_kind:     hidden_global_offset_z
      - .offset:         168
        .size:           2
        .value_kind:     hidden_grid_dims
    .group_segment_fixed_size: 128
    .kernarg_segment_align: 8
    .kernarg_segment_size: 360
    .language:       OpenCL C
    .language_version:
      - 2
      - 0
    .max_flat_workgroup_size: 256
    .name:           _ZL23rocblas_gemvt_sn_kernelILb1ELi256ELi4EiPKfffEviiT4_lPKT3_lilS5_lilPT5_i
    .private_segment_fixed_size: 0
    .sgpr_count:     46
    .sgpr_spill_count: 0
    .symbol:         _ZL23rocblas_gemvt_sn_kernelILb1ELi256ELi4EiPKfffEviiT4_lPKT3_lilS5_lilPT5_i.kd
    .uniform_work_group_size: 1
    .uses_dynamic_stack: false
    .vgpr_count:     51
    .vgpr_spill_count: 0
    .wavefront_size: 32
    .workgroup_processor_mode: 1
  - .args:
      - .offset:         0
        .size:           4
        .value_kind:     by_value
      - .offset:         4
        .size:           4
        .value_kind:     by_value
      - .offset:         8
        .size:           4
        .value_kind:     by_value
      - .offset:         16
        .size:           8
        .value_kind:     by_value
      - .address_space:  global
        .offset:         24
        .size:           8
        .value_kind:     global_buffer
      - .offset:         32
        .size:           8
        .value_kind:     by_value
      - .offset:         40
        .size:           4
        .value_kind:     by_value
      - .offset:         48
        .size:           8
        .value_kind:     by_value
      - .address_space:  global
        .offset:         56
        .size:           8
        .value_kind:     global_buffer
      - .offset:         64
        .size:           8
        .value_kind:     by_value
      - .offset:         72
        .size:           4
        .value_kind:     by_value
      - .offset:         80
        .size:           8
        .value_kind:     by_value
      - .address_space:  global
        .offset:         88
        .size:           8
        .value_kind:     global_buffer
      - .offset:         96
        .size:           4
        .value_kind:     by_value
      - .offset:         104
        .size:           4
        .value_kind:     hidden_block_count_x
      - .offset:         108
        .size:           4
        .value_kind:     hidden_block_count_y
      - .offset:         112
        .size:           4
        .value_kind:     hidden_block_count_z
      - .offset:         116
        .size:           2
        .value_kind:     hidden_group_size_x
      - .offset:         118
        .size:           2
        .value_kind:     hidden_group_size_y
      - .offset:         120
        .size:           2
        .value_kind:     hidden_group_size_z
      - .offset:         122
        .size:           2
        .value_kind:     hidden_remainder_x
      - .offset:         124
        .size:           2
        .value_kind:     hidden_remainder_y
      - .offset:         126
        .size:           2
        .value_kind:     hidden_remainder_z
      - .offset:         144
        .size:           8
        .value_kind:     hidden_global_offset_x
      - .offset:         152
        .size:           8
        .value_kind:     hidden_global_offset_y
      - .offset:         160
        .size:           8
        .value_kind:     hidden_global_offset_z
      - .offset:         168
        .size:           2
        .value_kind:     hidden_grid_dims
    .group_segment_fixed_size: 128
    .kernarg_segment_align: 8
    .kernarg_segment_size: 360
    .language:       OpenCL C
    .language_version:
      - 2
      - 0
    .max_flat_workgroup_size: 256
    .name:           _ZL23rocblas_gemvt_sn_kernelILb1ELi256ELi4ElPKfffEviiT4_lPKT3_lilS5_lilPT5_i
    .private_segment_fixed_size: 0
    .sgpr_count:     48
    .sgpr_spill_count: 0
    .symbol:         _ZL23rocblas_gemvt_sn_kernelILb1ELi256ELi4ElPKfffEviiT4_lPKT3_lilS5_lilPT5_i.kd
    .uniform_work_group_size: 1
    .uses_dynamic_stack: false
    .vgpr_count:     57
    .vgpr_spill_count: 0
    .wavefront_size: 32
    .workgroup_processor_mode: 1
  - .args:
      - .offset:         0
        .size:           4
        .value_kind:     by_value
      - .offset:         4
        .size:           4
        .value_kind:     by_value
      - .address_space:  global
        .offset:         8
        .size:           8
        .value_kind:     global_buffer
      - .offset:         16
        .size:           8
        .value_kind:     by_value
      - .address_space:  global
        .offset:         24
        .size:           8
        .value_kind:     global_buffer
      - .offset:         32
        .size:           8
        .value_kind:     by_value
      - .offset:         40
        .size:           4
        .value_kind:     by_value
      - .offset:         48
        .size:           8
        .value_kind:     by_value
      - .address_space:  global
        .offset:         56
        .size:           8
        .value_kind:     global_buffer
      - .offset:         64
        .size:           8
        .value_kind:     by_value
      - .offset:         72
        .size:           4
        .value_kind:     by_value
      - .offset:         80
        .size:           8
        .value_kind:     by_value
      - .address_space:  global
        .offset:         88
        .size:           8
        .value_kind:     global_buffer
      - .offset:         96
        .size:           8
        .value_kind:     by_value
      - .offset:         104
        .size:           4
        .value_kind:     by_value
      - .offset:         112
        .size:           8
        .value_kind:     by_value
      - .offset:         120
        .size:           4
        .value_kind:     by_value
      - .offset:         128
        .size:           4
        .value_kind:     hidden_block_count_x
      - .offset:         132
        .size:           4
        .value_kind:     hidden_block_count_y
      - .offset:         136
        .size:           4
        .value_kind:     hidden_block_count_z
      - .offset:         140
        .size:           2
        .value_kind:     hidden_group_size_x
      - .offset:         142
        .size:           2
        .value_kind:     hidden_group_size_y
      - .offset:         144
        .size:           2
        .value_kind:     hidden_group_size_z
      - .offset:         146
        .size:           2
        .value_kind:     hidden_remainder_x
      - .offset:         148
        .size:           2
        .value_kind:     hidden_remainder_y
      - .offset:         150
        .size:           2
        .value_kind:     hidden_remainder_z
      - .offset:         168
        .size:           8
        .value_kind:     hidden_global_offset_x
      - .offset:         176
        .size:           8
        .value_kind:     hidden_global_offset_y
      - .offset:         184
        .size:           8
        .value_kind:     hidden_global_offset_z
      - .offset:         192
        .size:           2
        .value_kind:     hidden_grid_dims
    .group_segment_fixed_size: 32768
    .kernarg_segment_align: 8
    .kernarg_segment_size: 384
    .language:       OpenCL C
    .language_version:
      - 2
      - 0
    .max_flat_workgroup_size: 1024
    .name:           _ZL36rocblas_gemvt_double_buffered_kernelILb1ELi128ELi8ELi8EPKfS1_KPfEviiT4_lPKT3_lilS7_lilPT5_lili
    .private_segment_fixed_size: 0
    .sgpr_count:     28
    .sgpr_spill_count: 0
    .symbol:         _ZL36rocblas_gemvt_double_buffered_kernelILb1ELi128ELi8ELi8EPKfS1_KPfEviiT4_lPKT3_lilS7_lilPT5_lili.kd
    .uniform_work_group_size: 1
    .uses_dynamic_stack: false
    .vgpr_count:     69
    .vgpr_spill_count: 0
    .wavefront_size: 32
    .workgroup_processor_mode: 1
  - .args:
      - .offset:         0
        .size:           4
        .value_kind:     by_value
      - .offset:         4
        .size:           4
        .value_kind:     by_value
      - .offset:         8
        .size:           4
        .value_kind:     by_value
      - .offset:         16
        .size:           8
        .value_kind:     by_value
      - .address_space:  global
        .offset:         24
        .size:           8
        .value_kind:     global_buffer
      - .offset:         32
        .size:           8
        .value_kind:     by_value
      - .offset:         40
        .size:           4
        .value_kind:     by_value
      - .offset:         48
        .size:           8
        .value_kind:     by_value
      - .address_space:  global
        .offset:         56
        .size:           8
        .value_kind:     global_buffer
      - .offset:         64
        .size:           8
        .value_kind:     by_value
      - .offset:         72
        .size:           4
        .value_kind:     by_value
      - .offset:         80
        .size:           8
        .value_kind:     by_value
      - .address_space:  global
        .offset:         88
        .size:           8
        .value_kind:     global_buffer
      - .offset:         96
        .size:           8
        .value_kind:     by_value
      - .offset:         104
        .size:           4
        .value_kind:     by_value
      - .offset:         112
        .size:           8
        .value_kind:     by_value
      - .offset:         120
        .size:           4
        .value_kind:     by_value
      - .offset:         128
        .size:           4
        .value_kind:     hidden_block_count_x
      - .offset:         132
        .size:           4
        .value_kind:     hidden_block_count_y
      - .offset:         136
        .size:           4
        .value_kind:     hidden_block_count_z
      - .offset:         140
        .size:           2
        .value_kind:     hidden_group_size_x
      - .offset:         142
        .size:           2
        .value_kind:     hidden_group_size_y
      - .offset:         144
        .size:           2
        .value_kind:     hidden_group_size_z
      - .offset:         146
        .size:           2
        .value_kind:     hidden_remainder_x
      - .offset:         148
        .size:           2
        .value_kind:     hidden_remainder_y
      - .offset:         150
        .size:           2
        .value_kind:     hidden_remainder_z
      - .offset:         168
        .size:           8
        .value_kind:     hidden_global_offset_x
      - .offset:         176
        .size:           8
        .value_kind:     hidden_global_offset_y
      - .offset:         184
        .size:           8
        .value_kind:     hidden_global_offset_z
      - .offset:         192
        .size:           2
        .value_kind:     hidden_grid_dims
    .group_segment_fixed_size: 32768
    .kernarg_segment_align: 8
    .kernarg_segment_size: 384
    .language:       OpenCL C
    .language_version:
      - 2
      - 0
    .max_flat_workgroup_size: 1024
    .name:           _ZL36rocblas_gemvt_double_buffered_kernelILb1ELi128ELi8ELi8EPKffKPfEviiT4_lPKT3_lilS7_lilPT5_lili
    .private_segment_fixed_size: 0
    .sgpr_count:     30
    .sgpr_spill_count: 0
    .symbol:         _ZL36rocblas_gemvt_double_buffered_kernelILb1ELi128ELi8ELi8EPKffKPfEviiT4_lPKT3_lilS7_lilPT5_lili.kd
    .uniform_work_group_size: 1
    .uses_dynamic_stack: false
    .vgpr_count:     69
    .vgpr_spill_count: 0
    .wavefront_size: 32
    .workgroup_processor_mode: 1
  - .args:
      - .offset:         0
        .size:           4
        .value_kind:     by_value
      - .offset:         4
        .size:           4
        .value_kind:     by_value
      - .address_space:  global
        .offset:         8
        .size:           8
        .value_kind:     global_buffer
      - .offset:         16
        .size:           8
        .value_kind:     by_value
      - .address_space:  global
        .offset:         24
        .size:           8
        .value_kind:     global_buffer
      - .offset:         32
        .size:           8
        .value_kind:     by_value
      - .offset:         40
        .size:           4
        .value_kind:     by_value
      - .offset:         48
        .size:           8
        .value_kind:     by_value
      - .address_space:  global
        .offset:         56
        .size:           8
        .value_kind:     global_buffer
      - .offset:         64
        .size:           8
        .value_kind:     by_value
      - .offset:         72
        .size:           4
        .value_kind:     by_value
      - .offset:         80
        .size:           8
        .value_kind:     by_value
      - .address_space:  global
        .offset:         88
        .size:           8
        .value_kind:     global_buffer
      - .offset:         96
        .size:           8
        .value_kind:     by_value
      - .address_space:  global
        .offset:         104
        .size:           8
        .value_kind:     global_buffer
      - .offset:         112
        .size:           8
        .value_kind:     by_value
      - .offset:         120
        .size:           4
        .value_kind:     by_value
      - .offset:         128
        .size:           8
        .value_kind:     by_value
      - .offset:         136
        .size:           4
        .value_kind:     by_value
    .group_segment_fixed_size: 1024
    .kernarg_segment_align: 8
    .kernarg_segment_size: 140
    .language:       OpenCL C
    .language_version:
      - 2
      - 0
    .max_flat_workgroup_size: 256
    .name:           _ZL20rocblas_gemvt_kernelILb1ELi256EPKfS1_KPfEviiT2_lPKT1_lilS7_lilS4_lPT3_lili
    .private_segment_fixed_size: 0
    .sgpr_count:     26
    .sgpr_spill_count: 0
    .symbol:         _ZL20rocblas_gemvt_kernelILb1ELi256EPKfS1_KPfEviiT2_lPKT1_lilS7_lilS4_lPT3_lili.kd
    .uniform_work_group_size: 1
    .uses_dynamic_stack: false
    .vgpr_count:     10
    .vgpr_spill_count: 0
    .wavefront_size: 32
    .workgroup_processor_mode: 1
  - .args:
      - .offset:         0
        .size:           4
        .value_kind:     by_value
      - .offset:         4
        .size:           4
        .value_kind:     by_value
      - .offset:         8
        .size:           4
        .value_kind:     by_value
      - .offset:         16
        .size:           8
        .value_kind:     by_value
      - .address_space:  global
        .offset:         24
        .size:           8
        .value_kind:     global_buffer
      - .offset:         32
        .size:           8
        .value_kind:     by_value
      - .offset:         40
        .size:           4
        .value_kind:     by_value
      - .offset:         48
        .size:           8
        .value_kind:     by_value
      - .address_space:  global
        .offset:         56
        .size:           8
        .value_kind:     global_buffer
      - .offset:         64
        .size:           8
        .value_kind:     by_value
      - .offset:         72
        .size:           4
        .value_kind:     by_value
      - .offset:         80
        .size:           8
        .value_kind:     by_value
      - .offset:         88
        .size:           4
        .value_kind:     by_value
      - .offset:         96
        .size:           8
        .value_kind:     by_value
      - .address_space:  global
        .offset:         104
        .size:           8
        .value_kind:     global_buffer
      - .offset:         112
        .size:           8
        .value_kind:     by_value
      - .offset:         120
        .size:           4
        .value_kind:     by_value
      - .offset:         128
        .size:           8
        .value_kind:     by_value
      - .offset:         136
        .size:           4
        .value_kind:     by_value
    .group_segment_fixed_size: 1024
    .kernarg_segment_align: 8
    .kernarg_segment_size: 140
    .language:       OpenCL C
    .language_version:
      - 2
      - 0
    .max_flat_workgroup_size: 256
    .name:           _ZL20rocblas_gemvt_kernelILb1ELi256EPKffKPfEviiT2_lPKT1_lilS7_lilS4_lPT3_lili
    .private_segment_fixed_size: 0
    .sgpr_count:     22
    .sgpr_spill_count: 0
    .symbol:         _ZL20rocblas_gemvt_kernelILb1ELi256EPKffKPfEviiT2_lPKT1_lilS7_lilS4_lPT3_lili.kd
    .uniform_work_group_size: 1
    .uses_dynamic_stack: false
    .vgpr_count:     10
    .vgpr_spill_count: 0
    .wavefront_size: 32
    .workgroup_processor_mode: 1
  - .args:
      - .offset:         0
        .size:           4
        .value_kind:     by_value
      - .offset:         4
        .size:           4
        .value_kind:     by_value
      - .address_space:  global
        .offset:         8
        .size:           8
        .value_kind:     global_buffer
      - .offset:         16
        .size:           8
        .value_kind:     by_value
      - .address_space:  global
        .offset:         24
        .size:           8
        .value_kind:     global_buffer
      - .offset:         32
        .size:           8
        .value_kind:     by_value
      - .offset:         40
        .size:           4
        .value_kind:     by_value
      - .offset:         48
        .size:           8
        .value_kind:     by_value
      - .address_space:  global
        .offset:         56
        .size:           8
        .value_kind:     global_buffer
      - .offset:         64
        .size:           8
        .value_kind:     by_value
      - .offset:         72
        .size:           4
        .value_kind:     by_value
      - .offset:         80
        .size:           8
        .value_kind:     by_value
      - .address_space:  global
        .offset:         88
        .size:           8
        .value_kind:     global_buffer
      - .offset:         96
        .size:           8
        .value_kind:     by_value
      - .address_space:  global
        .offset:         104
        .size:           8
        .value_kind:     global_buffer
      - .offset:         112
        .size:           8
        .value_kind:     by_value
      - .offset:         120
        .size:           4
        .value_kind:     by_value
      - .offset:         128
        .size:           8
        .value_kind:     by_value
      - .offset:         136
        .size:           4
        .value_kind:     by_value
    .group_segment_fixed_size: 128
    .kernarg_segment_align: 8
    .kernarg_segment_size: 140
    .language:       OpenCL C
    .language_version:
      - 2
      - 0
    .max_flat_workgroup_size: 1024
    .name:           _ZL32rocblas_gemvt_warp_reduce_kernelILb1ELi1024EiPKfS1_KPfEviiT3_lPKT2_lT1_lS7_lS8_lS4_lPT4_lS8_li
    .private_segment_fixed_size: 0
    .sgpr_count:     26
    .sgpr_spill_count: 0
    .symbol:         _ZL32rocblas_gemvt_warp_reduce_kernelILb1ELi1024EiPKfS1_KPfEviiT3_lPKT2_lT1_lS7_lS8_lS4_lPT4_lS8_li.kd
    .uniform_work_group_size: 1
    .uses_dynamic_stack: false
    .vgpr_count:     11
    .vgpr_spill_count: 0
    .wavefront_size: 32
    .workgroup_processor_mode: 1
  - .args:
      - .offset:         0
        .size:           4
        .value_kind:     by_value
      - .offset:         4
        .size:           4
        .value_kind:     by_value
      - .address_space:  global
        .offset:         8
        .size:           8
        .value_kind:     global_buffer
      - .offset:         16
        .size:           8
        .value_kind:     by_value
      - .address_space:  global
        .offset:         24
        .size:           8
        .value_kind:     global_buffer
      - .offset:         32
        .size:           8
        .value_kind:     by_value
      - .offset:         40
        .size:           8
        .value_kind:     by_value
      - .offset:         48
        .size:           8
        .value_kind:     by_value
      - .address_space:  global
        .offset:         56
        .size:           8
        .value_kind:     global_buffer
      - .offset:         64
        .size:           8
        .value_kind:     by_value
      - .offset:         72
        .size:           8
        .value_kind:     by_value
      - .offset:         80
        .size:           8
        .value_kind:     by_value
      - .address_space:  global
        .offset:         88
        .size:           8
        .value_kind:     global_buffer
      - .offset:         96
        .size:           8
        .value_kind:     by_value
      - .address_space:  global
        .offset:         104
        .size:           8
        .value_kind:     global_buffer
      - .offset:         112
        .size:           8
        .value_kind:     by_value
      - .offset:         120
        .size:           8
        .value_kind:     by_value
      - .offset:         128
        .size:           8
        .value_kind:     by_value
      - .offset:         136
        .size:           4
        .value_kind:     by_value
    .group_segment_fixed_size: 128
    .kernarg_segment_align: 8
    .kernarg_segment_size: 140
    .language:       OpenCL C
    .language_version:
      - 2
      - 0
    .max_flat_workgroup_size: 1024
    .name:           _ZL32rocblas_gemvt_warp_reduce_kernelILb1ELi1024ElPKfS1_KPfEviiT3_lPKT2_lT1_lS7_lS8_lS4_lPT4_lS8_li
    .private_segment_fixed_size: 0
    .sgpr_count:     33
    .sgpr_spill_count: 0
    .symbol:         _ZL32rocblas_gemvt_warp_reduce_kernelILb1ELi1024ElPKfS1_KPfEviiT3_lPKT2_lT1_lS7_lS8_lS4_lPT4_lS8_li.kd
    .uniform_work_group_size: 1
    .uses_dynamic_stack: false
    .vgpr_count:     11
    .vgpr_spill_count: 0
    .wavefront_size: 32
    .workgroup_processor_mode: 1
  - .args:
      - .offset:         0
        .size:           4
        .value_kind:     by_value
      - .offset:         4
        .size:           4
        .value_kind:     by_value
      - .offset:         8
        .size:           4
        .value_kind:     by_value
      - .offset:         16
        .size:           8
        .value_kind:     by_value
      - .address_space:  global
        .offset:         24
        .size:           8
        .value_kind:     global_buffer
      - .offset:         32
        .size:           8
        .value_kind:     by_value
      - .offset:         40
        .size:           4
        .value_kind:     by_value
      - .offset:         48
        .size:           8
        .value_kind:     by_value
      - .address_space:  global
        .offset:         56
        .size:           8
        .value_kind:     global_buffer
      - .offset:         64
        .size:           8
        .value_kind:     by_value
      - .offset:         72
        .size:           4
        .value_kind:     by_value
      - .offset:         80
        .size:           8
        .value_kind:     by_value
      - .offset:         88
        .size:           4
        .value_kind:     by_value
      - .offset:         96
        .size:           8
        .value_kind:     by_value
      - .address_space:  global
        .offset:         104
        .size:           8
        .value_kind:     global_buffer
      - .offset:         112
        .size:           8
        .value_kind:     by_value
      - .offset:         120
        .size:           4
        .value_kind:     by_value
      - .offset:         128
        .size:           8
        .value_kind:     by_value
      - .offset:         136
        .size:           4
        .value_kind:     by_value
    .group_segment_fixed_size: 128
    .kernarg_segment_align: 8
    .kernarg_segment_size: 140
    .language:       OpenCL C
    .language_version:
      - 2
      - 0
    .max_flat_workgroup_size: 1024
    .name:           _ZL32rocblas_gemvt_warp_reduce_kernelILb1ELi1024EiPKffKPfEviiT3_lPKT2_lT1_lS7_lS8_lS4_lPT4_lS8_li
    .private_segment_fixed_size: 0
    .sgpr_count:     22
    .sgpr_spill_count: 0
    .symbol:         _ZL32rocblas_gemvt_warp_reduce_kernelILb1ELi1024EiPKffKPfEviiT3_lPKT2_lT1_lS7_lS8_lS4_lPT4_lS8_li.kd
    .uniform_work_group_size: 1
    .uses_dynamic_stack: false
    .vgpr_count:     11
    .vgpr_spill_count: 0
    .wavefront_size: 32
    .workgroup_processor_mode: 1
  - .args:
      - .offset:         0
        .size:           4
        .value_kind:     by_value
      - .offset:         4
        .size:           4
        .value_kind:     by_value
      - .offset:         8
        .size:           4
        .value_kind:     by_value
      - .offset:         16
        .size:           8
        .value_kind:     by_value
      - .address_space:  global
        .offset:         24
        .size:           8
        .value_kind:     global_buffer
      - .offset:         32
        .size:           8
        .value_kind:     by_value
      - .offset:         40
        .size:           8
        .value_kind:     by_value
      - .offset:         48
        .size:           8
        .value_kind:     by_value
      - .address_space:  global
        .offset:         56
        .size:           8
        .value_kind:     global_buffer
      - .offset:         64
        .size:           8
        .value_kind:     by_value
      - .offset:         72
        .size:           8
        .value_kind:     by_value
      - .offset:         80
        .size:           8
        .value_kind:     by_value
      - .offset:         88
        .size:           4
        .value_kind:     by_value
      - .offset:         96
        .size:           8
        .value_kind:     by_value
      - .address_space:  global
        .offset:         104
        .size:           8
        .value_kind:     global_buffer
      - .offset:         112
        .size:           8
        .value_kind:     by_value
      - .offset:         120
        .size:           8
        .value_kind:     by_value
      - .offset:         128
        .size:           8
        .value_kind:     by_value
      - .offset:         136
        .size:           4
        .value_kind:     by_value
    .group_segment_fixed_size: 128
    .kernarg_segment_align: 8
    .kernarg_segment_size: 140
    .language:       OpenCL C
    .language_version:
      - 2
      - 0
    .max_flat_workgroup_size: 1024
    .name:           _ZL32rocblas_gemvt_warp_reduce_kernelILb1ELi1024ElPKffKPfEviiT3_lPKT2_lT1_lS7_lS8_lS4_lPT4_lS8_li
    .private_segment_fixed_size: 0
    .sgpr_count:     28
    .sgpr_spill_count: 0
    .symbol:         _ZL32rocblas_gemvt_warp_reduce_kernelILb1ELi1024ElPKffKPfEviiT3_lPKT2_lT1_lS7_lS8_lS4_lPT4_lS8_li.kd
    .uniform_work_group_size: 1
    .uses_dynamic_stack: false
    .vgpr_count:     11
    .vgpr_spill_count: 0
    .wavefront_size: 32
    .workgroup_processor_mode: 1
  - .args:
      - .offset:         0
        .size:           4
        .value_kind:     by_value
      - .offset:         4
        .size:           4
        .value_kind:     by_value
      - .address_space:  global
        .offset:         8
        .size:           8
        .value_kind:     global_buffer
      - .offset:         16
        .size:           8
        .value_kind:     by_value
      - .address_space:  global
        .offset:         24
        .size:           8
        .value_kind:     global_buffer
      - .offset:         32
        .size:           8
        .value_kind:     by_value
      - .offset:         40
        .size:           4
        .value_kind:     by_value
      - .offset:         48
        .size:           8
        .value_kind:     by_value
      - .address_space:  global
        .offset:         56
        .size:           8
        .value_kind:     global_buffer
      - .offset:         64
        .size:           8
        .value_kind:     by_value
      - .offset:         72
        .size:           4
        .value_kind:     by_value
      - .offset:         80
        .size:           8
        .value_kind:     by_value
      - .address_space:  global
        .offset:         88
        .size:           8
        .value_kind:     global_buffer
      - .offset:         96
        .size:           8
        .value_kind:     by_value
      - .address_space:  global
        .offset:         104
        .size:           8
        .value_kind:     global_buffer
      - .offset:         112
        .size:           8
        .value_kind:     by_value
      - .offset:         120
        .size:           4
        .value_kind:     by_value
      - .offset:         128
        .size:           8
        .value_kind:     by_value
      - .offset:         136
        .size:           4
        .value_kind:     by_value
    .group_segment_fixed_size: 0
    .kernarg_segment_align: 8
    .kernarg_segment_size: 140
    .language:       OpenCL C
    .language_version:
      - 2
      - 0
    .max_flat_workgroup_size: 768
    .name:           _ZL34rocblas_gemvn_sm_mn_batched_kernelILi32ELi24EPKdS1_KPdEviiT2_lPKT1_lilS7_lilS4_lPT3_lili
    .private_segment_fixed_size: 0
    .sgpr_count:     0
    .sgpr_spill_count: 0
    .symbol:         _ZL34rocblas_gemvn_sm_mn_batched_kernelILi32ELi24EPKdS1_KPdEviiT2_lPKT1_lilS7_lilS4_lPT3_lili.kd
    .uniform_work_group_size: 1
    .uses_dynamic_stack: false
    .vgpr_count:     0
    .vgpr_spill_count: 0
    .wavefront_size: 32
    .workgroup_processor_mode: 1
  - .args:
      - .offset:         0
        .size:           4
        .value_kind:     by_value
      - .offset:         4
        .size:           4
        .value_kind:     by_value
      - .offset:         8
        .size:           8
        .value_kind:     by_value
      - .offset:         16
        .size:           8
        .value_kind:     by_value
      - .address_space:  global
        .offset:         24
        .size:           8
        .value_kind:     global_buffer
      - .offset:         32
        .size:           8
        .value_kind:     by_value
      - .offset:         40
        .size:           4
        .value_kind:     by_value
      - .offset:         48
        .size:           8
        .value_kind:     by_value
      - .address_space:  global
        .offset:         56
        .size:           8
        .value_kind:     global_buffer
      - .offset:         64
        .size:           8
        .value_kind:     by_value
      - .offset:         72
        .size:           4
        .value_kind:     by_value
      - .offset:         80
        .size:           8
        .value_kind:     by_value
      - .offset:         88
        .size:           8
        .value_kind:     by_value
      - .offset:         96
        .size:           8
        .value_kind:     by_value
      - .address_space:  global
        .offset:         104
        .size:           8
        .value_kind:     global_buffer
      - .offset:         112
        .size:           8
        .value_kind:     by_value
      - .offset:         120
        .size:           4
        .value_kind:     by_value
      - .offset:         128
        .size:           8
        .value_kind:     by_value
      - .offset:         136
        .size:           4
        .value_kind:     by_value
    .group_segment_fixed_size: 0
    .kernarg_segment_align: 8
    .kernarg_segment_size: 140
    .language:       OpenCL C
    .language_version:
      - 2
      - 0
    .max_flat_workgroup_size: 768
    .name:           _ZL34rocblas_gemvn_sm_mn_batched_kernelILi32ELi24EPKddKPdEviiT2_lPKT1_lilS7_lilS4_lPT3_lili
    .private_segment_fixed_size: 0
    .sgpr_count:     0
    .sgpr_spill_count: 0
    .symbol:         _ZL34rocblas_gemvn_sm_mn_batched_kernelILi32ELi24EPKddKPdEviiT2_lPKT1_lilS7_lilS4_lPT3_lili.kd
    .uniform_work_group_size: 1
    .uses_dynamic_stack: false
    .vgpr_count:     0
    .vgpr_spill_count: 0
    .wavefront_size: 32
    .workgroup_processor_mode: 1
  - .args:
      - .offset:         0
        .size:           4
        .value_kind:     by_value
      - .offset:         4
        .size:           4
        .value_kind:     by_value
      - .address_space:  global
        .offset:         8
        .size:           8
        .value_kind:     global_buffer
      - .offset:         16
        .size:           8
        .value_kind:     by_value
      - .address_space:  global
        .offset:         24
        .size:           8
        .value_kind:     global_buffer
      - .offset:         32
        .size:           8
        .value_kind:     by_value
      - .offset:         40
        .size:           4
        .value_kind:     by_value
      - .offset:         48
        .size:           8
        .value_kind:     by_value
      - .address_space:  global
        .offset:         56
        .size:           8
        .value_kind:     global_buffer
      - .offset:         64
        .size:           8
        .value_kind:     by_value
      - .offset:         72
        .size:           4
        .value_kind:     by_value
      - .offset:         80
        .size:           8
        .value_kind:     by_value
      - .address_space:  global
        .offset:         88
        .size:           8
        .value_kind:     global_buffer
      - .offset:         96
        .size:           8
        .value_kind:     by_value
      - .address_space:  global
        .offset:         104
        .size:           8
        .value_kind:     global_buffer
      - .offset:         112
        .size:           8
        .value_kind:     by_value
      - .offset:         120
        .size:           4
        .value_kind:     by_value
      - .offset:         128
        .size:           8
        .value_kind:     by_value
      - .offset:         136
        .size:           4
        .value_kind:     by_value
      - .offset:         144
        .size:           4
        .value_kind:     hidden_block_count_x
      - .offset:         148
        .size:           4
        .value_kind:     hidden_block_count_y
      - .offset:         152
        .size:           4
        .value_kind:     hidden_block_count_z
      - .offset:         156
        .size:           2
        .value_kind:     hidden_group_size_x
      - .offset:         158
        .size:           2
        .value_kind:     hidden_group_size_y
      - .offset:         160
        .size:           2
        .value_kind:     hidden_group_size_z
      - .offset:         162
        .size:           2
        .value_kind:     hidden_remainder_x
      - .offset:         164
        .size:           2
        .value_kind:     hidden_remainder_y
      - .offset:         166
        .size:           2
        .value_kind:     hidden_remainder_z
      - .offset:         184
        .size:           8
        .value_kind:     hidden_global_offset_x
      - .offset:         192
        .size:           8
        .value_kind:     hidden_global_offset_y
      - .offset:         200
        .size:           8
        .value_kind:     hidden_global_offset_z
      - .offset:         208
        .size:           2
        .value_kind:     hidden_grid_dims
    .group_segment_fixed_size: 8192
    .kernarg_segment_align: 8
    .kernarg_segment_size: 400
    .language:       OpenCL C
    .language_version:
      - 2
      - 0
    .max_flat_workgroup_size: 256
    .name:           _ZL20rocblas_gemvn_kernelILi64ELi4EiPKdS1_KPdEviiT3_lPKT2_lT1_lS7_lS8_lS4_lPT4_lS8_li
    .private_segment_fixed_size: 0
    .sgpr_count:     32
    .sgpr_spill_count: 0
    .symbol:         _ZL20rocblas_gemvn_kernelILi64ELi4EiPKdS1_KPdEviiT3_lPKT2_lT1_lS7_lS8_lS4_lPT4_lS8_li.kd
    .uniform_work_group_size: 1
    .uses_dynamic_stack: false
    .vgpr_count:     61
    .vgpr_spill_count: 0
    .wavefront_size: 32
    .workgroup_processor_mode: 1
  - .args:
      - .offset:         0
        .size:           4
        .value_kind:     by_value
      - .offset:         4
        .size:           4
        .value_kind:     by_value
      - .address_space:  global
        .offset:         8
        .size:           8
        .value_kind:     global_buffer
      - .offset:         16
        .size:           8
        .value_kind:     by_value
      - .address_space:  global
        .offset:         24
        .size:           8
        .value_kind:     global_buffer
      - .offset:         32
        .size:           8
        .value_kind:     by_value
      - .offset:         40
        .size:           8
        .value_kind:     by_value
      - .offset:         48
        .size:           8
        .value_kind:     by_value
      - .address_space:  global
        .offset:         56
        .size:           8
        .value_kind:     global_buffer
      - .offset:         64
        .size:           8
        .value_kind:     by_value
      - .offset:         72
        .size:           8
        .value_kind:     by_value
      - .offset:         80
        .size:           8
        .value_kind:     by_value
      - .address_space:  global
        .offset:         88
        .size:           8
        .value_kind:     global_buffer
      - .offset:         96
        .size:           8
        .value_kind:     by_value
      - .address_space:  global
        .offset:         104
        .size:           8
        .value_kind:     global_buffer
      - .offset:         112
        .size:           8
        .value_kind:     by_value
      - .offset:         120
        .size:           8
        .value_kind:     by_value
      - .offset:         128
        .size:           8
        .value_kind:     by_value
      - .offset:         136
        .size:           4
        .value_kind:     by_value
      - .offset:         144
        .size:           4
        .value_kind:     hidden_block_count_x
      - .offset:         148
        .size:           4
        .value_kind:     hidden_block_count_y
      - .offset:         152
        .size:           4
        .value_kind:     hidden_block_count_z
      - .offset:         156
        .size:           2
        .value_kind:     hidden_group_size_x
      - .offset:         158
        .size:           2
        .value_kind:     hidden_group_size_y
      - .offset:         160
        .size:           2
        .value_kind:     hidden_group_size_z
      - .offset:         162
        .size:           2
        .value_kind:     hidden_remainder_x
      - .offset:         164
        .size:           2
        .value_kind:     hidden_remainder_y
      - .offset:         166
        .size:           2
        .value_kind:     hidden_remainder_z
      - .offset:         184
        .size:           8
        .value_kind:     hidden_global_offset_x
      - .offset:         192
        .size:           8
        .value_kind:     hidden_global_offset_y
      - .offset:         200
        .size:           8
        .value_kind:     hidden_global_offset_z
      - .offset:         208
        .size:           2
        .value_kind:     hidden_grid_dims
    .group_segment_fixed_size: 8192
    .kernarg_segment_align: 8
    .kernarg_segment_size: 400
    .language:       OpenCL C
    .language_version:
      - 2
      - 0
    .max_flat_workgroup_size: 256
    .name:           _ZL20rocblas_gemvn_kernelILi64ELi4ElPKdS1_KPdEviiT3_lPKT2_lT1_lS7_lS8_lS4_lPT4_lS8_li
    .private_segment_fixed_size: 0
    .sgpr_count:     39
    .sgpr_spill_count: 0
    .symbol:         _ZL20rocblas_gemvn_kernelILi64ELi4ElPKdS1_KPdEviiT3_lPKT2_lT1_lS7_lS8_lS4_lPT4_lS8_li.kd
    .uniform_work_group_size: 1
    .uses_dynamic_stack: false
    .vgpr_count:     71
    .vgpr_spill_count: 0
    .wavefront_size: 32
    .workgroup_processor_mode: 1
  - .args:
      - .offset:         0
        .size:           4
        .value_kind:     by_value
      - .offset:         4
        .size:           4
        .value_kind:     by_value
      - .offset:         8
        .size:           8
        .value_kind:     by_value
      - .offset:         16
        .size:           8
        .value_kind:     by_value
      - .address_space:  global
        .offset:         24
        .size:           8
        .value_kind:     global_buffer
      - .offset:         32
        .size:           8
        .value_kind:     by_value
      - .offset:         40
        .size:           4
        .value_kind:     by_value
      - .offset:         48
        .size:           8
        .value_kind:     by_value
      - .address_space:  global
        .offset:         56
        .size:           8
        .value_kind:     global_buffer
      - .offset:         64
        .size:           8
        .value_kind:     by_value
      - .offset:         72
        .size:           4
        .value_kind:     by_value
      - .offset:         80
        .size:           8
        .value_kind:     by_value
      - .offset:         88
        .size:           8
        .value_kind:     by_value
      - .offset:         96
        .size:           8
        .value_kind:     by_value
      - .address_space:  global
        .offset:         104
        .size:           8
        .value_kind:     global_buffer
      - .offset:         112
        .size:           8
        .value_kind:     by_value
      - .offset:         120
        .size:           4
        .value_kind:     by_value
      - .offset:         128
        .size:           8
        .value_kind:     by_value
      - .offset:         136
        .size:           4
        .value_kind:     by_value
      - .offset:         144
        .size:           4
        .value_kind:     hidden_block_count_x
      - .offset:         148
        .size:           4
        .value_kind:     hidden_block_count_y
      - .offset:         152
        .size:           4
        .value_kind:     hidden_block_count_z
      - .offset:         156
        .size:           2
        .value_kind:     hidden_group_size_x
      - .offset:         158
        .size:           2
        .value_kind:     hidden_group_size_y
      - .offset:         160
        .size:           2
        .value_kind:     hidden_group_size_z
      - .offset:         162
        .size:           2
        .value_kind:     hidden_remainder_x
      - .offset:         164
        .size:           2
        .value_kind:     hidden_remainder_y
      - .offset:         166
        .size:           2
        .value_kind:     hidden_remainder_z
      - .offset:         184
        .size:           8
        .value_kind:     hidden_global_offset_x
      - .offset:         192
        .size:           8
        .value_kind:     hidden_global_offset_y
      - .offset:         200
        .size:           8
        .value_kind:     hidden_global_offset_z
      - .offset:         208
        .size:           2
        .value_kind:     hidden_grid_dims
    .group_segment_fixed_size: 8192
    .kernarg_segment_align: 8
    .kernarg_segment_size: 400
    .language:       OpenCL C
    .language_version:
      - 2
      - 0
    .max_flat_workgroup_size: 256
    .name:           _ZL20rocblas_gemvn_kernelILi64ELi4EiPKddKPdEviiT3_lPKT2_lT1_lS7_lS8_lS4_lPT4_lS8_li
    .private_segment_fixed_size: 0
    .sgpr_count:     32
    .sgpr_spill_count: 0
    .symbol:         _ZL20rocblas_gemvn_kernelILi64ELi4EiPKddKPdEviiT3_lPKT2_lT1_lS7_lS8_lS4_lPT4_lS8_li.kd
    .uniform_work_group_size: 1
    .uses_dynamic_stack: false
    .vgpr_count:     61
    .vgpr_spill_count: 0
    .wavefront_size: 32
    .workgroup_processor_mode: 1
  - .args:
      - .offset:         0
        .size:           4
        .value_kind:     by_value
      - .offset:         4
        .size:           4
        .value_kind:     by_value
      - .offset:         8
        .size:           8
        .value_kind:     by_value
      - .offset:         16
        .size:           8
        .value_kind:     by_value
      - .address_space:  global
        .offset:         24
        .size:           8
        .value_kind:     global_buffer
      - .offset:         32
        .size:           8
        .value_kind:     by_value
      - .offset:         40
        .size:           8
        .value_kind:     by_value
      - .offset:         48
        .size:           8
        .value_kind:     by_value
      - .address_space:  global
        .offset:         56
        .size:           8
        .value_kind:     global_buffer
      - .offset:         64
        .size:           8
        .value_kind:     by_value
      - .offset:         72
        .size:           8
        .value_kind:     by_value
      - .offset:         80
        .size:           8
        .value_kind:     by_value
      - .offset:         88
        .size:           8
        .value_kind:     by_value
      - .offset:         96
        .size:           8
        .value_kind:     by_value
      - .address_space:  global
        .offset:         104
        .size:           8
        .value_kind:     global_buffer
      - .offset:         112
        .size:           8
        .value_kind:     by_value
      - .offset:         120
        .size:           8
        .value_kind:     by_value
      - .offset:         128
        .size:           8
        .value_kind:     by_value
      - .offset:         136
        .size:           4
        .value_kind:     by_value
      - .offset:         144
        .size:           4
        .value_kind:     hidden_block_count_x
      - .offset:         148
        .size:           4
        .value_kind:     hidden_block_count_y
      - .offset:         152
        .size:           4
        .value_kind:     hidden_block_count_z
      - .offset:         156
        .size:           2
        .value_kind:     hidden_group_size_x
      - .offset:         158
        .size:           2
        .value_kind:     hidden_group_size_y
      - .offset:         160
        .size:           2
        .value_kind:     hidden_group_size_z
      - .offset:         162
        .size:           2
        .value_kind:     hidden_remainder_x
      - .offset:         164
        .size:           2
        .value_kind:     hidden_remainder_y
      - .offset:         166
        .size:           2
        .value_kind:     hidden_remainder_z
      - .offset:         184
        .size:           8
        .value_kind:     hidden_global_offset_x
      - .offset:         192
        .size:           8
        .value_kind:     hidden_global_offset_y
      - .offset:         200
        .size:           8
        .value_kind:     hidden_global_offset_z
      - .offset:         208
        .size:           2
        .value_kind:     hidden_grid_dims
    .group_segment_fixed_size: 8192
    .kernarg_segment_align: 8
    .kernarg_segment_size: 400
    .language:       OpenCL C
    .language_version:
      - 2
      - 0
    .max_flat_workgroup_size: 256
    .name:           _ZL20rocblas_gemvn_kernelILi64ELi4ElPKddKPdEviiT3_lPKT2_lT1_lS7_lS8_lS4_lPT4_lS8_li
    .private_segment_fixed_size: 0
    .sgpr_count:     39
    .sgpr_spill_count: 0
    .symbol:         _ZL20rocblas_gemvn_kernelILi64ELi4ElPKddKPdEviiT3_lPKT2_lT1_lS7_lS8_lS4_lPT4_lS8_li.kd
    .uniform_work_group_size: 1
    .uses_dynamic_stack: false
    .vgpr_count:     71
    .vgpr_spill_count: 0
    .wavefront_size: 32
    .workgroup_processor_mode: 1
  - .args:
      - .offset:         0
        .size:           4
        .value_kind:     by_value
      - .address_space:  global
        .offset:         8
        .size:           8
        .value_kind:     global_buffer
      - .offset:         16
        .size:           8
        .value_kind:     by_value
      - .address_space:  global
        .offset:         24
        .size:           8
        .value_kind:     global_buffer
      - .offset:         32
        .size:           8
        .value_kind:     by_value
      - .offset:         40
        .size:           4
        .value_kind:     by_value
      - .offset:         48
        .size:           8
        .value_kind:     by_value
      - .offset:         56
        .size:           4
        .value_kind:     by_value
      - .offset:         64
        .size:           4
        .value_kind:     hidden_block_count_x
      - .offset:         68
        .size:           4
        .value_kind:     hidden_block_count_y
      - .offset:         72
        .size:           4
        .value_kind:     hidden_block_count_z
      - .offset:         76
        .size:           2
        .value_kind:     hidden_group_size_x
      - .offset:         78
        .size:           2
        .value_kind:     hidden_group_size_y
      - .offset:         80
        .size:           2
        .value_kind:     hidden_group_size_z
      - .offset:         82
        .size:           2
        .value_kind:     hidden_remainder_x
      - .offset:         84
        .size:           2
        .value_kind:     hidden_remainder_y
      - .offset:         86
        .size:           2
        .value_kind:     hidden_remainder_z
      - .offset:         104
        .size:           8
        .value_kind:     hidden_global_offset_x
      - .offset:         112
        .size:           8
        .value_kind:     hidden_global_offset_y
      - .offset:         120
        .size:           8
        .value_kind:     hidden_global_offset_z
      - .offset:         128
        .size:           2
        .value_kind:     hidden_grid_dims
    .group_segment_fixed_size: 0
    .kernarg_segment_align: 8
    .kernarg_segment_size: 320
    .language:       OpenCL C
    .language_version:
      - 2
      - 0
    .max_flat_workgroup_size: 256
    .name:           _ZL24rocblas_gemv_scal_kernelILi256EPKdPKPdEviT0_lT1_lili
    .private_segment_fixed_size: 0
    .sgpr_count:     18
    .sgpr_spill_count: 0
    .symbol:         _ZL24rocblas_gemv_scal_kernelILi256EPKdPKPdEviT0_lT1_lili.kd
    .uniform_work_group_size: 1
    .uses_dynamic_stack: false
    .vgpr_count:     5
    .vgpr_spill_count: 0
    .wavefront_size: 32
    .workgroup_processor_mode: 1
  - .args:
      - .offset:         0
        .size:           4
        .value_kind:     by_value
      - .offset:         8
        .size:           8
        .value_kind:     by_value
      - .offset:         16
        .size:           8
        .value_kind:     by_value
      - .address_space:  global
        .offset:         24
        .size:           8
        .value_kind:     global_buffer
      - .offset:         32
        .size:           8
        .value_kind:     by_value
      - .offset:         40
        .size:           4
        .value_kind:     by_value
      - .offset:         48
        .size:           8
        .value_kind:     by_value
      - .offset:         56
        .size:           4
        .value_kind:     by_value
      - .offset:         64
        .size:           4
        .value_kind:     hidden_block_count_x
      - .offset:         68
        .size:           4
        .value_kind:     hidden_block_count_y
      - .offset:         72
        .size:           4
        .value_kind:     hidden_block_count_z
      - .offset:         76
        .size:           2
        .value_kind:     hidden_group_size_x
      - .offset:         78
        .size:           2
        .value_kind:     hidden_group_size_y
      - .offset:         80
        .size:           2
        .value_kind:     hidden_group_size_z
      - .offset:         82
        .size:           2
        .value_kind:     hidden_remainder_x
      - .offset:         84
        .size:           2
        .value_kind:     hidden_remainder_y
      - .offset:         86
        .size:           2
        .value_kind:     hidden_remainder_z
      - .offset:         104
        .size:           8
        .value_kind:     hidden_global_offset_x
      - .offset:         112
        .size:           8
        .value_kind:     hidden_global_offset_y
      - .offset:         120
        .size:           8
        .value_kind:     hidden_global_offset_z
      - .offset:         128
        .size:           2
        .value_kind:     hidden_grid_dims
    .group_segment_fixed_size: 0
    .kernarg_segment_align: 8
    .kernarg_segment_size: 320
    .language:       OpenCL C
    .language_version:
      - 2
      - 0
    .max_flat_workgroup_size: 256
    .name:           _ZL24rocblas_gemv_scal_kernelILi256EdPKPdEviT0_lT1_lili
    .private_segment_fixed_size: 0
    .sgpr_count:     18
    .sgpr_spill_count: 0
    .symbol:         _ZL24rocblas_gemv_scal_kernelILi256EdPKPdEviT0_lT1_lili.kd
    .uniform_work_group_size: 1
    .uses_dynamic_stack: false
    .vgpr_count:     5
    .vgpr_spill_count: 0
    .wavefront_size: 32
    .workgroup_processor_mode: 1
  - .args:
      - .offset:         0
        .size:           4
        .value_kind:     by_value
      - .offset:         4
        .size:           4
        .value_kind:     by_value
      - .address_space:  global
        .offset:         8
        .size:           8
        .value_kind:     global_buffer
      - .offset:         16
        .size:           8
        .value_kind:     by_value
      - .address_space:  global
        .offset:         24
        .size:           8
        .value_kind:     global_buffer
      - .offset:         32
        .size:           8
        .value_kind:     by_value
      - .offset:         40
        .size:           4
        .value_kind:     by_value
      - .offset:         48
        .size:           8
        .value_kind:     by_value
      - .address_space:  global
        .offset:         56
        .size:           8
        .value_kind:     global_buffer
      - .offset:         64
        .size:           8
        .value_kind:     by_value
      - .offset:         72
        .size:           4
        .value_kind:     by_value
      - .offset:         80
        .size:           8
        .value_kind:     by_value
      - .address_space:  global
        .offset:         88
        .size:           8
        .value_kind:     global_buffer
      - .offset:         96
        .size:           8
        .value_kind:     by_value
      - .offset:         104
        .size:           4
        .value_kind:     by_value
      - .offset:         112
        .size:           8
        .value_kind:     by_value
      - .offset:         120
        .size:           4
        .value_kind:     by_value
      - .offset:         128
        .size:           4
        .value_kind:     hidden_block_count_x
      - .offset:         132
        .size:           4
        .value_kind:     hidden_block_count_y
      - .offset:         136
        .size:           4
        .value_kind:     hidden_block_count_z
      - .offset:         140
        .size:           2
        .value_kind:     hidden_group_size_x
      - .offset:         142
        .size:           2
        .value_kind:     hidden_group_size_y
      - .offset:         144
        .size:           2
        .value_kind:     hidden_group_size_z
      - .offset:         146
        .size:           2
        .value_kind:     hidden_remainder_x
      - .offset:         148
        .size:           2
        .value_kind:     hidden_remainder_y
      - .offset:         150
        .size:           2
        .value_kind:     hidden_remainder_z
      - .offset:         168
        .size:           8
        .value_kind:     hidden_global_offset_x
      - .offset:         176
        .size:           8
        .value_kind:     hidden_global_offset_y
      - .offset:         184
        .size:           8
        .value_kind:     hidden_global_offset_z
      - .offset:         192
        .size:           2
        .value_kind:     hidden_grid_dims
    .group_segment_fixed_size: 8192
    .kernarg_segment_align: 8
    .kernarg_segment_size: 384
    .language:       OpenCL C
    .language_version:
      - 2
      - 0
    .max_flat_workgroup_size: 512
    .name:           _ZL36rocblas_gemvn_double_buffered_kernelILi128ELi4ELi16EPKdS1_KPdEviiT3_lPKT2_lilS7_lilPT4_lili
    .private_segment_fixed_size: 0
    .sgpr_count:     33
    .sgpr_spill_count: 0
    .symbol:         _ZL36rocblas_gemvn_double_buffered_kernelILi128ELi4ELi16EPKdS1_KPdEviiT3_lPKT2_lilS7_lilPT4_lili.kd
    .uniform_work_group_size: 1
    .uses_dynamic_stack: false
    .vgpr_count:     174
    .vgpr_spill_count: 0
    .wavefront_size: 32
    .workgroup_processor_mode: 1
  - .args:
      - .offset:         0
        .size:           4
        .value_kind:     by_value
      - .offset:         4
        .size:           4
        .value_kind:     by_value
      - .offset:         8
        .size:           8
        .value_kind:     by_value
      - .offset:         16
        .size:           8
        .value_kind:     by_value
      - .address_space:  global
        .offset:         24
        .size:           8
        .value_kind:     global_buffer
      - .offset:         32
        .size:           8
        .value_kind:     by_value
      - .offset:         40
        .size:           4
        .value_kind:     by_value
      - .offset:         48
        .size:           8
        .value_kind:     by_value
      - .address_space:  global
        .offset:         56
        .size:           8
        .value_kind:     global_buffer
      - .offset:         64
        .size:           8
        .value_kind:     by_value
      - .offset:         72
        .size:           4
        .value_kind:     by_value
      - .offset:         80
        .size:           8
        .value_kind:     by_value
      - .address_space:  global
        .offset:         88
        .size:           8
        .value_kind:     global_buffer
      - .offset:         96
        .size:           8
        .value_kind:     by_value
      - .offset:         104
        .size:           4
        .value_kind:     by_value
      - .offset:         112
        .size:           8
        .value_kind:     by_value
      - .offset:         120
        .size:           4
        .value_kind:     by_value
      - .offset:         128
        .size:           4
        .value_kind:     hidden_block_count_x
      - .offset:         132
        .size:           4
        .value_kind:     hidden_block_count_y
      - .offset:         136
        .size:           4
        .value_kind:     hidden_block_count_z
      - .offset:         140
        .size:           2
        .value_kind:     hidden_group_size_x
      - .offset:         142
        .size:           2
        .value_kind:     hidden_group_size_y
      - .offset:         144
        .size:           2
        .value_kind:     hidden_group_size_z
      - .offset:         146
        .size:           2
        .value_kind:     hidden_remainder_x
      - .offset:         148
        .size:           2
        .value_kind:     hidden_remainder_y
      - .offset:         150
        .size:           2
        .value_kind:     hidden_remainder_z
      - .offset:         168
        .size:           8
        .value_kind:     hidden_global_offset_x
      - .offset:         176
        .size:           8
        .value_kind:     hidden_global_offset_y
      - .offset:         184
        .size:           8
        .value_kind:     hidden_global_offset_z
      - .offset:         192
        .size:           2
        .value_kind:     hidden_grid_dims
    .group_segment_fixed_size: 8192
    .kernarg_segment_align: 8
    .kernarg_segment_size: 384
    .language:       OpenCL C
    .language_version:
      - 2
      - 0
    .max_flat_workgroup_size: 512
    .name:           _ZL36rocblas_gemvn_double_buffered_kernelILi128ELi4ELi16EPKddKPdEviiT3_lPKT2_lilS7_lilPT4_lili
    .private_segment_fixed_size: 0
    .sgpr_count:     33
    .sgpr_spill_count: 0
    .symbol:         _ZL36rocblas_gemvn_double_buffered_kernelILi128ELi4ELi16EPKddKPdEviiT3_lPKT2_lilS7_lilPT4_lili.kd
    .uniform_work_group_size: 1
    .uses_dynamic_stack: false
    .vgpr_count:     174
    .vgpr_spill_count: 0
    .wavefront_size: 32
    .workgroup_processor_mode: 1
  - .args:
      - .offset:         0
        .size:           4
        .value_kind:     by_value
      - .offset:         4
        .size:           4
        .value_kind:     by_value
      - .address_space:  global
        .offset:         8
        .size:           8
        .value_kind:     global_buffer
      - .offset:         16
        .size:           8
        .value_kind:     by_value
      - .address_space:  global
        .offset:         24
        .size:           8
        .value_kind:     global_buffer
      - .offset:         32
        .size:           8
        .value_kind:     by_value
      - .offset:         40
        .size:           4
        .value_kind:     by_value
      - .offset:         48
        .size:           8
        .value_kind:     by_value
      - .address_space:  global
        .offset:         56
        .size:           8
        .value_kind:     global_buffer
      - .offset:         64
        .size:           8
        .value_kind:     by_value
      - .offset:         72
        .size:           4
        .value_kind:     by_value
      - .offset:         80
        .size:           8
        .value_kind:     by_value
      - .address_space:  global
        .offset:         88
        .size:           8
        .value_kind:     global_buffer
      - .offset:         96
        .size:           8
        .value_kind:     by_value
      - .address_space:  global
        .offset:         104
        .size:           8
        .value_kind:     global_buffer
      - .offset:         112
        .size:           8
        .value_kind:     by_value
      - .offset:         120
        .size:           4
        .value_kind:     by_value
      - .offset:         128
        .size:           8
        .value_kind:     by_value
      - .offset:         136
        .size:           4
        .value_kind:     by_value
      - .offset:         144
        .size:           4
        .value_kind:     hidden_block_count_x
      - .offset:         148
        .size:           4
        .value_kind:     hidden_block_count_y
      - .offset:         152
        .size:           4
        .value_kind:     hidden_block_count_z
      - .offset:         156
        .size:           2
        .value_kind:     hidden_group_size_x
      - .offset:         158
        .size:           2
        .value_kind:     hidden_group_size_y
      - .offset:         160
        .size:           2
        .value_kind:     hidden_group_size_z
      - .offset:         162
        .size:           2
        .value_kind:     hidden_remainder_x
      - .offset:         164
        .size:           2
        .value_kind:     hidden_remainder_y
      - .offset:         166
        .size:           2
        .value_kind:     hidden_remainder_z
      - .offset:         184
        .size:           8
        .value_kind:     hidden_global_offset_x
      - .offset:         192
        .size:           8
        .value_kind:     hidden_global_offset_y
      - .offset:         200
        .size:           8
        .value_kind:     hidden_global_offset_z
      - .offset:         208
        .size:           2
        .value_kind:     hidden_grid_dims
    .group_segment_fixed_size: 16384
    .kernarg_segment_align: 8
    .kernarg_segment_size: 400
    .language:       OpenCL C
    .language_version:
      - 2
      - 0
    .max_flat_workgroup_size: 512
    .name:           _ZL20rocblas_gemvn_kernelILi32ELi16EiPKdS1_KPdEviiT3_lPKT2_lT1_lS7_lS8_lS4_lPT4_lS8_li
    .private_segment_fixed_size: 0
    .sgpr_count:     32
    .sgpr_spill_count: 0
    .symbol:         _ZL20rocblas_gemvn_kernelILi32ELi16EiPKdS1_KPdEviiT3_lPKT2_lT1_lS7_lS8_lS4_lPT4_lS8_li.kd
    .uniform_work_group_size: 1
    .uses_dynamic_stack: false
    .vgpr_count:     61
    .vgpr_spill_count: 0
    .wavefront_size: 32
    .workgroup_processor_mode: 1
  - .args:
      - .offset:         0
        .size:           4
        .value_kind:     by_value
      - .offset:         4
        .size:           4
        .value_kind:     by_value
      - .address_space:  global
        .offset:         8
        .size:           8
        .value_kind:     global_buffer
      - .offset:         16
        .size:           8
        .value_kind:     by_value
      - .address_space:  global
        .offset:         24
        .size:           8
        .value_kind:     global_buffer
      - .offset:         32
        .size:           8
        .value_kind:     by_value
      - .offset:         40
        .size:           8
        .value_kind:     by_value
      - .offset:         48
        .size:           8
        .value_kind:     by_value
      - .address_space:  global
        .offset:         56
        .size:           8
        .value_kind:     global_buffer
      - .offset:         64
        .size:           8
        .value_kind:     by_value
      - .offset:         72
        .size:           8
        .value_kind:     by_value
      - .offset:         80
        .size:           8
        .value_kind:     by_value
      - .address_space:  global
        .offset:         88
        .size:           8
        .value_kind:     global_buffer
      - .offset:         96
        .size:           8
        .value_kind:     by_value
      - .address_space:  global
        .offset:         104
        .size:           8
        .value_kind:     global_buffer
      - .offset:         112
        .size:           8
        .value_kind:     by_value
      - .offset:         120
        .size:           8
        .value_kind:     by_value
      - .offset:         128
        .size:           8
        .value_kind:     by_value
      - .offset:         136
        .size:           4
        .value_kind:     by_value
      - .offset:         144
        .size:           4
        .value_kind:     hidden_block_count_x
      - .offset:         148
        .size:           4
        .value_kind:     hidden_block_count_y
      - .offset:         152
        .size:           4
        .value_kind:     hidden_block_count_z
      - .offset:         156
        .size:           2
        .value_kind:     hidden_group_size_x
      - .offset:         158
        .size:           2
        .value_kind:     hidden_group_size_y
      - .offset:         160
        .size:           2
        .value_kind:     hidden_group_size_z
      - .offset:         162
        .size:           2
        .value_kind:     hidden_remainder_x
      - .offset:         164
        .size:           2
        .value_kind:     hidden_remainder_y
      - .offset:         166
        .size:           2
        .value_kind:     hidden_remainder_z
      - .offset:         184
        .size:           8
        .value_kind:     hidden_global_offset_x
      - .offset:         192
        .size:           8
        .value_kind:     hidden_global_offset_y
      - .offset:         200
        .size:           8
        .value_kind:     hidden_global_offset_z
      - .offset:         208
        .size:           2
        .value_kind:     hidden_grid_dims
    .group_segment_fixed_size: 16384
    .kernarg_segment_align: 8
    .kernarg_segment_size: 400
    .language:       OpenCL C
    .language_version:
      - 2
      - 0
    .max_flat_workgroup_size: 512
    .name:           _ZL20rocblas_gemvn_kernelILi32ELi16ElPKdS1_KPdEviiT3_lPKT2_lT1_lS7_lS8_lS4_lPT4_lS8_li
    .private_segment_fixed_size: 0
    .sgpr_count:     39
    .sgpr_spill_count: 0
    .symbol:         _ZL20rocblas_gemvn_kernelILi32ELi16ElPKdS1_KPdEviiT3_lPKT2_lT1_lS7_lS8_lS4_lPT4_lS8_li.kd
    .uniform_work_group_size: 1
    .uses_dynamic_stack: false
    .vgpr_count:     71
    .vgpr_spill_count: 0
    .wavefront_size: 32
    .workgroup_processor_mode: 1
  - .args:
      - .offset:         0
        .size:           4
        .value_kind:     by_value
      - .offset:         4
        .size:           4
        .value_kind:     by_value
      - .offset:         8
        .size:           8
        .value_kind:     by_value
      - .offset:         16
        .size:           8
        .value_kind:     by_value
      - .address_space:  global
        .offset:         24
        .size:           8
        .value_kind:     global_buffer
      - .offset:         32
        .size:           8
        .value_kind:     by_value
      - .offset:         40
        .size:           4
        .value_kind:     by_value
      - .offset:         48
        .size:           8
        .value_kind:     by_value
      - .address_space:  global
        .offset:         56
        .size:           8
        .value_kind:     global_buffer
      - .offset:         64
        .size:           8
        .value_kind:     by_value
      - .offset:         72
        .size:           4
        .value_kind:     by_value
      - .offset:         80
        .size:           8
        .value_kind:     by_value
      - .offset:         88
        .size:           8
        .value_kind:     by_value
      - .offset:         96
        .size:           8
        .value_kind:     by_value
      - .address_space:  global
        .offset:         104
        .size:           8
        .value_kind:     global_buffer
      - .offset:         112
        .size:           8
        .value_kind:     by_value
      - .offset:         120
        .size:           4
        .value_kind:     by_value
      - .offset:         128
        .size:           8
        .value_kind:     by_value
      - .offset:         136
        .size:           4
        .value_kind:     by_value
      - .offset:         144
        .size:           4
        .value_kind:     hidden_block_count_x
      - .offset:         148
        .size:           4
        .value_kind:     hidden_block_count_y
      - .offset:         152
        .size:           4
        .value_kind:     hidden_block_count_z
      - .offset:         156
        .size:           2
        .value_kind:     hidden_group_size_x
      - .offset:         158
        .size:           2
        .value_kind:     hidden_group_size_y
      - .offset:         160
        .size:           2
        .value_kind:     hidden_group_size_z
      - .offset:         162
        .size:           2
        .value_kind:     hidden_remainder_x
      - .offset:         164
        .size:           2
        .value_kind:     hidden_remainder_y
      - .offset:         166
        .size:           2
        .value_kind:     hidden_remainder_z
      - .offset:         184
        .size:           8
        .value_kind:     hidden_global_offset_x
      - .offset:         192
        .size:           8
        .value_kind:     hidden_global_offset_y
      - .offset:         200
        .size:           8
        .value_kind:     hidden_global_offset_z
      - .offset:         208
        .size:           2
        .value_kind:     hidden_grid_dims
    .group_segment_fixed_size: 16384
    .kernarg_segment_align: 8
    .kernarg_segment_size: 400
    .language:       OpenCL C
    .language_version:
      - 2
      - 0
    .max_flat_workgroup_size: 512
    .name:           _ZL20rocblas_gemvn_kernelILi32ELi16EiPKddKPdEviiT3_lPKT2_lT1_lS7_lS8_lS4_lPT4_lS8_li
    .private_segment_fixed_size: 0
    .sgpr_count:     32
    .sgpr_spill_count: 0
    .symbol:         _ZL20rocblas_gemvn_kernelILi32ELi16EiPKddKPdEviiT3_lPKT2_lT1_lS7_lS8_lS4_lPT4_lS8_li.kd
    .uniform_work_group_size: 1
    .uses_dynamic_stack: false
    .vgpr_count:     61
    .vgpr_spill_count: 0
    .wavefront_size: 32
    .workgroup_processor_mode: 1
  - .args:
      - .offset:         0
        .size:           4
        .value_kind:     by_value
      - .offset:         4
        .size:           4
        .value_kind:     by_value
      - .offset:         8
        .size:           8
        .value_kind:     by_value
      - .offset:         16
        .size:           8
        .value_kind:     by_value
      - .address_space:  global
        .offset:         24
        .size:           8
        .value_kind:     global_buffer
      - .offset:         32
        .size:           8
        .value_kind:     by_value
      - .offset:         40
        .size:           8
        .value_kind:     by_value
      - .offset:         48
        .size:           8
        .value_kind:     by_value
      - .address_space:  global
        .offset:         56
        .size:           8
        .value_kind:     global_buffer
      - .offset:         64
        .size:           8
        .value_kind:     by_value
      - .offset:         72
        .size:           8
        .value_kind:     by_value
      - .offset:         80
        .size:           8
        .value_kind:     by_value
      - .offset:         88
        .size:           8
        .value_kind:     by_value
      - .offset:         96
        .size:           8
        .value_kind:     by_value
      - .address_space:  global
        .offset:         104
        .size:           8
        .value_kind:     global_buffer
      - .offset:         112
        .size:           8
        .value_kind:     by_value
      - .offset:         120
        .size:           8
        .value_kind:     by_value
      - .offset:         128
        .size:           8
        .value_kind:     by_value
      - .offset:         136
        .size:           4
        .value_kind:     by_value
      - .offset:         144
        .size:           4
        .value_kind:     hidden_block_count_x
      - .offset:         148
        .size:           4
        .value_kind:     hidden_block_count_y
      - .offset:         152
        .size:           4
        .value_kind:     hidden_block_count_z
      - .offset:         156
        .size:           2
        .value_kind:     hidden_group_size_x
      - .offset:         158
        .size:           2
        .value_kind:     hidden_group_size_y
      - .offset:         160
        .size:           2
        .value_kind:     hidden_group_size_z
      - .offset:         162
        .size:           2
        .value_kind:     hidden_remainder_x
      - .offset:         164
        .size:           2
        .value_kind:     hidden_remainder_y
      - .offset:         166
        .size:           2
        .value_kind:     hidden_remainder_z
      - .offset:         184
        .size:           8
        .value_kind:     hidden_global_offset_x
      - .offset:         192
        .size:           8
        .value_kind:     hidden_global_offset_y
      - .offset:         200
        .size:           8
        .value_kind:     hidden_global_offset_z
      - .offset:         208
        .size:           2
        .value_kind:     hidden_grid_dims
    .group_segment_fixed_size: 16384
    .kernarg_segment_align: 8
    .kernarg_segment_size: 400
    .language:       OpenCL C
    .language_version:
      - 2
      - 0
    .max_flat_workgroup_size: 512
    .name:           _ZL20rocblas_gemvn_kernelILi32ELi16ElPKddKPdEviiT3_lPKT2_lT1_lS7_lS8_lS4_lPT4_lS8_li
    .private_segment_fixed_size: 0
    .sgpr_count:     39
    .sgpr_spill_count: 0
    .symbol:         _ZL20rocblas_gemvn_kernelILi32ELi16ElPKddKPdEviiT3_lPKT2_lT1_lS7_lS8_lS4_lPT4_lS8_li.kd
    .uniform_work_group_size: 1
    .uses_dynamic_stack: false
    .vgpr_count:     71
    .vgpr_spill_count: 0
    .wavefront_size: 32
    .workgroup_processor_mode: 1
  - .args:
      - .offset:         0
        .size:           4
        .value_kind:     by_value
      - .offset:         4
        .size:           4
        .value_kind:     by_value
      - .address_space:  global
        .offset:         8
        .size:           8
        .value_kind:     global_buffer
      - .offset:         16
        .size:           8
        .value_kind:     by_value
      - .address_space:  global
        .offset:         24
        .size:           8
        .value_kind:     global_buffer
      - .offset:         32
        .size:           8
        .value_kind:     by_value
      - .offset:         40
        .size:           4
        .value_kind:     by_value
      - .offset:         48
        .size:           8
        .value_kind:     by_value
      - .address_space:  global
        .offset:         56
        .size:           8
        .value_kind:     global_buffer
      - .offset:         64
        .size:           8
        .value_kind:     by_value
      - .offset:         72
        .size:           4
        .value_kind:     by_value
      - .offset:         80
        .size:           8
        .value_kind:     by_value
      - .address_space:  global
        .offset:         88
        .size:           8
        .value_kind:     global_buffer
      - .offset:         96
        .size:           8
        .value_kind:     by_value
      - .address_space:  global
        .offset:         104
        .size:           8
        .value_kind:     global_buffer
      - .offset:         112
        .size:           8
        .value_kind:     by_value
      - .offset:         120
        .size:           4
        .value_kind:     by_value
      - .offset:         128
        .size:           8
        .value_kind:     by_value
      - .offset:         136
        .size:           4
        .value_kind:     by_value
      - .offset:         144
        .size:           4
        .value_kind:     hidden_block_count_x
      - .offset:         148
        .size:           4
        .value_kind:     hidden_block_count_y
      - .offset:         152
        .size:           4
        .value_kind:     hidden_block_count_z
      - .offset:         156
        .size:           2
        .value_kind:     hidden_group_size_x
      - .offset:         158
        .size:           2
        .value_kind:     hidden_group_size_y
      - .offset:         160
        .size:           2
        .value_kind:     hidden_group_size_z
      - .offset:         162
        .size:           2
        .value_kind:     hidden_remainder_x
      - .offset:         164
        .size:           2
        .value_kind:     hidden_remainder_y
      - .offset:         166
        .size:           2
        .value_kind:     hidden_remainder_z
      - .offset:         184
        .size:           8
        .value_kind:     hidden_global_offset_x
      - .offset:         192
        .size:           8
        .value_kind:     hidden_global_offset_y
      - .offset:         200
        .size:           8
        .value_kind:     hidden_global_offset_z
      - .offset:         208
        .size:           2
        .value_kind:     hidden_grid_dims
    .group_segment_fixed_size: 32768
    .kernarg_segment_align: 8
    .kernarg_segment_size: 400
    .language:       OpenCL C
    .language_version:
      - 2
      - 0
    .max_flat_workgroup_size: 1024
    .name:           _ZL20rocblas_gemvn_kernelILi64ELi16EiPKdS1_KPdEviiT3_lPKT2_lT1_lS7_lS8_lS4_lPT4_lS8_li
    .private_segment_fixed_size: 0
    .sgpr_count:     32
    .sgpr_spill_count: 0
    .symbol:         _ZL20rocblas_gemvn_kernelILi64ELi16EiPKdS1_KPdEviiT3_lPKT2_lT1_lS7_lS8_lS4_lPT4_lS8_li.kd
    .uniform_work_group_size: 1
    .uses_dynamic_stack: false
    .vgpr_count:     61
    .vgpr_spill_count: 0
    .wavefront_size: 32
    .workgroup_processor_mode: 1
  - .args:
      - .offset:         0
        .size:           4
        .value_kind:     by_value
      - .offset:         4
        .size:           4
        .value_kind:     by_value
      - .address_space:  global
        .offset:         8
        .size:           8
        .value_kind:     global_buffer
      - .offset:         16
        .size:           8
        .value_kind:     by_value
      - .address_space:  global
        .offset:         24
        .size:           8
        .value_kind:     global_buffer
      - .offset:         32
        .size:           8
        .value_kind:     by_value
      - .offset:         40
        .size:           8
        .value_kind:     by_value
      - .offset:         48
        .size:           8
        .value_kind:     by_value
      - .address_space:  global
        .offset:         56
        .size:           8
        .value_kind:     global_buffer
      - .offset:         64
        .size:           8
        .value_kind:     by_value
      - .offset:         72
        .size:           8
        .value_kind:     by_value
      - .offset:         80
        .size:           8
        .value_kind:     by_value
      - .address_space:  global
        .offset:         88
        .size:           8
        .value_kind:     global_buffer
      - .offset:         96
        .size:           8
        .value_kind:     by_value
      - .address_space:  global
        .offset:         104
        .size:           8
        .value_kind:     global_buffer
      - .offset:         112
        .size:           8
        .value_kind:     by_value
      - .offset:         120
        .size:           8
        .value_kind:     by_value
      - .offset:         128
        .size:           8
        .value_kind:     by_value
      - .offset:         136
        .size:           4
        .value_kind:     by_value
      - .offset:         144
        .size:           4
        .value_kind:     hidden_block_count_x
      - .offset:         148
        .size:           4
        .value_kind:     hidden_block_count_y
      - .offset:         152
        .size:           4
        .value_kind:     hidden_block_count_z
      - .offset:         156
        .size:           2
        .value_kind:     hidden_group_size_x
      - .offset:         158
        .size:           2
        .value_kind:     hidden_group_size_y
      - .offset:         160
        .size:           2
        .value_kind:     hidden_group_size_z
      - .offset:         162
        .size:           2
        .value_kind:     hidden_remainder_x
      - .offset:         164
        .size:           2
        .value_kind:     hidden_remainder_y
      - .offset:         166
        .size:           2
        .value_kind:     hidden_remainder_z
      - .offset:         184
        .size:           8
        .value_kind:     hidden_global_offset_x
      - .offset:         192
        .size:           8
        .value_kind:     hidden_global_offset_y
      - .offset:         200
        .size:           8
        .value_kind:     hidden_global_offset_z
      - .offset:         208
        .size:           2
        .value_kind:     hidden_grid_dims
    .group_segment_fixed_size: 32768
    .kernarg_segment_align: 8
    .kernarg_segment_size: 400
    .language:       OpenCL C
    .language_version:
      - 2
      - 0
    .max_flat_workgroup_size: 1024
    .name:           _ZL20rocblas_gemvn_kernelILi64ELi16ElPKdS1_KPdEviiT3_lPKT2_lT1_lS7_lS8_lS4_lPT4_lS8_li
    .private_segment_fixed_size: 0
    .sgpr_count:     39
    .sgpr_spill_count: 0
    .symbol:         _ZL20rocblas_gemvn_kernelILi64ELi16ElPKdS1_KPdEviiT3_lPKT2_lT1_lS7_lS8_lS4_lPT4_lS8_li.kd
    .uniform_work_group_size: 1
    .uses_dynamic_stack: false
    .vgpr_count:     71
    .vgpr_spill_count: 0
    .wavefront_size: 32
    .workgroup_processor_mode: 1
  - .args:
      - .offset:         0
        .size:           4
        .value_kind:     by_value
      - .offset:         4
        .size:           4
        .value_kind:     by_value
      - .offset:         8
        .size:           8
        .value_kind:     by_value
      - .offset:         16
        .size:           8
        .value_kind:     by_value
      - .address_space:  global
        .offset:         24
        .size:           8
        .value_kind:     global_buffer
      - .offset:         32
        .size:           8
        .value_kind:     by_value
      - .offset:         40
        .size:           4
        .value_kind:     by_value
      - .offset:         48
        .size:           8
        .value_kind:     by_value
      - .address_space:  global
        .offset:         56
        .size:           8
        .value_kind:     global_buffer
      - .offset:         64
        .size:           8
        .value_kind:     by_value
      - .offset:         72
        .size:           4
        .value_kind:     by_value
      - .offset:         80
        .size:           8
        .value_kind:     by_value
      - .offset:         88
        .size:           8
        .value_kind:     by_value
      - .offset:         96
        .size:           8
        .value_kind:     by_value
      - .address_space:  global
        .offset:         104
        .size:           8
        .value_kind:     global_buffer
      - .offset:         112
        .size:           8
        .value_kind:     by_value
      - .offset:         120
        .size:           4
        .value_kind:     by_value
      - .offset:         128
        .size:           8
        .value_kind:     by_value
      - .offset:         136
        .size:           4
        .value_kind:     by_value
      - .offset:         144
        .size:           4
        .value_kind:     hidden_block_count_x
      - .offset:         148
        .size:           4
        .value_kind:     hidden_block_count_y
      - .offset:         152
        .size:           4
        .value_kind:     hidden_block_count_z
      - .offset:         156
        .size:           2
        .value_kind:     hidden_group_size_x
      - .offset:         158
        .size:           2
        .value_kind:     hidden_group_size_y
      - .offset:         160
        .size:           2
        .value_kind:     hidden_group_size_z
      - .offset:         162
        .size:           2
        .value_kind:     hidden_remainder_x
      - .offset:         164
        .size:           2
        .value_kind:     hidden_remainder_y
      - .offset:         166
        .size:           2
        .value_kind:     hidden_remainder_z
      - .offset:         184
        .size:           8
        .value_kind:     hidden_global_offset_x
      - .offset:         192
        .size:           8
        .value_kind:     hidden_global_offset_y
      - .offset:         200
        .size:           8
        .value_kind:     hidden_global_offset_z
      - .offset:         208
        .size:           2
        .value_kind:     hidden_grid_dims
    .group_segment_fixed_size: 32768
    .kernarg_segment_align: 8
    .kernarg_segment_size: 400
    .language:       OpenCL C
    .language_version:
      - 2
      - 0
    .max_flat_workgroup_size: 1024
    .name:           _ZL20rocblas_gemvn_kernelILi64ELi16EiPKddKPdEviiT3_lPKT2_lT1_lS7_lS8_lS4_lPT4_lS8_li
    .private_segment_fixed_size: 0
    .sgpr_count:     32
    .sgpr_spill_count: 0
    .symbol:         _ZL20rocblas_gemvn_kernelILi64ELi16EiPKddKPdEviiT3_lPKT2_lT1_lS7_lS8_lS4_lPT4_lS8_li.kd
    .uniform_work_group_size: 1
    .uses_dynamic_stack: false
    .vgpr_count:     61
    .vgpr_spill_count: 0
    .wavefront_size: 32
    .workgroup_processor_mode: 1
  - .args:
      - .offset:         0
        .size:           4
        .value_kind:     by_value
      - .offset:         4
        .size:           4
        .value_kind:     by_value
      - .offset:         8
        .size:           8
        .value_kind:     by_value
      - .offset:         16
        .size:           8
        .value_kind:     by_value
      - .address_space:  global
        .offset:         24
        .size:           8
        .value_kind:     global_buffer
      - .offset:         32
        .size:           8
        .value_kind:     by_value
      - .offset:         40
        .size:           8
        .value_kind:     by_value
      - .offset:         48
        .size:           8
        .value_kind:     by_value
      - .address_space:  global
        .offset:         56
        .size:           8
        .value_kind:     global_buffer
      - .offset:         64
        .size:           8
        .value_kind:     by_value
      - .offset:         72
        .size:           8
        .value_kind:     by_value
      - .offset:         80
        .size:           8
        .value_kind:     by_value
      - .offset:         88
        .size:           8
        .value_kind:     by_value
      - .offset:         96
        .size:           8
        .value_kind:     by_value
      - .address_space:  global
        .offset:         104
        .size:           8
        .value_kind:     global_buffer
      - .offset:         112
        .size:           8
        .value_kind:     by_value
      - .offset:         120
        .size:           8
        .value_kind:     by_value
      - .offset:         128
        .size:           8
        .value_kind:     by_value
      - .offset:         136
        .size:           4
        .value_kind:     by_value
      - .offset:         144
        .size:           4
        .value_kind:     hidden_block_count_x
      - .offset:         148
        .size:           4
        .value_kind:     hidden_block_count_y
      - .offset:         152
        .size:           4
        .value_kind:     hidden_block_count_z
      - .offset:         156
        .size:           2
        .value_kind:     hidden_group_size_x
      - .offset:         158
        .size:           2
        .value_kind:     hidden_group_size_y
      - .offset:         160
        .size:           2
        .value_kind:     hidden_group_size_z
      - .offset:         162
        .size:           2
        .value_kind:     hidden_remainder_x
      - .offset:         164
        .size:           2
        .value_kind:     hidden_remainder_y
      - .offset:         166
        .size:           2
        .value_kind:     hidden_remainder_z
      - .offset:         184
        .size:           8
        .value_kind:     hidden_global_offset_x
      - .offset:         192
        .size:           8
        .value_kind:     hidden_global_offset_y
      - .offset:         200
        .size:           8
        .value_kind:     hidden_global_offset_z
      - .offset:         208
        .size:           2
        .value_kind:     hidden_grid_dims
    .group_segment_fixed_size: 32768
    .kernarg_segment_align: 8
    .kernarg_segment_size: 400
    .language:       OpenCL C
    .language_version:
      - 2
      - 0
    .max_flat_workgroup_size: 1024
    .name:           _ZL20rocblas_gemvn_kernelILi64ELi16ElPKddKPdEviiT3_lPKT2_lT1_lS7_lS8_lS4_lPT4_lS8_li
    .private_segment_fixed_size: 0
    .sgpr_count:     39
    .sgpr_spill_count: 0
    .symbol:         _ZL20rocblas_gemvn_kernelILi64ELi16ElPKddKPdEviiT3_lPKT2_lT1_lS7_lS8_lS4_lPT4_lS8_li.kd
    .uniform_work_group_size: 1
    .uses_dynamic_stack: false
    .vgpr_count:     71
    .vgpr_spill_count: 0
    .wavefront_size: 32
    .workgroup_processor_mode: 1
  - .args:
      - .offset:         0
        .size:           4
        .value_kind:     by_value
      - .offset:         4
        .size:           4
        .value_kind:     by_value
      - .address_space:  global
        .offset:         8
        .size:           8
        .value_kind:     global_buffer
      - .offset:         16
        .size:           8
        .value_kind:     by_value
      - .address_space:  global
        .offset:         24
        .size:           8
        .value_kind:     global_buffer
      - .offset:         32
        .size:           8
        .value_kind:     by_value
      - .offset:         40
        .size:           4
        .value_kind:     by_value
      - .offset:         48
        .size:           8
        .value_kind:     by_value
      - .address_space:  global
        .offset:         56
        .size:           8
        .value_kind:     global_buffer
      - .offset:         64
        .size:           8
        .value_kind:     by_value
      - .offset:         72
        .size:           4
        .value_kind:     by_value
      - .offset:         80
        .size:           8
        .value_kind:     by_value
      - .address_space:  global
        .offset:         88
        .size:           8
        .value_kind:     global_buffer
      - .offset:         96
        .size:           8
        .value_kind:     by_value
      - .address_space:  global
        .offset:         104
        .size:           8
        .value_kind:     global_buffer
      - .offset:         112
        .size:           8
        .value_kind:     by_value
      - .offset:         120
        .size:           4
        .value_kind:     by_value
      - .offset:         128
        .size:           8
        .value_kind:     by_value
    .group_segment_fixed_size: 512
    .kernarg_segment_align: 8
    .kernarg_segment_size: 136
    .language:       OpenCL C
    .language_version:
      - 2
      - 0
    .max_flat_workgroup_size: 256
    .name:           _ZL22rocblas_gemvtsm_kernelILb0ELi256EPKdS1_KPdEviiT2_lPKT1_lilS7_lilS4_lPT3_lil
    .private_segment_fixed_size: 0
    .sgpr_count:     24
    .sgpr_spill_count: 0
    .symbol:         _ZL22rocblas_gemvtsm_kernelILb0ELi256EPKdS1_KPdEviiT2_lPKT1_lilS7_lilS4_lPT3_lil.kd
    .uniform_work_group_size: 1
    .uses_dynamic_stack: false
    .vgpr_count:     34
    .vgpr_spill_count: 0
    .wavefront_size: 32
    .workgroup_processor_mode: 1
  - .args:
      - .offset:         0
        .size:           4
        .value_kind:     by_value
      - .offset:         4
        .size:           4
        .value_kind:     by_value
      - .offset:         8
        .size:           8
        .value_kind:     by_value
      - .offset:         16
        .size:           8
        .value_kind:     by_value
      - .address_space:  global
        .offset:         24
        .size:           8
        .value_kind:     global_buffer
      - .offset:         32
        .size:           8
        .value_kind:     by_value
      - .offset:         40
        .size:           4
        .value_kind:     by_value
      - .offset:         48
        .size:           8
        .value_kind:     by_value
      - .address_space:  global
        .offset:         56
        .size:           8
        .value_kind:     global_buffer
      - .offset:         64
        .size:           8
        .value_kind:     by_value
      - .offset:         72
        .size:           4
        .value_kind:     by_value
      - .offset:         80
        .size:           8
        .value_kind:     by_value
      - .offset:         88
        .size:           8
        .value_kind:     by_value
      - .offset:         96
        .size:           8
        .value_kind:     by_value
      - .address_space:  global
        .offset:         104
        .size:           8
        .value_kind:     global_buffer
      - .offset:         112
        .size:           8
        .value_kind:     by_value
      - .offset:         120
        .size:           4
        .value_kind:     by_value
      - .offset:         128
        .size:           8
        .value_kind:     by_value
    .group_segment_fixed_size: 512
    .kernarg_segment_align: 8
    .kernarg_segment_size: 136
    .language:       OpenCL C
    .language_version:
      - 2
      - 0
    .max_flat_workgroup_size: 256
    .name:           _ZL22rocblas_gemvtsm_kernelILb0ELi256EPKddKPdEviiT2_lPKT1_lilS7_lilS4_lPT3_lil
    .private_segment_fixed_size: 0
    .sgpr_count:     24
    .sgpr_spill_count: 0
    .symbol:         _ZL22rocblas_gemvtsm_kernelILb0ELi256EPKddKPdEviiT2_lPKT1_lilS7_lilS4_lPT3_lil.kd
    .uniform_work_group_size: 1
    .uses_dynamic_stack: false
    .vgpr_count:     34
    .vgpr_spill_count: 0
    .wavefront_size: 32
    .workgroup_processor_mode: 1
  - .args:
      - .offset:         0
        .size:           4
        .value_kind:     by_value
      - .offset:         4
        .size:           4
        .value_kind:     by_value
      - .address_space:  global
        .offset:         8
        .size:           8
        .value_kind:     global_buffer
      - .offset:         16
        .size:           8
        .value_kind:     by_value
      - .address_space:  global
        .offset:         24
        .size:           8
        .value_kind:     global_buffer
      - .offset:         32
        .size:           8
        .value_kind:     by_value
      - .offset:         40
        .size:           4
        .value_kind:     by_value
      - .offset:         48
        .size:           8
        .value_kind:     by_value
      - .address_space:  global
        .offset:         56
        .size:           8
        .value_kind:     global_buffer
      - .offset:         64
        .size:           8
        .value_kind:     by_value
      - .offset:         72
        .size:           4
        .value_kind:     by_value
      - .offset:         80
        .size:           8
        .value_kind:     by_value
      - .address_space:  global
        .offset:         88
        .size:           8
        .value_kind:     global_buffer
      - .offset:         96
        .size:           4
        .value_kind:     by_value
      - .offset:         104
        .size:           4
        .value_kind:     hidden_block_count_x
      - .offset:         108
        .size:           4
        .value_kind:     hidden_block_count_y
      - .offset:         112
        .size:           4
        .value_kind:     hidden_block_count_z
      - .offset:         116
        .size:           2
        .value_kind:     hidden_group_size_x
      - .offset:         118
        .size:           2
        .value_kind:     hidden_group_size_y
      - .offset:         120
        .size:           2
        .value_kind:     hidden_group_size_z
      - .offset:         122
        .size:           2
        .value_kind:     hidden_remainder_x
      - .offset:         124
        .size:           2
        .value_kind:     hidden_remainder_y
      - .offset:         126
        .size:           2
        .value_kind:     hidden_remainder_z
      - .offset:         144
        .size:           8
        .value_kind:     hidden_global_offset_x
      - .offset:         152
        .size:           8
        .value_kind:     hidden_global_offset_y
      - .offset:         160
        .size:           8
        .value_kind:     hidden_global_offset_z
      - .offset:         168
        .size:           2
        .value_kind:     hidden_grid_dims
    .group_segment_fixed_size: 256
    .kernarg_segment_align: 8
    .kernarg_segment_size: 360
    .language:       OpenCL C
    .language_version:
      - 2
      - 0
    .max_flat_workgroup_size: 256
    .name:           _ZL23rocblas_gemvt_sn_kernelILb0ELi256ELi4EiPKdS1_dEviiT4_lPKT3_lilS5_lilPT5_i
    .private_segment_fixed_size: 0
    .sgpr_count:     50
    .sgpr_spill_count: 0
    .symbol:         _ZL23rocblas_gemvt_sn_kernelILb0ELi256ELi4EiPKdS1_dEviiT4_lPKT3_lilS5_lilPT5_i.kd
    .uniform_work_group_size: 1
    .uses_dynamic_stack: false
    .vgpr_count:     66
    .vgpr_spill_count: 0
    .wavefront_size: 32
    .workgroup_processor_mode: 1
  - .args:
      - .offset:         0
        .size:           4
        .value_kind:     by_value
      - .offset:         4
        .size:           4
        .value_kind:     by_value
      - .address_space:  global
        .offset:         8
        .size:           8
        .value_kind:     global_buffer
      - .offset:         16
        .size:           8
        .value_kind:     by_value
      - .address_space:  global
        .offset:         24
        .size:           8
        .value_kind:     global_buffer
      - .offset:         32
        .size:           8
        .value_kind:     by_value
      - .offset:         40
        .size:           4
        .value_kind:     by_value
      - .offset:         48
        .size:           8
        .value_kind:     by_value
      - .address_space:  global
        .offset:         56
        .size:           8
        .value_kind:     global_buffer
      - .offset:         64
        .size:           8
        .value_kind:     by_value
      - .offset:         72
        .size:           4
        .value_kind:     by_value
      - .offset:         80
        .size:           8
        .value_kind:     by_value
      - .address_space:  global
        .offset:         88
        .size:           8
        .value_kind:     global_buffer
      - .offset:         96
        .size:           4
        .value_kind:     by_value
      - .offset:         104
        .size:           4
        .value_kind:     hidden_block_count_x
      - .offset:         108
        .size:           4
        .value_kind:     hidden_block_count_y
      - .offset:         112
        .size:           4
        .value_kind:     hidden_block_count_z
      - .offset:         116
        .size:           2
        .value_kind:     hidden_group_size_x
      - .offset:         118
        .size:           2
        .value_kind:     hidden_group_size_y
      - .offset:         120
        .size:           2
        .value_kind:     hidden_group_size_z
      - .offset:         122
        .size:           2
        .value_kind:     hidden_remainder_x
      - .offset:         124
        .size:           2
        .value_kind:     hidden_remainder_y
      - .offset:         126
        .size:           2
        .value_kind:     hidden_remainder_z
      - .offset:         144
        .size:           8
        .value_kind:     hidden_global_offset_x
      - .offset:         152
        .size:           8
        .value_kind:     hidden_global_offset_y
      - .offset:         160
        .size:           8
        .value_kind:     hidden_global_offset_z
      - .offset:         168
        .size:           2
        .value_kind:     hidden_grid_dims
    .group_segment_fixed_size: 256
    .kernarg_segment_align: 8
    .kernarg_segment_size: 360
    .language:       OpenCL C
    .language_version:
      - 2
      - 0
    .max_flat_workgroup_size: 256
    .name:           _ZL23rocblas_gemvt_sn_kernelILb0ELi256ELi4ElPKdS1_dEviiT4_lPKT3_lilS5_lilPT5_i
    .private_segment_fixed_size: 0
    .sgpr_count:     55
    .sgpr_spill_count: 0
    .symbol:         _ZL23rocblas_gemvt_sn_kernelILb0ELi256ELi4ElPKdS1_dEviiT4_lPKT3_lilS5_lilPT5_i.kd
    .uniform_work_group_size: 1
    .uses_dynamic_stack: false
    .vgpr_count:     73
    .vgpr_spill_count: 0
    .wavefront_size: 32
    .workgroup_processor_mode: 1
  - .args:
      - .offset:         0
        .size:           4
        .value_kind:     by_value
      - .address_space:  global
        .offset:         8
        .size:           8
        .value_kind:     global_buffer
      - .offset:         16
        .size:           8
        .value_kind:     by_value
      - .address_space:  global
        .offset:         24
        .size:           8
        .value_kind:     global_buffer
      - .offset:         32
        .size:           8
        .value_kind:     by_value
      - .offset:         40
        .size:           4
        .value_kind:     by_value
      - .offset:         48
        .size:           8
        .value_kind:     by_value
      - .actual_access:  read_only
        .address_space:  global
        .offset:         56
        .size:           8
        .value_kind:     global_buffer
      - .offset:         64
        .size:           4
        .value_kind:     by_value
      - .offset:         72
        .size:           4
        .value_kind:     hidden_block_count_x
      - .offset:         76
        .size:           4
        .value_kind:     hidden_block_count_y
      - .offset:         80
        .size:           4
        .value_kind:     hidden_block_count_z
      - .offset:         84
        .size:           2
        .value_kind:     hidden_group_size_x
      - .offset:         86
        .size:           2
        .value_kind:     hidden_group_size_y
      - .offset:         88
        .size:           2
        .value_kind:     hidden_group_size_z
      - .offset:         90
        .size:           2
        .value_kind:     hidden_remainder_x
      - .offset:         92
        .size:           2
        .value_kind:     hidden_remainder_y
      - .offset:         94
        .size:           2
        .value_kind:     hidden_remainder_z
      - .offset:         112
        .size:           8
        .value_kind:     hidden_global_offset_x
      - .offset:         120
        .size:           8
        .value_kind:     hidden_global_offset_y
      - .offset:         128
        .size:           8
        .value_kind:     hidden_global_offset_z
      - .offset:         136
        .size:           2
        .value_kind:     hidden_grid_dims
    .group_segment_fixed_size: 256
    .kernarg_segment_align: 8
    .kernarg_segment_size: 328
    .language:       OpenCL C
    .language_version:
      - 2
      - 0
    .max_flat_workgroup_size: 256
    .name:           _ZL23rocblas_gemvt_sn_reduceILi256ELi8EdPKdKPdEviT2_lPT3_lilPT1_i
    .private_segment_fixed_size: 0
    .sgpr_count:     24
    .sgpr_spill_count: 0
    .symbol:         _ZL23rocblas_gemvt_sn_reduceILi256ELi8EdPKdKPdEviT2_lPT3_lilPT1_i.kd
    .uniform_work_group_size: 1
    .uses_dynamic_stack: false
    .vgpr_count:     22
    .vgpr_spill_count: 0
    .wavefront_size: 32
    .workgroup_processor_mode: 1
  - .args:
      - .offset:         0
        .size:           4
        .value_kind:     by_value
      - .offset:         4
        .size:           4
        .value_kind:     by_value
      - .offset:         8
        .size:           8
        .value_kind:     by_value
      - .offset:         16
        .size:           8
        .value_kind:     by_value
      - .address_space:  global
        .offset:         24
        .size:           8
        .value_kind:     global_buffer
      - .offset:         32
        .size:           8
        .value_kind:     by_value
      - .offset:         40
        .size:           4
        .value_kind:     by_value
      - .offset:         48
        .size:           8
        .value_kind:     by_value
      - .address_space:  global
        .offset:         56
        .size:           8
        .value_kind:     global_buffer
      - .offset:         64
        .size:           8
        .value_kind:     by_value
      - .offset:         72
        .size:           4
        .value_kind:     by_value
      - .offset:         80
        .size:           8
        .value_kind:     by_value
      - .address_space:  global
        .offset:         88
        .size:           8
        .value_kind:     global_buffer
      - .offset:         96
        .size:           4
        .value_kind:     by_value
      - .offset:         104
        .size:           4
        .value_kind:     hidden_block_count_x
      - .offset:         108
        .size:           4
        .value_kind:     hidden_block_count_y
      - .offset:         112
        .size:           4
        .value_kind:     hidden_block_count_z
      - .offset:         116
        .size:           2
        .value_kind:     hidden_group_size_x
      - .offset:         118
        .size:           2
        .value_kind:     hidden_group_size_y
      - .offset:         120
        .size:           2
        .value_kind:     hidden_group_size_z
      - .offset:         122
        .size:           2
        .value_kind:     hidden_remainder_x
      - .offset:         124
        .size:           2
        .value_kind:     hidden_remainder_y
      - .offset:         126
        .size:           2
        .value_kind:     hidden_remainder_z
      - .offset:         144
        .size:           8
        .value_kind:     hidden_global_offset_x
      - .offset:         152
        .size:           8
        .value_kind:     hidden_global_offset_y
      - .offset:         160
        .size:           8
        .value_kind:     hidden_global_offset_z
      - .offset:         168
        .size:           2
        .value_kind:     hidden_grid_dims
    .group_segment_fixed_size: 256
    .kernarg_segment_align: 8
    .kernarg_segment_size: 360
    .language:       OpenCL C
    .language_version:
      - 2
      - 0
    .max_flat_workgroup_size: 256
    .name:           _ZL23rocblas_gemvt_sn_kernelILb0ELi256ELi4EiPKdddEviiT4_lPKT3_lilS5_lilPT5_i
    .private_segment_fixed_size: 0
    .sgpr_count:     50
    .sgpr_spill_count: 0
    .symbol:         _ZL23rocblas_gemvt_sn_kernelILb0ELi256ELi4EiPKdddEviiT4_lPKT3_lilS5_lilPT5_i.kd
    .uniform_work_group_size: 1
    .uses_dynamic_stack: false
    .vgpr_count:     66
    .vgpr_spill_count: 0
    .wavefront_size: 32
    .workgroup_processor_mode: 1
  - .args:
      - .offset:         0
        .size:           4
        .value_kind:     by_value
      - .offset:         4
        .size:           4
        .value_kind:     by_value
      - .offset:         8
        .size:           8
        .value_kind:     by_value
      - .offset:         16
        .size:           8
        .value_kind:     by_value
      - .address_space:  global
        .offset:         24
        .size:           8
        .value_kind:     global_buffer
      - .offset:         32
        .size:           8
        .value_kind:     by_value
      - .offset:         40
        .size:           4
        .value_kind:     by_value
      - .offset:         48
        .size:           8
        .value_kind:     by_value
      - .address_space:  global
        .offset:         56
        .size:           8
        .value_kind:     global_buffer
      - .offset:         64
        .size:           8
        .value_kind:     by_value
      - .offset:         72
        .size:           4
        .value_kind:     by_value
      - .offset:         80
        .size:           8
        .value_kind:     by_value
      - .address_space:  global
        .offset:         88
        .size:           8
        .value_kind:     global_buffer
      - .offset:         96
        .size:           4
        .value_kind:     by_value
      - .offset:         104
        .size:           4
        .value_kind:     hidden_block_count_x
      - .offset:         108
        .size:           4
        .value_kind:     hidden_block_count_y
      - .offset:         112
        .size:           4
        .value_kind:     hidden_block_count_z
      - .offset:         116
        .size:           2
        .value_kind:     hidden_group_size_x
      - .offset:         118
        .size:           2
        .value_kind:     hidden_group_size_y
      - .offset:         120
        .size:           2
        .value_kind:     hidden_group_size_z
      - .offset:         122
        .size:           2
        .value_kind:     hidden_remainder_x
      - .offset:         124
        .size:           2
        .value_kind:     hidden_remainder_y
      - .offset:         126
        .size:           2
        .value_kind:     hidden_remainder_z
      - .offset:         144
        .size:           8
        .value_kind:     hidden_global_offset_x
      - .offset:         152
        .size:           8
        .value_kind:     hidden_global_offset_y
      - .offset:         160
        .size:           8
        .value_kind:     hidden_global_offset_z
      - .offset:         168
        .size:           2
        .value_kind:     hidden_grid_dims
    .group_segment_fixed_size: 256
    .kernarg_segment_align: 8
    .kernarg_segment_size: 360
    .language:       OpenCL C
    .language_version:
      - 2
      - 0
    .max_flat_workgroup_size: 256
    .name:           _ZL23rocblas_gemvt_sn_kernelILb0ELi256ELi4ElPKdddEviiT4_lPKT3_lilS5_lilPT5_i
    .private_segment_fixed_size: 0
    .sgpr_count:     55
    .sgpr_spill_count: 0
    .symbol:         _ZL23rocblas_gemvt_sn_kernelILb0ELi256ELi4ElPKdddEviiT4_lPKT3_lilS5_lilPT5_i.kd
    .uniform_work_group_size: 1
    .uses_dynamic_stack: false
    .vgpr_count:     73
    .vgpr_spill_count: 0
    .wavefront_size: 32
    .workgroup_processor_mode: 1
  - .args:
      - .offset:         0
        .size:           4
        .value_kind:     by_value
      - .offset:         8
        .size:           8
        .value_kind:     by_value
      - .offset:         16
        .size:           8
        .value_kind:     by_value
      - .address_space:  global
        .offset:         24
        .size:           8
        .value_kind:     global_buffer
      - .offset:         32
        .size:           8
        .value_kind:     by_value
      - .offset:         40
        .size:           4
        .value_kind:     by_value
      - .offset:         48
        .size:           8
        .value_kind:     by_value
      - .actual_access:  read_only
        .address_space:  global
        .offset:         56
        .size:           8
        .value_kind:     global_buffer
      - .offset:         64
        .size:           4
        .value_kind:     by_value
      - .offset:         72
        .size:           4
        .value_kind:     hidden_block_count_x
      - .offset:         76
        .size:           4
        .value_kind:     hidden_block_count_y
      - .offset:         80
        .size:           4
        .value_kind:     hidden_block_count_z
      - .offset:         84
        .size:           2
        .value_kind:     hidden_group_size_x
      - .offset:         86
        .size:           2
        .value_kind:     hidden_group_size_y
      - .offset:         88
        .size:           2
        .value_kind:     hidden_group_size_z
      - .offset:         90
        .size:           2
        .value_kind:     hidden_remainder_x
      - .offset:         92
        .size:           2
        .value_kind:     hidden_remainder_y
      - .offset:         94
        .size:           2
        .value_kind:     hidden_remainder_z
      - .offset:         112
        .size:           8
        .value_kind:     hidden_global_offset_x
      - .offset:         120
        .size:           8
        .value_kind:     hidden_global_offset_y
      - .offset:         128
        .size:           8
        .value_kind:     hidden_global_offset_z
      - .offset:         136
        .size:           2
        .value_kind:     hidden_grid_dims
    .group_segment_fixed_size: 256
    .kernarg_segment_align: 8
    .kernarg_segment_size: 328
    .language:       OpenCL C
    .language_version:
      - 2
      - 0
    .max_flat_workgroup_size: 256
    .name:           _ZL23rocblas_gemvt_sn_reduceILi256ELi8EddKPdEviT2_lPT3_lilPT1_i
    .private_segment_fixed_size: 0
    .sgpr_count:     22
    .sgpr_spill_count: 0
    .symbol:         _ZL23rocblas_gemvt_sn_reduceILi256ELi8EddKPdEviT2_lPT3_lilPT1_i.kd
    .uniform_work_group_size: 1
    .uses_dynamic_stack: false
    .vgpr_count:     22
    .vgpr_spill_count: 0
    .wavefront_size: 32
    .workgroup_processor_mode: 1
  - .args:
      - .offset:         0
        .size:           4
        .value_kind:     by_value
      - .offset:         4
        .size:           4
        .value_kind:     by_value
      - .address_space:  global
        .offset:         8
        .size:           8
        .value_kind:     global_buffer
      - .offset:         16
        .size:           8
        .value_kind:     by_value
      - .address_space:  global
        .offset:         24
        .size:           8
        .value_kind:     global_buffer
      - .offset:         32
        .size:           8
        .value_kind:     by_value
      - .offset:         40
        .size:           4
        .value_kind:     by_value
      - .offset:         48
        .size:           8
        .value_kind:     by_value
      - .address_space:  global
        .offset:         56
        .size:           8
        .value_kind:     global_buffer
      - .offset:         64
        .size:           8
        .value_kind:     by_value
      - .offset:         72
        .size:           4
        .value_kind:     by_value
      - .offset:         80
        .size:           8
        .value_kind:     by_value
      - .address_space:  global
        .offset:         88
        .size:           8
        .value_kind:     global_buffer
      - .offset:         96
        .size:           8
        .value_kind:     by_value
      - .offset:         104
        .size:           4
        .value_kind:     by_value
      - .offset:         112
        .size:           8
        .value_kind:     by_value
      - .offset:         120
        .size:           4
        .value_kind:     by_value
      - .offset:         128
        .size:           4
        .value_kind:     hidden_block_count_x
      - .offset:         132
        .size:           4
        .value_kind:     hidden_block_count_y
      - .offset:         136
        .size:           4
        .value_kind:     hidden_block_count_z
      - .offset:         140
        .size:           2
        .value_kind:     hidden_group_size_x
      - .offset:         142
        .size:           2
        .value_kind:     hidden_group_size_y
      - .offset:         144
        .size:           2
        .value_kind:     hidden_group_size_z
      - .offset:         146
        .size:           2
        .value_kind:     hidden_remainder_x
      - .offset:         148
        .size:           2
        .value_kind:     hidden_remainder_y
      - .offset:         150
        .size:           2
        .value_kind:     hidden_remainder_z
      - .offset:         168
        .size:           8
        .value_kind:     hidden_global_offset_x
      - .offset:         176
        .size:           8
        .value_kind:     hidden_global_offset_y
      - .offset:         184
        .size:           8
        .value_kind:     hidden_global_offset_z
      - .offset:         192
        .size:           2
        .value_kind:     hidden_grid_dims
    .group_segment_fixed_size: 65536
    .kernarg_segment_align: 8
    .kernarg_segment_size: 384
    .language:       OpenCL C
    .language_version:
      - 2
      - 0
    .max_flat_workgroup_size: 512
    .name:           _ZL36rocblas_gemvt_double_buffered_kernelILb0ELi128ELi4ELi16EPKdS1_KPdEviiT4_lPKT3_lilS7_lilPT5_lili
    .private_segment_fixed_size: 0
    .sgpr_count:     30
    .sgpr_spill_count: 0
    .symbol:         _ZL36rocblas_gemvt_double_buffered_kernelILb0ELi128ELi4ELi16EPKdS1_KPdEviiT4_lPKT3_lilS7_lilPT5_lili.kd
    .uniform_work_group_size: 1
    .uses_dynamic_stack: false
    .vgpr_count:     174
    .vgpr_spill_count: 0
    .wavefront_size: 32
    .workgroup_processor_mode: 1
  - .args:
      - .offset:         0
        .size:           4
        .value_kind:     by_value
      - .offset:         4
        .size:           4
        .value_kind:     by_value
      - .offset:         8
        .size:           8
        .value_kind:     by_value
      - .offset:         16
        .size:           8
        .value_kind:     by_value
      - .address_space:  global
        .offset:         24
        .size:           8
        .value_kind:     global_buffer
      - .offset:         32
        .size:           8
        .value_kind:     by_value
      - .offset:         40
        .size:           4
        .value_kind:     by_value
      - .offset:         48
        .size:           8
        .value_kind:     by_value
      - .address_space:  global
        .offset:         56
        .size:           8
        .value_kind:     global_buffer
      - .offset:         64
        .size:           8
        .value_kind:     by_value
      - .offset:         72
        .size:           4
        .value_kind:     by_value
      - .offset:         80
        .size:           8
        .value_kind:     by_value
      - .address_space:  global
        .offset:         88
        .size:           8
        .value_kind:     global_buffer
      - .offset:         96
        .size:           8
        .value_kind:     by_value
      - .offset:         104
        .size:           4
        .value_kind:     by_value
      - .offset:         112
        .size:           8
        .value_kind:     by_value
      - .offset:         120
        .size:           4
        .value_kind:     by_value
      - .offset:         128
        .size:           4
        .value_kind:     hidden_block_count_x
      - .offset:         132
        .size:           4
        .value_kind:     hidden_block_count_y
      - .offset:         136
        .size:           4
        .value_kind:     hidden_block_count_z
      - .offset:         140
        .size:           2
        .value_kind:     hidden_group_size_x
      - .offset:         142
        .size:           2
        .value_kind:     hidden_group_size_y
      - .offset:         144
        .size:           2
        .value_kind:     hidden_group_size_z
      - .offset:         146
        .size:           2
        .value_kind:     hidden_remainder_x
      - .offset:         148
        .size:           2
        .value_kind:     hidden_remainder_y
      - .offset:         150
        .size:           2
        .value_kind:     hidden_remainder_z
      - .offset:         168
        .size:           8
        .value_kind:     hidden_global_offset_x
      - .offset:         176
        .size:           8
        .value_kind:     hidden_global_offset_y
      - .offset:         184
        .size:           8
        .value_kind:     hidden_global_offset_z
      - .offset:         192
        .size:           2
        .value_kind:     hidden_grid_dims
    .group_segment_fixed_size: 65536
    .kernarg_segment_align: 8
    .kernarg_segment_size: 384
    .language:       OpenCL C
    .language_version:
      - 2
      - 0
    .max_flat_workgroup_size: 512
    .name:           _ZL36rocblas_gemvt_double_buffered_kernelILb0ELi128ELi4ELi16EPKddKPdEviiT4_lPKT3_lilS7_lilPT5_lili
    .private_segment_fixed_size: 0
    .sgpr_count:     31
    .sgpr_spill_count: 0
    .symbol:         _ZL36rocblas_gemvt_double_buffered_kernelILb0ELi128ELi4ELi16EPKddKPdEviiT4_lPKT3_lilS7_lilPT5_lili.kd
    .uniform_work_group_size: 1
    .uses_dynamic_stack: false
    .vgpr_count:     174
    .vgpr_spill_count: 0
    .wavefront_size: 32
    .workgroup_processor_mode: 1
  - .args:
      - .offset:         0
        .size:           4
        .value_kind:     by_value
      - .offset:         4
        .size:           4
        .value_kind:     by_value
      - .address_space:  global
        .offset:         8
        .size:           8
        .value_kind:     global_buffer
      - .offset:         16
        .size:           8
        .value_kind:     by_value
      - .address_space:  global
        .offset:         24
        .size:           8
        .value_kind:     global_buffer
      - .offset:         32
        .size:           8
        .value_kind:     by_value
      - .offset:         40
        .size:           4
        .value_kind:     by_value
      - .offset:         48
        .size:           8
        .value_kind:     by_value
      - .address_space:  global
        .offset:         56
        .size:           8
        .value_kind:     global_buffer
      - .offset:         64
        .size:           8
        .value_kind:     by_value
      - .offset:         72
        .size:           4
        .value_kind:     by_value
      - .offset:         80
        .size:           8
        .value_kind:     by_value
      - .address_space:  global
        .offset:         88
        .size:           8
        .value_kind:     global_buffer
      - .offset:         96
        .size:           8
        .value_kind:     by_value
      - .address_space:  global
        .offset:         104
        .size:           8
        .value_kind:     global_buffer
      - .offset:         112
        .size:           8
        .value_kind:     by_value
      - .offset:         120
        .size:           4
        .value_kind:     by_value
      - .offset:         128
        .size:           8
        .value_kind:     by_value
      - .offset:         136
        .size:           4
        .value_kind:     by_value
    .group_segment_fixed_size: 256
    .kernarg_segment_align: 8
    .kernarg_segment_size: 140
    .language:       OpenCL C
    .language_version:
      - 2
      - 0
    .max_flat_workgroup_size: 256
    .name:           _ZL32rocblas_gemvt_warp_reduce_kernelILb0ELi256EiPKdS1_KPdEviiT3_lPKT2_lT1_lS7_lS8_lS4_lPT4_lS8_li
    .private_segment_fixed_size: 0
    .sgpr_count:     26
    .sgpr_spill_count: 0
    .symbol:         _ZL32rocblas_gemvt_warp_reduce_kernelILb0ELi256EiPKdS1_KPdEviiT3_lPKT2_lT1_lS7_lS8_lS4_lPT4_lS8_li.kd
    .uniform_work_group_size: 1
    .uses_dynamic_stack: false
    .vgpr_count:     14
    .vgpr_spill_count: 0
    .wavefront_size: 32
    .workgroup_processor_mode: 1
  - .args:
      - .offset:         0
        .size:           4
        .value_kind:     by_value
      - .offset:         4
        .size:           4
        .value_kind:     by_value
      - .address_space:  global
        .offset:         8
        .size:           8
        .value_kind:     global_buffer
      - .offset:         16
        .size:           8
        .value_kind:     by_value
      - .address_space:  global
        .offset:         24
        .size:           8
        .value_kind:     global_buffer
      - .offset:         32
        .size:           8
        .value_kind:     by_value
      - .offset:         40
        .size:           8
        .value_kind:     by_value
      - .offset:         48
        .size:           8
        .value_kind:     by_value
      - .address_space:  global
        .offset:         56
        .size:           8
        .value_kind:     global_buffer
      - .offset:         64
        .size:           8
        .value_kind:     by_value
      - .offset:         72
        .size:           8
        .value_kind:     by_value
      - .offset:         80
        .size:           8
        .value_kind:     by_value
      - .address_space:  global
        .offset:         88
        .size:           8
        .value_kind:     global_buffer
      - .offset:         96
        .size:           8
        .value_kind:     by_value
      - .address_space:  global
        .offset:         104
        .size:           8
        .value_kind:     global_buffer
      - .offset:         112
        .size:           8
        .value_kind:     by_value
      - .offset:         120
        .size:           8
        .value_kind:     by_value
      - .offset:         128
        .size:           8
        .value_kind:     by_value
      - .offset:         136
        .size:           4
        .value_kind:     by_value
    .group_segment_fixed_size: 256
    .kernarg_segment_align: 8
    .kernarg_segment_size: 140
    .language:       OpenCL C
    .language_version:
      - 2
      - 0
    .max_flat_workgroup_size: 256
    .name:           _ZL32rocblas_gemvt_warp_reduce_kernelILb0ELi256ElPKdS1_KPdEviiT3_lPKT2_lT1_lS7_lS8_lS4_lPT4_lS8_li
    .private_segment_fixed_size: 0
    .sgpr_count:     31
    .sgpr_spill_count: 0
    .symbol:         _ZL32rocblas_gemvt_warp_reduce_kernelILb0ELi256ElPKdS1_KPdEviiT3_lPKT2_lT1_lS7_lS8_lS4_lPT4_lS8_li.kd
    .uniform_work_group_size: 1
    .uses_dynamic_stack: false
    .vgpr_count:     14
    .vgpr_spill_count: 0
    .wavefront_size: 32
    .workgroup_processor_mode: 1
  - .args:
      - .offset:         0
        .size:           4
        .value_kind:     by_value
      - .offset:         4
        .size:           4
        .value_kind:     by_value
      - .offset:         8
        .size:           8
        .value_kind:     by_value
      - .offset:         16
        .size:           8
        .value_kind:     by_value
      - .address_space:  global
        .offset:         24
        .size:           8
        .value_kind:     global_buffer
      - .offset:         32
        .size:           8
        .value_kind:     by_value
      - .offset:         40
        .size:           4
        .value_kind:     by_value
      - .offset:         48
        .size:           8
        .value_kind:     by_value
      - .address_space:  global
        .offset:         56
        .size:           8
        .value_kind:     global_buffer
      - .offset:         64
        .size:           8
        .value_kind:     by_value
      - .offset:         72
        .size:           4
        .value_kind:     by_value
      - .offset:         80
        .size:           8
        .value_kind:     by_value
      - .offset:         88
        .size:           8
        .value_kind:     by_value
      - .offset:         96
        .size:           8
        .value_kind:     by_value
      - .address_space:  global
        .offset:         104
        .size:           8
        .value_kind:     global_buffer
      - .offset:         112
        .size:           8
        .value_kind:     by_value
      - .offset:         120
        .size:           4
        .value_kind:     by_value
      - .offset:         128
        .size:           8
        .value_kind:     by_value
      - .offset:         136
        .size:           4
        .value_kind:     by_value
    .group_segment_fixed_size: 256
    .kernarg_segment_align: 8
    .kernarg_segment_size: 140
    .language:       OpenCL C
    .language_version:
      - 2
      - 0
    .max_flat_workgroup_size: 256
    .name:           _ZL32rocblas_gemvt_warp_reduce_kernelILb0ELi256EiPKddKPdEviiT3_lPKT2_lT1_lS7_lS8_lS4_lPT4_lS8_li
    .private_segment_fixed_size: 0
    .sgpr_count:     26
    .sgpr_spill_count: 0
    .symbol:         _ZL32rocblas_gemvt_warp_reduce_kernelILb0ELi256EiPKddKPdEviiT3_lPKT2_lT1_lS7_lS8_lS4_lPT4_lS8_li.kd
    .uniform_work_group_size: 1
    .uses_dynamic_stack: false
    .vgpr_count:     14
    .vgpr_spill_count: 0
    .wavefront_size: 32
    .workgroup_processor_mode: 1
  - .args:
      - .offset:         0
        .size:           4
        .value_kind:     by_value
      - .offset:         4
        .size:           4
        .value_kind:     by_value
      - .offset:         8
        .size:           8
        .value_kind:     by_value
      - .offset:         16
        .size:           8
        .value_kind:     by_value
      - .address_space:  global
        .offset:         24
        .size:           8
        .value_kind:     global_buffer
      - .offset:         32
        .size:           8
        .value_kind:     by_value
      - .offset:         40
        .size:           8
        .value_kind:     by_value
      - .offset:         48
        .size:           8
        .value_kind:     by_value
      - .address_space:  global
        .offset:         56
        .size:           8
        .value_kind:     global_buffer
      - .offset:         64
        .size:           8
        .value_kind:     by_value
      - .offset:         72
        .size:           8
        .value_kind:     by_value
      - .offset:         80
        .size:           8
        .value_kind:     by_value
      - .offset:         88
        .size:           8
        .value_kind:     by_value
      - .offset:         96
        .size:           8
        .value_kind:     by_value
      - .address_space:  global
        .offset:         104
        .size:           8
        .value_kind:     global_buffer
      - .offset:         112
        .size:           8
        .value_kind:     by_value
      - .offset:         120
        .size:           8
        .value_kind:     by_value
      - .offset:         128
        .size:           8
        .value_kind:     by_value
      - .offset:         136
        .size:           4
        .value_kind:     by_value
    .group_segment_fixed_size: 256
    .kernarg_segment_align: 8
    .kernarg_segment_size: 140
    .language:       OpenCL C
    .language_version:
      - 2
      - 0
    .max_flat_workgroup_size: 256
    .name:           _ZL32rocblas_gemvt_warp_reduce_kernelILb0ELi256ElPKddKPdEviiT3_lPKT2_lT1_lS7_lS8_lS4_lPT4_lS8_li
    .private_segment_fixed_size: 0
    .sgpr_count:     30
    .sgpr_spill_count: 0
    .symbol:         _ZL32rocblas_gemvt_warp_reduce_kernelILb0ELi256ElPKddKPdEviiT3_lPKT2_lT1_lS7_lS8_lS4_lPT4_lS8_li.kd
    .uniform_work_group_size: 1
    .uses_dynamic_stack: false
    .vgpr_count:     14
    .vgpr_spill_count: 0
    .wavefront_size: 32
    .workgroup_processor_mode: 1
  - .args:
      - .offset:         0
        .size:           4
        .value_kind:     by_value
      - .offset:         4
        .size:           4
        .value_kind:     by_value
      - .address_space:  global
        .offset:         8
        .size:           8
        .value_kind:     global_buffer
      - .offset:         16
        .size:           8
        .value_kind:     by_value
      - .address_space:  global
        .offset:         24
        .size:           8
        .value_kind:     global_buffer
      - .offset:         32
        .size:           8
        .value_kind:     by_value
      - .offset:         40
        .size:           4
        .value_kind:     by_value
      - .offset:         48
        .size:           8
        .value_kind:     by_value
      - .address_space:  global
        .offset:         56
        .size:           8
        .value_kind:     global_buffer
      - .offset:         64
        .size:           8
        .value_kind:     by_value
      - .offset:         72
        .size:           4
        .value_kind:     by_value
      - .offset:         80
        .size:           8
        .value_kind:     by_value
      - .address_space:  global
        .offset:         88
        .size:           8
        .value_kind:     global_buffer
      - .offset:         96
        .size:           8
        .value_kind:     by_value
      - .address_space:  global
        .offset:         104
        .size:           8
        .value_kind:     global_buffer
      - .offset:         112
        .size:           8
        .value_kind:     by_value
      - .offset:         120
        .size:           4
        .value_kind:     by_value
      - .offset:         128
        .size:           8
        .value_kind:     by_value
      - .offset:         136
        .size:           4
        .value_kind:     by_value
    .group_segment_fixed_size: 2048
    .kernarg_segment_align: 8
    .kernarg_segment_size: 140
    .language:       OpenCL C
    .language_version:
      - 2
      - 0
    .max_flat_workgroup_size: 256
    .name:           _ZL20rocblas_gemvt_kernelILb0ELi256EPKdS1_KPdEviiT2_lPKT1_lilS7_lilS4_lPT3_lili
    .private_segment_fixed_size: 0
    .sgpr_count:     26
    .sgpr_spill_count: 0
    .symbol:         _ZL20rocblas_gemvt_kernelILb0ELi256EPKdS1_KPdEviiT2_lPKT1_lilS7_lilS4_lPT3_lili.kd
    .uniform_work_group_size: 1
    .uses_dynamic_stack: false
    .vgpr_count:     13
    .vgpr_spill_count: 0
    .wavefront_size: 32
    .workgroup_processor_mode: 1
  - .args:
      - .offset:         0
        .size:           4
        .value_kind:     by_value
      - .offset:         4
        .size:           4
        .value_kind:     by_value
      - .offset:         8
        .size:           8
        .value_kind:     by_value
      - .offset:         16
        .size:           8
        .value_kind:     by_value
      - .address_space:  global
        .offset:         24
        .size:           8
        .value_kind:     global_buffer
      - .offset:         32
        .size:           8
        .value_kind:     by_value
      - .offset:         40
        .size:           4
        .value_kind:     by_value
      - .offset:         48
        .size:           8
        .value_kind:     by_value
      - .address_space:  global
        .offset:         56
        .size:           8
        .value_kind:     global_buffer
      - .offset:         64
        .size:           8
        .value_kind:     by_value
      - .offset:         72
        .size:           4
        .value_kind:     by_value
      - .offset:         80
        .size:           8
        .value_kind:     by_value
      - .offset:         88
        .size:           8
        .value_kind:     by_value
      - .offset:         96
        .size:           8
        .value_kind:     by_value
      - .address_space:  global
        .offset:         104
        .size:           8
        .value_kind:     global_buffer
      - .offset:         112
        .size:           8
        .value_kind:     by_value
      - .offset:         120
        .size:           4
        .value_kind:     by_value
      - .offset:         128
        .size:           8
        .value_kind:     by_value
      - .offset:         136
        .size:           4
        .value_kind:     by_value
    .group_segment_fixed_size: 2048
    .kernarg_segment_align: 8
    .kernarg_segment_size: 140
    .language:       OpenCL C
    .language_version:
      - 2
      - 0
    .max_flat_workgroup_size: 256
    .name:           _ZL20rocblas_gemvt_kernelILb0ELi256EPKddKPdEviiT2_lPKT1_lilS7_lilS4_lPT3_lili
    .private_segment_fixed_size: 0
    .sgpr_count:     26
    .sgpr_spill_count: 0
    .symbol:         _ZL20rocblas_gemvt_kernelILb0ELi256EPKddKPdEviiT2_lPKT1_lilS7_lilS4_lPT3_lili.kd
    .uniform_work_group_size: 1
    .uses_dynamic_stack: false
    .vgpr_count:     13
    .vgpr_spill_count: 0
    .wavefront_size: 32
    .workgroup_processor_mode: 1
  - .args:
      - .offset:         0
        .size:           4
        .value_kind:     by_value
      - .offset:         4
        .size:           4
        .value_kind:     by_value
      - .address_space:  global
        .offset:         8
        .size:           8
        .value_kind:     global_buffer
      - .offset:         16
        .size:           8
        .value_kind:     by_value
      - .address_space:  global
        .offset:         24
        .size:           8
        .value_kind:     global_buffer
      - .offset:         32
        .size:           8
        .value_kind:     by_value
      - .offset:         40
        .size:           4
        .value_kind:     by_value
      - .offset:         48
        .size:           8
        .value_kind:     by_value
      - .address_space:  global
        .offset:         56
        .size:           8
        .value_kind:     global_buffer
      - .offset:         64
        .size:           8
        .value_kind:     by_value
      - .offset:         72
        .size:           4
        .value_kind:     by_value
      - .offset:         80
        .size:           8
        .value_kind:     by_value
      - .address_space:  global
        .offset:         88
        .size:           8
        .value_kind:     global_buffer
      - .offset:         96
        .size:           8
        .value_kind:     by_value
      - .address_space:  global
        .offset:         104
        .size:           8
        .value_kind:     global_buffer
      - .offset:         112
        .size:           8
        .value_kind:     by_value
      - .offset:         120
        .size:           4
        .value_kind:     by_value
      - .offset:         128
        .size:           8
        .value_kind:     by_value
      - .offset:         136
        .size:           4
        .value_kind:     by_value
    .group_segment_fixed_size: 256
    .kernarg_segment_align: 8
    .kernarg_segment_size: 140
    .language:       OpenCL C
    .language_version:
      - 2
      - 0
    .max_flat_workgroup_size: 1024
    .name:           _ZL32rocblas_gemvt_warp_reduce_kernelILb0ELi1024EiPKdS1_KPdEviiT3_lPKT2_lT1_lS7_lS8_lS4_lPT4_lS8_li
    .private_segment_fixed_size: 0
    .sgpr_count:     26
    .sgpr_spill_count: 0
    .symbol:         _ZL32rocblas_gemvt_warp_reduce_kernelILb0ELi1024EiPKdS1_KPdEviiT3_lPKT2_lT1_lS7_lS8_lS4_lPT4_lS8_li.kd
    .uniform_work_group_size: 1
    .uses_dynamic_stack: false
    .vgpr_count:     14
    .vgpr_spill_count: 0
    .wavefront_size: 32
    .workgroup_processor_mode: 1
  - .args:
      - .offset:         0
        .size:           4
        .value_kind:     by_value
      - .offset:         4
        .size:           4
        .value_kind:     by_value
      - .address_space:  global
        .offset:         8
        .size:           8
        .value_kind:     global_buffer
      - .offset:         16
        .size:           8
        .value_kind:     by_value
      - .address_space:  global
        .offset:         24
        .size:           8
        .value_kind:     global_buffer
      - .offset:         32
        .size:           8
        .value_kind:     by_value
      - .offset:         40
        .size:           8
        .value_kind:     by_value
      - .offset:         48
        .size:           8
        .value_kind:     by_value
      - .address_space:  global
        .offset:         56
        .size:           8
        .value_kind:     global_buffer
      - .offset:         64
        .size:           8
        .value_kind:     by_value
      - .offset:         72
        .size:           8
        .value_kind:     by_value
      - .offset:         80
        .size:           8
        .value_kind:     by_value
      - .address_space:  global
        .offset:         88
        .size:           8
        .value_kind:     global_buffer
      - .offset:         96
        .size:           8
        .value_kind:     by_value
      - .address_space:  global
        .offset:         104
        .size:           8
        .value_kind:     global_buffer
      - .offset:         112
        .size:           8
        .value_kind:     by_value
      - .offset:         120
        .size:           8
        .value_kind:     by_value
      - .offset:         128
        .size:           8
        .value_kind:     by_value
      - .offset:         136
        .size:           4
        .value_kind:     by_value
    .group_segment_fixed_size: 256
    .kernarg_segment_align: 8
    .kernarg_segment_size: 140
    .language:       OpenCL C
    .language_version:
      - 2
      - 0
    .max_flat_workgroup_size: 1024
    .name:           _ZL32rocblas_gemvt_warp_reduce_kernelILb0ELi1024ElPKdS1_KPdEviiT3_lPKT2_lT1_lS7_lS8_lS4_lPT4_lS8_li
    .private_segment_fixed_size: 0
    .sgpr_count:     31
    .sgpr_spill_count: 0
    .symbol:         _ZL32rocblas_gemvt_warp_reduce_kernelILb0ELi1024ElPKdS1_KPdEviiT3_lPKT2_lT1_lS7_lS8_lS4_lPT4_lS8_li.kd
    .uniform_work_group_size: 1
    .uses_dynamic_stack: false
    .vgpr_count:     14
    .vgpr_spill_count: 0
    .wavefront_size: 32
    .workgroup_processor_mode: 1
  - .args:
      - .offset:         0
        .size:           4
        .value_kind:     by_value
      - .offset:         4
        .size:           4
        .value_kind:     by_value
      - .offset:         8
        .size:           8
        .value_kind:     by_value
      - .offset:         16
        .size:           8
        .value_kind:     by_value
      - .address_space:  global
        .offset:         24
        .size:           8
        .value_kind:     global_buffer
      - .offset:         32
        .size:           8
        .value_kind:     by_value
      - .offset:         40
        .size:           4
        .value_kind:     by_value
      - .offset:         48
        .size:           8
        .value_kind:     by_value
      - .address_space:  global
        .offset:         56
        .size:           8
        .value_kind:     global_buffer
      - .offset:         64
        .size:           8
        .value_kind:     by_value
      - .offset:         72
        .size:           4
        .value_kind:     by_value
      - .offset:         80
        .size:           8
        .value_kind:     by_value
      - .offset:         88
        .size:           8
        .value_kind:     by_value
      - .offset:         96
        .size:           8
        .value_kind:     by_value
      - .address_space:  global
        .offset:         104
        .size:           8
        .value_kind:     global_buffer
      - .offset:         112
        .size:           8
        .value_kind:     by_value
      - .offset:         120
        .size:           4
        .value_kind:     by_value
      - .offset:         128
        .size:           8
        .value_kind:     by_value
      - .offset:         136
        .size:           4
        .value_kind:     by_value
    .group_segment_fixed_size: 256
    .kernarg_segment_align: 8
    .kernarg_segment_size: 140
    .language:       OpenCL C
    .language_version:
      - 2
      - 0
    .max_flat_workgroup_size: 1024
    .name:           _ZL32rocblas_gemvt_warp_reduce_kernelILb0ELi1024EiPKddKPdEviiT3_lPKT2_lT1_lS7_lS8_lS4_lPT4_lS8_li
    .private_segment_fixed_size: 0
    .sgpr_count:     26
    .sgpr_spill_count: 0
    .symbol:         _ZL32rocblas_gemvt_warp_reduce_kernelILb0ELi1024EiPKddKPdEviiT3_lPKT2_lT1_lS7_lS8_lS4_lPT4_lS8_li.kd
    .uniform_work_group_size: 1
    .uses_dynamic_stack: false
    .vgpr_count:     14
    .vgpr_spill_count: 0
    .wavefront_size: 32
    .workgroup_processor_mode: 1
  - .args:
      - .offset:         0
        .size:           4
        .value_kind:     by_value
      - .offset:         4
        .size:           4
        .value_kind:     by_value
      - .offset:         8
        .size:           8
        .value_kind:     by_value
      - .offset:         16
        .size:           8
        .value_kind:     by_value
      - .address_space:  global
        .offset:         24
        .size:           8
        .value_kind:     global_buffer
      - .offset:         32
        .size:           8
        .value_kind:     by_value
      - .offset:         40
        .size:           8
        .value_kind:     by_value
      - .offset:         48
        .size:           8
        .value_kind:     by_value
      - .address_space:  global
        .offset:         56
        .size:           8
        .value_kind:     global_buffer
      - .offset:         64
        .size:           8
        .value_kind:     by_value
      - .offset:         72
        .size:           8
        .value_kind:     by_value
      - .offset:         80
        .size:           8
        .value_kind:     by_value
      - .offset:         88
        .size:           8
        .value_kind:     by_value
      - .offset:         96
        .size:           8
        .value_kind:     by_value
      - .address_space:  global
        .offset:         104
        .size:           8
        .value_kind:     global_buffer
      - .offset:         112
        .size:           8
        .value_kind:     by_value
      - .offset:         120
        .size:           8
        .value_kind:     by_value
      - .offset:         128
        .size:           8
        .value_kind:     by_value
      - .offset:         136
        .size:           4
        .value_kind:     by_value
    .group_segment_fixed_size: 256
    .kernarg_segment_align: 8
    .kernarg_segment_size: 140
    .language:       OpenCL C
    .language_version:
      - 2
      - 0
    .max_flat_workgroup_size: 1024
    .name:           _ZL32rocblas_gemvt_warp_reduce_kernelILb0ELi1024ElPKddKPdEviiT3_lPKT2_lT1_lS7_lS8_lS4_lPT4_lS8_li
    .private_segment_fixed_size: 0
    .sgpr_count:     30
    .sgpr_spill_count: 0
    .symbol:         _ZL32rocblas_gemvt_warp_reduce_kernelILb0ELi1024ElPKddKPdEviiT3_lPKT2_lT1_lS7_lS8_lS4_lPT4_lS8_li.kd
    .uniform_work_group_size: 1
    .uses_dynamic_stack: false
    .vgpr_count:     14
    .vgpr_spill_count: 0
    .wavefront_size: 32
    .workgroup_processor_mode: 1
  - .args:
      - .offset:         0
        .size:           4
        .value_kind:     by_value
      - .offset:         4
        .size:           4
        .value_kind:     by_value
      - .address_space:  global
        .offset:         8
        .size:           8
        .value_kind:     global_buffer
      - .offset:         16
        .size:           8
        .value_kind:     by_value
      - .address_space:  global
        .offset:         24
        .size:           8
        .value_kind:     global_buffer
      - .offset:         32
        .size:           8
        .value_kind:     by_value
      - .offset:         40
        .size:           4
        .value_kind:     by_value
      - .offset:         48
        .size:           8
        .value_kind:     by_value
      - .address_space:  global
        .offset:         56
        .size:           8
        .value_kind:     global_buffer
      - .offset:         64
        .size:           8
        .value_kind:     by_value
      - .offset:         72
        .size:           4
        .value_kind:     by_value
      - .offset:         80
        .size:           8
        .value_kind:     by_value
      - .address_space:  global
        .offset:         88
        .size:           8
        .value_kind:     global_buffer
      - .offset:         96
        .size:           8
        .value_kind:     by_value
      - .address_space:  global
        .offset:         104
        .size:           8
        .value_kind:     global_buffer
      - .offset:         112
        .size:           8
        .value_kind:     by_value
      - .offset:         120
        .size:           4
        .value_kind:     by_value
      - .offset:         128
        .size:           8
        .value_kind:     by_value
    .group_segment_fixed_size: 512
    .kernarg_segment_align: 8
    .kernarg_segment_size: 136
    .language:       OpenCL C
    .language_version:
      - 2
      - 0
    .max_flat_workgroup_size: 256
    .name:           _ZL22rocblas_gemvtsm_kernelILb1ELi256EPKdS1_KPdEviiT2_lPKT1_lilS7_lilS4_lPT3_lil
    .private_segment_fixed_size: 0
    .sgpr_count:     24
    .sgpr_spill_count: 0
    .symbol:         _ZL22rocblas_gemvtsm_kernelILb1ELi256EPKdS1_KPdEviiT2_lPKT1_lilS7_lilS4_lPT3_lil.kd
    .uniform_work_group_size: 1
    .uses_dynamic_stack: false
    .vgpr_count:     34
    .vgpr_spill_count: 0
    .wavefront_size: 32
    .workgroup_processor_mode: 1
  - .args:
      - .offset:         0
        .size:           4
        .value_kind:     by_value
      - .offset:         4
        .size:           4
        .value_kind:     by_value
      - .offset:         8
        .size:           8
        .value_kind:     by_value
      - .offset:         16
        .size:           8
        .value_kind:     by_value
      - .address_space:  global
        .offset:         24
        .size:           8
        .value_kind:     global_buffer
      - .offset:         32
        .size:           8
        .value_kind:     by_value
      - .offset:         40
        .size:           4
        .value_kind:     by_value
      - .offset:         48
        .size:           8
        .value_kind:     by_value
      - .address_space:  global
        .offset:         56
        .size:           8
        .value_kind:     global_buffer
      - .offset:         64
        .size:           8
        .value_kind:     by_value
      - .offset:         72
        .size:           4
        .value_kind:     by_value
      - .offset:         80
        .size:           8
        .value_kind:     by_value
      - .offset:         88
        .size:           8
        .value_kind:     by_value
      - .offset:         96
        .size:           8
        .value_kind:     by_value
      - .address_space:  global
        .offset:         104
        .size:           8
        .value_kind:     global_buffer
      - .offset:         112
        .size:           8
        .value_kind:     by_value
      - .offset:         120
        .size:           4
        .value_kind:     by_value
      - .offset:         128
        .size:           8
        .value_kind:     by_value
    .group_segment_fixed_size: 512
    .kernarg_segment_align: 8
    .kernarg_segment_size: 136
    .language:       OpenCL C
    .language_version:
      - 2
      - 0
    .max_flat_workgroup_size: 256
    .name:           _ZL22rocblas_gemvtsm_kernelILb1ELi256EPKddKPdEviiT2_lPKT1_lilS7_lilS4_lPT3_lil
    .private_segment_fixed_size: 0
    .sgpr_count:     24
    .sgpr_spill_count: 0
    .symbol:         _ZL22rocblas_gemvtsm_kernelILb1ELi256EPKddKPdEviiT2_lPKT1_lilS7_lilS4_lPT3_lil.kd
    .uniform_work_group_size: 1
    .uses_dynamic_stack: false
    .vgpr_count:     34
    .vgpr_spill_count: 0
    .wavefront_size: 32
    .workgroup_processor_mode: 1
  - .args:
      - .offset:         0
        .size:           4
        .value_kind:     by_value
      - .offset:         4
        .size:           4
        .value_kind:     by_value
      - .address_space:  global
        .offset:         8
        .size:           8
        .value_kind:     global_buffer
      - .offset:         16
        .size:           8
        .value_kind:     by_value
      - .address_space:  global
        .offset:         24
        .size:           8
        .value_kind:     global_buffer
      - .offset:         32
        .size:           8
        .value_kind:     by_value
      - .offset:         40
        .size:           4
        .value_kind:     by_value
      - .offset:         48
        .size:           8
        .value_kind:     by_value
      - .address_space:  global
        .offset:         56
        .size:           8
        .value_kind:     global_buffer
      - .offset:         64
        .size:           8
        .value_kind:     by_value
      - .offset:         72
        .size:           4
        .value_kind:     by_value
      - .offset:         80
        .size:           8
        .value_kind:     by_value
      - .address_space:  global
        .offset:         88
        .size:           8
        .value_kind:     global_buffer
      - .offset:         96
        .size:           4
        .value_kind:     by_value
      - .offset:         104
        .size:           4
        .value_kind:     hidden_block_count_x
      - .offset:         108
        .size:           4
        .value_kind:     hidden_block_count_y
      - .offset:         112
        .size:           4
        .value_kind:     hidden_block_count_z
      - .offset:         116
        .size:           2
        .value_kind:     hidden_group_size_x
      - .offset:         118
        .size:           2
        .value_kind:     hidden_group_size_y
      - .offset:         120
        .size:           2
        .value_kind:     hidden_group_size_z
      - .offset:         122
        .size:           2
        .value_kind:     hidden_remainder_x
      - .offset:         124
        .size:           2
        .value_kind:     hidden_remainder_y
      - .offset:         126
        .size:           2
        .value_kind:     hidden_remainder_z
      - .offset:         144
        .size:           8
        .value_kind:     hidden_global_offset_x
      - .offset:         152
        .size:           8
        .value_kind:     hidden_global_offset_y
      - .offset:         160
        .size:           8
        .value_kind:     hidden_global_offset_z
      - .offset:         168
        .size:           2
        .value_kind:     hidden_grid_dims
    .group_segment_fixed_size: 256
    .kernarg_segment_align: 8
    .kernarg_segment_size: 360
    .language:       OpenCL C
    .language_version:
      - 2
      - 0
    .max_flat_workgroup_size: 256
    .name:           _ZL23rocblas_gemvt_sn_kernelILb1ELi256ELi4EiPKdS1_dEviiT4_lPKT3_lilS5_lilPT5_i
    .private_segment_fixed_size: 0
    .sgpr_count:     50
    .sgpr_spill_count: 0
    .symbol:         _ZL23rocblas_gemvt_sn_kernelILb1ELi256ELi4EiPKdS1_dEviiT4_lPKT3_lilS5_lilPT5_i.kd
    .uniform_work_group_size: 1
    .uses_dynamic_stack: false
    .vgpr_count:     66
    .vgpr_spill_count: 0
    .wavefront_size: 32
    .workgroup_processor_mode: 1
  - .args:
      - .offset:         0
        .size:           4
        .value_kind:     by_value
      - .offset:         4
        .size:           4
        .value_kind:     by_value
      - .address_space:  global
        .offset:         8
        .size:           8
        .value_kind:     global_buffer
      - .offset:         16
        .size:           8
        .value_kind:     by_value
      - .address_space:  global
        .offset:         24
        .size:           8
        .value_kind:     global_buffer
      - .offset:         32
        .size:           8
        .value_kind:     by_value
      - .offset:         40
        .size:           4
        .value_kind:     by_value
      - .offset:         48
        .size:           8
        .value_kind:     by_value
      - .address_space:  global
        .offset:         56
        .size:           8
        .value_kind:     global_buffer
      - .offset:         64
        .size:           8
        .value_kind:     by_value
      - .offset:         72
        .size:           4
        .value_kind:     by_value
      - .offset:         80
        .size:           8
        .value_kind:     by_value
      - .address_space:  global
        .offset:         88
        .size:           8
        .value_kind:     global_buffer
      - .offset:         96
        .size:           4
        .value_kind:     by_value
      - .offset:         104
        .size:           4
        .value_kind:     hidden_block_count_x
      - .offset:         108
        .size:           4
        .value_kind:     hidden_block_count_y
      - .offset:         112
        .size:           4
        .value_kind:     hidden_block_count_z
      - .offset:         116
        .size:           2
        .value_kind:     hidden_group_size_x
      - .offset:         118
        .size:           2
        .value_kind:     hidden_group_size_y
      - .offset:         120
        .size:           2
        .value_kind:     hidden_group_size_z
      - .offset:         122
        .size:           2
        .value_kind:     hidden_remainder_x
      - .offset:         124
        .size:           2
        .value_kind:     hidden_remainder_y
      - .offset:         126
        .size:           2
        .value_kind:     hidden_remainder_z
      - .offset:         144
        .size:           8
        .value_kind:     hidden_global_offset_x
      - .offset:         152
        .size:           8
        .value_kind:     hidden_global_offset_y
      - .offset:         160
        .size:           8
        .value_kind:     hidden_global_offset_z
      - .offset:         168
        .size:           2
        .value_kind:     hidden_grid_dims
    .group_segment_fixed_size: 256
    .kernarg_segment_align: 8
    .kernarg_segment_size: 360
    .language:       OpenCL C
    .language_version:
      - 2
      - 0
    .max_flat_workgroup_size: 256
    .name:           _ZL23rocblas_gemvt_sn_kernelILb1ELi256ELi4ElPKdS1_dEviiT4_lPKT3_lilS5_lilPT5_i
    .private_segment_fixed_size: 0
    .sgpr_count:     55
    .sgpr_spill_count: 0
    .symbol:         _ZL23rocblas_gemvt_sn_kernelILb1ELi256ELi4ElPKdS1_dEviiT4_lPKT3_lilS5_lilPT5_i.kd
    .uniform_work_group_size: 1
    .uses_dynamic_stack: false
    .vgpr_count:     73
    .vgpr_spill_count: 0
    .wavefront_size: 32
    .workgroup_processor_mode: 1
  - .args:
      - .offset:         0
        .size:           4
        .value_kind:     by_value
      - .offset:         4
        .size:           4
        .value_kind:     by_value
      - .offset:         8
        .size:           8
        .value_kind:     by_value
      - .offset:         16
        .size:           8
        .value_kind:     by_value
      - .address_space:  global
        .offset:         24
        .size:           8
        .value_kind:     global_buffer
      - .offset:         32
        .size:           8
        .value_kind:     by_value
      - .offset:         40
        .size:           4
        .value_kind:     by_value
      - .offset:         48
        .size:           8
        .value_kind:     by_value
      - .address_space:  global
        .offset:         56
        .size:           8
        .value_kind:     global_buffer
      - .offset:         64
        .size:           8
        .value_kind:     by_value
      - .offset:         72
        .size:           4
        .value_kind:     by_value
      - .offset:         80
        .size:           8
        .value_kind:     by_value
      - .address_space:  global
        .offset:         88
        .size:           8
        .value_kind:     global_buffer
      - .offset:         96
        .size:           4
        .value_kind:     by_value
      - .offset:         104
        .size:           4
        .value_kind:     hidden_block_count_x
      - .offset:         108
        .size:           4
        .value_kind:     hidden_block_count_y
      - .offset:         112
        .size:           4
        .value_kind:     hidden_block_count_z
      - .offset:         116
        .size:           2
        .value_kind:     hidden_group_size_x
      - .offset:         118
        .size:           2
        .value_kind:     hidden_group_size_y
      - .offset:         120
        .size:           2
        .value_kind:     hidden_group_size_z
      - .offset:         122
        .size:           2
        .value_kind:     hidden_remainder_x
      - .offset:         124
        .size:           2
        .value_kind:     hidden_remainder_y
      - .offset:         126
        .size:           2
        .value_kind:     hidden_remainder_z
      - .offset:         144
        .size:           8
        .value_kind:     hidden_global_offset_x
      - .offset:         152
        .size:           8
        .value_kind:     hidden_global_offset_y
      - .offset:         160
        .size:           8
        .value_kind:     hidden_global_offset_z
      - .offset:         168
        .size:           2
        .value_kind:     hidden_grid_dims
    .group_segment_fixed_size: 256
    .kernarg_segment_align: 8
    .kernarg_segment_size: 360
    .language:       OpenCL C
    .language_version:
      - 2
      - 0
    .max_flat_workgroup_size: 256
    .name:           _ZL23rocblas_gemvt_sn_kernelILb1ELi256ELi4EiPKdddEviiT4_lPKT3_lilS5_lilPT5_i
    .private_segment_fixed_size: 0
    .sgpr_count:     50
    .sgpr_spill_count: 0
    .symbol:         _ZL23rocblas_gemvt_sn_kernelILb1ELi256ELi4EiPKdddEviiT4_lPKT3_lilS5_lilPT5_i.kd
    .uniform_work_group_size: 1
    .uses_dynamic_stack: false
    .vgpr_count:     66
    .vgpr_spill_count: 0
    .wavefront_size: 32
    .workgroup_processor_mode: 1
  - .args:
      - .offset:         0
        .size:           4
        .value_kind:     by_value
      - .offset:         4
        .size:           4
        .value_kind:     by_value
      - .offset:         8
        .size:           8
        .value_kind:     by_value
      - .offset:         16
        .size:           8
        .value_kind:     by_value
      - .address_space:  global
        .offset:         24
        .size:           8
        .value_kind:     global_buffer
      - .offset:         32
        .size:           8
        .value_kind:     by_value
      - .offset:         40
        .size:           4
        .value_kind:     by_value
      - .offset:         48
        .size:           8
        .value_kind:     by_value
      - .address_space:  global
        .offset:         56
        .size:           8
        .value_kind:     global_buffer
      - .offset:         64
        .size:           8
        .value_kind:     by_value
      - .offset:         72
        .size:           4
        .value_kind:     by_value
      - .offset:         80
        .size:           8
        .value_kind:     by_value
      - .address_space:  global
        .offset:         88
        .size:           8
        .value_kind:     global_buffer
      - .offset:         96
        .size:           4
        .value_kind:     by_value
      - .offset:         104
        .size:           4
        .value_kind:     hidden_block_count_x
      - .offset:         108
        .size:           4
        .value_kind:     hidden_block_count_y
      - .offset:         112
        .size:           4
        .value_kind:     hidden_block_count_z
      - .offset:         116
        .size:           2
        .value_kind:     hidden_group_size_x
      - .offset:         118
        .size:           2
        .value_kind:     hidden_group_size_y
      - .offset:         120
        .size:           2
        .value_kind:     hidden_group_size_z
      - .offset:         122
        .size:           2
        .value_kind:     hidden_remainder_x
      - .offset:         124
        .size:           2
        .value_kind:     hidden_remainder_y
      - .offset:         126
        .size:           2
        .value_kind:     hidden_remainder_z
      - .offset:         144
        .size:           8
        .value_kind:     hidden_global_offset_x
      - .offset:         152
        .size:           8
        .value_kind:     hidden_global_offset_y
      - .offset:         160
        .size:           8
        .value_kind:     hidden_global_offset_z
      - .offset:         168
        .size:           2
        .value_kind:     hidden_grid_dims
    .group_segment_fixed_size: 256
    .kernarg_segment_align: 8
    .kernarg_segment_size: 360
    .language:       OpenCL C
    .language_version:
      - 2
      - 0
    .max_flat_workgroup_size: 256
    .name:           _ZL23rocblas_gemvt_sn_kernelILb1ELi256ELi4ElPKdddEviiT4_lPKT3_lilS5_lilPT5_i
    .private_segment_fixed_size: 0
    .sgpr_count:     55
    .sgpr_spill_count: 0
    .symbol:         _ZL23rocblas_gemvt_sn_kernelILb1ELi256ELi4ElPKdddEviiT4_lPKT3_lilS5_lilPT5_i.kd
    .uniform_work_group_size: 1
    .uses_dynamic_stack: false
    .vgpr_count:     73
    .vgpr_spill_count: 0
    .wavefront_size: 32
    .workgroup_processor_mode: 1
  - .args:
      - .offset:         0
        .size:           4
        .value_kind:     by_value
      - .offset:         4
        .size:           4
        .value_kind:     by_value
      - .address_space:  global
        .offset:         8
        .size:           8
        .value_kind:     global_buffer
      - .offset:         16
        .size:           8
        .value_kind:     by_value
      - .address_space:  global
        .offset:         24
        .size:           8
        .value_kind:     global_buffer
      - .offset:         32
        .size:           8
        .value_kind:     by_value
      - .offset:         40
        .size:           4
        .value_kind:     by_value
      - .offset:         48
        .size:           8
        .value_kind:     by_value
      - .address_space:  global
        .offset:         56
        .size:           8
        .value_kind:     global_buffer
      - .offset:         64
        .size:           8
        .value_kind:     by_value
      - .offset:         72
        .size:           4
        .value_kind:     by_value
      - .offset:         80
        .size:           8
        .value_kind:     by_value
      - .address_space:  global
        .offset:         88
        .size:           8
        .value_kind:     global_buffer
      - .offset:         96
        .size:           8
        .value_kind:     by_value
      - .offset:         104
        .size:           4
        .value_kind:     by_value
      - .offset:         112
        .size:           8
        .value_kind:     by_value
      - .offset:         120
        .size:           4
        .value_kind:     by_value
      - .offset:         128
        .size:           4
        .value_kind:     hidden_block_count_x
      - .offset:         132
        .size:           4
        .value_kind:     hidden_block_count_y
      - .offset:         136
        .size:           4
        .value_kind:     hidden_block_count_z
      - .offset:         140
        .size:           2
        .value_kind:     hidden_group_size_x
      - .offset:         142
        .size:           2
        .value_kind:     hidden_group_size_y
      - .offset:         144
        .size:           2
        .value_kind:     hidden_group_size_z
      - .offset:         146
        .size:           2
        .value_kind:     hidden_remainder_x
      - .offset:         148
        .size:           2
        .value_kind:     hidden_remainder_y
      - .offset:         150
        .size:           2
        .value_kind:     hidden_remainder_z
      - .offset:         168
        .size:           8
        .value_kind:     hidden_global_offset_x
      - .offset:         176
        .size:           8
        .value_kind:     hidden_global_offset_y
      - .offset:         184
        .size:           8
        .value_kind:     hidden_global_offset_z
      - .offset:         192
        .size:           2
        .value_kind:     hidden_grid_dims
    .group_segment_fixed_size: 65536
    .kernarg_segment_align: 8
    .kernarg_segment_size: 384
    .language:       OpenCL C
    .language_version:
      - 2
      - 0
    .max_flat_workgroup_size: 512
    .name:           _ZL36rocblas_gemvt_double_buffered_kernelILb1ELi128ELi4ELi16EPKdS1_KPdEviiT4_lPKT3_lilS7_lilPT5_lili
    .private_segment_fixed_size: 0
    .sgpr_count:     30
    .sgpr_spill_count: 0
    .symbol:         _ZL36rocblas_gemvt_double_buffered_kernelILb1ELi128ELi4ELi16EPKdS1_KPdEviiT4_lPKT3_lilS7_lilPT5_lili.kd
    .uniform_work_group_size: 1
    .uses_dynamic_stack: false
    .vgpr_count:     174
    .vgpr_spill_count: 0
    .wavefront_size: 32
    .workgroup_processor_mode: 1
  - .args:
      - .offset:         0
        .size:           4
        .value_kind:     by_value
      - .offset:         4
        .size:           4
        .value_kind:     by_value
      - .offset:         8
        .size:           8
        .value_kind:     by_value
      - .offset:         16
        .size:           8
        .value_kind:     by_value
      - .address_space:  global
        .offset:         24
        .size:           8
        .value_kind:     global_buffer
      - .offset:         32
        .size:           8
        .value_kind:     by_value
      - .offset:         40
        .size:           4
        .value_kind:     by_value
      - .offset:         48
        .size:           8
        .value_kind:     by_value
      - .address_space:  global
        .offset:         56
        .size:           8
        .value_kind:     global_buffer
      - .offset:         64
        .size:           8
        .value_kind:     by_value
      - .offset:         72
        .size:           4
        .value_kind:     by_value
      - .offset:         80
        .size:           8
        .value_kind:     by_value
      - .address_space:  global
        .offset:         88
        .size:           8
        .value_kind:     global_buffer
      - .offset:         96
        .size:           8
        .value_kind:     by_value
      - .offset:         104
        .size:           4
        .value_kind:     by_value
      - .offset:         112
        .size:           8
        .value_kind:     by_value
      - .offset:         120
        .size:           4
        .value_kind:     by_value
      - .offset:         128
        .size:           4
        .value_kind:     hidden_block_count_x
      - .offset:         132
        .size:           4
        .value_kind:     hidden_block_count_y
      - .offset:         136
        .size:           4
        .value_kind:     hidden_block_count_z
      - .offset:         140
        .size:           2
        .value_kind:     hidden_group_size_x
      - .offset:         142
        .size:           2
        .value_kind:     hidden_group_size_y
      - .offset:         144
        .size:           2
        .value_kind:     hidden_group_size_z
      - .offset:         146
        .size:           2
        .value_kind:     hidden_remainder_x
      - .offset:         148
        .size:           2
        .value_kind:     hidden_remainder_y
      - .offset:         150
        .size:           2
        .value_kind:     hidden_remainder_z
      - .offset:         168
        .size:           8
        .value_kind:     hidden_global_offset_x
      - .offset:         176
        .size:           8
        .value_kind:     hidden_global_offset_y
      - .offset:         184
        .size:           8
        .value_kind:     hidden_global_offset_z
      - .offset:         192
        .size:           2
        .value_kind:     hidden_grid_dims
    .group_segment_fixed_size: 65536
    .kernarg_segment_align: 8
    .kernarg_segment_size: 384
    .language:       OpenCL C
    .language_version:
      - 2
      - 0
    .max_flat_workgroup_size: 512
    .name:           _ZL36rocblas_gemvt_double_buffered_kernelILb1ELi128ELi4ELi16EPKddKPdEviiT4_lPKT3_lilS7_lilPT5_lili
    .private_segment_fixed_size: 0
    .sgpr_count:     31
    .sgpr_spill_count: 0
    .symbol:         _ZL36rocblas_gemvt_double_buffered_kernelILb1ELi128ELi4ELi16EPKddKPdEviiT4_lPKT3_lilS7_lilPT5_lili.kd
    .uniform_work_group_size: 1
    .uses_dynamic_stack: false
    .vgpr_count:     174
    .vgpr_spill_count: 0
    .wavefront_size: 32
    .workgroup_processor_mode: 1
  - .args:
      - .offset:         0
        .size:           4
        .value_kind:     by_value
      - .offset:         4
        .size:           4
        .value_kind:     by_value
      - .address_space:  global
        .offset:         8
        .size:           8
        .value_kind:     global_buffer
      - .offset:         16
        .size:           8
        .value_kind:     by_value
      - .address_space:  global
        .offset:         24
        .size:           8
        .value_kind:     global_buffer
      - .offset:         32
        .size:           8
        .value_kind:     by_value
      - .offset:         40
        .size:           4
        .value_kind:     by_value
      - .offset:         48
        .size:           8
        .value_kind:     by_value
      - .address_space:  global
        .offset:         56
        .size:           8
        .value_kind:     global_buffer
      - .offset:         64
        .size:           8
        .value_kind:     by_value
      - .offset:         72
        .size:           4
        .value_kind:     by_value
      - .offset:         80
        .size:           8
        .value_kind:     by_value
      - .address_space:  global
        .offset:         88
        .size:           8
        .value_kind:     global_buffer
      - .offset:         96
        .size:           8
        .value_kind:     by_value
      - .address_space:  global
        .offset:         104
        .size:           8
        .value_kind:     global_buffer
      - .offset:         112
        .size:           8
        .value_kind:     by_value
      - .offset:         120
        .size:           4
        .value_kind:     by_value
      - .offset:         128
        .size:           8
        .value_kind:     by_value
      - .offset:         136
        .size:           4
        .value_kind:     by_value
    .group_segment_fixed_size: 2048
    .kernarg_segment_align: 8
    .kernarg_segment_size: 140
    .language:       OpenCL C
    .language_version:
      - 2
      - 0
    .max_flat_workgroup_size: 256
    .name:           _ZL20rocblas_gemvt_kernelILb1ELi256EPKdS1_KPdEviiT2_lPKT1_lilS7_lilS4_lPT3_lili
    .private_segment_fixed_size: 0
    .sgpr_count:     26
    .sgpr_spill_count: 0
    .symbol:         _ZL20rocblas_gemvt_kernelILb1ELi256EPKdS1_KPdEviiT2_lPKT1_lilS7_lilS4_lPT3_lili.kd
    .uniform_work_group_size: 1
    .uses_dynamic_stack: false
    .vgpr_count:     13
    .vgpr_spill_count: 0
    .wavefront_size: 32
    .workgroup_processor_mode: 1
  - .args:
      - .offset:         0
        .size:           4
        .value_kind:     by_value
      - .offset:         4
        .size:           4
        .value_kind:     by_value
      - .offset:         8
        .size:           8
        .value_kind:     by_value
      - .offset:         16
        .size:           8
        .value_kind:     by_value
      - .address_space:  global
        .offset:         24
        .size:           8
        .value_kind:     global_buffer
      - .offset:         32
        .size:           8
        .value_kind:     by_value
      - .offset:         40
        .size:           4
        .value_kind:     by_value
      - .offset:         48
        .size:           8
        .value_kind:     by_value
      - .address_space:  global
        .offset:         56
        .size:           8
        .value_kind:     global_buffer
      - .offset:         64
        .size:           8
        .value_kind:     by_value
      - .offset:         72
        .size:           4
        .value_kind:     by_value
      - .offset:         80
        .size:           8
        .value_kind:     by_value
      - .offset:         88
        .size:           8
        .value_kind:     by_value
      - .offset:         96
        .size:           8
        .value_kind:     by_value
      - .address_space:  global
        .offset:         104
        .size:           8
        .value_kind:     global_buffer
      - .offset:         112
        .size:           8
        .value_kind:     by_value
      - .offset:         120
        .size:           4
        .value_kind:     by_value
      - .offset:         128
        .size:           8
        .value_kind:     by_value
      - .offset:         136
        .size:           4
        .value_kind:     by_value
    .group_segment_fixed_size: 2048
    .kernarg_segment_align: 8
    .kernarg_segment_size: 140
    .language:       OpenCL C
    .language_version:
      - 2
      - 0
    .max_flat_workgroup_size: 256
    .name:           _ZL20rocblas_gemvt_kernelILb1ELi256EPKddKPdEviiT2_lPKT1_lilS7_lilS4_lPT3_lili
    .private_segment_fixed_size: 0
    .sgpr_count:     26
    .sgpr_spill_count: 0
    .symbol:         _ZL20rocblas_gemvt_kernelILb1ELi256EPKddKPdEviiT2_lPKT1_lilS7_lilS4_lPT3_lili.kd
    .uniform_work_group_size: 1
    .uses_dynamic_stack: false
    .vgpr_count:     13
    .vgpr_spill_count: 0
    .wavefront_size: 32
    .workgroup_processor_mode: 1
  - .args:
      - .offset:         0
        .size:           4
        .value_kind:     by_value
      - .offset:         4
        .size:           4
        .value_kind:     by_value
      - .address_space:  global
        .offset:         8
        .size:           8
        .value_kind:     global_buffer
      - .offset:         16
        .size:           8
        .value_kind:     by_value
      - .address_space:  global
        .offset:         24
        .size:           8
        .value_kind:     global_buffer
      - .offset:         32
        .size:           8
        .value_kind:     by_value
      - .offset:         40
        .size:           4
        .value_kind:     by_value
      - .offset:         48
        .size:           8
        .value_kind:     by_value
      - .address_space:  global
        .offset:         56
        .size:           8
        .value_kind:     global_buffer
      - .offset:         64
        .size:           8
        .value_kind:     by_value
      - .offset:         72
        .size:           4
        .value_kind:     by_value
      - .offset:         80
        .size:           8
        .value_kind:     by_value
      - .address_space:  global
        .offset:         88
        .size:           8
        .value_kind:     global_buffer
      - .offset:         96
        .size:           8
        .value_kind:     by_value
      - .address_space:  global
        .offset:         104
        .size:           8
        .value_kind:     global_buffer
      - .offset:         112
        .size:           8
        .value_kind:     by_value
      - .offset:         120
        .size:           4
        .value_kind:     by_value
      - .offset:         128
        .size:           8
        .value_kind:     by_value
      - .offset:         136
        .size:           4
        .value_kind:     by_value
    .group_segment_fixed_size: 256
    .kernarg_segment_align: 8
    .kernarg_segment_size: 140
    .language:       OpenCL C
    .language_version:
      - 2
      - 0
    .max_flat_workgroup_size: 1024
    .name:           _ZL32rocblas_gemvt_warp_reduce_kernelILb1ELi1024EiPKdS1_KPdEviiT3_lPKT2_lT1_lS7_lS8_lS4_lPT4_lS8_li
    .private_segment_fixed_size: 0
    .sgpr_count:     26
    .sgpr_spill_count: 0
    .symbol:         _ZL32rocblas_gemvt_warp_reduce_kernelILb1ELi1024EiPKdS1_KPdEviiT3_lPKT2_lT1_lS7_lS8_lS4_lPT4_lS8_li.kd
    .uniform_work_group_size: 1
    .uses_dynamic_stack: false
    .vgpr_count:     14
    .vgpr_spill_count: 0
    .wavefront_size: 32
    .workgroup_processor_mode: 1
  - .args:
      - .offset:         0
        .size:           4
        .value_kind:     by_value
      - .offset:         4
        .size:           4
        .value_kind:     by_value
      - .address_space:  global
        .offset:         8
        .size:           8
        .value_kind:     global_buffer
      - .offset:         16
        .size:           8
        .value_kind:     by_value
      - .address_space:  global
        .offset:         24
        .size:           8
        .value_kind:     global_buffer
      - .offset:         32
        .size:           8
        .value_kind:     by_value
      - .offset:         40
        .size:           8
        .value_kind:     by_value
      - .offset:         48
        .size:           8
        .value_kind:     by_value
      - .address_space:  global
        .offset:         56
        .size:           8
        .value_kind:     global_buffer
      - .offset:         64
        .size:           8
        .value_kind:     by_value
      - .offset:         72
        .size:           8
        .value_kind:     by_value
      - .offset:         80
        .size:           8
        .value_kind:     by_value
      - .address_space:  global
        .offset:         88
        .size:           8
        .value_kind:     global_buffer
      - .offset:         96
        .size:           8
        .value_kind:     by_value
      - .address_space:  global
        .offset:         104
        .size:           8
        .value_kind:     global_buffer
      - .offset:         112
        .size:           8
        .value_kind:     by_value
      - .offset:         120
        .size:           8
        .value_kind:     by_value
      - .offset:         128
        .size:           8
        .value_kind:     by_value
      - .offset:         136
        .size:           4
        .value_kind:     by_value
    .group_segment_fixed_size: 256
    .kernarg_segment_align: 8
    .kernarg_segment_size: 140
    .language:       OpenCL C
    .language_version:
      - 2
      - 0
    .max_flat_workgroup_size: 1024
    .name:           _ZL32rocblas_gemvt_warp_reduce_kernelILb1ELi1024ElPKdS1_KPdEviiT3_lPKT2_lT1_lS7_lS8_lS4_lPT4_lS8_li
    .private_segment_fixed_size: 0
    .sgpr_count:     31
    .sgpr_spill_count: 0
    .symbol:         _ZL32rocblas_gemvt_warp_reduce_kernelILb1ELi1024ElPKdS1_KPdEviiT3_lPKT2_lT1_lS7_lS8_lS4_lPT4_lS8_li.kd
    .uniform_work_group_size: 1
    .uses_dynamic_stack: false
    .vgpr_count:     14
    .vgpr_spill_count: 0
    .wavefront_size: 32
    .workgroup_processor_mode: 1
  - .args:
      - .offset:         0
        .size:           4
        .value_kind:     by_value
      - .offset:         4
        .size:           4
        .value_kind:     by_value
      - .offset:         8
        .size:           8
        .value_kind:     by_value
      - .offset:         16
        .size:           8
        .value_kind:     by_value
      - .address_space:  global
        .offset:         24
        .size:           8
        .value_kind:     global_buffer
      - .offset:         32
        .size:           8
        .value_kind:     by_value
      - .offset:         40
        .size:           4
        .value_kind:     by_value
      - .offset:         48
        .size:           8
        .value_kind:     by_value
      - .address_space:  global
        .offset:         56
        .size:           8
        .value_kind:     global_buffer
      - .offset:         64
        .size:           8
        .value_kind:     by_value
      - .offset:         72
        .size:           4
        .value_kind:     by_value
      - .offset:         80
        .size:           8
        .value_kind:     by_value
      - .offset:         88
        .size:           8
        .value_kind:     by_value
      - .offset:         96
        .size:           8
        .value_kind:     by_value
      - .address_space:  global
        .offset:         104
        .size:           8
        .value_kind:     global_buffer
      - .offset:         112
        .size:           8
        .value_kind:     by_value
      - .offset:         120
        .size:           4
        .value_kind:     by_value
      - .offset:         128
        .size:           8
        .value_kind:     by_value
      - .offset:         136
        .size:           4
        .value_kind:     by_value
    .group_segment_fixed_size: 256
    .kernarg_segment_align: 8
    .kernarg_segment_size: 140
    .language:       OpenCL C
    .language_version:
      - 2
      - 0
    .max_flat_workgroup_size: 1024
    .name:           _ZL32rocblas_gemvt_warp_reduce_kernelILb1ELi1024EiPKddKPdEviiT3_lPKT2_lT1_lS7_lS8_lS4_lPT4_lS8_li
    .private_segment_fixed_size: 0
    .sgpr_count:     26
    .sgpr_spill_count: 0
    .symbol:         _ZL32rocblas_gemvt_warp_reduce_kernelILb1ELi1024EiPKddKPdEviiT3_lPKT2_lT1_lS7_lS8_lS4_lPT4_lS8_li.kd
    .uniform_work_group_size: 1
    .uses_dynamic_stack: false
    .vgpr_count:     14
    .vgpr_spill_count: 0
    .wavefront_size: 32
    .workgroup_processor_mode: 1
  - .args:
      - .offset:         0
        .size:           4
        .value_kind:     by_value
      - .offset:         4
        .size:           4
        .value_kind:     by_value
      - .offset:         8
        .size:           8
        .value_kind:     by_value
      - .offset:         16
        .size:           8
        .value_kind:     by_value
      - .address_space:  global
        .offset:         24
        .size:           8
        .value_kind:     global_buffer
      - .offset:         32
        .size:           8
        .value_kind:     by_value
      - .offset:         40
        .size:           8
        .value_kind:     by_value
      - .offset:         48
        .size:           8
        .value_kind:     by_value
      - .address_space:  global
        .offset:         56
        .size:           8
        .value_kind:     global_buffer
      - .offset:         64
        .size:           8
        .value_kind:     by_value
      - .offset:         72
        .size:           8
        .value_kind:     by_value
      - .offset:         80
        .size:           8
        .value_kind:     by_value
      - .offset:         88
        .size:           8
        .value_kind:     by_value
      - .offset:         96
        .size:           8
        .value_kind:     by_value
      - .address_space:  global
        .offset:         104
        .size:           8
        .value_kind:     global_buffer
      - .offset:         112
        .size:           8
        .value_kind:     by_value
      - .offset:         120
        .size:           8
        .value_kind:     by_value
      - .offset:         128
        .size:           8
        .value_kind:     by_value
      - .offset:         136
        .size:           4
        .value_kind:     by_value
    .group_segment_fixed_size: 256
    .kernarg_segment_align: 8
    .kernarg_segment_size: 140
    .language:       OpenCL C
    .language_version:
      - 2
      - 0
    .max_flat_workgroup_size: 1024
    .name:           _ZL32rocblas_gemvt_warp_reduce_kernelILb1ELi1024ElPKddKPdEviiT3_lPKT2_lT1_lS7_lS8_lS4_lPT4_lS8_li
    .private_segment_fixed_size: 0
    .sgpr_count:     30
    .sgpr_spill_count: 0
    .symbol:         _ZL32rocblas_gemvt_warp_reduce_kernelILb1ELi1024ElPKddKPdEviiT3_lPKT2_lT1_lS7_lS8_lS4_lPT4_lS8_li.kd
    .uniform_work_group_size: 1
    .uses_dynamic_stack: false
    .vgpr_count:     14
    .vgpr_spill_count: 0
    .wavefront_size: 32
    .workgroup_processor_mode: 1
  - .args:
      - .offset:         0
        .size:           4
        .value_kind:     by_value
      - .offset:         4
        .size:           4
        .value_kind:     by_value
      - .address_space:  global
        .offset:         8
        .size:           8
        .value_kind:     global_buffer
      - .offset:         16
        .size:           8
        .value_kind:     by_value
      - .address_space:  global
        .offset:         24
        .size:           8
        .value_kind:     global_buffer
      - .offset:         32
        .size:           8
        .value_kind:     by_value
      - .offset:         40
        .size:           4
        .value_kind:     by_value
      - .offset:         48
        .size:           8
        .value_kind:     by_value
      - .address_space:  global
        .offset:         56
        .size:           8
        .value_kind:     global_buffer
      - .offset:         64
        .size:           8
        .value_kind:     by_value
      - .offset:         72
        .size:           4
        .value_kind:     by_value
      - .offset:         80
        .size:           8
        .value_kind:     by_value
      - .address_space:  global
        .offset:         88
        .size:           8
        .value_kind:     global_buffer
      - .offset:         96
        .size:           8
        .value_kind:     by_value
      - .address_space:  global
        .offset:         104
        .size:           8
        .value_kind:     global_buffer
      - .offset:         112
        .size:           8
        .value_kind:     by_value
      - .offset:         120
        .size:           4
        .value_kind:     by_value
      - .offset:         128
        .size:           8
        .value_kind:     by_value
      - .offset:         136
        .size:           4
        .value_kind:     by_value
    .group_segment_fixed_size: 0
    .kernarg_segment_align: 8
    .kernarg_segment_size: 140
    .language:       OpenCL C
    .language_version:
      - 2
      - 0
    .max_flat_workgroup_size: 768
    .name:           _ZL34rocblas_gemvn_sm_mn_batched_kernelILi32ELi24EPK19rocblas_complex_numIfES3_KPS1_EviiT2_lPKT1_lilS9_lilS6_lPT3_lili
    .private_segment_fixed_size: 0
    .sgpr_count:     0
    .sgpr_spill_count: 0
    .symbol:         _ZL34rocblas_gemvn_sm_mn_batched_kernelILi32ELi24EPK19rocblas_complex_numIfES3_KPS1_EviiT2_lPKT1_lilS9_lilS6_lPT3_lili.kd
    .uniform_work_group_size: 1
    .uses_dynamic_stack: false
    .vgpr_count:     0
    .vgpr_spill_count: 0
    .wavefront_size: 32
    .workgroup_processor_mode: 1
  - .args:
      - .offset:         0
        .size:           4
        .value_kind:     by_value
      - .offset:         4
        .size:           4
        .value_kind:     by_value
      - .offset:         8
        .size:           8
        .value_kind:     by_value
      - .offset:         16
        .size:           8
        .value_kind:     by_value
      - .address_space:  global
        .offset:         24
        .size:           8
        .value_kind:     global_buffer
      - .offset:         32
        .size:           8
        .value_kind:     by_value
      - .offset:         40
        .size:           4
        .value_kind:     by_value
      - .offset:         48
        .size:           8
        .value_kind:     by_value
      - .address_space:  global
        .offset:         56
        .size:           8
        .value_kind:     global_buffer
      - .offset:         64
        .size:           8
        .value_kind:     by_value
      - .offset:         72
        .size:           4
        .value_kind:     by_value
      - .offset:         80
        .size:           8
        .value_kind:     by_value
      - .offset:         88
        .size:           8
        .value_kind:     by_value
      - .offset:         96
        .size:           8
        .value_kind:     by_value
      - .address_space:  global
        .offset:         104
        .size:           8
        .value_kind:     global_buffer
      - .offset:         112
        .size:           8
        .value_kind:     by_value
      - .offset:         120
        .size:           4
        .value_kind:     by_value
      - .offset:         128
        .size:           8
        .value_kind:     by_value
      - .offset:         136
        .size:           4
        .value_kind:     by_value
    .group_segment_fixed_size: 0
    .kernarg_segment_align: 8
    .kernarg_segment_size: 140
    .language:       OpenCL C
    .language_version:
      - 2
      - 0
    .max_flat_workgroup_size: 768
    .name:           _ZL34rocblas_gemvn_sm_mn_batched_kernelILi32ELi24EPK19rocblas_complex_numIfES1_KPS1_EviiT2_lPKT1_lilS9_lilS6_lPT3_lili
    .private_segment_fixed_size: 0
    .sgpr_count:     0
    .sgpr_spill_count: 0
    .symbol:         _ZL34rocblas_gemvn_sm_mn_batched_kernelILi32ELi24EPK19rocblas_complex_numIfES1_KPS1_EviiT2_lPKT1_lilS9_lilS6_lPT3_lili.kd
    .uniform_work_group_size: 1
    .uses_dynamic_stack: false
    .vgpr_count:     0
    .vgpr_spill_count: 0
    .wavefront_size: 32
    .workgroup_processor_mode: 1
  - .args:
      - .offset:         0
        .size:           4
        .value_kind:     by_value
      - .offset:         4
        .size:           4
        .value_kind:     by_value
      - .address_space:  global
        .offset:         8
        .size:           8
        .value_kind:     global_buffer
      - .offset:         16
        .size:           8
        .value_kind:     by_value
      - .address_space:  global
        .offset:         24
        .size:           8
        .value_kind:     global_buffer
      - .offset:         32
        .size:           8
        .value_kind:     by_value
      - .offset:         40
        .size:           4
        .value_kind:     by_value
      - .offset:         48
        .size:           8
        .value_kind:     by_value
      - .address_space:  global
        .offset:         56
        .size:           8
        .value_kind:     global_buffer
      - .offset:         64
        .size:           8
        .value_kind:     by_value
      - .offset:         72
        .size:           4
        .value_kind:     by_value
      - .offset:         80
        .size:           8
        .value_kind:     by_value
      - .address_space:  global
        .offset:         88
        .size:           8
        .value_kind:     global_buffer
      - .offset:         96
        .size:           8
        .value_kind:     by_value
      - .address_space:  global
        .offset:         104
        .size:           8
        .value_kind:     global_buffer
      - .offset:         112
        .size:           8
        .value_kind:     by_value
      - .offset:         120
        .size:           4
        .value_kind:     by_value
      - .offset:         128
        .size:           8
        .value_kind:     by_value
      - .offset:         136
        .size:           4
        .value_kind:     by_value
      - .offset:         144
        .size:           4
        .value_kind:     hidden_block_count_x
      - .offset:         148
        .size:           4
        .value_kind:     hidden_block_count_y
      - .offset:         152
        .size:           4
        .value_kind:     hidden_block_count_z
      - .offset:         156
        .size:           2
        .value_kind:     hidden_group_size_x
      - .offset:         158
        .size:           2
        .value_kind:     hidden_group_size_y
      - .offset:         160
        .size:           2
        .value_kind:     hidden_group_size_z
      - .offset:         162
        .size:           2
        .value_kind:     hidden_remainder_x
      - .offset:         164
        .size:           2
        .value_kind:     hidden_remainder_y
      - .offset:         166
        .size:           2
        .value_kind:     hidden_remainder_z
      - .offset:         184
        .size:           8
        .value_kind:     hidden_global_offset_x
      - .offset:         192
        .size:           8
        .value_kind:     hidden_global_offset_y
      - .offset:         200
        .size:           8
        .value_kind:     hidden_global_offset_z
      - .offset:         208
        .size:           2
        .value_kind:     hidden_grid_dims
    .group_segment_fixed_size: 8192
    .kernarg_segment_align: 8
    .kernarg_segment_size: 400
    .language:       OpenCL C
    .language_version:
      - 2
      - 0
    .max_flat_workgroup_size: 256
    .name:           _ZL20rocblas_gemvn_kernelILi64ELi4EiPK19rocblas_complex_numIfES3_KPS1_EviiT3_lPKT2_lT1_lS9_lSA_lS6_lPT4_lSA_li
    .private_segment_fixed_size: 0
    .sgpr_count:     31
    .sgpr_spill_count: 0
    .symbol:         _ZL20rocblas_gemvn_kernelILi64ELi4EiPK19rocblas_complex_numIfES3_KPS1_EviiT3_lPKT2_lT1_lS9_lSA_lS6_lPT4_lSA_li.kd
    .uniform_work_group_size: 1
    .uses_dynamic_stack: false
    .vgpr_count:     64
    .vgpr_spill_count: 0
    .wavefront_size: 32
    .workgroup_processor_mode: 1
  - .args:
      - .offset:         0
        .size:           4
        .value_kind:     by_value
      - .offset:         4
        .size:           4
        .value_kind:     by_value
      - .address_space:  global
        .offset:         8
        .size:           8
        .value_kind:     global_buffer
      - .offset:         16
        .size:           8
        .value_kind:     by_value
      - .address_space:  global
        .offset:         24
        .size:           8
        .value_kind:     global_buffer
      - .offset:         32
        .size:           8
        .value_kind:     by_value
      - .offset:         40
        .size:           8
        .value_kind:     by_value
      - .offset:         48
        .size:           8
        .value_kind:     by_value
      - .address_space:  global
        .offset:         56
        .size:           8
        .value_kind:     global_buffer
      - .offset:         64
        .size:           8
        .value_kind:     by_value
      - .offset:         72
        .size:           8
        .value_kind:     by_value
      - .offset:         80
        .size:           8
        .value_kind:     by_value
      - .address_space:  global
        .offset:         88
        .size:           8
        .value_kind:     global_buffer
      - .offset:         96
        .size:           8
        .value_kind:     by_value
      - .address_space:  global
        .offset:         104
        .size:           8
        .value_kind:     global_buffer
      - .offset:         112
        .size:           8
        .value_kind:     by_value
      - .offset:         120
        .size:           8
        .value_kind:     by_value
      - .offset:         128
        .size:           8
        .value_kind:     by_value
      - .offset:         136
        .size:           4
        .value_kind:     by_value
      - .offset:         144
        .size:           4
        .value_kind:     hidden_block_count_x
      - .offset:         148
        .size:           4
        .value_kind:     hidden_block_count_y
      - .offset:         152
        .size:           4
        .value_kind:     hidden_block_count_z
      - .offset:         156
        .size:           2
        .value_kind:     hidden_group_size_x
      - .offset:         158
        .size:           2
        .value_kind:     hidden_group_size_y
      - .offset:         160
        .size:           2
        .value_kind:     hidden_group_size_z
      - .offset:         162
        .size:           2
        .value_kind:     hidden_remainder_x
      - .offset:         164
        .size:           2
        .value_kind:     hidden_remainder_y
      - .offset:         166
        .size:           2
        .value_kind:     hidden_remainder_z
      - .offset:         184
        .size:           8
        .value_kind:     hidden_global_offset_x
      - .offset:         192
        .size:           8
        .value_kind:     hidden_global_offset_y
      - .offset:         200
        .size:           8
        .value_kind:     hidden_global_offset_z
      - .offset:         208
        .size:           2
        .value_kind:     hidden_grid_dims
    .group_segment_fixed_size: 8192
    .kernarg_segment_align: 8
    .kernarg_segment_size: 400
    .language:       OpenCL C
    .language_version:
      - 2
      - 0
    .max_flat_workgroup_size: 256
    .name:           _ZL20rocblas_gemvn_kernelILi64ELi4ElPK19rocblas_complex_numIfES3_KPS1_EviiT3_lPKT2_lT1_lS9_lSA_lS6_lPT4_lSA_li
    .private_segment_fixed_size: 0
    .sgpr_count:     38
    .sgpr_spill_count: 0
    .symbol:         _ZL20rocblas_gemvn_kernelILi64ELi4ElPK19rocblas_complex_numIfES3_KPS1_EviiT3_lPKT2_lT1_lS9_lSA_lS6_lPT4_lSA_li.kd
    .uniform_work_group_size: 1
    .uses_dynamic_stack: false
    .vgpr_count:     68
    .vgpr_spill_count: 0
    .wavefront_size: 32
    .workgroup_processor_mode: 1
  - .args:
      - .offset:         0
        .size:           4
        .value_kind:     by_value
      - .offset:         4
        .size:           4
        .value_kind:     by_value
      - .offset:         8
        .size:           8
        .value_kind:     by_value
      - .offset:         16
        .size:           8
        .value_kind:     by_value
      - .address_space:  global
        .offset:         24
        .size:           8
        .value_kind:     global_buffer
      - .offset:         32
        .size:           8
        .value_kind:     by_value
      - .offset:         40
        .size:           4
        .value_kind:     by_value
      - .offset:         48
        .size:           8
        .value_kind:     by_value
      - .address_space:  global
        .offset:         56
        .size:           8
        .value_kind:     global_buffer
      - .offset:         64
        .size:           8
        .value_kind:     by_value
      - .offset:         72
        .size:           4
        .value_kind:     by_value
      - .offset:         80
        .size:           8
        .value_kind:     by_value
      - .offset:         88
        .size:           8
        .value_kind:     by_value
      - .offset:         96
        .size:           8
        .value_kind:     by_value
      - .address_space:  global
        .offset:         104
        .size:           8
        .value_kind:     global_buffer
      - .offset:         112
        .size:           8
        .value_kind:     by_value
      - .offset:         120
        .size:           4
        .value_kind:     by_value
      - .offset:         128
        .size:           8
        .value_kind:     by_value
      - .offset:         136
        .size:           4
        .value_kind:     by_value
      - .offset:         144
        .size:           4
        .value_kind:     hidden_block_count_x
      - .offset:         148
        .size:           4
        .value_kind:     hidden_block_count_y
      - .offset:         152
        .size:           4
        .value_kind:     hidden_block_count_z
      - .offset:         156
        .size:           2
        .value_kind:     hidden_group_size_x
      - .offset:         158
        .size:           2
        .value_kind:     hidden_group_size_y
      - .offset:         160
        .size:           2
        .value_kind:     hidden_group_size_z
      - .offset:         162
        .size:           2
        .value_kind:     hidden_remainder_x
      - .offset:         164
        .size:           2
        .value_kind:     hidden_remainder_y
      - .offset:         166
        .size:           2
        .value_kind:     hidden_remainder_z
      - .offset:         184
        .size:           8
        .value_kind:     hidden_global_offset_x
      - .offset:         192
        .size:           8
        .value_kind:     hidden_global_offset_y
      - .offset:         200
        .size:           8
        .value_kind:     hidden_global_offset_z
      - .offset:         208
        .size:           2
        .value_kind:     hidden_grid_dims
    .group_segment_fixed_size: 8192
    .kernarg_segment_align: 8
    .kernarg_segment_size: 400
    .language:       OpenCL C
    .language_version:
      - 2
      - 0
    .max_flat_workgroup_size: 256
    .name:           _ZL20rocblas_gemvn_kernelILi64ELi4EiPK19rocblas_complex_numIfES1_KPS1_EviiT3_lPKT2_lT1_lS9_lSA_lS6_lPT4_lSA_li
    .private_segment_fixed_size: 0
    .sgpr_count:     31
    .sgpr_spill_count: 0
    .symbol:         _ZL20rocblas_gemvn_kernelILi64ELi4EiPK19rocblas_complex_numIfES1_KPS1_EviiT3_lPKT2_lT1_lS9_lSA_lS6_lPT4_lSA_li.kd
    .uniform_work_group_size: 1
    .uses_dynamic_stack: false
    .vgpr_count:     64
    .vgpr_spill_count: 0
    .wavefront_size: 32
    .workgroup_processor_mode: 1
  - .args:
      - .offset:         0
        .size:           4
        .value_kind:     by_value
      - .offset:         4
        .size:           4
        .value_kind:     by_value
      - .offset:         8
        .size:           8
        .value_kind:     by_value
      - .offset:         16
        .size:           8
        .value_kind:     by_value
      - .address_space:  global
        .offset:         24
        .size:           8
        .value_kind:     global_buffer
      - .offset:         32
        .size:           8
        .value_kind:     by_value
      - .offset:         40
        .size:           8
        .value_kind:     by_value
      - .offset:         48
        .size:           8
        .value_kind:     by_value
      - .address_space:  global
        .offset:         56
        .size:           8
        .value_kind:     global_buffer
      - .offset:         64
        .size:           8
        .value_kind:     by_value
      - .offset:         72
        .size:           8
        .value_kind:     by_value
      - .offset:         80
        .size:           8
        .value_kind:     by_value
      - .offset:         88
        .size:           8
        .value_kind:     by_value
      - .offset:         96
        .size:           8
        .value_kind:     by_value
      - .address_space:  global
        .offset:         104
        .size:           8
        .value_kind:     global_buffer
      - .offset:         112
        .size:           8
        .value_kind:     by_value
      - .offset:         120
        .size:           8
        .value_kind:     by_value
      - .offset:         128
        .size:           8
        .value_kind:     by_value
      - .offset:         136
        .size:           4
        .value_kind:     by_value
      - .offset:         144
        .size:           4
        .value_kind:     hidden_block_count_x
      - .offset:         148
        .size:           4
        .value_kind:     hidden_block_count_y
      - .offset:         152
        .size:           4
        .value_kind:     hidden_block_count_z
      - .offset:         156
        .size:           2
        .value_kind:     hidden_group_size_x
      - .offset:         158
        .size:           2
        .value_kind:     hidden_group_size_y
      - .offset:         160
        .size:           2
        .value_kind:     hidden_group_size_z
      - .offset:         162
        .size:           2
        .value_kind:     hidden_remainder_x
      - .offset:         164
        .size:           2
        .value_kind:     hidden_remainder_y
      - .offset:         166
        .size:           2
        .value_kind:     hidden_remainder_z
      - .offset:         184
        .size:           8
        .value_kind:     hidden_global_offset_x
      - .offset:         192
        .size:           8
        .value_kind:     hidden_global_offset_y
      - .offset:         200
        .size:           8
        .value_kind:     hidden_global_offset_z
      - .offset:         208
        .size:           2
        .value_kind:     hidden_grid_dims
    .group_segment_fixed_size: 8192
    .kernarg_segment_align: 8
    .kernarg_segment_size: 400
    .language:       OpenCL C
    .language_version:
      - 2
      - 0
    .max_flat_workgroup_size: 256
    .name:           _ZL20rocblas_gemvn_kernelILi64ELi4ElPK19rocblas_complex_numIfES1_KPS1_EviiT3_lPKT2_lT1_lS9_lSA_lS6_lPT4_lSA_li
    .private_segment_fixed_size: 0
    .sgpr_count:     38
    .sgpr_spill_count: 0
    .symbol:         _ZL20rocblas_gemvn_kernelILi64ELi4ElPK19rocblas_complex_numIfES1_KPS1_EviiT3_lPKT2_lT1_lS9_lSA_lS6_lPT4_lSA_li.kd
    .uniform_work_group_size: 1
    .uses_dynamic_stack: false
    .vgpr_count:     68
    .vgpr_spill_count: 0
    .wavefront_size: 32
    .workgroup_processor_mode: 1
  - .args:
      - .offset:         0
        .size:           4
        .value_kind:     by_value
      - .offset:         4
        .size:           4
        .value_kind:     by_value
      - .address_space:  global
        .offset:         8
        .size:           8
        .value_kind:     global_buffer
      - .offset:         16
        .size:           8
        .value_kind:     by_value
      - .address_space:  global
        .offset:         24
        .size:           8
        .value_kind:     global_buffer
      - .offset:         32
        .size:           8
        .value_kind:     by_value
      - .offset:         40
        .size:           4
        .value_kind:     by_value
      - .offset:         48
        .size:           8
        .value_kind:     by_value
      - .address_space:  global
        .offset:         56
        .size:           8
        .value_kind:     global_buffer
      - .offset:         64
        .size:           8
        .value_kind:     by_value
      - .offset:         72
        .size:           4
        .value_kind:     by_value
      - .offset:         80
        .size:           8
        .value_kind:     by_value
      - .address_space:  global
        .offset:         88
        .size:           8
        .value_kind:     global_buffer
      - .offset:         96
        .size:           8
        .value_kind:     by_value
      - .address_space:  global
        .offset:         104
        .size:           8
        .value_kind:     global_buffer
      - .offset:         112
        .size:           8
        .value_kind:     by_value
      - .offset:         120
        .size:           4
        .value_kind:     by_value
      - .offset:         128
        .size:           8
        .value_kind:     by_value
      - .offset:         136
        .size:           4
        .value_kind:     by_value
      - .offset:         144
        .size:           4
        .value_kind:     hidden_block_count_x
      - .offset:         148
        .size:           4
        .value_kind:     hidden_block_count_y
      - .offset:         152
        .size:           4
        .value_kind:     hidden_block_count_z
      - .offset:         156
        .size:           2
        .value_kind:     hidden_group_size_x
      - .offset:         158
        .size:           2
        .value_kind:     hidden_group_size_y
      - .offset:         160
        .size:           2
        .value_kind:     hidden_group_size_z
      - .offset:         162
        .size:           2
        .value_kind:     hidden_remainder_x
      - .offset:         164
        .size:           2
        .value_kind:     hidden_remainder_y
      - .offset:         166
        .size:           2
        .value_kind:     hidden_remainder_z
      - .offset:         184
        .size:           8
        .value_kind:     hidden_global_offset_x
      - .offset:         192
        .size:           8
        .value_kind:     hidden_global_offset_y
      - .offset:         200
        .size:           8
        .value_kind:     hidden_global_offset_z
      - .offset:         208
        .size:           2
        .value_kind:     hidden_grid_dims
    .group_segment_fixed_size: 16384
    .kernarg_segment_align: 8
    .kernarg_segment_size: 400
    .language:       OpenCL C
    .language_version:
      - 2
      - 0
    .max_flat_workgroup_size: 512
    .name:           _ZL20rocblas_gemvn_kernelILi32ELi16EiPK19rocblas_complex_numIfES3_KPS1_EviiT3_lPKT2_lT1_lS9_lSA_lS6_lPT4_lSA_li
    .private_segment_fixed_size: 0
    .sgpr_count:     31
    .sgpr_spill_count: 0
    .symbol:         _ZL20rocblas_gemvn_kernelILi32ELi16EiPK19rocblas_complex_numIfES3_KPS1_EviiT3_lPKT2_lT1_lS9_lSA_lS6_lPT4_lSA_li.kd
    .uniform_work_group_size: 1
    .uses_dynamic_stack: false
    .vgpr_count:     64
    .vgpr_spill_count: 0
    .wavefront_size: 32
    .workgroup_processor_mode: 1
  - .args:
      - .offset:         0
        .size:           4
        .value_kind:     by_value
      - .offset:         4
        .size:           4
        .value_kind:     by_value
      - .address_space:  global
        .offset:         8
        .size:           8
        .value_kind:     global_buffer
      - .offset:         16
        .size:           8
        .value_kind:     by_value
      - .address_space:  global
        .offset:         24
        .size:           8
        .value_kind:     global_buffer
      - .offset:         32
        .size:           8
        .value_kind:     by_value
      - .offset:         40
        .size:           8
        .value_kind:     by_value
      - .offset:         48
        .size:           8
        .value_kind:     by_value
      - .address_space:  global
        .offset:         56
        .size:           8
        .value_kind:     global_buffer
      - .offset:         64
        .size:           8
        .value_kind:     by_value
      - .offset:         72
        .size:           8
        .value_kind:     by_value
      - .offset:         80
        .size:           8
        .value_kind:     by_value
      - .address_space:  global
        .offset:         88
        .size:           8
        .value_kind:     global_buffer
      - .offset:         96
        .size:           8
        .value_kind:     by_value
      - .address_space:  global
        .offset:         104
        .size:           8
        .value_kind:     global_buffer
      - .offset:         112
        .size:           8
        .value_kind:     by_value
      - .offset:         120
        .size:           8
        .value_kind:     by_value
      - .offset:         128
        .size:           8
        .value_kind:     by_value
      - .offset:         136
        .size:           4
        .value_kind:     by_value
      - .offset:         144
        .size:           4
        .value_kind:     hidden_block_count_x
      - .offset:         148
        .size:           4
        .value_kind:     hidden_block_count_y
      - .offset:         152
        .size:           4
        .value_kind:     hidden_block_count_z
      - .offset:         156
        .size:           2
        .value_kind:     hidden_group_size_x
      - .offset:         158
        .size:           2
        .value_kind:     hidden_group_size_y
      - .offset:         160
        .size:           2
        .value_kind:     hidden_group_size_z
      - .offset:         162
        .size:           2
        .value_kind:     hidden_remainder_x
      - .offset:         164
        .size:           2
        .value_kind:     hidden_remainder_y
      - .offset:         166
        .size:           2
        .value_kind:     hidden_remainder_z
      - .offset:         184
        .size:           8
        .value_kind:     hidden_global_offset_x
      - .offset:         192
        .size:           8
        .value_kind:     hidden_global_offset_y
      - .offset:         200
        .size:           8
        .value_kind:     hidden_global_offset_z
      - .offset:         208
        .size:           2
        .value_kind:     hidden_grid_dims
    .group_segment_fixed_size: 16384
    .kernarg_segment_align: 8
    .kernarg_segment_size: 400
    .language:       OpenCL C
    .language_version:
      - 2
      - 0
    .max_flat_workgroup_size: 512
    .name:           _ZL20rocblas_gemvn_kernelILi32ELi16ElPK19rocblas_complex_numIfES3_KPS1_EviiT3_lPKT2_lT1_lS9_lSA_lS6_lPT4_lSA_li
    .private_segment_fixed_size: 0
    .sgpr_count:     38
    .sgpr_spill_count: 0
    .symbol:         _ZL20rocblas_gemvn_kernelILi32ELi16ElPK19rocblas_complex_numIfES3_KPS1_EviiT3_lPKT2_lT1_lS9_lSA_lS6_lPT4_lSA_li.kd
    .uniform_work_group_size: 1
    .uses_dynamic_stack: false
    .vgpr_count:     68
    .vgpr_spill_count: 0
    .wavefront_size: 32
    .workgroup_processor_mode: 1
  - .args:
      - .offset:         0
        .size:           4
        .value_kind:     by_value
      - .offset:         4
        .size:           4
        .value_kind:     by_value
      - .offset:         8
        .size:           8
        .value_kind:     by_value
      - .offset:         16
        .size:           8
        .value_kind:     by_value
      - .address_space:  global
        .offset:         24
        .size:           8
        .value_kind:     global_buffer
      - .offset:         32
        .size:           8
        .value_kind:     by_value
      - .offset:         40
        .size:           4
        .value_kind:     by_value
      - .offset:         48
        .size:           8
        .value_kind:     by_value
      - .address_space:  global
        .offset:         56
        .size:           8
        .value_kind:     global_buffer
      - .offset:         64
        .size:           8
        .value_kind:     by_value
      - .offset:         72
        .size:           4
        .value_kind:     by_value
      - .offset:         80
        .size:           8
        .value_kind:     by_value
      - .offset:         88
        .size:           8
        .value_kind:     by_value
      - .offset:         96
        .size:           8
        .value_kind:     by_value
      - .address_space:  global
        .offset:         104
        .size:           8
        .value_kind:     global_buffer
      - .offset:         112
        .size:           8
        .value_kind:     by_value
      - .offset:         120
        .size:           4
        .value_kind:     by_value
      - .offset:         128
        .size:           8
        .value_kind:     by_value
      - .offset:         136
        .size:           4
        .value_kind:     by_value
      - .offset:         144
        .size:           4
        .value_kind:     hidden_block_count_x
      - .offset:         148
        .size:           4
        .value_kind:     hidden_block_count_y
      - .offset:         152
        .size:           4
        .value_kind:     hidden_block_count_z
      - .offset:         156
        .size:           2
        .value_kind:     hidden_group_size_x
      - .offset:         158
        .size:           2
        .value_kind:     hidden_group_size_y
      - .offset:         160
        .size:           2
        .value_kind:     hidden_group_size_z
      - .offset:         162
        .size:           2
        .value_kind:     hidden_remainder_x
      - .offset:         164
        .size:           2
        .value_kind:     hidden_remainder_y
      - .offset:         166
        .size:           2
        .value_kind:     hidden_remainder_z
      - .offset:         184
        .size:           8
        .value_kind:     hidden_global_offset_x
      - .offset:         192
        .size:           8
        .value_kind:     hidden_global_offset_y
      - .offset:         200
        .size:           8
        .value_kind:     hidden_global_offset_z
      - .offset:         208
        .size:           2
        .value_kind:     hidden_grid_dims
    .group_segment_fixed_size: 16384
    .kernarg_segment_align: 8
    .kernarg_segment_size: 400
    .language:       OpenCL C
    .language_version:
      - 2
      - 0
    .max_flat_workgroup_size: 512
    .name:           _ZL20rocblas_gemvn_kernelILi32ELi16EiPK19rocblas_complex_numIfES1_KPS1_EviiT3_lPKT2_lT1_lS9_lSA_lS6_lPT4_lSA_li
    .private_segment_fixed_size: 0
    .sgpr_count:     31
    .sgpr_spill_count: 0
    .symbol:         _ZL20rocblas_gemvn_kernelILi32ELi16EiPK19rocblas_complex_numIfES1_KPS1_EviiT3_lPKT2_lT1_lS9_lSA_lS6_lPT4_lSA_li.kd
    .uniform_work_group_size: 1
    .uses_dynamic_stack: false
    .vgpr_count:     64
    .vgpr_spill_count: 0
    .wavefront_size: 32
    .workgroup_processor_mode: 1
  - .args:
      - .offset:         0
        .size:           4
        .value_kind:     by_value
      - .offset:         4
        .size:           4
        .value_kind:     by_value
      - .offset:         8
        .size:           8
        .value_kind:     by_value
      - .offset:         16
        .size:           8
        .value_kind:     by_value
      - .address_space:  global
        .offset:         24
        .size:           8
        .value_kind:     global_buffer
      - .offset:         32
        .size:           8
        .value_kind:     by_value
      - .offset:         40
        .size:           8
        .value_kind:     by_value
      - .offset:         48
        .size:           8
        .value_kind:     by_value
      - .address_space:  global
        .offset:         56
        .size:           8
        .value_kind:     global_buffer
      - .offset:         64
        .size:           8
        .value_kind:     by_value
      - .offset:         72
        .size:           8
        .value_kind:     by_value
      - .offset:         80
        .size:           8
        .value_kind:     by_value
      - .offset:         88
        .size:           8
        .value_kind:     by_value
      - .offset:         96
        .size:           8
        .value_kind:     by_value
      - .address_space:  global
        .offset:         104
        .size:           8
        .value_kind:     global_buffer
      - .offset:         112
        .size:           8
        .value_kind:     by_value
      - .offset:         120
        .size:           8
        .value_kind:     by_value
      - .offset:         128
        .size:           8
        .value_kind:     by_value
      - .offset:         136
        .size:           4
        .value_kind:     by_value
      - .offset:         144
        .size:           4
        .value_kind:     hidden_block_count_x
      - .offset:         148
        .size:           4
        .value_kind:     hidden_block_count_y
      - .offset:         152
        .size:           4
        .value_kind:     hidden_block_count_z
      - .offset:         156
        .size:           2
        .value_kind:     hidden_group_size_x
      - .offset:         158
        .size:           2
        .value_kind:     hidden_group_size_y
      - .offset:         160
        .size:           2
        .value_kind:     hidden_group_size_z
      - .offset:         162
        .size:           2
        .value_kind:     hidden_remainder_x
      - .offset:         164
        .size:           2
        .value_kind:     hidden_remainder_y
      - .offset:         166
        .size:           2
        .value_kind:     hidden_remainder_z
      - .offset:         184
        .size:           8
        .value_kind:     hidden_global_offset_x
      - .offset:         192
        .size:           8
        .value_kind:     hidden_global_offset_y
      - .offset:         200
        .size:           8
        .value_kind:     hidden_global_offset_z
      - .offset:         208
        .size:           2
        .value_kind:     hidden_grid_dims
    .group_segment_fixed_size: 16384
    .kernarg_segment_align: 8
    .kernarg_segment_size: 400
    .language:       OpenCL C
    .language_version:
      - 2
      - 0
    .max_flat_workgroup_size: 512
    .name:           _ZL20rocblas_gemvn_kernelILi32ELi16ElPK19rocblas_complex_numIfES1_KPS1_EviiT3_lPKT2_lT1_lS9_lSA_lS6_lPT4_lSA_li
    .private_segment_fixed_size: 0
    .sgpr_count:     38
    .sgpr_spill_count: 0
    .symbol:         _ZL20rocblas_gemvn_kernelILi32ELi16ElPK19rocblas_complex_numIfES1_KPS1_EviiT3_lPKT2_lT1_lS9_lSA_lS6_lPT4_lSA_li.kd
    .uniform_work_group_size: 1
    .uses_dynamic_stack: false
    .vgpr_count:     68
    .vgpr_spill_count: 0
    .wavefront_size: 32
    .workgroup_processor_mode: 1
  - .args:
      - .offset:         0
        .size:           4
        .value_kind:     by_value
      - .offset:         4
        .size:           4
        .value_kind:     by_value
      - .address_space:  global
        .offset:         8
        .size:           8
        .value_kind:     global_buffer
      - .offset:         16
        .size:           8
        .value_kind:     by_value
      - .address_space:  global
        .offset:         24
        .size:           8
        .value_kind:     global_buffer
      - .offset:         32
        .size:           8
        .value_kind:     by_value
      - .offset:         40
        .size:           4
        .value_kind:     by_value
      - .offset:         48
        .size:           8
        .value_kind:     by_value
      - .address_space:  global
        .offset:         56
        .size:           8
        .value_kind:     global_buffer
      - .offset:         64
        .size:           8
        .value_kind:     by_value
      - .offset:         72
        .size:           4
        .value_kind:     by_value
      - .offset:         80
        .size:           8
        .value_kind:     by_value
      - .address_space:  global
        .offset:         88
        .size:           8
        .value_kind:     global_buffer
      - .offset:         96
        .size:           8
        .value_kind:     by_value
      - .address_space:  global
        .offset:         104
        .size:           8
        .value_kind:     global_buffer
      - .offset:         112
        .size:           8
        .value_kind:     by_value
      - .offset:         120
        .size:           4
        .value_kind:     by_value
      - .offset:         128
        .size:           8
        .value_kind:     by_value
      - .offset:         136
        .size:           4
        .value_kind:     by_value
      - .offset:         144
        .size:           4
        .value_kind:     hidden_block_count_x
      - .offset:         148
        .size:           4
        .value_kind:     hidden_block_count_y
      - .offset:         152
        .size:           4
        .value_kind:     hidden_block_count_z
      - .offset:         156
        .size:           2
        .value_kind:     hidden_group_size_x
      - .offset:         158
        .size:           2
        .value_kind:     hidden_group_size_y
      - .offset:         160
        .size:           2
        .value_kind:     hidden_group_size_z
      - .offset:         162
        .size:           2
        .value_kind:     hidden_remainder_x
      - .offset:         164
        .size:           2
        .value_kind:     hidden_remainder_y
      - .offset:         166
        .size:           2
        .value_kind:     hidden_remainder_z
      - .offset:         184
        .size:           8
        .value_kind:     hidden_global_offset_x
      - .offset:         192
        .size:           8
        .value_kind:     hidden_global_offset_y
      - .offset:         200
        .size:           8
        .value_kind:     hidden_global_offset_z
      - .offset:         208
        .size:           2
        .value_kind:     hidden_grid_dims
    .group_segment_fixed_size: 32768
    .kernarg_segment_align: 8
    .kernarg_segment_size: 400
    .language:       OpenCL C
    .language_version:
      - 2
      - 0
    .max_flat_workgroup_size: 1024
    .name:           _ZL20rocblas_gemvn_kernelILi64ELi16EiPK19rocblas_complex_numIfES3_KPS1_EviiT3_lPKT2_lT1_lS9_lSA_lS6_lPT4_lSA_li
    .private_segment_fixed_size: 0
    .sgpr_count:     31
    .sgpr_spill_count: 0
    .symbol:         _ZL20rocblas_gemvn_kernelILi64ELi16EiPK19rocblas_complex_numIfES3_KPS1_EviiT3_lPKT2_lT1_lS9_lSA_lS6_lPT4_lSA_li.kd
    .uniform_work_group_size: 1
    .uses_dynamic_stack: false
    .vgpr_count:     64
    .vgpr_spill_count: 0
    .wavefront_size: 32
    .workgroup_processor_mode: 1
  - .args:
      - .offset:         0
        .size:           4
        .value_kind:     by_value
      - .offset:         4
        .size:           4
        .value_kind:     by_value
      - .address_space:  global
        .offset:         8
        .size:           8
        .value_kind:     global_buffer
      - .offset:         16
        .size:           8
        .value_kind:     by_value
      - .address_space:  global
        .offset:         24
        .size:           8
        .value_kind:     global_buffer
      - .offset:         32
        .size:           8
        .value_kind:     by_value
      - .offset:         40
        .size:           8
        .value_kind:     by_value
      - .offset:         48
        .size:           8
        .value_kind:     by_value
      - .address_space:  global
        .offset:         56
        .size:           8
        .value_kind:     global_buffer
      - .offset:         64
        .size:           8
        .value_kind:     by_value
      - .offset:         72
        .size:           8
        .value_kind:     by_value
      - .offset:         80
        .size:           8
        .value_kind:     by_value
      - .address_space:  global
        .offset:         88
        .size:           8
        .value_kind:     global_buffer
      - .offset:         96
        .size:           8
        .value_kind:     by_value
      - .address_space:  global
        .offset:         104
        .size:           8
        .value_kind:     global_buffer
      - .offset:         112
        .size:           8
        .value_kind:     by_value
      - .offset:         120
        .size:           8
        .value_kind:     by_value
      - .offset:         128
        .size:           8
        .value_kind:     by_value
      - .offset:         136
        .size:           4
        .value_kind:     by_value
      - .offset:         144
        .size:           4
        .value_kind:     hidden_block_count_x
      - .offset:         148
        .size:           4
        .value_kind:     hidden_block_count_y
      - .offset:         152
        .size:           4
        .value_kind:     hidden_block_count_z
      - .offset:         156
        .size:           2
        .value_kind:     hidden_group_size_x
      - .offset:         158
        .size:           2
        .value_kind:     hidden_group_size_y
      - .offset:         160
        .size:           2
        .value_kind:     hidden_group_size_z
      - .offset:         162
        .size:           2
        .value_kind:     hidden_remainder_x
      - .offset:         164
        .size:           2
        .value_kind:     hidden_remainder_y
      - .offset:         166
        .size:           2
        .value_kind:     hidden_remainder_z
      - .offset:         184
        .size:           8
        .value_kind:     hidden_global_offset_x
      - .offset:         192
        .size:           8
        .value_kind:     hidden_global_offset_y
      - .offset:         200
        .size:           8
        .value_kind:     hidden_global_offset_z
      - .offset:         208
        .size:           2
        .value_kind:     hidden_grid_dims
    .group_segment_fixed_size: 32768
    .kernarg_segment_align: 8
    .kernarg_segment_size: 400
    .language:       OpenCL C
    .language_version:
      - 2
      - 0
    .max_flat_workgroup_size: 1024
    .name:           _ZL20rocblas_gemvn_kernelILi64ELi16ElPK19rocblas_complex_numIfES3_KPS1_EviiT3_lPKT2_lT1_lS9_lSA_lS6_lPT4_lSA_li
    .private_segment_fixed_size: 0
    .sgpr_count:     38
    .sgpr_spill_count: 0
    .symbol:         _ZL20rocblas_gemvn_kernelILi64ELi16ElPK19rocblas_complex_numIfES3_KPS1_EviiT3_lPKT2_lT1_lS9_lSA_lS6_lPT4_lSA_li.kd
    .uniform_work_group_size: 1
    .uses_dynamic_stack: false
    .vgpr_count:     68
    .vgpr_spill_count: 0
    .wavefront_size: 32
    .workgroup_processor_mode: 1
  - .args:
      - .offset:         0
        .size:           4
        .value_kind:     by_value
      - .offset:         4
        .size:           4
        .value_kind:     by_value
      - .offset:         8
        .size:           8
        .value_kind:     by_value
      - .offset:         16
        .size:           8
        .value_kind:     by_value
      - .address_space:  global
        .offset:         24
        .size:           8
        .value_kind:     global_buffer
      - .offset:         32
        .size:           8
        .value_kind:     by_value
      - .offset:         40
        .size:           4
        .value_kind:     by_value
      - .offset:         48
        .size:           8
        .value_kind:     by_value
      - .address_space:  global
        .offset:         56
        .size:           8
        .value_kind:     global_buffer
      - .offset:         64
        .size:           8
        .value_kind:     by_value
      - .offset:         72
        .size:           4
        .value_kind:     by_value
      - .offset:         80
        .size:           8
        .value_kind:     by_value
      - .offset:         88
        .size:           8
        .value_kind:     by_value
      - .offset:         96
        .size:           8
        .value_kind:     by_value
      - .address_space:  global
        .offset:         104
        .size:           8
        .value_kind:     global_buffer
      - .offset:         112
        .size:           8
        .value_kind:     by_value
      - .offset:         120
        .size:           4
        .value_kind:     by_value
      - .offset:         128
        .size:           8
        .value_kind:     by_value
      - .offset:         136
        .size:           4
        .value_kind:     by_value
      - .offset:         144
        .size:           4
        .value_kind:     hidden_block_count_x
      - .offset:         148
        .size:           4
        .value_kind:     hidden_block_count_y
      - .offset:         152
        .size:           4
        .value_kind:     hidden_block_count_z
      - .offset:         156
        .size:           2
        .value_kind:     hidden_group_size_x
      - .offset:         158
        .size:           2
        .value_kind:     hidden_group_size_y
      - .offset:         160
        .size:           2
        .value_kind:     hidden_group_size_z
      - .offset:         162
        .size:           2
        .value_kind:     hidden_remainder_x
      - .offset:         164
        .size:           2
        .value_kind:     hidden_remainder_y
      - .offset:         166
        .size:           2
        .value_kind:     hidden_remainder_z
      - .offset:         184
        .size:           8
        .value_kind:     hidden_global_offset_x
      - .offset:         192
        .size:           8
        .value_kind:     hidden_global_offset_y
      - .offset:         200
        .size:           8
        .value_kind:     hidden_global_offset_z
      - .offset:         208
        .size:           2
        .value_kind:     hidden_grid_dims
    .group_segment_fixed_size: 32768
    .kernarg_segment_align: 8
    .kernarg_segment_size: 400
    .language:       OpenCL C
    .language_version:
      - 2
      - 0
    .max_flat_workgroup_size: 1024
    .name:           _ZL20rocblas_gemvn_kernelILi64ELi16EiPK19rocblas_complex_numIfES1_KPS1_EviiT3_lPKT2_lT1_lS9_lSA_lS6_lPT4_lSA_li
    .private_segment_fixed_size: 0
    .sgpr_count:     31
    .sgpr_spill_count: 0
    .symbol:         _ZL20rocblas_gemvn_kernelILi64ELi16EiPK19rocblas_complex_numIfES1_KPS1_EviiT3_lPKT2_lT1_lS9_lSA_lS6_lPT4_lSA_li.kd
    .uniform_work_group_size: 1
    .uses_dynamic_stack: false
    .vgpr_count:     64
    .vgpr_spill_count: 0
    .wavefront_size: 32
    .workgroup_processor_mode: 1
  - .args:
      - .offset:         0
        .size:           4
        .value_kind:     by_value
      - .offset:         4
        .size:           4
        .value_kind:     by_value
      - .offset:         8
        .size:           8
        .value_kind:     by_value
      - .offset:         16
        .size:           8
        .value_kind:     by_value
      - .address_space:  global
        .offset:         24
        .size:           8
        .value_kind:     global_buffer
      - .offset:         32
        .size:           8
        .value_kind:     by_value
      - .offset:         40
        .size:           8
        .value_kind:     by_value
      - .offset:         48
        .size:           8
        .value_kind:     by_value
      - .address_space:  global
        .offset:         56
        .size:           8
        .value_kind:     global_buffer
      - .offset:         64
        .size:           8
        .value_kind:     by_value
      - .offset:         72
        .size:           8
        .value_kind:     by_value
      - .offset:         80
        .size:           8
        .value_kind:     by_value
      - .offset:         88
        .size:           8
        .value_kind:     by_value
      - .offset:         96
        .size:           8
        .value_kind:     by_value
      - .address_space:  global
        .offset:         104
        .size:           8
        .value_kind:     global_buffer
      - .offset:         112
        .size:           8
        .value_kind:     by_value
      - .offset:         120
        .size:           8
        .value_kind:     by_value
      - .offset:         128
        .size:           8
        .value_kind:     by_value
      - .offset:         136
        .size:           4
        .value_kind:     by_value
      - .offset:         144
        .size:           4
        .value_kind:     hidden_block_count_x
      - .offset:         148
        .size:           4
        .value_kind:     hidden_block_count_y
      - .offset:         152
        .size:           4
        .value_kind:     hidden_block_count_z
      - .offset:         156
        .size:           2
        .value_kind:     hidden_group_size_x
      - .offset:         158
        .size:           2
        .value_kind:     hidden_group_size_y
      - .offset:         160
        .size:           2
        .value_kind:     hidden_group_size_z
      - .offset:         162
        .size:           2
        .value_kind:     hidden_remainder_x
      - .offset:         164
        .size:           2
        .value_kind:     hidden_remainder_y
      - .offset:         166
        .size:           2
        .value_kind:     hidden_remainder_z
      - .offset:         184
        .size:           8
        .value_kind:     hidden_global_offset_x
      - .offset:         192
        .size:           8
        .value_kind:     hidden_global_offset_y
      - .offset:         200
        .size:           8
        .value_kind:     hidden_global_offset_z
      - .offset:         208
        .size:           2
        .value_kind:     hidden_grid_dims
    .group_segment_fixed_size: 32768
    .kernarg_segment_align: 8
    .kernarg_segment_size: 400
    .language:       OpenCL C
    .language_version:
      - 2
      - 0
    .max_flat_workgroup_size: 1024
    .name:           _ZL20rocblas_gemvn_kernelILi64ELi16ElPK19rocblas_complex_numIfES1_KPS1_EviiT3_lPKT2_lT1_lS9_lSA_lS6_lPT4_lSA_li
    .private_segment_fixed_size: 0
    .sgpr_count:     38
    .sgpr_spill_count: 0
    .symbol:         _ZL20rocblas_gemvn_kernelILi64ELi16ElPK19rocblas_complex_numIfES1_KPS1_EviiT3_lPKT2_lT1_lS9_lSA_lS6_lPT4_lSA_li.kd
    .uniform_work_group_size: 1
    .uses_dynamic_stack: false
    .vgpr_count:     68
    .vgpr_spill_count: 0
    .wavefront_size: 32
    .workgroup_processor_mode: 1
  - .args:
      - .offset:         0
        .size:           4
        .value_kind:     by_value
      - .offset:         4
        .size:           4
        .value_kind:     by_value
      - .address_space:  global
        .offset:         8
        .size:           8
        .value_kind:     global_buffer
      - .offset:         16
        .size:           8
        .value_kind:     by_value
      - .address_space:  global
        .offset:         24
        .size:           8
        .value_kind:     global_buffer
      - .offset:         32
        .size:           8
        .value_kind:     by_value
      - .offset:         40
        .size:           4
        .value_kind:     by_value
      - .offset:         48
        .size:           8
        .value_kind:     by_value
      - .address_space:  global
        .offset:         56
        .size:           8
        .value_kind:     global_buffer
      - .offset:         64
        .size:           8
        .value_kind:     by_value
      - .offset:         72
        .size:           4
        .value_kind:     by_value
      - .offset:         80
        .size:           8
        .value_kind:     by_value
      - .address_space:  global
        .offset:         88
        .size:           8
        .value_kind:     global_buffer
      - .offset:         96
        .size:           8
        .value_kind:     by_value
      - .address_space:  global
        .offset:         104
        .size:           8
        .value_kind:     global_buffer
      - .offset:         112
        .size:           8
        .value_kind:     by_value
      - .offset:         120
        .size:           4
        .value_kind:     by_value
      - .offset:         128
        .size:           8
        .value_kind:     by_value
    .group_segment_fixed_size: 512
    .kernarg_segment_align: 8
    .kernarg_segment_size: 136
    .language:       OpenCL C
    .language_version:
      - 2
      - 0
    .max_flat_workgroup_size: 256
    .name:           _ZL22rocblas_gemvtsm_kernelILb0ELi256EPK19rocblas_complex_numIfES3_KPS1_EviiT2_lPKT1_lilS9_lilS6_lPT3_lil
    .private_segment_fixed_size: 0
    .sgpr_count:     26
    .sgpr_spill_count: 0
    .symbol:         _ZL22rocblas_gemvtsm_kernelILb0ELi256EPK19rocblas_complex_numIfES3_KPS1_EviiT2_lPKT1_lilS9_lilS6_lPT3_lil.kd
    .uniform_work_group_size: 1
    .uses_dynamic_stack: false
    .vgpr_count:     49
    .vgpr_spill_count: 0
    .wavefront_size: 32
    .workgroup_processor_mode: 1
  - .args:
      - .offset:         0
        .size:           4
        .value_kind:     by_value
      - .offset:         4
        .size:           4
        .value_kind:     by_value
      - .offset:         8
        .size:           8
        .value_kind:     by_value
      - .offset:         16
        .size:           8
        .value_kind:     by_value
      - .address_space:  global
        .offset:         24
        .size:           8
        .value_kind:     global_buffer
      - .offset:         32
        .size:           8
        .value_kind:     by_value
      - .offset:         40
        .size:           4
        .value_kind:     by_value
      - .offset:         48
        .size:           8
        .value_kind:     by_value
      - .address_space:  global
        .offset:         56
        .size:           8
        .value_kind:     global_buffer
      - .offset:         64
        .size:           8
        .value_kind:     by_value
      - .offset:         72
        .size:           4
        .value_kind:     by_value
      - .offset:         80
        .size:           8
        .value_kind:     by_value
      - .offset:         88
        .size:           8
        .value_kind:     by_value
      - .offset:         96
        .size:           8
        .value_kind:     by_value
      - .address_space:  global
        .offset:         104
        .size:           8
        .value_kind:     global_buffer
      - .offset:         112
        .size:           8
        .value_kind:     by_value
      - .offset:         120
        .size:           4
        .value_kind:     by_value
      - .offset:         128
        .size:           8
        .value_kind:     by_value
    .group_segment_fixed_size: 512
    .kernarg_segment_align: 8
    .kernarg_segment_size: 136
    .language:       OpenCL C
    .language_version:
      - 2
      - 0
    .max_flat_workgroup_size: 256
    .name:           _ZL22rocblas_gemvtsm_kernelILb0ELi256EPK19rocblas_complex_numIfES1_KPS1_EviiT2_lPKT1_lilS9_lilS6_lPT3_lil
    .private_segment_fixed_size: 0
    .sgpr_count:     26
    .sgpr_spill_count: 0
    .symbol:         _ZL22rocblas_gemvtsm_kernelILb0ELi256EPK19rocblas_complex_numIfES1_KPS1_EviiT2_lPKT1_lilS9_lilS6_lPT3_lil.kd
    .uniform_work_group_size: 1
    .uses_dynamic_stack: false
    .vgpr_count:     49
    .vgpr_spill_count: 0
    .wavefront_size: 32
    .workgroup_processor_mode: 1
  - .args:
      - .offset:         0
        .size:           4
        .value_kind:     by_value
      - .offset:         4
        .size:           4
        .value_kind:     by_value
      - .address_space:  global
        .offset:         8
        .size:           8
        .value_kind:     global_buffer
      - .offset:         16
        .size:           8
        .value_kind:     by_value
      - .address_space:  global
        .offset:         24
        .size:           8
        .value_kind:     global_buffer
      - .offset:         32
        .size:           8
        .value_kind:     by_value
      - .offset:         40
        .size:           4
        .value_kind:     by_value
      - .offset:         48
        .size:           8
        .value_kind:     by_value
      - .address_space:  global
        .offset:         56
        .size:           8
        .value_kind:     global_buffer
      - .offset:         64
        .size:           8
        .value_kind:     by_value
      - .offset:         72
        .size:           4
        .value_kind:     by_value
      - .offset:         80
        .size:           8
        .value_kind:     by_value
      - .address_space:  global
        .offset:         88
        .size:           8
        .value_kind:     global_buffer
      - .offset:         96
        .size:           4
        .value_kind:     by_value
      - .offset:         104
        .size:           4
        .value_kind:     hidden_block_count_x
      - .offset:         108
        .size:           4
        .value_kind:     hidden_block_count_y
      - .offset:         112
        .size:           4
        .value_kind:     hidden_block_count_z
      - .offset:         116
        .size:           2
        .value_kind:     hidden_group_size_x
      - .offset:         118
        .size:           2
        .value_kind:     hidden_group_size_y
      - .offset:         120
        .size:           2
        .value_kind:     hidden_group_size_z
      - .offset:         122
        .size:           2
        .value_kind:     hidden_remainder_x
      - .offset:         124
        .size:           2
        .value_kind:     hidden_remainder_y
      - .offset:         126
        .size:           2
        .value_kind:     hidden_remainder_z
      - .offset:         144
        .size:           8
        .value_kind:     hidden_global_offset_x
      - .offset:         152
        .size:           8
        .value_kind:     hidden_global_offset_y
      - .offset:         160
        .size:           8
        .value_kind:     hidden_global_offset_z
      - .offset:         168
        .size:           2
        .value_kind:     hidden_grid_dims
    .group_segment_fixed_size: 256
    .kernarg_segment_align: 8
    .kernarg_segment_size: 360
    .language:       OpenCL C
    .language_version:
      - 2
      - 0
    .max_flat_workgroup_size: 256
    .name:           _ZL23rocblas_gemvt_sn_kernelILb0ELi256ELi4EiPK19rocblas_complex_numIfES3_S1_EviiT4_lPKT3_lilS7_lilPT5_i
    .private_segment_fixed_size: 48
    .sgpr_count:     46
    .sgpr_spill_count: 0
    .symbol:         _ZL23rocblas_gemvt_sn_kernelILb0ELi256ELi4EiPK19rocblas_complex_numIfES3_S1_EviiT4_lPKT3_lilS7_lilPT5_i.kd
    .uniform_work_group_size: 1
    .uses_dynamic_stack: false
    .vgpr_count:     80
    .vgpr_spill_count: 0
    .wavefront_size: 32
    .workgroup_processor_mode: 1
  - .args:
      - .offset:         0
        .size:           4
        .value_kind:     by_value
      - .offset:         4
        .size:           4
        .value_kind:     by_value
      - .address_space:  global
        .offset:         8
        .size:           8
        .value_kind:     global_buffer
      - .offset:         16
        .size:           8
        .value_kind:     by_value
      - .address_space:  global
        .offset:         24
        .size:           8
        .value_kind:     global_buffer
      - .offset:         32
        .size:           8
        .value_kind:     by_value
      - .offset:         40
        .size:           4
        .value_kind:     by_value
      - .offset:         48
        .size:           8
        .value_kind:     by_value
      - .address_space:  global
        .offset:         56
        .size:           8
        .value_kind:     global_buffer
      - .offset:         64
        .size:           8
        .value_kind:     by_value
      - .offset:         72
        .size:           4
        .value_kind:     by_value
      - .offset:         80
        .size:           8
        .value_kind:     by_value
      - .address_space:  global
        .offset:         88
        .size:           8
        .value_kind:     global_buffer
      - .offset:         96
        .size:           4
        .value_kind:     by_value
      - .offset:         104
        .size:           4
        .value_kind:     hidden_block_count_x
      - .offset:         108
        .size:           4
        .value_kind:     hidden_block_count_y
      - .offset:         112
        .size:           4
        .value_kind:     hidden_block_count_z
      - .offset:         116
        .size:           2
        .value_kind:     hidden_group_size_x
      - .offset:         118
        .size:           2
        .value_kind:     hidden_group_size_y
      - .offset:         120
        .size:           2
        .value_kind:     hidden_group_size_z
      - .offset:         122
        .size:           2
        .value_kind:     hidden_remainder_x
      - .offset:         124
        .size:           2
        .value_kind:     hidden_remainder_y
      - .offset:         126
        .size:           2
        .value_kind:     hidden_remainder_z
      - .offset:         144
        .size:           8
        .value_kind:     hidden_global_offset_x
      - .offset:         152
        .size:           8
        .value_kind:     hidden_global_offset_y
      - .offset:         160
        .size:           8
        .value_kind:     hidden_global_offset_z
      - .offset:         168
        .size:           2
        .value_kind:     hidden_grid_dims
    .group_segment_fixed_size: 256
    .kernarg_segment_align: 8
    .kernarg_segment_size: 360
    .language:       OpenCL C
    .language_version:
      - 2
      - 0
    .max_flat_workgroup_size: 256
    .name:           _ZL23rocblas_gemvt_sn_kernelILb0ELi256ELi4ElPK19rocblas_complex_numIfES3_S1_EviiT4_lPKT3_lilS7_lilPT5_i
    .private_segment_fixed_size: 48
    .sgpr_count:     48
    .sgpr_spill_count: 0
    .symbol:         _ZL23rocblas_gemvt_sn_kernelILb0ELi256ELi4ElPK19rocblas_complex_numIfES3_S1_EviiT4_lPKT3_lilS7_lilPT5_i.kd
    .uniform_work_group_size: 1
    .uses_dynamic_stack: false
    .vgpr_count:     90
    .vgpr_spill_count: 0
    .wavefront_size: 32
    .workgroup_processor_mode: 1
  - .args:
      - .offset:         0
        .size:           4
        .value_kind:     by_value
      - .address_space:  global
        .offset:         8
        .size:           8
        .value_kind:     global_buffer
      - .offset:         16
        .size:           8
        .value_kind:     by_value
      - .address_space:  global
        .offset:         24
        .size:           8
        .value_kind:     global_buffer
      - .offset:         32
        .size:           8
        .value_kind:     by_value
      - .offset:         40
        .size:           4
        .value_kind:     by_value
      - .offset:         48
        .size:           8
        .value_kind:     by_value
      - .actual_access:  read_only
        .address_space:  global
        .offset:         56
        .size:           8
        .value_kind:     global_buffer
      - .offset:         64
        .size:           4
        .value_kind:     by_value
      - .offset:         72
        .size:           4
        .value_kind:     hidden_block_count_x
      - .offset:         76
        .size:           4
        .value_kind:     hidden_block_count_y
      - .offset:         80
        .size:           4
        .value_kind:     hidden_block_count_z
      - .offset:         84
        .size:           2
        .value_kind:     hidden_group_size_x
      - .offset:         86
        .size:           2
        .value_kind:     hidden_group_size_y
      - .offset:         88
        .size:           2
        .value_kind:     hidden_group_size_z
      - .offset:         90
        .size:           2
        .value_kind:     hidden_remainder_x
      - .offset:         92
        .size:           2
        .value_kind:     hidden_remainder_y
      - .offset:         94
        .size:           2
        .value_kind:     hidden_remainder_z
      - .offset:         112
        .size:           8
        .value_kind:     hidden_global_offset_x
      - .offset:         120
        .size:           8
        .value_kind:     hidden_global_offset_y
      - .offset:         128
        .size:           8
        .value_kind:     hidden_global_offset_z
      - .offset:         136
        .size:           2
        .value_kind:     hidden_grid_dims
    .group_segment_fixed_size: 256
    .kernarg_segment_align: 8
    .kernarg_segment_size: 328
    .language:       OpenCL C
    .language_version:
      - 2
      - 0
    .max_flat_workgroup_size: 256
    .name:           _ZL23rocblas_gemvt_sn_reduceILi256ELi8E19rocblas_complex_numIfEPKS1_KPS1_EviT2_lPT3_lilPT1_i
    .private_segment_fixed_size: 0
    .sgpr_count:     24
    .sgpr_spill_count: 0
    .symbol:         _ZL23rocblas_gemvt_sn_reduceILi256ELi8E19rocblas_complex_numIfEPKS1_KPS1_EviT2_lPT3_lilPT1_i.kd
    .uniform_work_group_size: 1
    .uses_dynamic_stack: false
    .vgpr_count:     22
    .vgpr_spill_count: 0
    .wavefront_size: 32
    .workgroup_processor_mode: 1
  - .args:
      - .offset:         0
        .size:           4
        .value_kind:     by_value
      - .offset:         4
        .size:           4
        .value_kind:     by_value
      - .offset:         8
        .size:           8
        .value_kind:     by_value
      - .offset:         16
        .size:           8
        .value_kind:     by_value
      - .address_space:  global
        .offset:         24
        .size:           8
        .value_kind:     global_buffer
      - .offset:         32
        .size:           8
        .value_kind:     by_value
      - .offset:         40
        .size:           4
        .value_kind:     by_value
      - .offset:         48
        .size:           8
        .value_kind:     by_value
      - .address_space:  global
        .offset:         56
        .size:           8
        .value_kind:     global_buffer
      - .offset:         64
        .size:           8
        .value_kind:     by_value
      - .offset:         72
        .size:           4
        .value_kind:     by_value
      - .offset:         80
        .size:           8
        .value_kind:     by_value
      - .address_space:  global
        .offset:         88
        .size:           8
        .value_kind:     global_buffer
      - .offset:         96
        .size:           4
        .value_kind:     by_value
      - .offset:         104
        .size:           4
        .value_kind:     hidden_block_count_x
      - .offset:         108
        .size:           4
        .value_kind:     hidden_block_count_y
      - .offset:         112
        .size:           4
        .value_kind:     hidden_block_count_z
      - .offset:         116
        .size:           2
        .value_kind:     hidden_group_size_x
      - .offset:         118
        .size:           2
        .value_kind:     hidden_group_size_y
      - .offset:         120
        .size:           2
        .value_kind:     hidden_group_size_z
      - .offset:         122
        .size:           2
        .value_kind:     hidden_remainder_x
      - .offset:         124
        .size:           2
        .value_kind:     hidden_remainder_y
      - .offset:         126
        .size:           2
        .value_kind:     hidden_remainder_z
      - .offset:         144
        .size:           8
        .value_kind:     hidden_global_offset_x
      - .offset:         152
        .size:           8
        .value_kind:     hidden_global_offset_y
      - .offset:         160
        .size:           8
        .value_kind:     hidden_global_offset_z
      - .offset:         168
        .size:           2
        .value_kind:     hidden_grid_dims
    .group_segment_fixed_size: 256
    .kernarg_segment_align: 8
    .kernarg_segment_size: 360
    .language:       OpenCL C
    .language_version:
      - 2
      - 0
    .max_flat_workgroup_size: 256
    .name:           _ZL23rocblas_gemvt_sn_kernelILb0ELi256ELi4EiPK19rocblas_complex_numIfES1_S1_EviiT4_lPKT3_lilS7_lilPT5_i
    .private_segment_fixed_size: 48
    .sgpr_count:     46
    .sgpr_spill_count: 0
    .symbol:         _ZL23rocblas_gemvt_sn_kernelILb0ELi256ELi4EiPK19rocblas_complex_numIfES1_S1_EviiT4_lPKT3_lilS7_lilPT5_i.kd
    .uniform_work_group_size: 1
    .uses_dynamic_stack: false
    .vgpr_count:     84
    .vgpr_spill_count: 0
    .wavefront_size: 32
    .workgroup_processor_mode: 1
  - .args:
      - .offset:         0
        .size:           4
        .value_kind:     by_value
      - .offset:         4
        .size:           4
        .value_kind:     by_value
      - .offset:         8
        .size:           8
        .value_kind:     by_value
      - .offset:         16
        .size:           8
        .value_kind:     by_value
      - .address_space:  global
        .offset:         24
        .size:           8
        .value_kind:     global_buffer
      - .offset:         32
        .size:           8
        .value_kind:     by_value
      - .offset:         40
        .size:           4
        .value_kind:     by_value
      - .offset:         48
        .size:           8
        .value_kind:     by_value
      - .address_space:  global
        .offset:         56
        .size:           8
        .value_kind:     global_buffer
      - .offset:         64
        .size:           8
        .value_kind:     by_value
      - .offset:         72
        .size:           4
        .value_kind:     by_value
      - .offset:         80
        .size:           8
        .value_kind:     by_value
      - .address_space:  global
        .offset:         88
        .size:           8
        .value_kind:     global_buffer
      - .offset:         96
        .size:           4
        .value_kind:     by_value
      - .offset:         104
        .size:           4
        .value_kind:     hidden_block_count_x
      - .offset:         108
        .size:           4
        .value_kind:     hidden_block_count_y
      - .offset:         112
        .size:           4
        .value_kind:     hidden_block_count_z
      - .offset:         116
        .size:           2
        .value_kind:     hidden_group_size_x
      - .offset:         118
        .size:           2
        .value_kind:     hidden_group_size_y
      - .offset:         120
        .size:           2
        .value_kind:     hidden_group_size_z
      - .offset:         122
        .size:           2
        .value_kind:     hidden_remainder_x
      - .offset:         124
        .size:           2
        .value_kind:     hidden_remainder_y
      - .offset:         126
        .size:           2
        .value_kind:     hidden_remainder_z
      - .offset:         144
        .size:           8
        .value_kind:     hidden_global_offset_x
      - .offset:         152
        .size:           8
        .value_kind:     hidden_global_offset_y
      - .offset:         160
        .size:           8
        .value_kind:     hidden_global_offset_z
      - .offset:         168
        .size:           2
        .value_kind:     hidden_grid_dims
    .group_segment_fixed_size: 256
    .kernarg_segment_align: 8
    .kernarg_segment_size: 360
    .language:       OpenCL C
    .language_version:
      - 2
      - 0
    .max_flat_workgroup_size: 256
    .name:           _ZL23rocblas_gemvt_sn_kernelILb0ELi256ELi4ElPK19rocblas_complex_numIfES1_S1_EviiT4_lPKT3_lilS7_lilPT5_i
    .private_segment_fixed_size: 48
    .sgpr_count:     55
    .sgpr_spill_count: 0
    .symbol:         _ZL23rocblas_gemvt_sn_kernelILb0ELi256ELi4ElPK19rocblas_complex_numIfES1_S1_EviiT4_lPKT3_lilS7_lilPT5_i.kd
    .uniform_work_group_size: 1
    .uses_dynamic_stack: false
    .vgpr_count:     90
    .vgpr_spill_count: 0
    .wavefront_size: 32
    .workgroup_processor_mode: 1
  - .args:
      - .offset:         0
        .size:           4
        .value_kind:     by_value
      - .offset:         4
        .size:           8
        .value_kind:     by_value
      - .offset:         16
        .size:           8
        .value_kind:     by_value
      - .address_space:  global
        .offset:         24
        .size:           8
        .value_kind:     global_buffer
      - .offset:         32
        .size:           8
        .value_kind:     by_value
      - .offset:         40
        .size:           4
        .value_kind:     by_value
      - .offset:         48
        .size:           8
        .value_kind:     by_value
      - .actual_access:  read_only
        .address_space:  global
        .offset:         56
        .size:           8
        .value_kind:     global_buffer
      - .offset:         64
        .size:           4
        .value_kind:     by_value
      - .offset:         72
        .size:           4
        .value_kind:     hidden_block_count_x
      - .offset:         76
        .size:           4
        .value_kind:     hidden_block_count_y
      - .offset:         80
        .size:           4
        .value_kind:     hidden_block_count_z
      - .offset:         84
        .size:           2
        .value_kind:     hidden_group_size_x
      - .offset:         86
        .size:           2
        .value_kind:     hidden_group_size_y
      - .offset:         88
        .size:           2
        .value_kind:     hidden_group_size_z
      - .offset:         90
        .size:           2
        .value_kind:     hidden_remainder_x
      - .offset:         92
        .size:           2
        .value_kind:     hidden_remainder_y
      - .offset:         94
        .size:           2
        .value_kind:     hidden_remainder_z
      - .offset:         112
        .size:           8
        .value_kind:     hidden_global_offset_x
      - .offset:         120
        .size:           8
        .value_kind:     hidden_global_offset_y
      - .offset:         128
        .size:           8
        .value_kind:     hidden_global_offset_z
      - .offset:         136
        .size:           2
        .value_kind:     hidden_grid_dims
    .group_segment_fixed_size: 256
    .kernarg_segment_align: 8
    .kernarg_segment_size: 328
    .language:       OpenCL C
    .language_version:
      - 2
      - 0
    .max_flat_workgroup_size: 256
    .name:           _ZL23rocblas_gemvt_sn_reduceILi256ELi8E19rocblas_complex_numIfES1_KPS1_EviT2_lPT3_lilPT1_i
    .private_segment_fixed_size: 0
    .sgpr_count:     24
    .sgpr_spill_count: 0
    .symbol:         _ZL23rocblas_gemvt_sn_reduceILi256ELi8E19rocblas_complex_numIfES1_KPS1_EviT2_lPT3_lilPT1_i.kd
    .uniform_work_group_size: 1
    .uses_dynamic_stack: false
    .vgpr_count:     22
    .vgpr_spill_count: 0
    .wavefront_size: 32
    .workgroup_processor_mode: 1
  - .args:
      - .offset:         0
        .size:           4
        .value_kind:     by_value
      - .offset:         4
        .size:           4
        .value_kind:     by_value
      - .address_space:  global
        .offset:         8
        .size:           8
        .value_kind:     global_buffer
      - .offset:         16
        .size:           8
        .value_kind:     by_value
      - .address_space:  global
        .offset:         24
        .size:           8
        .value_kind:     global_buffer
      - .offset:         32
        .size:           8
        .value_kind:     by_value
      - .offset:         40
        .size:           4
        .value_kind:     by_value
      - .offset:         48
        .size:           8
        .value_kind:     by_value
      - .address_space:  global
        .offset:         56
        .size:           8
        .value_kind:     global_buffer
      - .offset:         64
        .size:           8
        .value_kind:     by_value
      - .offset:         72
        .size:           4
        .value_kind:     by_value
      - .offset:         80
        .size:           8
        .value_kind:     by_value
      - .address_space:  global
        .offset:         88
        .size:           8
        .value_kind:     global_buffer
      - .offset:         96
        .size:           8
        .value_kind:     by_value
      - .address_space:  global
        .offset:         104
        .size:           8
        .value_kind:     global_buffer
      - .offset:         112
        .size:           8
        .value_kind:     by_value
      - .offset:         120
        .size:           4
        .value_kind:     by_value
      - .offset:         128
        .size:           8
        .value_kind:     by_value
      - .offset:         136
        .size:           4
        .value_kind:     by_value
    .group_segment_fixed_size: 256
    .kernarg_segment_align: 8
    .kernarg_segment_size: 140
    .language:       OpenCL C
    .language_version:
      - 2
      - 0
    .max_flat_workgroup_size: 256
    .name:           _ZL32rocblas_gemvt_warp_reduce_kernelILb0ELi256EiPK19rocblas_complex_numIfES3_KPS1_EviiT3_lPKT2_lT1_lS9_lSA_lS6_lPT4_lSA_li
    .private_segment_fixed_size: 0
    .sgpr_count:     26
    .sgpr_spill_count: 0
    .symbol:         _ZL32rocblas_gemvt_warp_reduce_kernelILb0ELi256EiPK19rocblas_complex_numIfES3_KPS1_EviiT3_lPKT2_lT1_lS9_lSA_lS6_lPT4_lSA_li.kd
    .uniform_work_group_size: 1
    .uses_dynamic_stack: false
    .vgpr_count:     14
    .vgpr_spill_count: 0
    .wavefront_size: 32
    .workgroup_processor_mode: 1
  - .args:
      - .offset:         0
        .size:           4
        .value_kind:     by_value
      - .offset:         4
        .size:           4
        .value_kind:     by_value
      - .address_space:  global
        .offset:         8
        .size:           8
        .value_kind:     global_buffer
      - .offset:         16
        .size:           8
        .value_kind:     by_value
      - .address_space:  global
        .offset:         24
        .size:           8
        .value_kind:     global_buffer
      - .offset:         32
        .size:           8
        .value_kind:     by_value
      - .offset:         40
        .size:           8
        .value_kind:     by_value
      - .offset:         48
        .size:           8
        .value_kind:     by_value
      - .address_space:  global
        .offset:         56
        .size:           8
        .value_kind:     global_buffer
      - .offset:         64
        .size:           8
        .value_kind:     by_value
      - .offset:         72
        .size:           8
        .value_kind:     by_value
      - .offset:         80
        .size:           8
        .value_kind:     by_value
      - .address_space:  global
        .offset:         88
        .size:           8
        .value_kind:     global_buffer
      - .offset:         96
        .size:           8
        .value_kind:     by_value
      - .address_space:  global
        .offset:         104
        .size:           8
        .value_kind:     global_buffer
      - .offset:         112
        .size:           8
        .value_kind:     by_value
      - .offset:         120
        .size:           8
        .value_kind:     by_value
      - .offset:         128
        .size:           8
        .value_kind:     by_value
      - .offset:         136
        .size:           4
        .value_kind:     by_value
    .group_segment_fixed_size: 256
    .kernarg_segment_align: 8
    .kernarg_segment_size: 140
    .language:       OpenCL C
    .language_version:
      - 2
      - 0
    .max_flat_workgroup_size: 256
    .name:           _ZL32rocblas_gemvt_warp_reduce_kernelILb0ELi256ElPK19rocblas_complex_numIfES3_KPS1_EviiT3_lPKT2_lT1_lS9_lSA_lS6_lPT4_lSA_li
    .private_segment_fixed_size: 0
    .sgpr_count:     33
    .sgpr_spill_count: 0
    .symbol:         _ZL32rocblas_gemvt_warp_reduce_kernelILb0ELi256ElPK19rocblas_complex_numIfES3_KPS1_EviiT3_lPKT2_lT1_lS9_lSA_lS6_lPT4_lSA_li.kd
    .uniform_work_group_size: 1
    .uses_dynamic_stack: false
    .vgpr_count:     15
    .vgpr_spill_count: 0
    .wavefront_size: 32
    .workgroup_processor_mode: 1
  - .args:
      - .offset:         0
        .size:           4
        .value_kind:     by_value
      - .offset:         4
        .size:           4
        .value_kind:     by_value
      - .offset:         8
        .size:           8
        .value_kind:     by_value
      - .offset:         16
        .size:           8
        .value_kind:     by_value
      - .address_space:  global
        .offset:         24
        .size:           8
        .value_kind:     global_buffer
      - .offset:         32
        .size:           8
        .value_kind:     by_value
      - .offset:         40
        .size:           4
        .value_kind:     by_value
      - .offset:         48
        .size:           8
        .value_kind:     by_value
      - .address_space:  global
        .offset:         56
        .size:           8
        .value_kind:     global_buffer
      - .offset:         64
        .size:           8
        .value_kind:     by_value
      - .offset:         72
        .size:           4
        .value_kind:     by_value
      - .offset:         80
        .size:           8
        .value_kind:     by_value
      - .offset:         88
        .size:           8
        .value_kind:     by_value
      - .offset:         96
        .size:           8
        .value_kind:     by_value
      - .address_space:  global
        .offset:         104
        .size:           8
        .value_kind:     global_buffer
      - .offset:         112
        .size:           8
        .value_kind:     by_value
      - .offset:         120
        .size:           4
        .value_kind:     by_value
      - .offset:         128
        .size:           8
        .value_kind:     by_value
      - .offset:         136
        .size:           4
        .value_kind:     by_value
    .group_segment_fixed_size: 256
    .kernarg_segment_align: 8
    .kernarg_segment_size: 140
    .language:       OpenCL C
    .language_version:
      - 2
      - 0
    .max_flat_workgroup_size: 256
    .name:           _ZL32rocblas_gemvt_warp_reduce_kernelILb0ELi256EiPK19rocblas_complex_numIfES1_KPS1_EviiT3_lPKT2_lT1_lS9_lSA_lS6_lPT4_lSA_li
    .private_segment_fixed_size: 0
    .sgpr_count:     26
    .sgpr_spill_count: 0
    .symbol:         _ZL32rocblas_gemvt_warp_reduce_kernelILb0ELi256EiPK19rocblas_complex_numIfES1_KPS1_EviiT3_lPKT2_lT1_lS9_lSA_lS6_lPT4_lSA_li.kd
    .uniform_work_group_size: 1
    .uses_dynamic_stack: false
    .vgpr_count:     14
    .vgpr_spill_count: 0
    .wavefront_size: 32
    .workgroup_processor_mode: 1
  - .args:
      - .offset:         0
        .size:           4
        .value_kind:     by_value
      - .offset:         4
        .size:           4
        .value_kind:     by_value
      - .offset:         8
        .size:           8
        .value_kind:     by_value
      - .offset:         16
        .size:           8
        .value_kind:     by_value
      - .address_space:  global
        .offset:         24
        .size:           8
        .value_kind:     global_buffer
      - .offset:         32
        .size:           8
        .value_kind:     by_value
      - .offset:         40
        .size:           8
        .value_kind:     by_value
      - .offset:         48
        .size:           8
        .value_kind:     by_value
      - .address_space:  global
        .offset:         56
        .size:           8
        .value_kind:     global_buffer
      - .offset:         64
        .size:           8
        .value_kind:     by_value
      - .offset:         72
        .size:           8
        .value_kind:     by_value
      - .offset:         80
        .size:           8
        .value_kind:     by_value
      - .offset:         88
        .size:           8
        .value_kind:     by_value
      - .offset:         96
        .size:           8
        .value_kind:     by_value
      - .address_space:  global
        .offset:         104
        .size:           8
        .value_kind:     global_buffer
      - .offset:         112
        .size:           8
        .value_kind:     by_value
      - .offset:         120
        .size:           8
        .value_kind:     by_value
      - .offset:         128
        .size:           8
        .value_kind:     by_value
      - .offset:         136
        .size:           4
        .value_kind:     by_value
    .group_segment_fixed_size: 256
    .kernarg_segment_align: 8
    .kernarg_segment_size: 140
    .language:       OpenCL C
    .language_version:
      - 2
      - 0
    .max_flat_workgroup_size: 256
    .name:           _ZL32rocblas_gemvt_warp_reduce_kernelILb0ELi256ElPK19rocblas_complex_numIfES1_KPS1_EviiT3_lPKT2_lT1_lS9_lSA_lS6_lPT4_lSA_li
    .private_segment_fixed_size: 0
    .sgpr_count:     30
    .sgpr_spill_count: 0
    .symbol:         _ZL32rocblas_gemvt_warp_reduce_kernelILb0ELi256ElPK19rocblas_complex_numIfES1_KPS1_EviiT3_lPKT2_lT1_lS9_lSA_lS6_lPT4_lSA_li.kd
    .uniform_work_group_size: 1
    .uses_dynamic_stack: false
    .vgpr_count:     15
    .vgpr_spill_count: 0
    .wavefront_size: 32
    .workgroup_processor_mode: 1
  - .args:
      - .offset:         0
        .size:           4
        .value_kind:     by_value
      - .offset:         4
        .size:           4
        .value_kind:     by_value
      - .address_space:  global
        .offset:         8
        .size:           8
        .value_kind:     global_buffer
      - .offset:         16
        .size:           8
        .value_kind:     by_value
      - .address_space:  global
        .offset:         24
        .size:           8
        .value_kind:     global_buffer
      - .offset:         32
        .size:           8
        .value_kind:     by_value
      - .offset:         40
        .size:           4
        .value_kind:     by_value
      - .offset:         48
        .size:           8
        .value_kind:     by_value
      - .address_space:  global
        .offset:         56
        .size:           8
        .value_kind:     global_buffer
      - .offset:         64
        .size:           8
        .value_kind:     by_value
      - .offset:         72
        .size:           4
        .value_kind:     by_value
      - .offset:         80
        .size:           8
        .value_kind:     by_value
      - .address_space:  global
        .offset:         88
        .size:           8
        .value_kind:     global_buffer
      - .offset:         96
        .size:           8
        .value_kind:     by_value
      - .address_space:  global
        .offset:         104
        .size:           8
        .value_kind:     global_buffer
      - .offset:         112
        .size:           8
        .value_kind:     by_value
      - .offset:         120
        .size:           4
        .value_kind:     by_value
      - .offset:         128
        .size:           8
        .value_kind:     by_value
      - .offset:         136
        .size:           4
        .value_kind:     by_value
    .group_segment_fixed_size: 2048
    .kernarg_segment_align: 8
    .kernarg_segment_size: 140
    .language:       OpenCL C
    .language_version:
      - 2
      - 0
    .max_flat_workgroup_size: 256
    .name:           _ZL20rocblas_gemvt_kernelILb0ELi256EPK19rocblas_complex_numIfES3_KPS1_EviiT2_lPKT1_lilS9_lilS6_lPT3_lili
    .private_segment_fixed_size: 0
    .sgpr_count:     26
    .sgpr_spill_count: 0
    .symbol:         _ZL20rocblas_gemvt_kernelILb0ELi256EPK19rocblas_complex_numIfES3_KPS1_EviiT2_lPKT1_lilS9_lilS6_lPT3_lili.kd
    .uniform_work_group_size: 1
    .uses_dynamic_stack: false
    .vgpr_count:     14
    .vgpr_spill_count: 0
    .wavefront_size: 32
    .workgroup_processor_mode: 1
  - .args:
      - .offset:         0
        .size:           4
        .value_kind:     by_value
      - .offset:         4
        .size:           4
        .value_kind:     by_value
      - .offset:         8
        .size:           8
        .value_kind:     by_value
      - .offset:         16
        .size:           8
        .value_kind:     by_value
      - .address_space:  global
        .offset:         24
        .size:           8
        .value_kind:     global_buffer
      - .offset:         32
        .size:           8
        .value_kind:     by_value
      - .offset:         40
        .size:           4
        .value_kind:     by_value
      - .offset:         48
        .size:           8
        .value_kind:     by_value
      - .address_space:  global
        .offset:         56
        .size:           8
        .value_kind:     global_buffer
      - .offset:         64
        .size:           8
        .value_kind:     by_value
      - .offset:         72
        .size:           4
        .value_kind:     by_value
      - .offset:         80
        .size:           8
        .value_kind:     by_value
      - .offset:         88
        .size:           8
        .value_kind:     by_value
      - .offset:         96
        .size:           8
        .value_kind:     by_value
      - .address_space:  global
        .offset:         104
        .size:           8
        .value_kind:     global_buffer
      - .offset:         112
        .size:           8
        .value_kind:     by_value
      - .offset:         120
        .size:           4
        .value_kind:     by_value
      - .offset:         128
        .size:           8
        .value_kind:     by_value
      - .offset:         136
        .size:           4
        .value_kind:     by_value
    .group_segment_fixed_size: 2048
    .kernarg_segment_align: 8
    .kernarg_segment_size: 140
    .language:       OpenCL C
    .language_version:
      - 2
      - 0
    .max_flat_workgroup_size: 256
    .name:           _ZL20rocblas_gemvt_kernelILb0ELi256EPK19rocblas_complex_numIfES1_KPS1_EviiT2_lPKT1_lilS9_lilS6_lPT3_lili
    .private_segment_fixed_size: 0
    .sgpr_count:     26
    .sgpr_spill_count: 0
    .symbol:         _ZL20rocblas_gemvt_kernelILb0ELi256EPK19rocblas_complex_numIfES1_KPS1_EviiT2_lPKT1_lilS9_lilS6_lPT3_lili.kd
    .uniform_work_group_size: 1
    .uses_dynamic_stack: false
    .vgpr_count:     14
    .vgpr_spill_count: 0
    .wavefront_size: 32
    .workgroup_processor_mode: 1
  - .args:
      - .offset:         0
        .size:           4
        .value_kind:     by_value
      - .offset:         4
        .size:           4
        .value_kind:     by_value
      - .address_space:  global
        .offset:         8
        .size:           8
        .value_kind:     global_buffer
      - .offset:         16
        .size:           8
        .value_kind:     by_value
      - .address_space:  global
        .offset:         24
        .size:           8
        .value_kind:     global_buffer
      - .offset:         32
        .size:           8
        .value_kind:     by_value
      - .offset:         40
        .size:           4
        .value_kind:     by_value
      - .offset:         48
        .size:           8
        .value_kind:     by_value
      - .address_space:  global
        .offset:         56
        .size:           8
        .value_kind:     global_buffer
      - .offset:         64
        .size:           8
        .value_kind:     by_value
      - .offset:         72
        .size:           4
        .value_kind:     by_value
      - .offset:         80
        .size:           8
        .value_kind:     by_value
      - .address_space:  global
        .offset:         88
        .size:           8
        .value_kind:     global_buffer
      - .offset:         96
        .size:           8
        .value_kind:     by_value
      - .address_space:  global
        .offset:         104
        .size:           8
        .value_kind:     global_buffer
      - .offset:         112
        .size:           8
        .value_kind:     by_value
      - .offset:         120
        .size:           4
        .value_kind:     by_value
      - .offset:         128
        .size:           8
        .value_kind:     by_value
      - .offset:         136
        .size:           4
        .value_kind:     by_value
    .group_segment_fixed_size: 256
    .kernarg_segment_align: 8
    .kernarg_segment_size: 140
    .language:       OpenCL C
    .language_version:
      - 2
      - 0
    .max_flat_workgroup_size: 1024
    .name:           _ZL32rocblas_gemvt_warp_reduce_kernelILb0ELi1024EiPK19rocblas_complex_numIfES3_KPS1_EviiT3_lPKT2_lT1_lS9_lSA_lS6_lPT4_lSA_li
    .private_segment_fixed_size: 0
    .sgpr_count:     26
    .sgpr_spill_count: 0
    .symbol:         _ZL32rocblas_gemvt_warp_reduce_kernelILb0ELi1024EiPK19rocblas_complex_numIfES3_KPS1_EviiT3_lPKT2_lT1_lS9_lSA_lS6_lPT4_lSA_li.kd
    .uniform_work_group_size: 1
    .uses_dynamic_stack: false
    .vgpr_count:     14
    .vgpr_spill_count: 0
    .wavefront_size: 32
    .workgroup_processor_mode: 1
  - .args:
      - .offset:         0
        .size:           4
        .value_kind:     by_value
      - .offset:         4
        .size:           4
        .value_kind:     by_value
      - .address_space:  global
        .offset:         8
        .size:           8
        .value_kind:     global_buffer
      - .offset:         16
        .size:           8
        .value_kind:     by_value
      - .address_space:  global
        .offset:         24
        .size:           8
        .value_kind:     global_buffer
      - .offset:         32
        .size:           8
        .value_kind:     by_value
      - .offset:         40
        .size:           8
        .value_kind:     by_value
      - .offset:         48
        .size:           8
        .value_kind:     by_value
      - .address_space:  global
        .offset:         56
        .size:           8
        .value_kind:     global_buffer
      - .offset:         64
        .size:           8
        .value_kind:     by_value
      - .offset:         72
        .size:           8
        .value_kind:     by_value
      - .offset:         80
        .size:           8
        .value_kind:     by_value
      - .address_space:  global
        .offset:         88
        .size:           8
        .value_kind:     global_buffer
      - .offset:         96
        .size:           8
        .value_kind:     by_value
      - .address_space:  global
        .offset:         104
        .size:           8
        .value_kind:     global_buffer
      - .offset:         112
        .size:           8
        .value_kind:     by_value
      - .offset:         120
        .size:           8
        .value_kind:     by_value
      - .offset:         128
        .size:           8
        .value_kind:     by_value
      - .offset:         136
        .size:           4
        .value_kind:     by_value
    .group_segment_fixed_size: 256
    .kernarg_segment_align: 8
    .kernarg_segment_size: 140
    .language:       OpenCL C
    .language_version:
      - 2
      - 0
    .max_flat_workgroup_size: 1024
    .name:           _ZL32rocblas_gemvt_warp_reduce_kernelILb0ELi1024ElPK19rocblas_complex_numIfES3_KPS1_EviiT3_lPKT2_lT1_lS9_lSA_lS6_lPT4_lSA_li
    .private_segment_fixed_size: 0
    .sgpr_count:     33
    .sgpr_spill_count: 0
    .symbol:         _ZL32rocblas_gemvt_warp_reduce_kernelILb0ELi1024ElPK19rocblas_complex_numIfES3_KPS1_EviiT3_lPKT2_lT1_lS9_lSA_lS6_lPT4_lSA_li.kd
    .uniform_work_group_size: 1
    .uses_dynamic_stack: false
    .vgpr_count:     15
    .vgpr_spill_count: 0
    .wavefront_size: 32
    .workgroup_processor_mode: 1
  - .args:
      - .offset:         0
        .size:           4
        .value_kind:     by_value
      - .offset:         4
        .size:           4
        .value_kind:     by_value
      - .offset:         8
        .size:           8
        .value_kind:     by_value
      - .offset:         16
        .size:           8
        .value_kind:     by_value
      - .address_space:  global
        .offset:         24
        .size:           8
        .value_kind:     global_buffer
      - .offset:         32
        .size:           8
        .value_kind:     by_value
      - .offset:         40
        .size:           4
        .value_kind:     by_value
      - .offset:         48
        .size:           8
        .value_kind:     by_value
      - .address_space:  global
        .offset:         56
        .size:           8
        .value_kind:     global_buffer
      - .offset:         64
        .size:           8
        .value_kind:     by_value
      - .offset:         72
        .size:           4
        .value_kind:     by_value
      - .offset:         80
        .size:           8
        .value_kind:     by_value
      - .offset:         88
        .size:           8
        .value_kind:     by_value
      - .offset:         96
        .size:           8
        .value_kind:     by_value
      - .address_space:  global
        .offset:         104
        .size:           8
        .value_kind:     global_buffer
      - .offset:         112
        .size:           8
        .value_kind:     by_value
      - .offset:         120
        .size:           4
        .value_kind:     by_value
      - .offset:         128
        .size:           8
        .value_kind:     by_value
      - .offset:         136
        .size:           4
        .value_kind:     by_value
    .group_segment_fixed_size: 256
    .kernarg_segment_align: 8
    .kernarg_segment_size: 140
    .language:       OpenCL C
    .language_version:
      - 2
      - 0
    .max_flat_workgroup_size: 1024
    .name:           _ZL32rocblas_gemvt_warp_reduce_kernelILb0ELi1024EiPK19rocblas_complex_numIfES1_KPS1_EviiT3_lPKT2_lT1_lS9_lSA_lS6_lPT4_lSA_li
    .private_segment_fixed_size: 0
    .sgpr_count:     26
    .sgpr_spill_count: 0
    .symbol:         _ZL32rocblas_gemvt_warp_reduce_kernelILb0ELi1024EiPK19rocblas_complex_numIfES1_KPS1_EviiT3_lPKT2_lT1_lS9_lSA_lS6_lPT4_lSA_li.kd
    .uniform_work_group_size: 1
    .uses_dynamic_stack: false
    .vgpr_count:     14
    .vgpr_spill_count: 0
    .wavefront_size: 32
    .workgroup_processor_mode: 1
  - .args:
      - .offset:         0
        .size:           4
        .value_kind:     by_value
      - .offset:         4
        .size:           4
        .value_kind:     by_value
      - .offset:         8
        .size:           8
        .value_kind:     by_value
      - .offset:         16
        .size:           8
        .value_kind:     by_value
      - .address_space:  global
        .offset:         24
        .size:           8
        .value_kind:     global_buffer
      - .offset:         32
        .size:           8
        .value_kind:     by_value
      - .offset:         40
        .size:           8
        .value_kind:     by_value
      - .offset:         48
        .size:           8
        .value_kind:     by_value
      - .address_space:  global
        .offset:         56
        .size:           8
        .value_kind:     global_buffer
      - .offset:         64
        .size:           8
        .value_kind:     by_value
      - .offset:         72
        .size:           8
        .value_kind:     by_value
      - .offset:         80
        .size:           8
        .value_kind:     by_value
      - .offset:         88
        .size:           8
        .value_kind:     by_value
      - .offset:         96
        .size:           8
        .value_kind:     by_value
      - .address_space:  global
        .offset:         104
        .size:           8
        .value_kind:     global_buffer
      - .offset:         112
        .size:           8
        .value_kind:     by_value
      - .offset:         120
        .size:           8
        .value_kind:     by_value
      - .offset:         128
        .size:           8
        .value_kind:     by_value
      - .offset:         136
        .size:           4
        .value_kind:     by_value
    .group_segment_fixed_size: 256
    .kernarg_segment_align: 8
    .kernarg_segment_size: 140
    .language:       OpenCL C
    .language_version:
      - 2
      - 0
    .max_flat_workgroup_size: 1024
    .name:           _ZL32rocblas_gemvt_warp_reduce_kernelILb0ELi1024ElPK19rocblas_complex_numIfES1_KPS1_EviiT3_lPKT2_lT1_lS9_lSA_lS6_lPT4_lSA_li
    .private_segment_fixed_size: 0
    .sgpr_count:     30
    .sgpr_spill_count: 0
    .symbol:         _ZL32rocblas_gemvt_warp_reduce_kernelILb0ELi1024ElPK19rocblas_complex_numIfES1_KPS1_EviiT3_lPKT2_lT1_lS9_lSA_lS6_lPT4_lSA_li.kd
    .uniform_work_group_size: 1
    .uses_dynamic_stack: false
    .vgpr_count:     15
    .vgpr_spill_count: 0
    .wavefront_size: 32
    .workgroup_processor_mode: 1
  - .args:
      - .offset:         0
        .size:           4
        .value_kind:     by_value
      - .offset:         4
        .size:           4
        .value_kind:     by_value
      - .address_space:  global
        .offset:         8
        .size:           8
        .value_kind:     global_buffer
      - .offset:         16
        .size:           8
        .value_kind:     by_value
      - .address_space:  global
        .offset:         24
        .size:           8
        .value_kind:     global_buffer
      - .offset:         32
        .size:           8
        .value_kind:     by_value
      - .offset:         40
        .size:           4
        .value_kind:     by_value
      - .offset:         48
        .size:           8
        .value_kind:     by_value
      - .address_space:  global
        .offset:         56
        .size:           8
        .value_kind:     global_buffer
      - .offset:         64
        .size:           8
        .value_kind:     by_value
      - .offset:         72
        .size:           4
        .value_kind:     by_value
      - .offset:         80
        .size:           8
        .value_kind:     by_value
      - .address_space:  global
        .offset:         88
        .size:           8
        .value_kind:     global_buffer
      - .offset:         96
        .size:           8
        .value_kind:     by_value
      - .address_space:  global
        .offset:         104
        .size:           8
        .value_kind:     global_buffer
      - .offset:         112
        .size:           8
        .value_kind:     by_value
      - .offset:         120
        .size:           4
        .value_kind:     by_value
      - .offset:         128
        .size:           8
        .value_kind:     by_value
    .group_segment_fixed_size: 512
    .kernarg_segment_align: 8
    .kernarg_segment_size: 136
    .language:       OpenCL C
    .language_version:
      - 2
      - 0
    .max_flat_workgroup_size: 256
    .name:           _ZL22rocblas_gemvtsm_kernelILb1ELi256EPK19rocblas_complex_numIfES3_KPS1_EviiT2_lPKT1_lilS9_lilS6_lPT3_lil
    .private_segment_fixed_size: 0
    .sgpr_count:     26
    .sgpr_spill_count: 0
    .symbol:         _ZL22rocblas_gemvtsm_kernelILb1ELi256EPK19rocblas_complex_numIfES3_KPS1_EviiT2_lPKT1_lilS9_lilS6_lPT3_lil.kd
    .uniform_work_group_size: 1
    .uses_dynamic_stack: false
    .vgpr_count:     49
    .vgpr_spill_count: 0
    .wavefront_size: 32
    .workgroup_processor_mode: 1
  - .args:
      - .offset:         0
        .size:           4
        .value_kind:     by_value
      - .offset:         4
        .size:           4
        .value_kind:     by_value
      - .offset:         8
        .size:           8
        .value_kind:     by_value
      - .offset:         16
        .size:           8
        .value_kind:     by_value
      - .address_space:  global
        .offset:         24
        .size:           8
        .value_kind:     global_buffer
      - .offset:         32
        .size:           8
        .value_kind:     by_value
      - .offset:         40
        .size:           4
        .value_kind:     by_value
      - .offset:         48
        .size:           8
        .value_kind:     by_value
      - .address_space:  global
        .offset:         56
        .size:           8
        .value_kind:     global_buffer
      - .offset:         64
        .size:           8
        .value_kind:     by_value
      - .offset:         72
        .size:           4
        .value_kind:     by_value
      - .offset:         80
        .size:           8
        .value_kind:     by_value
      - .offset:         88
        .size:           8
        .value_kind:     by_value
      - .offset:         96
        .size:           8
        .value_kind:     by_value
      - .address_space:  global
        .offset:         104
        .size:           8
        .value_kind:     global_buffer
      - .offset:         112
        .size:           8
        .value_kind:     by_value
      - .offset:         120
        .size:           4
        .value_kind:     by_value
      - .offset:         128
        .size:           8
        .value_kind:     by_value
    .group_segment_fixed_size: 512
    .kernarg_segment_align: 8
    .kernarg_segment_size: 136
    .language:       OpenCL C
    .language_version:
      - 2
      - 0
    .max_flat_workgroup_size: 256
    .name:           _ZL22rocblas_gemvtsm_kernelILb1ELi256EPK19rocblas_complex_numIfES1_KPS1_EviiT2_lPKT1_lilS9_lilS6_lPT3_lil
    .private_segment_fixed_size: 0
    .sgpr_count:     26
    .sgpr_spill_count: 0
    .symbol:         _ZL22rocblas_gemvtsm_kernelILb1ELi256EPK19rocblas_complex_numIfES1_KPS1_EviiT2_lPKT1_lilS9_lilS6_lPT3_lil.kd
    .uniform_work_group_size: 1
    .uses_dynamic_stack: false
    .vgpr_count:     49
    .vgpr_spill_count: 0
    .wavefront_size: 32
    .workgroup_processor_mode: 1
  - .args:
      - .offset:         0
        .size:           4
        .value_kind:     by_value
      - .offset:         4
        .size:           4
        .value_kind:     by_value
      - .address_space:  global
        .offset:         8
        .size:           8
        .value_kind:     global_buffer
      - .offset:         16
        .size:           8
        .value_kind:     by_value
      - .address_space:  global
        .offset:         24
        .size:           8
        .value_kind:     global_buffer
      - .offset:         32
        .size:           8
        .value_kind:     by_value
      - .offset:         40
        .size:           4
        .value_kind:     by_value
      - .offset:         48
        .size:           8
        .value_kind:     by_value
      - .address_space:  global
        .offset:         56
        .size:           8
        .value_kind:     global_buffer
      - .offset:         64
        .size:           8
        .value_kind:     by_value
      - .offset:         72
        .size:           4
        .value_kind:     by_value
      - .offset:         80
        .size:           8
        .value_kind:     by_value
      - .address_space:  global
        .offset:         88
        .size:           8
        .value_kind:     global_buffer
      - .offset:         96
        .size:           4
        .value_kind:     by_value
      - .offset:         104
        .size:           4
        .value_kind:     hidden_block_count_x
      - .offset:         108
        .size:           4
        .value_kind:     hidden_block_count_y
      - .offset:         112
        .size:           4
        .value_kind:     hidden_block_count_z
      - .offset:         116
        .size:           2
        .value_kind:     hidden_group_size_x
      - .offset:         118
        .size:           2
        .value_kind:     hidden_group_size_y
      - .offset:         120
        .size:           2
        .value_kind:     hidden_group_size_z
      - .offset:         122
        .size:           2
        .value_kind:     hidden_remainder_x
      - .offset:         124
        .size:           2
        .value_kind:     hidden_remainder_y
      - .offset:         126
        .size:           2
        .value_kind:     hidden_remainder_z
      - .offset:         144
        .size:           8
        .value_kind:     hidden_global_offset_x
      - .offset:         152
        .size:           8
        .value_kind:     hidden_global_offset_y
      - .offset:         160
        .size:           8
        .value_kind:     hidden_global_offset_z
      - .offset:         168
        .size:           2
        .value_kind:     hidden_grid_dims
    .group_segment_fixed_size: 256
    .kernarg_segment_align: 8
    .kernarg_segment_size: 360
    .language:       OpenCL C
    .language_version:
      - 2
      - 0
    .max_flat_workgroup_size: 256
    .name:           _ZL23rocblas_gemvt_sn_kernelILb1ELi256ELi4EiPK19rocblas_complex_numIfES3_S1_EviiT4_lPKT3_lilS7_lilPT5_i
    .private_segment_fixed_size: 48
    .sgpr_count:     46
    .sgpr_spill_count: 0
    .symbol:         _ZL23rocblas_gemvt_sn_kernelILb1ELi256ELi4EiPK19rocblas_complex_numIfES3_S1_EviiT4_lPKT3_lilS7_lilPT5_i.kd
    .uniform_work_group_size: 1
    .uses_dynamic_stack: false
    .vgpr_count:     80
    .vgpr_spill_count: 0
    .wavefront_size: 32
    .workgroup_processor_mode: 1
  - .args:
      - .offset:         0
        .size:           4
        .value_kind:     by_value
      - .offset:         4
        .size:           4
        .value_kind:     by_value
      - .address_space:  global
        .offset:         8
        .size:           8
        .value_kind:     global_buffer
      - .offset:         16
        .size:           8
        .value_kind:     by_value
      - .address_space:  global
        .offset:         24
        .size:           8
        .value_kind:     global_buffer
      - .offset:         32
        .size:           8
        .value_kind:     by_value
      - .offset:         40
        .size:           4
        .value_kind:     by_value
      - .offset:         48
        .size:           8
        .value_kind:     by_value
      - .address_space:  global
        .offset:         56
        .size:           8
        .value_kind:     global_buffer
      - .offset:         64
        .size:           8
        .value_kind:     by_value
      - .offset:         72
        .size:           4
        .value_kind:     by_value
      - .offset:         80
        .size:           8
        .value_kind:     by_value
      - .address_space:  global
        .offset:         88
        .size:           8
        .value_kind:     global_buffer
      - .offset:         96
        .size:           4
        .value_kind:     by_value
      - .offset:         104
        .size:           4
        .value_kind:     hidden_block_count_x
      - .offset:         108
        .size:           4
        .value_kind:     hidden_block_count_y
      - .offset:         112
        .size:           4
        .value_kind:     hidden_block_count_z
      - .offset:         116
        .size:           2
        .value_kind:     hidden_group_size_x
      - .offset:         118
        .size:           2
        .value_kind:     hidden_group_size_y
      - .offset:         120
        .size:           2
        .value_kind:     hidden_group_size_z
      - .offset:         122
        .size:           2
        .value_kind:     hidden_remainder_x
      - .offset:         124
        .size:           2
        .value_kind:     hidden_remainder_y
      - .offset:         126
        .size:           2
        .value_kind:     hidden_remainder_z
      - .offset:         144
        .size:           8
        .value_kind:     hidden_global_offset_x
      - .offset:         152
        .size:           8
        .value_kind:     hidden_global_offset_y
      - .offset:         160
        .size:           8
        .value_kind:     hidden_global_offset_z
      - .offset:         168
        .size:           2
        .value_kind:     hidden_grid_dims
    .group_segment_fixed_size: 256
    .kernarg_segment_align: 8
    .kernarg_segment_size: 360
    .language:       OpenCL C
    .language_version:
      - 2
      - 0
    .max_flat_workgroup_size: 256
    .name:           _ZL23rocblas_gemvt_sn_kernelILb1ELi256ELi4ElPK19rocblas_complex_numIfES3_S1_EviiT4_lPKT3_lilS7_lilPT5_i
    .private_segment_fixed_size: 48
    .sgpr_count:     44
    .sgpr_spill_count: 0
    .symbol:         _ZL23rocblas_gemvt_sn_kernelILb1ELi256ELi4ElPK19rocblas_complex_numIfES3_S1_EviiT4_lPKT3_lilS7_lilPT5_i.kd
    .uniform_work_group_size: 1
    .uses_dynamic_stack: false
    .vgpr_count:     90
    .vgpr_spill_count: 0
    .wavefront_size: 32
    .workgroup_processor_mode: 1
  - .args:
      - .offset:         0
        .size:           4
        .value_kind:     by_value
      - .offset:         4
        .size:           4
        .value_kind:     by_value
      - .offset:         8
        .size:           8
        .value_kind:     by_value
      - .offset:         16
        .size:           8
        .value_kind:     by_value
      - .address_space:  global
        .offset:         24
        .size:           8
        .value_kind:     global_buffer
      - .offset:         32
        .size:           8
        .value_kind:     by_value
      - .offset:         40
        .size:           4
        .value_kind:     by_value
      - .offset:         48
        .size:           8
        .value_kind:     by_value
      - .address_space:  global
        .offset:         56
        .size:           8
        .value_kind:     global_buffer
      - .offset:         64
        .size:           8
        .value_kind:     by_value
      - .offset:         72
        .size:           4
        .value_kind:     by_value
      - .offset:         80
        .size:           8
        .value_kind:     by_value
      - .address_space:  global
        .offset:         88
        .size:           8
        .value_kind:     global_buffer
      - .offset:         96
        .size:           4
        .value_kind:     by_value
      - .offset:         104
        .size:           4
        .value_kind:     hidden_block_count_x
      - .offset:         108
        .size:           4
        .value_kind:     hidden_block_count_y
      - .offset:         112
        .size:           4
        .value_kind:     hidden_block_count_z
      - .offset:         116
        .size:           2
        .value_kind:     hidden_group_size_x
      - .offset:         118
        .size:           2
        .value_kind:     hidden_group_size_y
      - .offset:         120
        .size:           2
        .value_kind:     hidden_group_size_z
      - .offset:         122
        .size:           2
        .value_kind:     hidden_remainder_x
      - .offset:         124
        .size:           2
        .value_kind:     hidden_remainder_y
      - .offset:         126
        .size:           2
        .value_kind:     hidden_remainder_z
      - .offset:         144
        .size:           8
        .value_kind:     hidden_global_offset_x
      - .offset:         152
        .size:           8
        .value_kind:     hidden_global_offset_y
      - .offset:         160
        .size:           8
        .value_kind:     hidden_global_offset_z
      - .offset:         168
        .size:           2
        .value_kind:     hidden_grid_dims
    .group_segment_fixed_size: 256
    .kernarg_segment_align: 8
    .kernarg_segment_size: 360
    .language:       OpenCL C
    .language_version:
      - 2
      - 0
    .max_flat_workgroup_size: 256
    .name:           _ZL23rocblas_gemvt_sn_kernelILb1ELi256ELi4EiPK19rocblas_complex_numIfES1_S1_EviiT4_lPKT3_lilS7_lilPT5_i
    .private_segment_fixed_size: 48
    .sgpr_count:     46
    .sgpr_spill_count: 0
    .symbol:         _ZL23rocblas_gemvt_sn_kernelILb1ELi256ELi4EiPK19rocblas_complex_numIfES1_S1_EviiT4_lPKT3_lilS7_lilPT5_i.kd
    .uniform_work_group_size: 1
    .uses_dynamic_stack: false
    .vgpr_count:     84
    .vgpr_spill_count: 0
    .wavefront_size: 32
    .workgroup_processor_mode: 1
  - .args:
      - .offset:         0
        .size:           4
        .value_kind:     by_value
      - .offset:         4
        .size:           4
        .value_kind:     by_value
      - .offset:         8
        .size:           8
        .value_kind:     by_value
      - .offset:         16
        .size:           8
        .value_kind:     by_value
      - .address_space:  global
        .offset:         24
        .size:           8
        .value_kind:     global_buffer
      - .offset:         32
        .size:           8
        .value_kind:     by_value
      - .offset:         40
        .size:           4
        .value_kind:     by_value
      - .offset:         48
        .size:           8
        .value_kind:     by_value
      - .address_space:  global
        .offset:         56
        .size:           8
        .value_kind:     global_buffer
      - .offset:         64
        .size:           8
        .value_kind:     by_value
      - .offset:         72
        .size:           4
        .value_kind:     by_value
      - .offset:         80
        .size:           8
        .value_kind:     by_value
      - .address_space:  global
        .offset:         88
        .size:           8
        .value_kind:     global_buffer
      - .offset:         96
        .size:           4
        .value_kind:     by_value
      - .offset:         104
        .size:           4
        .value_kind:     hidden_block_count_x
      - .offset:         108
        .size:           4
        .value_kind:     hidden_block_count_y
      - .offset:         112
        .size:           4
        .value_kind:     hidden_block_count_z
      - .offset:         116
        .size:           2
        .value_kind:     hidden_group_size_x
      - .offset:         118
        .size:           2
        .value_kind:     hidden_group_size_y
      - .offset:         120
        .size:           2
        .value_kind:     hidden_group_size_z
      - .offset:         122
        .size:           2
        .value_kind:     hidden_remainder_x
      - .offset:         124
        .size:           2
        .value_kind:     hidden_remainder_y
      - .offset:         126
        .size:           2
        .value_kind:     hidden_remainder_z
      - .offset:         144
        .size:           8
        .value_kind:     hidden_global_offset_x
      - .offset:         152
        .size:           8
        .value_kind:     hidden_global_offset_y
      - .offset:         160
        .size:           8
        .value_kind:     hidden_global_offset_z
      - .offset:         168
        .size:           2
        .value_kind:     hidden_grid_dims
    .group_segment_fixed_size: 256
    .kernarg_segment_align: 8
    .kernarg_segment_size: 360
    .language:       OpenCL C
    .language_version:
      - 2
      - 0
    .max_flat_workgroup_size: 256
    .name:           _ZL23rocblas_gemvt_sn_kernelILb1ELi256ELi4ElPK19rocblas_complex_numIfES1_S1_EviiT4_lPKT3_lilS7_lilPT5_i
    .private_segment_fixed_size: 48
    .sgpr_count:     51
    .sgpr_spill_count: 0
    .symbol:         _ZL23rocblas_gemvt_sn_kernelILb1ELi256ELi4ElPK19rocblas_complex_numIfES1_S1_EviiT4_lPKT3_lilS7_lilPT5_i.kd
    .uniform_work_group_size: 1
    .uses_dynamic_stack: false
    .vgpr_count:     90
    .vgpr_spill_count: 0
    .wavefront_size: 32
    .workgroup_processor_mode: 1
  - .args:
      - .offset:         0
        .size:           4
        .value_kind:     by_value
      - .offset:         4
        .size:           4
        .value_kind:     by_value
      - .address_space:  global
        .offset:         8
        .size:           8
        .value_kind:     global_buffer
      - .offset:         16
        .size:           8
        .value_kind:     by_value
      - .address_space:  global
        .offset:         24
        .size:           8
        .value_kind:     global_buffer
      - .offset:         32
        .size:           8
        .value_kind:     by_value
      - .offset:         40
        .size:           4
        .value_kind:     by_value
      - .offset:         48
        .size:           8
        .value_kind:     by_value
      - .address_space:  global
        .offset:         56
        .size:           8
        .value_kind:     global_buffer
      - .offset:         64
        .size:           8
        .value_kind:     by_value
      - .offset:         72
        .size:           4
        .value_kind:     by_value
      - .offset:         80
        .size:           8
        .value_kind:     by_value
      - .address_space:  global
        .offset:         88
        .size:           8
        .value_kind:     global_buffer
      - .offset:         96
        .size:           8
        .value_kind:     by_value
      - .address_space:  global
        .offset:         104
        .size:           8
        .value_kind:     global_buffer
      - .offset:         112
        .size:           8
        .value_kind:     by_value
      - .offset:         120
        .size:           4
        .value_kind:     by_value
      - .offset:         128
        .size:           8
        .value_kind:     by_value
      - .offset:         136
        .size:           4
        .value_kind:     by_value
    .group_segment_fixed_size: 2048
    .kernarg_segment_align: 8
    .kernarg_segment_size: 140
    .language:       OpenCL C
    .language_version:
      - 2
      - 0
    .max_flat_workgroup_size: 256
    .name:           _ZL20rocblas_gemvt_kernelILb1ELi256EPK19rocblas_complex_numIfES3_KPS1_EviiT2_lPKT1_lilS9_lilS6_lPT3_lili
    .private_segment_fixed_size: 0
    .sgpr_count:     26
    .sgpr_spill_count: 0
    .symbol:         _ZL20rocblas_gemvt_kernelILb1ELi256EPK19rocblas_complex_numIfES3_KPS1_EviiT2_lPKT1_lilS9_lilS6_lPT3_lili.kd
    .uniform_work_group_size: 1
    .uses_dynamic_stack: false
    .vgpr_count:     14
    .vgpr_spill_count: 0
    .wavefront_size: 32
    .workgroup_processor_mode: 1
  - .args:
      - .offset:         0
        .size:           4
        .value_kind:     by_value
      - .offset:         4
        .size:           4
        .value_kind:     by_value
      - .offset:         8
        .size:           8
        .value_kind:     by_value
      - .offset:         16
        .size:           8
        .value_kind:     by_value
      - .address_space:  global
        .offset:         24
        .size:           8
        .value_kind:     global_buffer
      - .offset:         32
        .size:           8
        .value_kind:     by_value
      - .offset:         40
        .size:           4
        .value_kind:     by_value
      - .offset:         48
        .size:           8
        .value_kind:     by_value
      - .address_space:  global
        .offset:         56
        .size:           8
        .value_kind:     global_buffer
      - .offset:         64
        .size:           8
        .value_kind:     by_value
      - .offset:         72
        .size:           4
        .value_kind:     by_value
      - .offset:         80
        .size:           8
        .value_kind:     by_value
      - .offset:         88
        .size:           8
        .value_kind:     by_value
      - .offset:         96
        .size:           8
        .value_kind:     by_value
      - .address_space:  global
        .offset:         104
        .size:           8
        .value_kind:     global_buffer
      - .offset:         112
        .size:           8
        .value_kind:     by_value
      - .offset:         120
        .size:           4
        .value_kind:     by_value
      - .offset:         128
        .size:           8
        .value_kind:     by_value
      - .offset:         136
        .size:           4
        .value_kind:     by_value
    .group_segment_fixed_size: 2048
    .kernarg_segment_align: 8
    .kernarg_segment_size: 140
    .language:       OpenCL C
    .language_version:
      - 2
      - 0
    .max_flat_workgroup_size: 256
    .name:           _ZL20rocblas_gemvt_kernelILb1ELi256EPK19rocblas_complex_numIfES1_KPS1_EviiT2_lPKT1_lilS9_lilS6_lPT3_lili
    .private_segment_fixed_size: 0
    .sgpr_count:     26
    .sgpr_spill_count: 0
    .symbol:         _ZL20rocblas_gemvt_kernelILb1ELi256EPK19rocblas_complex_numIfES1_KPS1_EviiT2_lPKT1_lilS9_lilS6_lPT3_lili.kd
    .uniform_work_group_size: 1
    .uses_dynamic_stack: false
    .vgpr_count:     14
    .vgpr_spill_count: 0
    .wavefront_size: 32
    .workgroup_processor_mode: 1
  - .args:
      - .offset:         0
        .size:           4
        .value_kind:     by_value
      - .offset:         4
        .size:           4
        .value_kind:     by_value
      - .address_space:  global
        .offset:         8
        .size:           8
        .value_kind:     global_buffer
      - .offset:         16
        .size:           8
        .value_kind:     by_value
      - .address_space:  global
        .offset:         24
        .size:           8
        .value_kind:     global_buffer
      - .offset:         32
        .size:           8
        .value_kind:     by_value
      - .offset:         40
        .size:           4
        .value_kind:     by_value
      - .offset:         48
        .size:           8
        .value_kind:     by_value
      - .address_space:  global
        .offset:         56
        .size:           8
        .value_kind:     global_buffer
      - .offset:         64
        .size:           8
        .value_kind:     by_value
      - .offset:         72
        .size:           4
        .value_kind:     by_value
      - .offset:         80
        .size:           8
        .value_kind:     by_value
      - .address_space:  global
        .offset:         88
        .size:           8
        .value_kind:     global_buffer
      - .offset:         96
        .size:           8
        .value_kind:     by_value
      - .address_space:  global
        .offset:         104
        .size:           8
        .value_kind:     global_buffer
      - .offset:         112
        .size:           8
        .value_kind:     by_value
      - .offset:         120
        .size:           4
        .value_kind:     by_value
      - .offset:         128
        .size:           8
        .value_kind:     by_value
      - .offset:         136
        .size:           4
        .value_kind:     by_value
    .group_segment_fixed_size: 256
    .kernarg_segment_align: 8
    .kernarg_segment_size: 140
    .language:       OpenCL C
    .language_version:
      - 2
      - 0
    .max_flat_workgroup_size: 1024
    .name:           _ZL32rocblas_gemvt_warp_reduce_kernelILb1ELi1024EiPK19rocblas_complex_numIfES3_KPS1_EviiT3_lPKT2_lT1_lS9_lSA_lS6_lPT4_lSA_li
    .private_segment_fixed_size: 0
    .sgpr_count:     26
    .sgpr_spill_count: 0
    .symbol:         _ZL32rocblas_gemvt_warp_reduce_kernelILb1ELi1024EiPK19rocblas_complex_numIfES3_KPS1_EviiT3_lPKT2_lT1_lS9_lSA_lS6_lPT4_lSA_li.kd
    .uniform_work_group_size: 1
    .uses_dynamic_stack: false
    .vgpr_count:     14
    .vgpr_spill_count: 0
    .wavefront_size: 32
    .workgroup_processor_mode: 1
  - .args:
      - .offset:         0
        .size:           4
        .value_kind:     by_value
      - .offset:         4
        .size:           4
        .value_kind:     by_value
      - .address_space:  global
        .offset:         8
        .size:           8
        .value_kind:     global_buffer
      - .offset:         16
        .size:           8
        .value_kind:     by_value
      - .address_space:  global
        .offset:         24
        .size:           8
        .value_kind:     global_buffer
      - .offset:         32
        .size:           8
        .value_kind:     by_value
      - .offset:         40
        .size:           8
        .value_kind:     by_value
      - .offset:         48
        .size:           8
        .value_kind:     by_value
      - .address_space:  global
        .offset:         56
        .size:           8
        .value_kind:     global_buffer
      - .offset:         64
        .size:           8
        .value_kind:     by_value
      - .offset:         72
        .size:           8
        .value_kind:     by_value
      - .offset:         80
        .size:           8
        .value_kind:     by_value
      - .address_space:  global
        .offset:         88
        .size:           8
        .value_kind:     global_buffer
      - .offset:         96
        .size:           8
        .value_kind:     by_value
      - .address_space:  global
        .offset:         104
        .size:           8
        .value_kind:     global_buffer
      - .offset:         112
        .size:           8
        .value_kind:     by_value
      - .offset:         120
        .size:           8
        .value_kind:     by_value
      - .offset:         128
        .size:           8
        .value_kind:     by_value
      - .offset:         136
        .size:           4
        .value_kind:     by_value
    .group_segment_fixed_size: 256
    .kernarg_segment_align: 8
    .kernarg_segment_size: 140
    .language:       OpenCL C
    .language_version:
      - 2
      - 0
    .max_flat_workgroup_size: 1024
    .name:           _ZL32rocblas_gemvt_warp_reduce_kernelILb1ELi1024ElPK19rocblas_complex_numIfES3_KPS1_EviiT3_lPKT2_lT1_lS9_lSA_lS6_lPT4_lSA_li
    .private_segment_fixed_size: 0
    .sgpr_count:     33
    .sgpr_spill_count: 0
    .symbol:         _ZL32rocblas_gemvt_warp_reduce_kernelILb1ELi1024ElPK19rocblas_complex_numIfES3_KPS1_EviiT3_lPKT2_lT1_lS9_lSA_lS6_lPT4_lSA_li.kd
    .uniform_work_group_size: 1
    .uses_dynamic_stack: false
    .vgpr_count:     15
    .vgpr_spill_count: 0
    .wavefront_size: 32
    .workgroup_processor_mode: 1
  - .args:
      - .offset:         0
        .size:           4
        .value_kind:     by_value
      - .offset:         4
        .size:           4
        .value_kind:     by_value
      - .offset:         8
        .size:           8
        .value_kind:     by_value
      - .offset:         16
        .size:           8
        .value_kind:     by_value
      - .address_space:  global
        .offset:         24
        .size:           8
        .value_kind:     global_buffer
      - .offset:         32
        .size:           8
        .value_kind:     by_value
      - .offset:         40
        .size:           4
        .value_kind:     by_value
      - .offset:         48
        .size:           8
        .value_kind:     by_value
      - .address_space:  global
        .offset:         56
        .size:           8
        .value_kind:     global_buffer
      - .offset:         64
        .size:           8
        .value_kind:     by_value
      - .offset:         72
        .size:           4
        .value_kind:     by_value
      - .offset:         80
        .size:           8
        .value_kind:     by_value
      - .offset:         88
        .size:           8
        .value_kind:     by_value
      - .offset:         96
        .size:           8
        .value_kind:     by_value
      - .address_space:  global
        .offset:         104
        .size:           8
        .value_kind:     global_buffer
      - .offset:         112
        .size:           8
        .value_kind:     by_value
      - .offset:         120
        .size:           4
        .value_kind:     by_value
      - .offset:         128
        .size:           8
        .value_kind:     by_value
      - .offset:         136
        .size:           4
        .value_kind:     by_value
    .group_segment_fixed_size: 256
    .kernarg_segment_align: 8
    .kernarg_segment_size: 140
    .language:       OpenCL C
    .language_version:
      - 2
      - 0
    .max_flat_workgroup_size: 1024
    .name:           _ZL32rocblas_gemvt_warp_reduce_kernelILb1ELi1024EiPK19rocblas_complex_numIfES1_KPS1_EviiT3_lPKT2_lT1_lS9_lSA_lS6_lPT4_lSA_li
    .private_segment_fixed_size: 0
    .sgpr_count:     26
    .sgpr_spill_count: 0
    .symbol:         _ZL32rocblas_gemvt_warp_reduce_kernelILb1ELi1024EiPK19rocblas_complex_numIfES1_KPS1_EviiT3_lPKT2_lT1_lS9_lSA_lS6_lPT4_lSA_li.kd
    .uniform_work_group_size: 1
    .uses_dynamic_stack: false
    .vgpr_count:     14
    .vgpr_spill_count: 0
    .wavefront_size: 32
    .workgroup_processor_mode: 1
  - .args:
      - .offset:         0
        .size:           4
        .value_kind:     by_value
      - .offset:         4
        .size:           4
        .value_kind:     by_value
      - .offset:         8
        .size:           8
        .value_kind:     by_value
      - .offset:         16
        .size:           8
        .value_kind:     by_value
      - .address_space:  global
        .offset:         24
        .size:           8
        .value_kind:     global_buffer
      - .offset:         32
        .size:           8
        .value_kind:     by_value
      - .offset:         40
        .size:           8
        .value_kind:     by_value
      - .offset:         48
        .size:           8
        .value_kind:     by_value
      - .address_space:  global
        .offset:         56
        .size:           8
        .value_kind:     global_buffer
      - .offset:         64
        .size:           8
        .value_kind:     by_value
      - .offset:         72
        .size:           8
        .value_kind:     by_value
      - .offset:         80
        .size:           8
        .value_kind:     by_value
      - .offset:         88
        .size:           8
        .value_kind:     by_value
      - .offset:         96
        .size:           8
        .value_kind:     by_value
      - .address_space:  global
        .offset:         104
        .size:           8
        .value_kind:     global_buffer
      - .offset:         112
        .size:           8
        .value_kind:     by_value
      - .offset:         120
        .size:           8
        .value_kind:     by_value
      - .offset:         128
        .size:           8
        .value_kind:     by_value
      - .offset:         136
        .size:           4
        .value_kind:     by_value
    .group_segment_fixed_size: 256
    .kernarg_segment_align: 8
    .kernarg_segment_size: 140
    .language:       OpenCL C
    .language_version:
      - 2
      - 0
    .max_flat_workgroup_size: 1024
    .name:           _ZL32rocblas_gemvt_warp_reduce_kernelILb1ELi1024ElPK19rocblas_complex_numIfES1_KPS1_EviiT3_lPKT2_lT1_lS9_lSA_lS6_lPT4_lSA_li
    .private_segment_fixed_size: 0
    .sgpr_count:     30
    .sgpr_spill_count: 0
    .symbol:         _ZL32rocblas_gemvt_warp_reduce_kernelILb1ELi1024ElPK19rocblas_complex_numIfES1_KPS1_EviiT3_lPKT2_lT1_lS9_lSA_lS6_lPT4_lSA_li.kd
    .uniform_work_group_size: 1
    .uses_dynamic_stack: false
    .vgpr_count:     15
    .vgpr_spill_count: 0
    .wavefront_size: 32
    .workgroup_processor_mode: 1
  - .args:
      - .offset:         0
        .size:           4
        .value_kind:     by_value
      - .offset:         4
        .size:           4
        .value_kind:     by_value
      - .address_space:  global
        .offset:         8
        .size:           8
        .value_kind:     global_buffer
      - .offset:         16
        .size:           8
        .value_kind:     by_value
      - .address_space:  global
        .offset:         24
        .size:           8
        .value_kind:     global_buffer
      - .offset:         32
        .size:           8
        .value_kind:     by_value
      - .offset:         40
        .size:           4
        .value_kind:     by_value
      - .offset:         48
        .size:           8
        .value_kind:     by_value
      - .address_space:  global
        .offset:         56
        .size:           8
        .value_kind:     global_buffer
      - .offset:         64
        .size:           8
        .value_kind:     by_value
      - .offset:         72
        .size:           4
        .value_kind:     by_value
      - .offset:         80
        .size:           8
        .value_kind:     by_value
      - .address_space:  global
        .offset:         88
        .size:           8
        .value_kind:     global_buffer
      - .offset:         96
        .size:           8
        .value_kind:     by_value
      - .address_space:  global
        .offset:         104
        .size:           8
        .value_kind:     global_buffer
      - .offset:         112
        .size:           8
        .value_kind:     by_value
      - .offset:         120
        .size:           4
        .value_kind:     by_value
      - .offset:         128
        .size:           8
        .value_kind:     by_value
      - .offset:         136
        .size:           4
        .value_kind:     by_value
    .group_segment_fixed_size: 0
    .kernarg_segment_align: 8
    .kernarg_segment_size: 140
    .language:       OpenCL C
    .language_version:
      - 2
      - 0
    .max_flat_workgroup_size: 768
    .name:           _ZL34rocblas_gemvn_sm_mn_batched_kernelILi32ELi24EPK19rocblas_complex_numIdES3_KPS1_EviiT2_lPKT1_lilS9_lilS6_lPT3_lili
    .private_segment_fixed_size: 0
    .sgpr_count:     0
    .sgpr_spill_count: 0
    .symbol:         _ZL34rocblas_gemvn_sm_mn_batched_kernelILi32ELi24EPK19rocblas_complex_numIdES3_KPS1_EviiT2_lPKT1_lilS9_lilS6_lPT3_lili.kd
    .uniform_work_group_size: 1
    .uses_dynamic_stack: false
    .vgpr_count:     0
    .vgpr_spill_count: 0
    .wavefront_size: 32
    .workgroup_processor_mode: 1
  - .args:
      - .offset:         0
        .size:           4
        .value_kind:     by_value
      - .offset:         4
        .size:           4
        .value_kind:     by_value
      - .offset:         8
        .size:           16
        .value_kind:     by_value
      - .offset:         24
        .size:           8
        .value_kind:     by_value
      - .address_space:  global
        .offset:         32
        .size:           8
        .value_kind:     global_buffer
      - .offset:         40
        .size:           8
        .value_kind:     by_value
      - .offset:         48
        .size:           4
        .value_kind:     by_value
      - .offset:         56
        .size:           8
        .value_kind:     by_value
      - .address_space:  global
        .offset:         64
        .size:           8
        .value_kind:     global_buffer
      - .offset:         72
        .size:           8
        .value_kind:     by_value
      - .offset:         80
        .size:           4
        .value_kind:     by_value
      - .offset:         88
        .size:           8
        .value_kind:     by_value
      - .offset:         96
        .size:           16
        .value_kind:     by_value
      - .offset:         112
        .size:           8
        .value_kind:     by_value
      - .address_space:  global
        .offset:         120
        .size:           8
        .value_kind:     global_buffer
      - .offset:         128
        .size:           8
        .value_kind:     by_value
      - .offset:         136
        .size:           4
        .value_kind:     by_value
      - .offset:         144
        .size:           8
        .value_kind:     by_value
      - .offset:         152
        .size:           4
        .value_kind:     by_value
    .group_segment_fixed_size: 0
    .kernarg_segment_align: 8
    .kernarg_segment_size: 156
    .language:       OpenCL C
    .language_version:
      - 2
      - 0
    .max_flat_workgroup_size: 768
    .name:           _ZL34rocblas_gemvn_sm_mn_batched_kernelILi32ELi24EPK19rocblas_complex_numIdES1_KPS1_EviiT2_lPKT1_lilS9_lilS6_lPT3_lili
    .private_segment_fixed_size: 0
    .sgpr_count:     0
    .sgpr_spill_count: 0
    .symbol:         _ZL34rocblas_gemvn_sm_mn_batched_kernelILi32ELi24EPK19rocblas_complex_numIdES1_KPS1_EviiT2_lPKT1_lilS9_lilS6_lPT3_lili.kd
    .uniform_work_group_size: 1
    .uses_dynamic_stack: false
    .vgpr_count:     0
    .vgpr_spill_count: 0
    .wavefront_size: 32
    .workgroup_processor_mode: 1
  - .args:
      - .offset:         0
        .size:           4
        .value_kind:     by_value
      - .offset:         4
        .size:           4
        .value_kind:     by_value
      - .address_space:  global
        .offset:         8
        .size:           8
        .value_kind:     global_buffer
      - .offset:         16
        .size:           8
        .value_kind:     by_value
      - .address_space:  global
        .offset:         24
        .size:           8
        .value_kind:     global_buffer
      - .offset:         32
        .size:           8
        .value_kind:     by_value
      - .offset:         40
        .size:           4
        .value_kind:     by_value
      - .offset:         48
        .size:           8
        .value_kind:     by_value
      - .address_space:  global
        .offset:         56
        .size:           8
        .value_kind:     global_buffer
      - .offset:         64
        .size:           8
        .value_kind:     by_value
      - .offset:         72
        .size:           4
        .value_kind:     by_value
      - .offset:         80
        .size:           8
        .value_kind:     by_value
      - .address_space:  global
        .offset:         88
        .size:           8
        .value_kind:     global_buffer
      - .offset:         96
        .size:           8
        .value_kind:     by_value
      - .address_space:  global
        .offset:         104
        .size:           8
        .value_kind:     global_buffer
      - .offset:         112
        .size:           8
        .value_kind:     by_value
      - .offset:         120
        .size:           4
        .value_kind:     by_value
      - .offset:         128
        .size:           8
        .value_kind:     by_value
      - .offset:         136
        .size:           4
        .value_kind:     by_value
      - .offset:         144
        .size:           4
        .value_kind:     hidden_block_count_x
      - .offset:         148
        .size:           4
        .value_kind:     hidden_block_count_y
      - .offset:         152
        .size:           4
        .value_kind:     hidden_block_count_z
      - .offset:         156
        .size:           2
        .value_kind:     hidden_group_size_x
      - .offset:         158
        .size:           2
        .value_kind:     hidden_group_size_y
      - .offset:         160
        .size:           2
        .value_kind:     hidden_group_size_z
      - .offset:         162
        .size:           2
        .value_kind:     hidden_remainder_x
      - .offset:         164
        .size:           2
        .value_kind:     hidden_remainder_y
      - .offset:         166
        .size:           2
        .value_kind:     hidden_remainder_z
      - .offset:         184
        .size:           8
        .value_kind:     hidden_global_offset_x
      - .offset:         192
        .size:           8
        .value_kind:     hidden_global_offset_y
      - .offset:         200
        .size:           8
        .value_kind:     hidden_global_offset_z
      - .offset:         208
        .size:           2
        .value_kind:     hidden_grid_dims
    .group_segment_fixed_size: 4096
    .kernarg_segment_align: 8
    .kernarg_segment_size: 400
    .language:       OpenCL C
    .language_version:
      - 2
      - 0
    .max_flat_workgroup_size: 256
    .name:           _ZL20rocblas_gemvn_kernelILi64ELi4EiPK19rocblas_complex_numIdES3_KPS1_EviiT3_lPKT2_lT1_lS9_lSA_lS6_lPT4_lSA_li
    .private_segment_fixed_size: 0
    .sgpr_count:     34
    .sgpr_spill_count: 0
    .symbol:         _ZL20rocblas_gemvn_kernelILi64ELi4EiPK19rocblas_complex_numIdES3_KPS1_EviiT3_lPKT2_lT1_lS9_lSA_lS6_lPT4_lSA_li.kd
    .uniform_work_group_size: 1
    .uses_dynamic_stack: false
    .vgpr_count:     21
    .vgpr_spill_count: 0
    .wavefront_size: 32
    .workgroup_processor_mode: 1
  - .args:
      - .offset:         0
        .size:           4
        .value_kind:     by_value
      - .offset:         4
        .size:           4
        .value_kind:     by_value
      - .address_space:  global
        .offset:         8
        .size:           8
        .value_kind:     global_buffer
      - .offset:         16
        .size:           8
        .value_kind:     by_value
      - .address_space:  global
        .offset:         24
        .size:           8
        .value_kind:     global_buffer
      - .offset:         32
        .size:           8
        .value_kind:     by_value
      - .offset:         40
        .size:           8
        .value_kind:     by_value
      - .offset:         48
        .size:           8
        .value_kind:     by_value
      - .address_space:  global
        .offset:         56
        .size:           8
        .value_kind:     global_buffer
      - .offset:         64
        .size:           8
        .value_kind:     by_value
      - .offset:         72
        .size:           8
        .value_kind:     by_value
      - .offset:         80
        .size:           8
        .value_kind:     by_value
      - .address_space:  global
        .offset:         88
        .size:           8
        .value_kind:     global_buffer
      - .offset:         96
        .size:           8
        .value_kind:     by_value
      - .address_space:  global
        .offset:         104
        .size:           8
        .value_kind:     global_buffer
      - .offset:         112
        .size:           8
        .value_kind:     by_value
      - .offset:         120
        .size:           8
        .value_kind:     by_value
      - .offset:         128
        .size:           8
        .value_kind:     by_value
      - .offset:         136
        .size:           4
        .value_kind:     by_value
      - .offset:         144
        .size:           4
        .value_kind:     hidden_block_count_x
      - .offset:         148
        .size:           4
        .value_kind:     hidden_block_count_y
      - .offset:         152
        .size:           4
        .value_kind:     hidden_block_count_z
      - .offset:         156
        .size:           2
        .value_kind:     hidden_group_size_x
      - .offset:         158
        .size:           2
        .value_kind:     hidden_group_size_y
      - .offset:         160
        .size:           2
        .value_kind:     hidden_group_size_z
      - .offset:         162
        .size:           2
        .value_kind:     hidden_remainder_x
      - .offset:         164
        .size:           2
        .value_kind:     hidden_remainder_y
      - .offset:         166
        .size:           2
        .value_kind:     hidden_remainder_z
      - .offset:         184
        .size:           8
        .value_kind:     hidden_global_offset_x
      - .offset:         192
        .size:           8
        .value_kind:     hidden_global_offset_y
      - .offset:         200
        .size:           8
        .value_kind:     hidden_global_offset_z
      - .offset:         208
        .size:           2
        .value_kind:     hidden_grid_dims
    .group_segment_fixed_size: 4096
    .kernarg_segment_align: 8
    .kernarg_segment_size: 400
    .language:       OpenCL C
    .language_version:
      - 2
      - 0
    .max_flat_workgroup_size: 256
    .name:           _ZL20rocblas_gemvn_kernelILi64ELi4ElPK19rocblas_complex_numIdES3_KPS1_EviiT3_lPKT2_lT1_lS9_lSA_lS6_lPT4_lSA_li
    .private_segment_fixed_size: 0
    .sgpr_count:     36
    .sgpr_spill_count: 0
    .symbol:         _ZL20rocblas_gemvn_kernelILi64ELi4ElPK19rocblas_complex_numIdES3_KPS1_EviiT3_lPKT2_lT1_lS9_lSA_lS6_lPT4_lSA_li.kd
    .uniform_work_group_size: 1
    .uses_dynamic_stack: false
    .vgpr_count:     21
    .vgpr_spill_count: 0
    .wavefront_size: 32
    .workgroup_processor_mode: 1
  - .args:
      - .offset:         0
        .size:           4
        .value_kind:     by_value
      - .offset:         4
        .size:           4
        .value_kind:     by_value
      - .offset:         8
        .size:           16
        .value_kind:     by_value
      - .offset:         24
        .size:           8
        .value_kind:     by_value
      - .address_space:  global
        .offset:         32
        .size:           8
        .value_kind:     global_buffer
      - .offset:         40
        .size:           8
        .value_kind:     by_value
      - .offset:         48
        .size:           4
        .value_kind:     by_value
      - .offset:         56
        .size:           8
        .value_kind:     by_value
      - .address_space:  global
        .offset:         64
        .size:           8
        .value_kind:     global_buffer
      - .offset:         72
        .size:           8
        .value_kind:     by_value
      - .offset:         80
        .size:           4
        .value_kind:     by_value
      - .offset:         88
        .size:           8
        .value_kind:     by_value
      - .offset:         96
        .size:           16
        .value_kind:     by_value
      - .offset:         112
        .size:           8
        .value_kind:     by_value
      - .address_space:  global
        .offset:         120
        .size:           8
        .value_kind:     global_buffer
      - .offset:         128
        .size:           8
        .value_kind:     by_value
      - .offset:         136
        .size:           4
        .value_kind:     by_value
      - .offset:         144
        .size:           8
        .value_kind:     by_value
      - .offset:         152
        .size:           4
        .value_kind:     by_value
      - .offset:         160
        .size:           4
        .value_kind:     hidden_block_count_x
      - .offset:         164
        .size:           4
        .value_kind:     hidden_block_count_y
      - .offset:         168
        .size:           4
        .value_kind:     hidden_block_count_z
      - .offset:         172
        .size:           2
        .value_kind:     hidden_group_size_x
      - .offset:         174
        .size:           2
        .value_kind:     hidden_group_size_y
      - .offset:         176
        .size:           2
        .value_kind:     hidden_group_size_z
      - .offset:         178
        .size:           2
        .value_kind:     hidden_remainder_x
      - .offset:         180
        .size:           2
        .value_kind:     hidden_remainder_y
      - .offset:         182
        .size:           2
        .value_kind:     hidden_remainder_z
      - .offset:         200
        .size:           8
        .value_kind:     hidden_global_offset_x
      - .offset:         208
        .size:           8
        .value_kind:     hidden_global_offset_y
      - .offset:         216
        .size:           8
        .value_kind:     hidden_global_offset_z
      - .offset:         224
        .size:           2
        .value_kind:     hidden_grid_dims
    .group_segment_fixed_size: 4096
    .kernarg_segment_align: 8
    .kernarg_segment_size: 416
    .language:       OpenCL C
    .language_version:
      - 2
      - 0
    .max_flat_workgroup_size: 256
    .name:           _ZL20rocblas_gemvn_kernelILi64ELi4EiPK19rocblas_complex_numIdES1_KPS1_EviiT3_lPKT2_lT1_lS9_lSA_lS6_lPT4_lSA_li
    .private_segment_fixed_size: 0
    .sgpr_count:     30
    .sgpr_spill_count: 0
    .symbol:         _ZL20rocblas_gemvn_kernelILi64ELi4EiPK19rocblas_complex_numIdES1_KPS1_EviiT3_lPKT2_lT1_lS9_lSA_lS6_lPT4_lSA_li.kd
    .uniform_work_group_size: 1
    .uses_dynamic_stack: false
    .vgpr_count:     21
    .vgpr_spill_count: 0
    .wavefront_size: 32
    .workgroup_processor_mode: 1
  - .args:
      - .offset:         0
        .size:           4
        .value_kind:     by_value
      - .offset:         4
        .size:           4
        .value_kind:     by_value
      - .offset:         8
        .size:           16
        .value_kind:     by_value
      - .offset:         24
        .size:           8
        .value_kind:     by_value
      - .address_space:  global
        .offset:         32
        .size:           8
        .value_kind:     global_buffer
      - .offset:         40
        .size:           8
        .value_kind:     by_value
      - .offset:         48
        .size:           8
        .value_kind:     by_value
      - .offset:         56
        .size:           8
        .value_kind:     by_value
      - .address_space:  global
        .offset:         64
        .size:           8
        .value_kind:     global_buffer
      - .offset:         72
        .size:           8
        .value_kind:     by_value
      - .offset:         80
        .size:           8
        .value_kind:     by_value
      - .offset:         88
        .size:           8
        .value_kind:     by_value
      - .offset:         96
        .size:           16
        .value_kind:     by_value
      - .offset:         112
        .size:           8
        .value_kind:     by_value
      - .address_space:  global
        .offset:         120
        .size:           8
        .value_kind:     global_buffer
      - .offset:         128
        .size:           8
        .value_kind:     by_value
      - .offset:         136
        .size:           8
        .value_kind:     by_value
      - .offset:         144
        .size:           8
        .value_kind:     by_value
      - .offset:         152
        .size:           4
        .value_kind:     by_value
      - .offset:         160
        .size:           4
        .value_kind:     hidden_block_count_x
      - .offset:         164
        .size:           4
        .value_kind:     hidden_block_count_y
      - .offset:         168
        .size:           4
        .value_kind:     hidden_block_count_z
      - .offset:         172
        .size:           2
        .value_kind:     hidden_group_size_x
      - .offset:         174
        .size:           2
        .value_kind:     hidden_group_size_y
      - .offset:         176
        .size:           2
        .value_kind:     hidden_group_size_z
      - .offset:         178
        .size:           2
        .value_kind:     hidden_remainder_x
      - .offset:         180
        .size:           2
        .value_kind:     hidden_remainder_y
      - .offset:         182
        .size:           2
        .value_kind:     hidden_remainder_z
      - .offset:         200
        .size:           8
        .value_kind:     hidden_global_offset_x
      - .offset:         208
        .size:           8
        .value_kind:     hidden_global_offset_y
      - .offset:         216
        .size:           8
        .value_kind:     hidden_global_offset_z
      - .offset:         224
        .size:           2
        .value_kind:     hidden_grid_dims
    .group_segment_fixed_size: 4096
    .kernarg_segment_align: 8
    .kernarg_segment_size: 416
    .language:       OpenCL C
    .language_version:
      - 2
      - 0
    .max_flat_workgroup_size: 256
    .name:           _ZL20rocblas_gemvn_kernelILi64ELi4ElPK19rocblas_complex_numIdES1_KPS1_EviiT3_lPKT2_lT1_lS9_lSA_lS6_lPT4_lSA_li
    .private_segment_fixed_size: 0
    .sgpr_count:     36
    .sgpr_spill_count: 0
    .symbol:         _ZL20rocblas_gemvn_kernelILi64ELi4ElPK19rocblas_complex_numIdES1_KPS1_EviiT3_lPKT2_lT1_lS9_lSA_lS6_lPT4_lSA_li.kd
    .uniform_work_group_size: 1
    .uses_dynamic_stack: false
    .vgpr_count:     21
    .vgpr_spill_count: 0
    .wavefront_size: 32
    .workgroup_processor_mode: 1
  - .args:
      - .offset:         0
        .size:           4
        .value_kind:     by_value
      - .offset:         4
        .size:           4
        .value_kind:     by_value
      - .address_space:  global
        .offset:         8
        .size:           8
        .value_kind:     global_buffer
      - .offset:         16
        .size:           8
        .value_kind:     by_value
      - .address_space:  global
        .offset:         24
        .size:           8
        .value_kind:     global_buffer
      - .offset:         32
        .size:           8
        .value_kind:     by_value
      - .offset:         40
        .size:           4
        .value_kind:     by_value
      - .offset:         48
        .size:           8
        .value_kind:     by_value
      - .address_space:  global
        .offset:         56
        .size:           8
        .value_kind:     global_buffer
      - .offset:         64
        .size:           8
        .value_kind:     by_value
      - .offset:         72
        .size:           4
        .value_kind:     by_value
      - .offset:         80
        .size:           8
        .value_kind:     by_value
      - .address_space:  global
        .offset:         88
        .size:           8
        .value_kind:     global_buffer
      - .offset:         96
        .size:           8
        .value_kind:     by_value
      - .address_space:  global
        .offset:         104
        .size:           8
        .value_kind:     global_buffer
      - .offset:         112
        .size:           8
        .value_kind:     by_value
      - .offset:         120
        .size:           4
        .value_kind:     by_value
      - .offset:         128
        .size:           8
        .value_kind:     by_value
      - .offset:         136
        .size:           4
        .value_kind:     by_value
      - .offset:         144
        .size:           4
        .value_kind:     hidden_block_count_x
      - .offset:         148
        .size:           4
        .value_kind:     hidden_block_count_y
      - .offset:         152
        .size:           4
        .value_kind:     hidden_block_count_z
      - .offset:         156
        .size:           2
        .value_kind:     hidden_group_size_x
      - .offset:         158
        .size:           2
        .value_kind:     hidden_group_size_y
      - .offset:         160
        .size:           2
        .value_kind:     hidden_group_size_z
      - .offset:         162
        .size:           2
        .value_kind:     hidden_remainder_x
      - .offset:         164
        .size:           2
        .value_kind:     hidden_remainder_y
      - .offset:         166
        .size:           2
        .value_kind:     hidden_remainder_z
      - .offset:         184
        .size:           8
        .value_kind:     hidden_global_offset_x
      - .offset:         192
        .size:           8
        .value_kind:     hidden_global_offset_y
      - .offset:         200
        .size:           8
        .value_kind:     hidden_global_offset_z
      - .offset:         208
        .size:           2
        .value_kind:     hidden_grid_dims
    .group_segment_fixed_size: 8192
    .kernarg_segment_align: 8
    .kernarg_segment_size: 400
    .language:       OpenCL C
    .language_version:
      - 2
      - 0
    .max_flat_workgroup_size: 512
    .name:           _ZL20rocblas_gemvn_kernelILi32ELi16EiPK19rocblas_complex_numIdES3_KPS1_EviiT3_lPKT2_lT1_lS9_lSA_lS6_lPT4_lSA_li
    .private_segment_fixed_size: 0
    .sgpr_count:     34
    .sgpr_spill_count: 0
    .symbol:         _ZL20rocblas_gemvn_kernelILi32ELi16EiPK19rocblas_complex_numIdES3_KPS1_EviiT3_lPKT2_lT1_lS9_lSA_lS6_lPT4_lSA_li.kd
    .uniform_work_group_size: 1
    .uses_dynamic_stack: false
    .vgpr_count:     21
    .vgpr_spill_count: 0
    .wavefront_size: 32
    .workgroup_processor_mode: 1
  - .args:
      - .offset:         0
        .size:           4
        .value_kind:     by_value
      - .offset:         4
        .size:           4
        .value_kind:     by_value
      - .address_space:  global
        .offset:         8
        .size:           8
        .value_kind:     global_buffer
      - .offset:         16
        .size:           8
        .value_kind:     by_value
      - .address_space:  global
        .offset:         24
        .size:           8
        .value_kind:     global_buffer
      - .offset:         32
        .size:           8
        .value_kind:     by_value
      - .offset:         40
        .size:           8
        .value_kind:     by_value
      - .offset:         48
        .size:           8
        .value_kind:     by_value
      - .address_space:  global
        .offset:         56
        .size:           8
        .value_kind:     global_buffer
      - .offset:         64
        .size:           8
        .value_kind:     by_value
      - .offset:         72
        .size:           8
        .value_kind:     by_value
      - .offset:         80
        .size:           8
        .value_kind:     by_value
      - .address_space:  global
        .offset:         88
        .size:           8
        .value_kind:     global_buffer
      - .offset:         96
        .size:           8
        .value_kind:     by_value
      - .address_space:  global
        .offset:         104
        .size:           8
        .value_kind:     global_buffer
      - .offset:         112
        .size:           8
        .value_kind:     by_value
      - .offset:         120
        .size:           8
        .value_kind:     by_value
      - .offset:         128
        .size:           8
        .value_kind:     by_value
      - .offset:         136
        .size:           4
        .value_kind:     by_value
      - .offset:         144
        .size:           4
        .value_kind:     hidden_block_count_x
      - .offset:         148
        .size:           4
        .value_kind:     hidden_block_count_y
      - .offset:         152
        .size:           4
        .value_kind:     hidden_block_count_z
      - .offset:         156
        .size:           2
        .value_kind:     hidden_group_size_x
      - .offset:         158
        .size:           2
        .value_kind:     hidden_group_size_y
      - .offset:         160
        .size:           2
        .value_kind:     hidden_group_size_z
      - .offset:         162
        .size:           2
        .value_kind:     hidden_remainder_x
      - .offset:         164
        .size:           2
        .value_kind:     hidden_remainder_y
      - .offset:         166
        .size:           2
        .value_kind:     hidden_remainder_z
      - .offset:         184
        .size:           8
        .value_kind:     hidden_global_offset_x
      - .offset:         192
        .size:           8
        .value_kind:     hidden_global_offset_y
      - .offset:         200
        .size:           8
        .value_kind:     hidden_global_offset_z
      - .offset:         208
        .size:           2
        .value_kind:     hidden_grid_dims
    .group_segment_fixed_size: 8192
    .kernarg_segment_align: 8
    .kernarg_segment_size: 400
    .language:       OpenCL C
    .language_version:
      - 2
      - 0
    .max_flat_workgroup_size: 512
    .name:           _ZL20rocblas_gemvn_kernelILi32ELi16ElPK19rocblas_complex_numIdES3_KPS1_EviiT3_lPKT2_lT1_lS9_lSA_lS6_lPT4_lSA_li
    .private_segment_fixed_size: 0
    .sgpr_count:     36
    .sgpr_spill_count: 0
    .symbol:         _ZL20rocblas_gemvn_kernelILi32ELi16ElPK19rocblas_complex_numIdES3_KPS1_EviiT3_lPKT2_lT1_lS9_lSA_lS6_lPT4_lSA_li.kd
    .uniform_work_group_size: 1
    .uses_dynamic_stack: false
    .vgpr_count:     21
    .vgpr_spill_count: 0
    .wavefront_size: 32
    .workgroup_processor_mode: 1
  - .args:
      - .offset:         0
        .size:           4
        .value_kind:     by_value
      - .offset:         4
        .size:           4
        .value_kind:     by_value
      - .offset:         8
        .size:           16
        .value_kind:     by_value
      - .offset:         24
        .size:           8
        .value_kind:     by_value
      - .address_space:  global
        .offset:         32
        .size:           8
        .value_kind:     global_buffer
      - .offset:         40
        .size:           8
        .value_kind:     by_value
      - .offset:         48
        .size:           4
        .value_kind:     by_value
      - .offset:         56
        .size:           8
        .value_kind:     by_value
      - .address_space:  global
        .offset:         64
        .size:           8
        .value_kind:     global_buffer
      - .offset:         72
        .size:           8
        .value_kind:     by_value
      - .offset:         80
        .size:           4
        .value_kind:     by_value
      - .offset:         88
        .size:           8
        .value_kind:     by_value
      - .offset:         96
        .size:           16
        .value_kind:     by_value
      - .offset:         112
        .size:           8
        .value_kind:     by_value
      - .address_space:  global
        .offset:         120
        .size:           8
        .value_kind:     global_buffer
      - .offset:         128
        .size:           8
        .value_kind:     by_value
      - .offset:         136
        .size:           4
        .value_kind:     by_value
      - .offset:         144
        .size:           8
        .value_kind:     by_value
      - .offset:         152
        .size:           4
        .value_kind:     by_value
      - .offset:         160
        .size:           4
        .value_kind:     hidden_block_count_x
      - .offset:         164
        .size:           4
        .value_kind:     hidden_block_count_y
      - .offset:         168
        .size:           4
        .value_kind:     hidden_block_count_z
      - .offset:         172
        .size:           2
        .value_kind:     hidden_group_size_x
      - .offset:         174
        .size:           2
        .value_kind:     hidden_group_size_y
      - .offset:         176
        .size:           2
        .value_kind:     hidden_group_size_z
      - .offset:         178
        .size:           2
        .value_kind:     hidden_remainder_x
      - .offset:         180
        .size:           2
        .value_kind:     hidden_remainder_y
      - .offset:         182
        .size:           2
        .value_kind:     hidden_remainder_z
      - .offset:         200
        .size:           8
        .value_kind:     hidden_global_offset_x
      - .offset:         208
        .size:           8
        .value_kind:     hidden_global_offset_y
      - .offset:         216
        .size:           8
        .value_kind:     hidden_global_offset_z
      - .offset:         224
        .size:           2
        .value_kind:     hidden_grid_dims
    .group_segment_fixed_size: 8192
    .kernarg_segment_align: 8
    .kernarg_segment_size: 416
    .language:       OpenCL C
    .language_version:
      - 2
      - 0
    .max_flat_workgroup_size: 512
    .name:           _ZL20rocblas_gemvn_kernelILi32ELi16EiPK19rocblas_complex_numIdES1_KPS1_EviiT3_lPKT2_lT1_lS9_lSA_lS6_lPT4_lSA_li
    .private_segment_fixed_size: 0
    .sgpr_count:     30
    .sgpr_spill_count: 0
    .symbol:         _ZL20rocblas_gemvn_kernelILi32ELi16EiPK19rocblas_complex_numIdES1_KPS1_EviiT3_lPKT2_lT1_lS9_lSA_lS6_lPT4_lSA_li.kd
    .uniform_work_group_size: 1
    .uses_dynamic_stack: false
    .vgpr_count:     21
    .vgpr_spill_count: 0
    .wavefront_size: 32
    .workgroup_processor_mode: 1
  - .args:
      - .offset:         0
        .size:           4
        .value_kind:     by_value
      - .offset:         4
        .size:           4
        .value_kind:     by_value
      - .offset:         8
        .size:           16
        .value_kind:     by_value
      - .offset:         24
        .size:           8
        .value_kind:     by_value
      - .address_space:  global
        .offset:         32
        .size:           8
        .value_kind:     global_buffer
      - .offset:         40
        .size:           8
        .value_kind:     by_value
      - .offset:         48
        .size:           8
        .value_kind:     by_value
      - .offset:         56
        .size:           8
        .value_kind:     by_value
      - .address_space:  global
        .offset:         64
        .size:           8
        .value_kind:     global_buffer
      - .offset:         72
        .size:           8
        .value_kind:     by_value
      - .offset:         80
        .size:           8
        .value_kind:     by_value
      - .offset:         88
        .size:           8
        .value_kind:     by_value
      - .offset:         96
        .size:           16
        .value_kind:     by_value
      - .offset:         112
        .size:           8
        .value_kind:     by_value
      - .address_space:  global
        .offset:         120
        .size:           8
        .value_kind:     global_buffer
      - .offset:         128
        .size:           8
        .value_kind:     by_value
      - .offset:         136
        .size:           8
        .value_kind:     by_value
      - .offset:         144
        .size:           8
        .value_kind:     by_value
      - .offset:         152
        .size:           4
        .value_kind:     by_value
      - .offset:         160
        .size:           4
        .value_kind:     hidden_block_count_x
      - .offset:         164
        .size:           4
        .value_kind:     hidden_block_count_y
      - .offset:         168
        .size:           4
        .value_kind:     hidden_block_count_z
      - .offset:         172
        .size:           2
        .value_kind:     hidden_group_size_x
      - .offset:         174
        .size:           2
        .value_kind:     hidden_group_size_y
      - .offset:         176
        .size:           2
        .value_kind:     hidden_group_size_z
      - .offset:         178
        .size:           2
        .value_kind:     hidden_remainder_x
      - .offset:         180
        .size:           2
        .value_kind:     hidden_remainder_y
      - .offset:         182
        .size:           2
        .value_kind:     hidden_remainder_z
      - .offset:         200
        .size:           8
        .value_kind:     hidden_global_offset_x
      - .offset:         208
        .size:           8
        .value_kind:     hidden_global_offset_y
      - .offset:         216
        .size:           8
        .value_kind:     hidden_global_offset_z
      - .offset:         224
        .size:           2
        .value_kind:     hidden_grid_dims
    .group_segment_fixed_size: 8192
    .kernarg_segment_align: 8
    .kernarg_segment_size: 416
    .language:       OpenCL C
    .language_version:
      - 2
      - 0
    .max_flat_workgroup_size: 512
    .name:           _ZL20rocblas_gemvn_kernelILi32ELi16ElPK19rocblas_complex_numIdES1_KPS1_EviiT3_lPKT2_lT1_lS9_lSA_lS6_lPT4_lSA_li
    .private_segment_fixed_size: 0
    .sgpr_count:     36
    .sgpr_spill_count: 0
    .symbol:         _ZL20rocblas_gemvn_kernelILi32ELi16ElPK19rocblas_complex_numIdES1_KPS1_EviiT3_lPKT2_lT1_lS9_lSA_lS6_lPT4_lSA_li.kd
    .uniform_work_group_size: 1
    .uses_dynamic_stack: false
    .vgpr_count:     21
    .vgpr_spill_count: 0
    .wavefront_size: 32
    .workgroup_processor_mode: 1
  - .args:
      - .offset:         0
        .size:           4
        .value_kind:     by_value
      - .offset:         4
        .size:           4
        .value_kind:     by_value
      - .address_space:  global
        .offset:         8
        .size:           8
        .value_kind:     global_buffer
      - .offset:         16
        .size:           8
        .value_kind:     by_value
      - .address_space:  global
        .offset:         24
        .size:           8
        .value_kind:     global_buffer
      - .offset:         32
        .size:           8
        .value_kind:     by_value
      - .offset:         40
        .size:           4
        .value_kind:     by_value
      - .offset:         48
        .size:           8
        .value_kind:     by_value
      - .address_space:  global
        .offset:         56
        .size:           8
        .value_kind:     global_buffer
      - .offset:         64
        .size:           8
        .value_kind:     by_value
      - .offset:         72
        .size:           4
        .value_kind:     by_value
      - .offset:         80
        .size:           8
        .value_kind:     by_value
      - .address_space:  global
        .offset:         88
        .size:           8
        .value_kind:     global_buffer
      - .offset:         96
        .size:           8
        .value_kind:     by_value
      - .address_space:  global
        .offset:         104
        .size:           8
        .value_kind:     global_buffer
      - .offset:         112
        .size:           8
        .value_kind:     by_value
      - .offset:         120
        .size:           4
        .value_kind:     by_value
      - .offset:         128
        .size:           8
        .value_kind:     by_value
      - .offset:         136
        .size:           4
        .value_kind:     by_value
      - .offset:         144
        .size:           4
        .value_kind:     hidden_block_count_x
      - .offset:         148
        .size:           4
        .value_kind:     hidden_block_count_y
      - .offset:         152
        .size:           4
        .value_kind:     hidden_block_count_z
      - .offset:         156
        .size:           2
        .value_kind:     hidden_group_size_x
      - .offset:         158
        .size:           2
        .value_kind:     hidden_group_size_y
      - .offset:         160
        .size:           2
        .value_kind:     hidden_group_size_z
      - .offset:         162
        .size:           2
        .value_kind:     hidden_remainder_x
      - .offset:         164
        .size:           2
        .value_kind:     hidden_remainder_y
      - .offset:         166
        .size:           2
        .value_kind:     hidden_remainder_z
      - .offset:         184
        .size:           8
        .value_kind:     hidden_global_offset_x
      - .offset:         192
        .size:           8
        .value_kind:     hidden_global_offset_y
      - .offset:         200
        .size:           8
        .value_kind:     hidden_global_offset_z
      - .offset:         208
        .size:           2
        .value_kind:     hidden_grid_dims
    .group_segment_fixed_size: 16384
    .kernarg_segment_align: 8
    .kernarg_segment_size: 400
    .language:       OpenCL C
    .language_version:
      - 2
      - 0
    .max_flat_workgroup_size: 1024
    .name:           _ZL20rocblas_gemvn_kernelILi64ELi16EiPK19rocblas_complex_numIdES3_KPS1_EviiT3_lPKT2_lT1_lS9_lSA_lS6_lPT4_lSA_li
    .private_segment_fixed_size: 0
    .sgpr_count:     34
    .sgpr_spill_count: 0
    .symbol:         _ZL20rocblas_gemvn_kernelILi64ELi16EiPK19rocblas_complex_numIdES3_KPS1_EviiT3_lPKT2_lT1_lS9_lSA_lS6_lPT4_lSA_li.kd
    .uniform_work_group_size: 1
    .uses_dynamic_stack: false
    .vgpr_count:     21
    .vgpr_spill_count: 0
    .wavefront_size: 32
    .workgroup_processor_mode: 1
  - .args:
      - .offset:         0
        .size:           4
        .value_kind:     by_value
      - .offset:         4
        .size:           4
        .value_kind:     by_value
      - .address_space:  global
        .offset:         8
        .size:           8
        .value_kind:     global_buffer
      - .offset:         16
        .size:           8
        .value_kind:     by_value
      - .address_space:  global
        .offset:         24
        .size:           8
        .value_kind:     global_buffer
      - .offset:         32
        .size:           8
        .value_kind:     by_value
      - .offset:         40
        .size:           8
        .value_kind:     by_value
      - .offset:         48
        .size:           8
        .value_kind:     by_value
      - .address_space:  global
        .offset:         56
        .size:           8
        .value_kind:     global_buffer
      - .offset:         64
        .size:           8
        .value_kind:     by_value
      - .offset:         72
        .size:           8
        .value_kind:     by_value
      - .offset:         80
        .size:           8
        .value_kind:     by_value
      - .address_space:  global
        .offset:         88
        .size:           8
        .value_kind:     global_buffer
      - .offset:         96
        .size:           8
        .value_kind:     by_value
      - .address_space:  global
        .offset:         104
        .size:           8
        .value_kind:     global_buffer
      - .offset:         112
        .size:           8
        .value_kind:     by_value
      - .offset:         120
        .size:           8
        .value_kind:     by_value
      - .offset:         128
        .size:           8
        .value_kind:     by_value
      - .offset:         136
        .size:           4
        .value_kind:     by_value
      - .offset:         144
        .size:           4
        .value_kind:     hidden_block_count_x
      - .offset:         148
        .size:           4
        .value_kind:     hidden_block_count_y
      - .offset:         152
        .size:           4
        .value_kind:     hidden_block_count_z
      - .offset:         156
        .size:           2
        .value_kind:     hidden_group_size_x
      - .offset:         158
        .size:           2
        .value_kind:     hidden_group_size_y
      - .offset:         160
        .size:           2
        .value_kind:     hidden_group_size_z
      - .offset:         162
        .size:           2
        .value_kind:     hidden_remainder_x
      - .offset:         164
        .size:           2
        .value_kind:     hidden_remainder_y
      - .offset:         166
        .size:           2
        .value_kind:     hidden_remainder_z
      - .offset:         184
        .size:           8
        .value_kind:     hidden_global_offset_x
      - .offset:         192
        .size:           8
        .value_kind:     hidden_global_offset_y
      - .offset:         200
        .size:           8
        .value_kind:     hidden_global_offset_z
      - .offset:         208
        .size:           2
        .value_kind:     hidden_grid_dims
    .group_segment_fixed_size: 16384
    .kernarg_segment_align: 8
    .kernarg_segment_size: 400
    .language:       OpenCL C
    .language_version:
      - 2
      - 0
    .max_flat_workgroup_size: 1024
    .name:           _ZL20rocblas_gemvn_kernelILi64ELi16ElPK19rocblas_complex_numIdES3_KPS1_EviiT3_lPKT2_lT1_lS9_lSA_lS6_lPT4_lSA_li
    .private_segment_fixed_size: 0
    .sgpr_count:     36
    .sgpr_spill_count: 0
    .symbol:         _ZL20rocblas_gemvn_kernelILi64ELi16ElPK19rocblas_complex_numIdES3_KPS1_EviiT3_lPKT2_lT1_lS9_lSA_lS6_lPT4_lSA_li.kd
    .uniform_work_group_size: 1
    .uses_dynamic_stack: false
    .vgpr_count:     21
    .vgpr_spill_count: 0
    .wavefront_size: 32
    .workgroup_processor_mode: 1
  - .args:
      - .offset:         0
        .size:           4
        .value_kind:     by_value
      - .offset:         4
        .size:           4
        .value_kind:     by_value
      - .offset:         8
        .size:           16
        .value_kind:     by_value
      - .offset:         24
        .size:           8
        .value_kind:     by_value
      - .address_space:  global
        .offset:         32
        .size:           8
        .value_kind:     global_buffer
      - .offset:         40
        .size:           8
        .value_kind:     by_value
      - .offset:         48
        .size:           4
        .value_kind:     by_value
      - .offset:         56
        .size:           8
        .value_kind:     by_value
      - .address_space:  global
        .offset:         64
        .size:           8
        .value_kind:     global_buffer
      - .offset:         72
        .size:           8
        .value_kind:     by_value
      - .offset:         80
        .size:           4
        .value_kind:     by_value
      - .offset:         88
        .size:           8
        .value_kind:     by_value
      - .offset:         96
        .size:           16
        .value_kind:     by_value
      - .offset:         112
        .size:           8
        .value_kind:     by_value
      - .address_space:  global
        .offset:         120
        .size:           8
        .value_kind:     global_buffer
      - .offset:         128
        .size:           8
        .value_kind:     by_value
      - .offset:         136
        .size:           4
        .value_kind:     by_value
      - .offset:         144
        .size:           8
        .value_kind:     by_value
      - .offset:         152
        .size:           4
        .value_kind:     by_value
      - .offset:         160
        .size:           4
        .value_kind:     hidden_block_count_x
      - .offset:         164
        .size:           4
        .value_kind:     hidden_block_count_y
      - .offset:         168
        .size:           4
        .value_kind:     hidden_block_count_z
      - .offset:         172
        .size:           2
        .value_kind:     hidden_group_size_x
      - .offset:         174
        .size:           2
        .value_kind:     hidden_group_size_y
      - .offset:         176
        .size:           2
        .value_kind:     hidden_group_size_z
      - .offset:         178
        .size:           2
        .value_kind:     hidden_remainder_x
      - .offset:         180
        .size:           2
        .value_kind:     hidden_remainder_y
      - .offset:         182
        .size:           2
        .value_kind:     hidden_remainder_z
      - .offset:         200
        .size:           8
        .value_kind:     hidden_global_offset_x
      - .offset:         208
        .size:           8
        .value_kind:     hidden_global_offset_y
      - .offset:         216
        .size:           8
        .value_kind:     hidden_global_offset_z
      - .offset:         224
        .size:           2
        .value_kind:     hidden_grid_dims
    .group_segment_fixed_size: 16384
    .kernarg_segment_align: 8
    .kernarg_segment_size: 416
    .language:       OpenCL C
    .language_version:
      - 2
      - 0
    .max_flat_workgroup_size: 1024
    .name:           _ZL20rocblas_gemvn_kernelILi64ELi16EiPK19rocblas_complex_numIdES1_KPS1_EviiT3_lPKT2_lT1_lS9_lSA_lS6_lPT4_lSA_li
    .private_segment_fixed_size: 0
    .sgpr_count:     30
    .sgpr_spill_count: 0
    .symbol:         _ZL20rocblas_gemvn_kernelILi64ELi16EiPK19rocblas_complex_numIdES1_KPS1_EviiT3_lPKT2_lT1_lS9_lSA_lS6_lPT4_lSA_li.kd
    .uniform_work_group_size: 1
    .uses_dynamic_stack: false
    .vgpr_count:     21
    .vgpr_spill_count: 0
    .wavefront_size: 32
    .workgroup_processor_mode: 1
  - .args:
      - .offset:         0
        .size:           4
        .value_kind:     by_value
      - .offset:         4
        .size:           4
        .value_kind:     by_value
      - .offset:         8
        .size:           16
        .value_kind:     by_value
      - .offset:         24
        .size:           8
        .value_kind:     by_value
      - .address_space:  global
        .offset:         32
        .size:           8
        .value_kind:     global_buffer
      - .offset:         40
        .size:           8
        .value_kind:     by_value
      - .offset:         48
        .size:           8
        .value_kind:     by_value
      - .offset:         56
        .size:           8
        .value_kind:     by_value
      - .address_space:  global
        .offset:         64
        .size:           8
        .value_kind:     global_buffer
      - .offset:         72
        .size:           8
        .value_kind:     by_value
      - .offset:         80
        .size:           8
        .value_kind:     by_value
      - .offset:         88
        .size:           8
        .value_kind:     by_value
      - .offset:         96
        .size:           16
        .value_kind:     by_value
      - .offset:         112
        .size:           8
        .value_kind:     by_value
      - .address_space:  global
        .offset:         120
        .size:           8
        .value_kind:     global_buffer
      - .offset:         128
        .size:           8
        .value_kind:     by_value
      - .offset:         136
        .size:           8
        .value_kind:     by_value
      - .offset:         144
        .size:           8
        .value_kind:     by_value
      - .offset:         152
        .size:           4
        .value_kind:     by_value
      - .offset:         160
        .size:           4
        .value_kind:     hidden_block_count_x
      - .offset:         164
        .size:           4
        .value_kind:     hidden_block_count_y
      - .offset:         168
        .size:           4
        .value_kind:     hidden_block_count_z
      - .offset:         172
        .size:           2
        .value_kind:     hidden_group_size_x
      - .offset:         174
        .size:           2
        .value_kind:     hidden_group_size_y
      - .offset:         176
        .size:           2
        .value_kind:     hidden_group_size_z
      - .offset:         178
        .size:           2
        .value_kind:     hidden_remainder_x
      - .offset:         180
        .size:           2
        .value_kind:     hidden_remainder_y
      - .offset:         182
        .size:           2
        .value_kind:     hidden_remainder_z
      - .offset:         200
        .size:           8
        .value_kind:     hidden_global_offset_x
      - .offset:         208
        .size:           8
        .value_kind:     hidden_global_offset_y
      - .offset:         216
        .size:           8
        .value_kind:     hidden_global_offset_z
      - .offset:         224
        .size:           2
        .value_kind:     hidden_grid_dims
    .group_segment_fixed_size: 16384
    .kernarg_segment_align: 8
    .kernarg_segment_size: 416
    .language:       OpenCL C
    .language_version:
      - 2
      - 0
    .max_flat_workgroup_size: 1024
    .name:           _ZL20rocblas_gemvn_kernelILi64ELi16ElPK19rocblas_complex_numIdES1_KPS1_EviiT3_lPKT2_lT1_lS9_lSA_lS6_lPT4_lSA_li
    .private_segment_fixed_size: 0
    .sgpr_count:     36
    .sgpr_spill_count: 0
    .symbol:         _ZL20rocblas_gemvn_kernelILi64ELi16ElPK19rocblas_complex_numIdES1_KPS1_EviiT3_lPKT2_lT1_lS9_lSA_lS6_lPT4_lSA_li.kd
    .uniform_work_group_size: 1
    .uses_dynamic_stack: false
    .vgpr_count:     21
    .vgpr_spill_count: 0
    .wavefront_size: 32
    .workgroup_processor_mode: 1
  - .args:
      - .offset:         0
        .size:           4
        .value_kind:     by_value
      - .offset:         4
        .size:           4
        .value_kind:     by_value
      - .address_space:  global
        .offset:         8
        .size:           8
        .value_kind:     global_buffer
      - .offset:         16
        .size:           8
        .value_kind:     by_value
      - .address_space:  global
        .offset:         24
        .size:           8
        .value_kind:     global_buffer
      - .offset:         32
        .size:           8
        .value_kind:     by_value
      - .offset:         40
        .size:           4
        .value_kind:     by_value
      - .offset:         48
        .size:           8
        .value_kind:     by_value
      - .address_space:  global
        .offset:         56
        .size:           8
        .value_kind:     global_buffer
      - .offset:         64
        .size:           8
        .value_kind:     by_value
      - .offset:         72
        .size:           4
        .value_kind:     by_value
      - .offset:         80
        .size:           8
        .value_kind:     by_value
      - .address_space:  global
        .offset:         88
        .size:           8
        .value_kind:     global_buffer
      - .offset:         96
        .size:           8
        .value_kind:     by_value
      - .address_space:  global
        .offset:         104
        .size:           8
        .value_kind:     global_buffer
      - .offset:         112
        .size:           8
        .value_kind:     by_value
      - .offset:         120
        .size:           4
        .value_kind:     by_value
      - .offset:         128
        .size:           8
        .value_kind:     by_value
    .group_segment_fixed_size: 1024
    .kernarg_segment_align: 8
    .kernarg_segment_size: 136
    .language:       OpenCL C
    .language_version:
      - 2
      - 0
    .max_flat_workgroup_size: 256
    .name:           _ZL22rocblas_gemvtsm_kernelILb0ELi256EPK19rocblas_complex_numIdES3_KPS1_EviiT2_lPKT1_lilS9_lilS6_lPT3_lil
    .private_segment_fixed_size: 0
    .sgpr_count:     28
    .sgpr_spill_count: 0
    .symbol:         _ZL22rocblas_gemvtsm_kernelILb0ELi256EPK19rocblas_complex_numIdES3_KPS1_EviiT2_lPKT1_lilS9_lilS6_lPT3_lil.kd
    .uniform_work_group_size: 1
    .uses_dynamic_stack: false
    .vgpr_count:     60
    .vgpr_spill_count: 0
    .wavefront_size: 32
    .workgroup_processor_mode: 1
  - .args:
      - .offset:         0
        .size:           4
        .value_kind:     by_value
      - .offset:         4
        .size:           4
        .value_kind:     by_value
      - .offset:         8
        .size:           16
        .value_kind:     by_value
      - .offset:         24
        .size:           8
        .value_kind:     by_value
      - .address_space:  global
        .offset:         32
        .size:           8
        .value_kind:     global_buffer
      - .offset:         40
        .size:           8
        .value_kind:     by_value
      - .offset:         48
        .size:           4
        .value_kind:     by_value
      - .offset:         56
        .size:           8
        .value_kind:     by_value
      - .address_space:  global
        .offset:         64
        .size:           8
        .value_kind:     global_buffer
      - .offset:         72
        .size:           8
        .value_kind:     by_value
      - .offset:         80
        .size:           4
        .value_kind:     by_value
      - .offset:         88
        .size:           8
        .value_kind:     by_value
      - .offset:         96
        .size:           16
        .value_kind:     by_value
      - .offset:         112
        .size:           8
        .value_kind:     by_value
      - .address_space:  global
        .offset:         120
        .size:           8
        .value_kind:     global_buffer
      - .offset:         128
        .size:           8
        .value_kind:     by_value
      - .offset:         136
        .size:           4
        .value_kind:     by_value
      - .offset:         144
        .size:           8
        .value_kind:     by_value
    .group_segment_fixed_size: 1024
    .kernarg_segment_align: 8
    .kernarg_segment_size: 152
    .language:       OpenCL C
    .language_version:
      - 2
      - 0
    .max_flat_workgroup_size: 256
    .name:           _ZL22rocblas_gemvtsm_kernelILb0ELi256EPK19rocblas_complex_numIdES1_KPS1_EviiT2_lPKT1_lilS9_lilS6_lPT3_lil
    .private_segment_fixed_size: 0
    .sgpr_count:     28
    .sgpr_spill_count: 0
    .symbol:         _ZL22rocblas_gemvtsm_kernelILb0ELi256EPK19rocblas_complex_numIdES1_KPS1_EviiT2_lPKT1_lilS9_lilS6_lPT3_lil.kd
    .uniform_work_group_size: 1
    .uses_dynamic_stack: false
    .vgpr_count:     60
    .vgpr_spill_count: 0
    .wavefront_size: 32
    .workgroup_processor_mode: 1
  - .args:
      - .offset:         0
        .size:           4
        .value_kind:     by_value
      - .offset:         4
        .size:           4
        .value_kind:     by_value
      - .address_space:  global
        .offset:         8
        .size:           8
        .value_kind:     global_buffer
      - .offset:         16
        .size:           8
        .value_kind:     by_value
      - .address_space:  global
        .offset:         24
        .size:           8
        .value_kind:     global_buffer
      - .offset:         32
        .size:           8
        .value_kind:     by_value
      - .offset:         40
        .size:           4
        .value_kind:     by_value
      - .offset:         48
        .size:           8
        .value_kind:     by_value
      - .address_space:  global
        .offset:         56
        .size:           8
        .value_kind:     global_buffer
      - .offset:         64
        .size:           8
        .value_kind:     by_value
      - .offset:         72
        .size:           4
        .value_kind:     by_value
      - .offset:         80
        .size:           8
        .value_kind:     by_value
      - .address_space:  global
        .offset:         88
        .size:           8
        .value_kind:     global_buffer
      - .offset:         96
        .size:           4
        .value_kind:     by_value
      - .offset:         104
        .size:           4
        .value_kind:     hidden_block_count_x
      - .offset:         108
        .size:           4
        .value_kind:     hidden_block_count_y
      - .offset:         112
        .size:           4
        .value_kind:     hidden_block_count_z
      - .offset:         116
        .size:           2
        .value_kind:     hidden_group_size_x
      - .offset:         118
        .size:           2
        .value_kind:     hidden_group_size_y
      - .offset:         120
        .size:           2
        .value_kind:     hidden_group_size_z
      - .offset:         122
        .size:           2
        .value_kind:     hidden_remainder_x
      - .offset:         124
        .size:           2
        .value_kind:     hidden_remainder_y
      - .offset:         126
        .size:           2
        .value_kind:     hidden_remainder_z
      - .offset:         144
        .size:           8
        .value_kind:     hidden_global_offset_x
      - .offset:         152
        .size:           8
        .value_kind:     hidden_global_offset_y
      - .offset:         160
        .size:           8
        .value_kind:     hidden_global_offset_z
      - .offset:         168
        .size:           2
        .value_kind:     hidden_grid_dims
    .group_segment_fixed_size: 512
    .kernarg_segment_align: 8
    .kernarg_segment_size: 360
    .language:       OpenCL C
    .language_version:
      - 2
      - 0
    .max_flat_workgroup_size: 256
    .name:           _ZL23rocblas_gemvt_sn_kernelILb0ELi256ELi4EiPK19rocblas_complex_numIdES3_S1_EviiT4_lPKT3_lilS7_lilPT5_i
    .private_segment_fixed_size: 80
    .sgpr_count:     48
    .sgpr_spill_count: 0
    .symbol:         _ZL23rocblas_gemvt_sn_kernelILb0ELi256ELi4EiPK19rocblas_complex_numIdES3_S1_EviiT4_lPKT3_lilS7_lilPT5_i.kd
    .uniform_work_group_size: 1
    .uses_dynamic_stack: false
    .vgpr_count:     78
    .vgpr_spill_count: 0
    .wavefront_size: 32
    .workgroup_processor_mode: 1
  - .args:
      - .offset:         0
        .size:           4
        .value_kind:     by_value
      - .offset:         4
        .size:           4
        .value_kind:     by_value
      - .address_space:  global
        .offset:         8
        .size:           8
        .value_kind:     global_buffer
      - .offset:         16
        .size:           8
        .value_kind:     by_value
      - .address_space:  global
        .offset:         24
        .size:           8
        .value_kind:     global_buffer
      - .offset:         32
        .size:           8
        .value_kind:     by_value
      - .offset:         40
        .size:           4
        .value_kind:     by_value
      - .offset:         48
        .size:           8
        .value_kind:     by_value
      - .address_space:  global
        .offset:         56
        .size:           8
        .value_kind:     global_buffer
      - .offset:         64
        .size:           8
        .value_kind:     by_value
      - .offset:         72
        .size:           4
        .value_kind:     by_value
      - .offset:         80
        .size:           8
        .value_kind:     by_value
      - .address_space:  global
        .offset:         88
        .size:           8
        .value_kind:     global_buffer
      - .offset:         96
        .size:           4
        .value_kind:     by_value
      - .offset:         104
        .size:           4
        .value_kind:     hidden_block_count_x
      - .offset:         108
        .size:           4
        .value_kind:     hidden_block_count_y
      - .offset:         112
        .size:           4
        .value_kind:     hidden_block_count_z
      - .offset:         116
        .size:           2
        .value_kind:     hidden_group_size_x
      - .offset:         118
        .size:           2
        .value_kind:     hidden_group_size_y
      - .offset:         120
        .size:           2
        .value_kind:     hidden_group_size_z
      - .offset:         122
        .size:           2
        .value_kind:     hidden_remainder_x
      - .offset:         124
        .size:           2
        .value_kind:     hidden_remainder_y
      - .offset:         126
        .size:           2
        .value_kind:     hidden_remainder_z
      - .offset:         144
        .size:           8
        .value_kind:     hidden_global_offset_x
      - .offset:         152
        .size:           8
        .value_kind:     hidden_global_offset_y
      - .offset:         160
        .size:           8
        .value_kind:     hidden_global_offset_z
      - .offset:         168
        .size:           2
        .value_kind:     hidden_grid_dims
    .group_segment_fixed_size: 512
    .kernarg_segment_align: 8
    .kernarg_segment_size: 360
    .language:       OpenCL C
    .language_version:
      - 2
      - 0
    .max_flat_workgroup_size: 256
    .name:           _ZL23rocblas_gemvt_sn_kernelILb0ELi256ELi4ElPK19rocblas_complex_numIdES3_S1_EviiT4_lPKT3_lilS7_lilPT5_i
    .private_segment_fixed_size: 80
    .sgpr_count:     48
    .sgpr_spill_count: 0
    .symbol:         _ZL23rocblas_gemvt_sn_kernelILb0ELi256ELi4ElPK19rocblas_complex_numIdES3_S1_EviiT4_lPKT3_lilS7_lilPT5_i.kd
    .uniform_work_group_size: 1
    .uses_dynamic_stack: false
    .vgpr_count:     84
    .vgpr_spill_count: 0
    .wavefront_size: 32
    .workgroup_processor_mode: 1
  - .args:
      - .offset:         0
        .size:           4
        .value_kind:     by_value
      - .address_space:  global
        .offset:         8
        .size:           8
        .value_kind:     global_buffer
      - .offset:         16
        .size:           8
        .value_kind:     by_value
      - .address_space:  global
        .offset:         24
        .size:           8
        .value_kind:     global_buffer
      - .offset:         32
        .size:           8
        .value_kind:     by_value
      - .offset:         40
        .size:           4
        .value_kind:     by_value
      - .offset:         48
        .size:           8
        .value_kind:     by_value
      - .actual_access:  read_only
        .address_space:  global
        .offset:         56
        .size:           8
        .value_kind:     global_buffer
      - .offset:         64
        .size:           4
        .value_kind:     by_value
      - .offset:         72
        .size:           4
        .value_kind:     hidden_block_count_x
      - .offset:         76
        .size:           4
        .value_kind:     hidden_block_count_y
      - .offset:         80
        .size:           4
        .value_kind:     hidden_block_count_z
      - .offset:         84
        .size:           2
        .value_kind:     hidden_group_size_x
      - .offset:         86
        .size:           2
        .value_kind:     hidden_group_size_y
      - .offset:         88
        .size:           2
        .value_kind:     hidden_group_size_z
      - .offset:         90
        .size:           2
        .value_kind:     hidden_remainder_x
      - .offset:         92
        .size:           2
        .value_kind:     hidden_remainder_y
      - .offset:         94
        .size:           2
        .value_kind:     hidden_remainder_z
      - .offset:         112
        .size:           8
        .value_kind:     hidden_global_offset_x
      - .offset:         120
        .size:           8
        .value_kind:     hidden_global_offset_y
      - .offset:         128
        .size:           8
        .value_kind:     hidden_global_offset_z
      - .offset:         136
        .size:           2
        .value_kind:     hidden_grid_dims
    .group_segment_fixed_size: 512
    .kernarg_segment_align: 8
    .kernarg_segment_size: 328
    .language:       OpenCL C
    .language_version:
      - 2
      - 0
    .max_flat_workgroup_size: 256
    .name:           _ZL23rocblas_gemvt_sn_reduceILi256ELi8E19rocblas_complex_numIdEPKS1_KPS1_EviT2_lPT3_lilPT1_i
    .private_segment_fixed_size: 0
    .sgpr_count:     26
    .sgpr_spill_count: 0
    .symbol:         _ZL23rocblas_gemvt_sn_reduceILi256ELi8E19rocblas_complex_numIdEPKS1_KPS1_EviT2_lPT3_lilPT1_i.kd
    .uniform_work_group_size: 1
    .uses_dynamic_stack: false
    .vgpr_count:     40
    .vgpr_spill_count: 0
    .wavefront_size: 32
    .workgroup_processor_mode: 1
  - .args:
      - .offset:         0
        .size:           4
        .value_kind:     by_value
      - .offset:         4
        .size:           4
        .value_kind:     by_value
      - .offset:         8
        .size:           16
        .value_kind:     by_value
      - .offset:         24
        .size:           8
        .value_kind:     by_value
      - .address_space:  global
        .offset:         32
        .size:           8
        .value_kind:     global_buffer
      - .offset:         40
        .size:           8
        .value_kind:     by_value
      - .offset:         48
        .size:           4
        .value_kind:     by_value
      - .offset:         56
        .size:           8
        .value_kind:     by_value
      - .address_space:  global
        .offset:         64
        .size:           8
        .value_kind:     global_buffer
      - .offset:         72
        .size:           8
        .value_kind:     by_value
      - .offset:         80
        .size:           4
        .value_kind:     by_value
      - .offset:         88
        .size:           8
        .value_kind:     by_value
      - .address_space:  global
        .offset:         96
        .size:           8
        .value_kind:     global_buffer
      - .offset:         104
        .size:           4
        .value_kind:     by_value
      - .offset:         112
        .size:           4
        .value_kind:     hidden_block_count_x
      - .offset:         116
        .size:           4
        .value_kind:     hidden_block_count_y
      - .offset:         120
        .size:           4
        .value_kind:     hidden_block_count_z
      - .offset:         124
        .size:           2
        .value_kind:     hidden_group_size_x
      - .offset:         126
        .size:           2
        .value_kind:     hidden_group_size_y
      - .offset:         128
        .size:           2
        .value_kind:     hidden_group_size_z
      - .offset:         130
        .size:           2
        .value_kind:     hidden_remainder_x
      - .offset:         132
        .size:           2
        .value_kind:     hidden_remainder_y
      - .offset:         134
        .size:           2
        .value_kind:     hidden_remainder_z
      - .offset:         152
        .size:           8
        .value_kind:     hidden_global_offset_x
      - .offset:         160
        .size:           8
        .value_kind:     hidden_global_offset_y
      - .offset:         168
        .size:           8
        .value_kind:     hidden_global_offset_z
      - .offset:         176
        .size:           2
        .value_kind:     hidden_grid_dims
    .group_segment_fixed_size: 512
    .kernarg_segment_align: 8
    .kernarg_segment_size: 368
    .language:       OpenCL C
    .language_version:
      - 2
      - 0
    .max_flat_workgroup_size: 256
    .name:           _ZL23rocblas_gemvt_sn_kernelILb0ELi256ELi4EiPK19rocblas_complex_numIdES1_S1_EviiT4_lPKT3_lilS7_lilPT5_i
    .private_segment_fixed_size: 80
    .sgpr_count:     48
    .sgpr_spill_count: 0
    .symbol:         _ZL23rocblas_gemvt_sn_kernelILb0ELi256ELi4EiPK19rocblas_complex_numIdES1_S1_EviiT4_lPKT3_lilS7_lilPT5_i.kd
    .uniform_work_group_size: 1
    .uses_dynamic_stack: false
    .vgpr_count:     78
    .vgpr_spill_count: 0
    .wavefront_size: 32
    .workgroup_processor_mode: 1
  - .args:
      - .offset:         0
        .size:           4
        .value_kind:     by_value
      - .offset:         4
        .size:           4
        .value_kind:     by_value
      - .offset:         8
        .size:           16
        .value_kind:     by_value
      - .offset:         24
        .size:           8
        .value_kind:     by_value
      - .address_space:  global
        .offset:         32
        .size:           8
        .value_kind:     global_buffer
      - .offset:         40
        .size:           8
        .value_kind:     by_value
      - .offset:         48
        .size:           4
        .value_kind:     by_value
      - .offset:         56
        .size:           8
        .value_kind:     by_value
      - .address_space:  global
        .offset:         64
        .size:           8
        .value_kind:     global_buffer
      - .offset:         72
        .size:           8
        .value_kind:     by_value
      - .offset:         80
        .size:           4
        .value_kind:     by_value
      - .offset:         88
        .size:           8
        .value_kind:     by_value
      - .address_space:  global
        .offset:         96
        .size:           8
        .value_kind:     global_buffer
      - .offset:         104
        .size:           4
        .value_kind:     by_value
      - .offset:         112
        .size:           4
        .value_kind:     hidden_block_count_x
      - .offset:         116
        .size:           4
        .value_kind:     hidden_block_count_y
      - .offset:         120
        .size:           4
        .value_kind:     hidden_block_count_z
      - .offset:         124
        .size:           2
        .value_kind:     hidden_group_size_x
      - .offset:         126
        .size:           2
        .value_kind:     hidden_group_size_y
      - .offset:         128
        .size:           2
        .value_kind:     hidden_group_size_z
      - .offset:         130
        .size:           2
        .value_kind:     hidden_remainder_x
      - .offset:         132
        .size:           2
        .value_kind:     hidden_remainder_y
      - .offset:         134
        .size:           2
        .value_kind:     hidden_remainder_z
      - .offset:         152
        .size:           8
        .value_kind:     hidden_global_offset_x
      - .offset:         160
        .size:           8
        .value_kind:     hidden_global_offset_y
      - .offset:         168
        .size:           8
        .value_kind:     hidden_global_offset_z
      - .offset:         176
        .size:           2
        .value_kind:     hidden_grid_dims
    .group_segment_fixed_size: 512
    .kernarg_segment_align: 8
    .kernarg_segment_size: 368
    .language:       OpenCL C
    .language_version:
      - 2
      - 0
    .max_flat_workgroup_size: 256
    .name:           _ZL23rocblas_gemvt_sn_kernelILb0ELi256ELi4ElPK19rocblas_complex_numIdES1_S1_EviiT4_lPKT3_lilS7_lilPT5_i
    .private_segment_fixed_size: 80
    .sgpr_count:     48
    .sgpr_spill_count: 0
    .symbol:         _ZL23rocblas_gemvt_sn_kernelILb0ELi256ELi4ElPK19rocblas_complex_numIdES1_S1_EviiT4_lPKT3_lilS7_lilPT5_i.kd
    .uniform_work_group_size: 1
    .uses_dynamic_stack: false
    .vgpr_count:     84
    .vgpr_spill_count: 0
    .wavefront_size: 32
    .workgroup_processor_mode: 1
  - .args:
      - .offset:         0
        .size:           4
        .value_kind:     by_value
      - .offset:         8
        .size:           16
        .value_kind:     by_value
      - .offset:         24
        .size:           8
        .value_kind:     by_value
      - .address_space:  global
        .offset:         32
        .size:           8
        .value_kind:     global_buffer
      - .offset:         40
        .size:           8
        .value_kind:     by_value
      - .offset:         48
        .size:           4
        .value_kind:     by_value
      - .offset:         56
        .size:           8
        .value_kind:     by_value
      - .actual_access:  read_only
        .address_space:  global
        .offset:         64
        .size:           8
        .value_kind:     global_buffer
      - .offset:         72
        .size:           4
        .value_kind:     by_value
      - .offset:         80
        .size:           4
        .value_kind:     hidden_block_count_x
      - .offset:         84
        .size:           4
        .value_kind:     hidden_block_count_y
      - .offset:         88
        .size:           4
        .value_kind:     hidden_block_count_z
      - .offset:         92
        .size:           2
        .value_kind:     hidden_group_size_x
      - .offset:         94
        .size:           2
        .value_kind:     hidden_group_size_y
      - .offset:         96
        .size:           2
        .value_kind:     hidden_group_size_z
      - .offset:         98
        .size:           2
        .value_kind:     hidden_remainder_x
      - .offset:         100
        .size:           2
        .value_kind:     hidden_remainder_y
      - .offset:         102
        .size:           2
        .value_kind:     hidden_remainder_z
      - .offset:         120
        .size:           8
        .value_kind:     hidden_global_offset_x
      - .offset:         128
        .size:           8
        .value_kind:     hidden_global_offset_y
      - .offset:         136
        .size:           8
        .value_kind:     hidden_global_offset_z
      - .offset:         144
        .size:           2
        .value_kind:     hidden_grid_dims
    .group_segment_fixed_size: 512
    .kernarg_segment_align: 8
    .kernarg_segment_size: 336
    .language:       OpenCL C
    .language_version:
      - 2
      - 0
    .max_flat_workgroup_size: 256
    .name:           _ZL23rocblas_gemvt_sn_reduceILi256ELi8E19rocblas_complex_numIdES1_KPS1_EviT2_lPT3_lilPT1_i
    .private_segment_fixed_size: 0
    .sgpr_count:     24
    .sgpr_spill_count: 0
    .symbol:         _ZL23rocblas_gemvt_sn_reduceILi256ELi8E19rocblas_complex_numIdES1_KPS1_EviT2_lPT3_lilPT1_i.kd
    .uniform_work_group_size: 1
    .uses_dynamic_stack: false
    .vgpr_count:     40
    .vgpr_spill_count: 0
    .wavefront_size: 32
    .workgroup_processor_mode: 1
  - .args:
      - .offset:         0
        .size:           4
        .value_kind:     by_value
      - .offset:         4
        .size:           4
        .value_kind:     by_value
      - .address_space:  global
        .offset:         8
        .size:           8
        .value_kind:     global_buffer
      - .offset:         16
        .size:           8
        .value_kind:     by_value
      - .address_space:  global
        .offset:         24
        .size:           8
        .value_kind:     global_buffer
      - .offset:         32
        .size:           8
        .value_kind:     by_value
      - .offset:         40
        .size:           4
        .value_kind:     by_value
      - .offset:         48
        .size:           8
        .value_kind:     by_value
      - .address_space:  global
        .offset:         56
        .size:           8
        .value_kind:     global_buffer
      - .offset:         64
        .size:           8
        .value_kind:     by_value
      - .offset:         72
        .size:           4
        .value_kind:     by_value
      - .offset:         80
        .size:           8
        .value_kind:     by_value
      - .address_space:  global
        .offset:         88
        .size:           8
        .value_kind:     global_buffer
      - .offset:         96
        .size:           8
        .value_kind:     by_value
      - .address_space:  global
        .offset:         104
        .size:           8
        .value_kind:     global_buffer
      - .offset:         112
        .size:           8
        .value_kind:     by_value
      - .offset:         120
        .size:           4
        .value_kind:     by_value
      - .offset:         128
        .size:           8
        .value_kind:     by_value
      - .offset:         136
        .size:           4
        .value_kind:     by_value
    .group_segment_fixed_size: 512
    .kernarg_segment_align: 8
    .kernarg_segment_size: 140
    .language:       OpenCL C
    .language_version:
      - 2
      - 0
    .max_flat_workgroup_size: 256
    .name:           _ZL32rocblas_gemvt_warp_reduce_kernelILb0ELi256EiPK19rocblas_complex_numIdES3_KPS1_EviiT3_lPKT2_lT1_lS9_lSA_lS6_lPT4_lSA_li
    .private_segment_fixed_size: 0
    .sgpr_count:     34
    .sgpr_spill_count: 0
    .symbol:         _ZL32rocblas_gemvt_warp_reduce_kernelILb0ELi256EiPK19rocblas_complex_numIdES3_KPS1_EviiT3_lPKT2_lT1_lS9_lSA_lS6_lPT4_lSA_li.kd
    .uniform_work_group_size: 1
    .uses_dynamic_stack: false
    .vgpr_count:     22
    .vgpr_spill_count: 0
    .wavefront_size: 32
    .workgroup_processor_mode: 1
  - .args:
      - .offset:         0
        .size:           4
        .value_kind:     by_value
      - .offset:         4
        .size:           4
        .value_kind:     by_value
      - .address_space:  global
        .offset:         8
        .size:           8
        .value_kind:     global_buffer
      - .offset:         16
        .size:           8
        .value_kind:     by_value
      - .address_space:  global
        .offset:         24
        .size:           8
        .value_kind:     global_buffer
      - .offset:         32
        .size:           8
        .value_kind:     by_value
      - .offset:         40
        .size:           8
        .value_kind:     by_value
      - .offset:         48
        .size:           8
        .value_kind:     by_value
      - .address_space:  global
        .offset:         56
        .size:           8
        .value_kind:     global_buffer
      - .offset:         64
        .size:           8
        .value_kind:     by_value
      - .offset:         72
        .size:           8
        .value_kind:     by_value
      - .offset:         80
        .size:           8
        .value_kind:     by_value
      - .address_space:  global
        .offset:         88
        .size:           8
        .value_kind:     global_buffer
      - .offset:         96
        .size:           8
        .value_kind:     by_value
      - .address_space:  global
        .offset:         104
        .size:           8
        .value_kind:     global_buffer
      - .offset:         112
        .size:           8
        .value_kind:     by_value
      - .offset:         120
        .size:           8
        .value_kind:     by_value
      - .offset:         128
        .size:           8
        .value_kind:     by_value
      - .offset:         136
        .size:           4
        .value_kind:     by_value
    .group_segment_fixed_size: 512
    .kernarg_segment_align: 8
    .kernarg_segment_size: 140
    .language:       OpenCL C
    .language_version:
      - 2
      - 0
    .max_flat_workgroup_size: 256
    .name:           _ZL32rocblas_gemvt_warp_reduce_kernelILb0ELi256ElPK19rocblas_complex_numIdES3_KPS1_EviiT3_lPKT2_lT1_lS9_lSA_lS6_lPT4_lSA_li
    .private_segment_fixed_size: 0
    .sgpr_count:     42
    .sgpr_spill_count: 0
    .symbol:         _ZL32rocblas_gemvt_warp_reduce_kernelILb0ELi256ElPK19rocblas_complex_numIdES3_KPS1_EviiT3_lPKT2_lT1_lS9_lSA_lS6_lPT4_lSA_li.kd
    .uniform_work_group_size: 1
    .uses_dynamic_stack: false
    .vgpr_count:     22
    .vgpr_spill_count: 0
    .wavefront_size: 32
    .workgroup_processor_mode: 1
  - .args:
      - .offset:         0
        .size:           4
        .value_kind:     by_value
      - .offset:         4
        .size:           4
        .value_kind:     by_value
      - .offset:         8
        .size:           16
        .value_kind:     by_value
      - .offset:         24
        .size:           8
        .value_kind:     by_value
      - .address_space:  global
        .offset:         32
        .size:           8
        .value_kind:     global_buffer
      - .offset:         40
        .size:           8
        .value_kind:     by_value
      - .offset:         48
        .size:           4
        .value_kind:     by_value
      - .offset:         56
        .size:           8
        .value_kind:     by_value
      - .address_space:  global
        .offset:         64
        .size:           8
        .value_kind:     global_buffer
      - .offset:         72
        .size:           8
        .value_kind:     by_value
      - .offset:         80
        .size:           4
        .value_kind:     by_value
      - .offset:         88
        .size:           8
        .value_kind:     by_value
      - .offset:         96
        .size:           16
        .value_kind:     by_value
      - .offset:         112
        .size:           8
        .value_kind:     by_value
      - .address_space:  global
        .offset:         120
        .size:           8
        .value_kind:     global_buffer
      - .offset:         128
        .size:           8
        .value_kind:     by_value
      - .offset:         136
        .size:           4
        .value_kind:     by_value
      - .offset:         144
        .size:           8
        .value_kind:     by_value
      - .offset:         152
        .size:           4
        .value_kind:     by_value
    .group_segment_fixed_size: 512
    .kernarg_segment_align: 8
    .kernarg_segment_size: 156
    .language:       OpenCL C
    .language_version:
      - 2
      - 0
    .max_flat_workgroup_size: 256
    .name:           _ZL32rocblas_gemvt_warp_reduce_kernelILb0ELi256EiPK19rocblas_complex_numIdES1_KPS1_EviiT3_lPKT2_lT1_lS9_lSA_lS6_lPT4_lSA_li
    .private_segment_fixed_size: 0
    .sgpr_count:     30
    .sgpr_spill_count: 0
    .symbol:         _ZL32rocblas_gemvt_warp_reduce_kernelILb0ELi256EiPK19rocblas_complex_numIdES1_KPS1_EviiT3_lPKT2_lT1_lS9_lSA_lS6_lPT4_lSA_li.kd
    .uniform_work_group_size: 1
    .uses_dynamic_stack: false
    .vgpr_count:     22
    .vgpr_spill_count: 0
    .wavefront_size: 32
    .workgroup_processor_mode: 1
  - .args:
      - .offset:         0
        .size:           4
        .value_kind:     by_value
      - .offset:         4
        .size:           4
        .value_kind:     by_value
      - .offset:         8
        .size:           16
        .value_kind:     by_value
      - .offset:         24
        .size:           8
        .value_kind:     by_value
      - .address_space:  global
        .offset:         32
        .size:           8
        .value_kind:     global_buffer
      - .offset:         40
        .size:           8
        .value_kind:     by_value
      - .offset:         48
        .size:           8
        .value_kind:     by_value
      - .offset:         56
        .size:           8
        .value_kind:     by_value
      - .address_space:  global
        .offset:         64
        .size:           8
        .value_kind:     global_buffer
      - .offset:         72
        .size:           8
        .value_kind:     by_value
      - .offset:         80
        .size:           8
        .value_kind:     by_value
      - .offset:         88
        .size:           8
        .value_kind:     by_value
      - .offset:         96
        .size:           16
        .value_kind:     by_value
      - .offset:         112
        .size:           8
        .value_kind:     by_value
      - .address_space:  global
        .offset:         120
        .size:           8
        .value_kind:     global_buffer
      - .offset:         128
        .size:           8
        .value_kind:     by_value
      - .offset:         136
        .size:           8
        .value_kind:     by_value
      - .offset:         144
        .size:           8
        .value_kind:     by_value
      - .offset:         152
        .size:           4
        .value_kind:     by_value
    .group_segment_fixed_size: 512
    .kernarg_segment_align: 8
    .kernarg_segment_size: 156
    .language:       OpenCL C
    .language_version:
      - 2
      - 0
    .max_flat_workgroup_size: 256
    .name:           _ZL32rocblas_gemvt_warp_reduce_kernelILb0ELi256ElPK19rocblas_complex_numIdES1_KPS1_EviiT3_lPKT2_lT1_lS9_lSA_lS6_lPT4_lSA_li
    .private_segment_fixed_size: 0
    .sgpr_count:     42
    .sgpr_spill_count: 0
    .symbol:         _ZL32rocblas_gemvt_warp_reduce_kernelILb0ELi256ElPK19rocblas_complex_numIdES1_KPS1_EviiT3_lPKT2_lT1_lS9_lSA_lS6_lPT4_lSA_li.kd
    .uniform_work_group_size: 1
    .uses_dynamic_stack: false
    .vgpr_count:     22
    .vgpr_spill_count: 0
    .wavefront_size: 32
    .workgroup_processor_mode: 1
  - .args:
      - .offset:         0
        .size:           4
        .value_kind:     by_value
      - .offset:         4
        .size:           4
        .value_kind:     by_value
      - .address_space:  global
        .offset:         8
        .size:           8
        .value_kind:     global_buffer
      - .offset:         16
        .size:           8
        .value_kind:     by_value
      - .address_space:  global
        .offset:         24
        .size:           8
        .value_kind:     global_buffer
      - .offset:         32
        .size:           8
        .value_kind:     by_value
      - .offset:         40
        .size:           4
        .value_kind:     by_value
      - .offset:         48
        .size:           8
        .value_kind:     by_value
      - .address_space:  global
        .offset:         56
        .size:           8
        .value_kind:     global_buffer
      - .offset:         64
        .size:           8
        .value_kind:     by_value
      - .offset:         72
        .size:           4
        .value_kind:     by_value
      - .offset:         80
        .size:           8
        .value_kind:     by_value
      - .address_space:  global
        .offset:         88
        .size:           8
        .value_kind:     global_buffer
      - .offset:         96
        .size:           8
        .value_kind:     by_value
      - .address_space:  global
        .offset:         104
        .size:           8
        .value_kind:     global_buffer
      - .offset:         112
        .size:           8
        .value_kind:     by_value
      - .offset:         120
        .size:           4
        .value_kind:     by_value
      - .offset:         128
        .size:           8
        .value_kind:     by_value
      - .offset:         136
        .size:           4
        .value_kind:     by_value
    .group_segment_fixed_size: 4096
    .kernarg_segment_align: 8
    .kernarg_segment_size: 140
    .language:       OpenCL C
    .language_version:
      - 2
      - 0
    .max_flat_workgroup_size: 256
    .name:           _ZL20rocblas_gemvt_kernelILb0ELi256EPK19rocblas_complex_numIdES3_KPS1_EviiT2_lPKT1_lilS9_lilS6_lPT3_lili
    .private_segment_fixed_size: 0
    .sgpr_count:     34
    .sgpr_spill_count: 0
    .symbol:         _ZL20rocblas_gemvt_kernelILb0ELi256EPK19rocblas_complex_numIdES3_KPS1_EviiT2_lPKT1_lilS9_lilS6_lPT3_lili.kd
    .uniform_work_group_size: 1
    .uses_dynamic_stack: false
    .vgpr_count:     21
    .vgpr_spill_count: 0
    .wavefront_size: 32
    .workgroup_processor_mode: 1
  - .args:
      - .offset:         0
        .size:           4
        .value_kind:     by_value
      - .offset:         4
        .size:           4
        .value_kind:     by_value
      - .offset:         8
        .size:           16
        .value_kind:     by_value
      - .offset:         24
        .size:           8
        .value_kind:     by_value
      - .address_space:  global
        .offset:         32
        .size:           8
        .value_kind:     global_buffer
      - .offset:         40
        .size:           8
        .value_kind:     by_value
      - .offset:         48
        .size:           4
        .value_kind:     by_value
      - .offset:         56
        .size:           8
        .value_kind:     by_value
      - .address_space:  global
        .offset:         64
        .size:           8
        .value_kind:     global_buffer
      - .offset:         72
        .size:           8
        .value_kind:     by_value
      - .offset:         80
        .size:           4
        .value_kind:     by_value
      - .offset:         88
        .size:           8
        .value_kind:     by_value
      - .offset:         96
        .size:           16
        .value_kind:     by_value
      - .offset:         112
        .size:           8
        .value_kind:     by_value
      - .address_space:  global
        .offset:         120
        .size:           8
        .value_kind:     global_buffer
      - .offset:         128
        .size:           8
        .value_kind:     by_value
      - .offset:         136
        .size:           4
        .value_kind:     by_value
      - .offset:         144
        .size:           8
        .value_kind:     by_value
      - .offset:         152
        .size:           4
        .value_kind:     by_value
    .group_segment_fixed_size: 4096
    .kernarg_segment_align: 8
    .kernarg_segment_size: 156
    .language:       OpenCL C
    .language_version:
      - 2
      - 0
    .max_flat_workgroup_size: 256
    .name:           _ZL20rocblas_gemvt_kernelILb0ELi256EPK19rocblas_complex_numIdES1_KPS1_EviiT2_lPKT1_lilS9_lilS6_lPT3_lili
    .private_segment_fixed_size: 0
    .sgpr_count:     30
    .sgpr_spill_count: 0
    .symbol:         _ZL20rocblas_gemvt_kernelILb0ELi256EPK19rocblas_complex_numIdES1_KPS1_EviiT2_lPKT1_lilS9_lilS6_lPT3_lili.kd
    .uniform_work_group_size: 1
    .uses_dynamic_stack: false
    .vgpr_count:     21
    .vgpr_spill_count: 0
    .wavefront_size: 32
    .workgroup_processor_mode: 1
  - .args:
      - .offset:         0
        .size:           4
        .value_kind:     by_value
      - .offset:         4
        .size:           4
        .value_kind:     by_value
      - .address_space:  global
        .offset:         8
        .size:           8
        .value_kind:     global_buffer
      - .offset:         16
        .size:           8
        .value_kind:     by_value
      - .address_space:  global
        .offset:         24
        .size:           8
        .value_kind:     global_buffer
      - .offset:         32
        .size:           8
        .value_kind:     by_value
      - .offset:         40
        .size:           4
        .value_kind:     by_value
      - .offset:         48
        .size:           8
        .value_kind:     by_value
      - .address_space:  global
        .offset:         56
        .size:           8
        .value_kind:     global_buffer
      - .offset:         64
        .size:           8
        .value_kind:     by_value
      - .offset:         72
        .size:           4
        .value_kind:     by_value
      - .offset:         80
        .size:           8
        .value_kind:     by_value
      - .address_space:  global
        .offset:         88
        .size:           8
        .value_kind:     global_buffer
      - .offset:         96
        .size:           8
        .value_kind:     by_value
      - .address_space:  global
        .offset:         104
        .size:           8
        .value_kind:     global_buffer
      - .offset:         112
        .size:           8
        .value_kind:     by_value
      - .offset:         120
        .size:           4
        .value_kind:     by_value
      - .offset:         128
        .size:           8
        .value_kind:     by_value
      - .offset:         136
        .size:           4
        .value_kind:     by_value
    .group_segment_fixed_size: 512
    .kernarg_segment_align: 8
    .kernarg_segment_size: 140
    .language:       OpenCL C
    .language_version:
      - 2
      - 0
    .max_flat_workgroup_size: 1024
    .name:           _ZL32rocblas_gemvt_warp_reduce_kernelILb0ELi1024EiPK19rocblas_complex_numIdES3_KPS1_EviiT3_lPKT2_lT1_lS9_lSA_lS6_lPT4_lSA_li
    .private_segment_fixed_size: 0
    .sgpr_count:     34
    .sgpr_spill_count: 0
    .symbol:         _ZL32rocblas_gemvt_warp_reduce_kernelILb0ELi1024EiPK19rocblas_complex_numIdES3_KPS1_EviiT3_lPKT2_lT1_lS9_lSA_lS6_lPT4_lSA_li.kd
    .uniform_work_group_size: 1
    .uses_dynamic_stack: false
    .vgpr_count:     22
    .vgpr_spill_count: 0
    .wavefront_size: 32
    .workgroup_processor_mode: 1
  - .args:
      - .offset:         0
        .size:           4
        .value_kind:     by_value
      - .offset:         4
        .size:           4
        .value_kind:     by_value
      - .address_space:  global
        .offset:         8
        .size:           8
        .value_kind:     global_buffer
      - .offset:         16
        .size:           8
        .value_kind:     by_value
      - .address_space:  global
        .offset:         24
        .size:           8
        .value_kind:     global_buffer
      - .offset:         32
        .size:           8
        .value_kind:     by_value
      - .offset:         40
        .size:           8
        .value_kind:     by_value
      - .offset:         48
        .size:           8
        .value_kind:     by_value
      - .address_space:  global
        .offset:         56
        .size:           8
        .value_kind:     global_buffer
      - .offset:         64
        .size:           8
        .value_kind:     by_value
      - .offset:         72
        .size:           8
        .value_kind:     by_value
      - .offset:         80
        .size:           8
        .value_kind:     by_value
      - .address_space:  global
        .offset:         88
        .size:           8
        .value_kind:     global_buffer
      - .offset:         96
        .size:           8
        .value_kind:     by_value
      - .address_space:  global
        .offset:         104
        .size:           8
        .value_kind:     global_buffer
      - .offset:         112
        .size:           8
        .value_kind:     by_value
      - .offset:         120
        .size:           8
        .value_kind:     by_value
      - .offset:         128
        .size:           8
        .value_kind:     by_value
      - .offset:         136
        .size:           4
        .value_kind:     by_value
    .group_segment_fixed_size: 512
    .kernarg_segment_align: 8
    .kernarg_segment_size: 140
    .language:       OpenCL C
    .language_version:
      - 2
      - 0
    .max_flat_workgroup_size: 1024
    .name:           _ZL32rocblas_gemvt_warp_reduce_kernelILb0ELi1024ElPK19rocblas_complex_numIdES3_KPS1_EviiT3_lPKT2_lT1_lS9_lSA_lS6_lPT4_lSA_li
    .private_segment_fixed_size: 0
    .sgpr_count:     42
    .sgpr_spill_count: 0
    .symbol:         _ZL32rocblas_gemvt_warp_reduce_kernelILb0ELi1024ElPK19rocblas_complex_numIdES3_KPS1_EviiT3_lPKT2_lT1_lS9_lSA_lS6_lPT4_lSA_li.kd
    .uniform_work_group_size: 1
    .uses_dynamic_stack: false
    .vgpr_count:     22
    .vgpr_spill_count: 0
    .wavefront_size: 32
    .workgroup_processor_mode: 1
  - .args:
      - .offset:         0
        .size:           4
        .value_kind:     by_value
      - .offset:         4
        .size:           4
        .value_kind:     by_value
      - .offset:         8
        .size:           16
        .value_kind:     by_value
      - .offset:         24
        .size:           8
        .value_kind:     by_value
      - .address_space:  global
        .offset:         32
        .size:           8
        .value_kind:     global_buffer
      - .offset:         40
        .size:           8
        .value_kind:     by_value
      - .offset:         48
        .size:           4
        .value_kind:     by_value
      - .offset:         56
        .size:           8
        .value_kind:     by_value
      - .address_space:  global
        .offset:         64
        .size:           8
        .value_kind:     global_buffer
      - .offset:         72
        .size:           8
        .value_kind:     by_value
      - .offset:         80
        .size:           4
        .value_kind:     by_value
      - .offset:         88
        .size:           8
        .value_kind:     by_value
      - .offset:         96
        .size:           16
        .value_kind:     by_value
      - .offset:         112
        .size:           8
        .value_kind:     by_value
      - .address_space:  global
        .offset:         120
        .size:           8
        .value_kind:     global_buffer
      - .offset:         128
        .size:           8
        .value_kind:     by_value
      - .offset:         136
        .size:           4
        .value_kind:     by_value
      - .offset:         144
        .size:           8
        .value_kind:     by_value
      - .offset:         152
        .size:           4
        .value_kind:     by_value
    .group_segment_fixed_size: 512
    .kernarg_segment_align: 8
    .kernarg_segment_size: 156
    .language:       OpenCL C
    .language_version:
      - 2
      - 0
    .max_flat_workgroup_size: 1024
    .name:           _ZL32rocblas_gemvt_warp_reduce_kernelILb0ELi1024EiPK19rocblas_complex_numIdES1_KPS1_EviiT3_lPKT2_lT1_lS9_lSA_lS6_lPT4_lSA_li
    .private_segment_fixed_size: 0
    .sgpr_count:     30
    .sgpr_spill_count: 0
    .symbol:         _ZL32rocblas_gemvt_warp_reduce_kernelILb0ELi1024EiPK19rocblas_complex_numIdES1_KPS1_EviiT3_lPKT2_lT1_lS9_lSA_lS6_lPT4_lSA_li.kd
    .uniform_work_group_size: 1
    .uses_dynamic_stack: false
    .vgpr_count:     22
    .vgpr_spill_count: 0
    .wavefront_size: 32
    .workgroup_processor_mode: 1
  - .args:
      - .offset:         0
        .size:           4
        .value_kind:     by_value
      - .offset:         4
        .size:           4
        .value_kind:     by_value
      - .offset:         8
        .size:           16
        .value_kind:     by_value
      - .offset:         24
        .size:           8
        .value_kind:     by_value
      - .address_space:  global
        .offset:         32
        .size:           8
        .value_kind:     global_buffer
      - .offset:         40
        .size:           8
        .value_kind:     by_value
      - .offset:         48
        .size:           8
        .value_kind:     by_value
      - .offset:         56
        .size:           8
        .value_kind:     by_value
      - .address_space:  global
        .offset:         64
        .size:           8
        .value_kind:     global_buffer
      - .offset:         72
        .size:           8
        .value_kind:     by_value
      - .offset:         80
        .size:           8
        .value_kind:     by_value
      - .offset:         88
        .size:           8
        .value_kind:     by_value
      - .offset:         96
        .size:           16
        .value_kind:     by_value
      - .offset:         112
        .size:           8
        .value_kind:     by_value
      - .address_space:  global
        .offset:         120
        .size:           8
        .value_kind:     global_buffer
      - .offset:         128
        .size:           8
        .value_kind:     by_value
      - .offset:         136
        .size:           8
        .value_kind:     by_value
      - .offset:         144
        .size:           8
        .value_kind:     by_value
      - .offset:         152
        .size:           4
        .value_kind:     by_value
    .group_segment_fixed_size: 512
    .kernarg_segment_align: 8
    .kernarg_segment_size: 156
    .language:       OpenCL C
    .language_version:
      - 2
      - 0
    .max_flat_workgroup_size: 1024
    .name:           _ZL32rocblas_gemvt_warp_reduce_kernelILb0ELi1024ElPK19rocblas_complex_numIdES1_KPS1_EviiT3_lPKT2_lT1_lS9_lSA_lS6_lPT4_lSA_li
    .private_segment_fixed_size: 0
    .sgpr_count:     42
    .sgpr_spill_count: 0
    .symbol:         _ZL32rocblas_gemvt_warp_reduce_kernelILb0ELi1024ElPK19rocblas_complex_numIdES1_KPS1_EviiT3_lPKT2_lT1_lS9_lSA_lS6_lPT4_lSA_li.kd
    .uniform_work_group_size: 1
    .uses_dynamic_stack: false
    .vgpr_count:     22
    .vgpr_spill_count: 0
    .wavefront_size: 32
    .workgroup_processor_mode: 1
  - .args:
      - .offset:         0
        .size:           4
        .value_kind:     by_value
      - .offset:         4
        .size:           4
        .value_kind:     by_value
      - .address_space:  global
        .offset:         8
        .size:           8
        .value_kind:     global_buffer
      - .offset:         16
        .size:           8
        .value_kind:     by_value
      - .address_space:  global
        .offset:         24
        .size:           8
        .value_kind:     global_buffer
      - .offset:         32
        .size:           8
        .value_kind:     by_value
      - .offset:         40
        .size:           4
        .value_kind:     by_value
      - .offset:         48
        .size:           8
        .value_kind:     by_value
      - .address_space:  global
        .offset:         56
        .size:           8
        .value_kind:     global_buffer
      - .offset:         64
        .size:           8
        .value_kind:     by_value
      - .offset:         72
        .size:           4
        .value_kind:     by_value
      - .offset:         80
        .size:           8
        .value_kind:     by_value
      - .address_space:  global
        .offset:         88
        .size:           8
        .value_kind:     global_buffer
      - .offset:         96
        .size:           8
        .value_kind:     by_value
      - .address_space:  global
        .offset:         104
        .size:           8
        .value_kind:     global_buffer
      - .offset:         112
        .size:           8
        .value_kind:     by_value
      - .offset:         120
        .size:           4
        .value_kind:     by_value
      - .offset:         128
        .size:           8
        .value_kind:     by_value
    .group_segment_fixed_size: 1024
    .kernarg_segment_align: 8
    .kernarg_segment_size: 136
    .language:       OpenCL C
    .language_version:
      - 2
      - 0
    .max_flat_workgroup_size: 256
    .name:           _ZL22rocblas_gemvtsm_kernelILb1ELi256EPK19rocblas_complex_numIdES3_KPS1_EviiT2_lPKT1_lilS9_lilS6_lPT3_lil
    .private_segment_fixed_size: 0
    .sgpr_count:     28
    .sgpr_spill_count: 0
    .symbol:         _ZL22rocblas_gemvtsm_kernelILb1ELi256EPK19rocblas_complex_numIdES3_KPS1_EviiT2_lPKT1_lilS9_lilS6_lPT3_lil.kd
    .uniform_work_group_size: 1
    .uses_dynamic_stack: false
    .vgpr_count:     60
    .vgpr_spill_count: 0
    .wavefront_size: 32
    .workgroup_processor_mode: 1
  - .args:
      - .offset:         0
        .size:           4
        .value_kind:     by_value
      - .offset:         4
        .size:           4
        .value_kind:     by_value
      - .offset:         8
        .size:           16
        .value_kind:     by_value
      - .offset:         24
        .size:           8
        .value_kind:     by_value
      - .address_space:  global
        .offset:         32
        .size:           8
        .value_kind:     global_buffer
      - .offset:         40
        .size:           8
        .value_kind:     by_value
      - .offset:         48
        .size:           4
        .value_kind:     by_value
      - .offset:         56
        .size:           8
        .value_kind:     by_value
      - .address_space:  global
        .offset:         64
        .size:           8
        .value_kind:     global_buffer
      - .offset:         72
        .size:           8
        .value_kind:     by_value
      - .offset:         80
        .size:           4
        .value_kind:     by_value
      - .offset:         88
        .size:           8
        .value_kind:     by_value
      - .offset:         96
        .size:           16
        .value_kind:     by_value
      - .offset:         112
        .size:           8
        .value_kind:     by_value
      - .address_space:  global
        .offset:         120
        .size:           8
        .value_kind:     global_buffer
      - .offset:         128
        .size:           8
        .value_kind:     by_value
      - .offset:         136
        .size:           4
        .value_kind:     by_value
      - .offset:         144
        .size:           8
        .value_kind:     by_value
    .group_segment_fixed_size: 1024
    .kernarg_segment_align: 8
    .kernarg_segment_size: 152
    .language:       OpenCL C
    .language_version:
      - 2
      - 0
    .max_flat_workgroup_size: 256
    .name:           _ZL22rocblas_gemvtsm_kernelILb1ELi256EPK19rocblas_complex_numIdES1_KPS1_EviiT2_lPKT1_lilS9_lilS6_lPT3_lil
    .private_segment_fixed_size: 0
    .sgpr_count:     28
    .sgpr_spill_count: 0
    .symbol:         _ZL22rocblas_gemvtsm_kernelILb1ELi256EPK19rocblas_complex_numIdES1_KPS1_EviiT2_lPKT1_lilS9_lilS6_lPT3_lil.kd
    .uniform_work_group_size: 1
    .uses_dynamic_stack: false
    .vgpr_count:     60
    .vgpr_spill_count: 0
    .wavefront_size: 32
    .workgroup_processor_mode: 1
  - .args:
      - .offset:         0
        .size:           4
        .value_kind:     by_value
      - .offset:         4
        .size:           4
        .value_kind:     by_value
      - .address_space:  global
        .offset:         8
        .size:           8
        .value_kind:     global_buffer
      - .offset:         16
        .size:           8
        .value_kind:     by_value
      - .address_space:  global
        .offset:         24
        .size:           8
        .value_kind:     global_buffer
      - .offset:         32
        .size:           8
        .value_kind:     by_value
      - .offset:         40
        .size:           4
        .value_kind:     by_value
      - .offset:         48
        .size:           8
        .value_kind:     by_value
      - .address_space:  global
        .offset:         56
        .size:           8
        .value_kind:     global_buffer
      - .offset:         64
        .size:           8
        .value_kind:     by_value
      - .offset:         72
        .size:           4
        .value_kind:     by_value
      - .offset:         80
        .size:           8
        .value_kind:     by_value
      - .address_space:  global
        .offset:         88
        .size:           8
        .value_kind:     global_buffer
      - .offset:         96
        .size:           4
        .value_kind:     by_value
      - .offset:         104
        .size:           4
        .value_kind:     hidden_block_count_x
      - .offset:         108
        .size:           4
        .value_kind:     hidden_block_count_y
      - .offset:         112
        .size:           4
        .value_kind:     hidden_block_count_z
      - .offset:         116
        .size:           2
        .value_kind:     hidden_group_size_x
      - .offset:         118
        .size:           2
        .value_kind:     hidden_group_size_y
      - .offset:         120
        .size:           2
        .value_kind:     hidden_group_size_z
      - .offset:         122
        .size:           2
        .value_kind:     hidden_remainder_x
      - .offset:         124
        .size:           2
        .value_kind:     hidden_remainder_y
      - .offset:         126
        .size:           2
        .value_kind:     hidden_remainder_z
      - .offset:         144
        .size:           8
        .value_kind:     hidden_global_offset_x
      - .offset:         152
        .size:           8
        .value_kind:     hidden_global_offset_y
      - .offset:         160
        .size:           8
        .value_kind:     hidden_global_offset_z
      - .offset:         168
        .size:           2
        .value_kind:     hidden_grid_dims
    .group_segment_fixed_size: 512
    .kernarg_segment_align: 8
    .kernarg_segment_size: 360
    .language:       OpenCL C
    .language_version:
      - 2
      - 0
    .max_flat_workgroup_size: 256
    .name:           _ZL23rocblas_gemvt_sn_kernelILb1ELi256ELi4EiPK19rocblas_complex_numIdES3_S1_EviiT4_lPKT3_lilS7_lilPT5_i
    .private_segment_fixed_size: 80
    .sgpr_count:     48
    .sgpr_spill_count: 0
    .symbol:         _ZL23rocblas_gemvt_sn_kernelILb1ELi256ELi4EiPK19rocblas_complex_numIdES3_S1_EviiT4_lPKT3_lilS7_lilPT5_i.kd
    .uniform_work_group_size: 1
    .uses_dynamic_stack: false
    .vgpr_count:     78
    .vgpr_spill_count: 0
    .wavefront_size: 32
    .workgroup_processor_mode: 1
  - .args:
      - .offset:         0
        .size:           4
        .value_kind:     by_value
      - .offset:         4
        .size:           4
        .value_kind:     by_value
      - .address_space:  global
        .offset:         8
        .size:           8
        .value_kind:     global_buffer
      - .offset:         16
        .size:           8
        .value_kind:     by_value
      - .address_space:  global
        .offset:         24
        .size:           8
        .value_kind:     global_buffer
      - .offset:         32
        .size:           8
        .value_kind:     by_value
      - .offset:         40
        .size:           4
        .value_kind:     by_value
      - .offset:         48
        .size:           8
        .value_kind:     by_value
      - .address_space:  global
        .offset:         56
        .size:           8
        .value_kind:     global_buffer
      - .offset:         64
        .size:           8
        .value_kind:     by_value
      - .offset:         72
        .size:           4
        .value_kind:     by_value
      - .offset:         80
        .size:           8
        .value_kind:     by_value
      - .address_space:  global
        .offset:         88
        .size:           8
        .value_kind:     global_buffer
      - .offset:         96
        .size:           4
        .value_kind:     by_value
      - .offset:         104
        .size:           4
        .value_kind:     hidden_block_count_x
      - .offset:         108
        .size:           4
        .value_kind:     hidden_block_count_y
      - .offset:         112
        .size:           4
        .value_kind:     hidden_block_count_z
      - .offset:         116
        .size:           2
        .value_kind:     hidden_group_size_x
      - .offset:         118
        .size:           2
        .value_kind:     hidden_group_size_y
      - .offset:         120
        .size:           2
        .value_kind:     hidden_group_size_z
      - .offset:         122
        .size:           2
        .value_kind:     hidden_remainder_x
      - .offset:         124
        .size:           2
        .value_kind:     hidden_remainder_y
      - .offset:         126
        .size:           2
        .value_kind:     hidden_remainder_z
      - .offset:         144
        .size:           8
        .value_kind:     hidden_global_offset_x
      - .offset:         152
        .size:           8
        .value_kind:     hidden_global_offset_y
      - .offset:         160
        .size:           8
        .value_kind:     hidden_global_offset_z
      - .offset:         168
        .size:           2
        .value_kind:     hidden_grid_dims
    .group_segment_fixed_size: 512
    .kernarg_segment_align: 8
    .kernarg_segment_size: 360
    .language:       OpenCL C
    .language_version:
      - 2
      - 0
    .max_flat_workgroup_size: 256
    .name:           _ZL23rocblas_gemvt_sn_kernelILb1ELi256ELi4ElPK19rocblas_complex_numIdES3_S1_EviiT4_lPKT3_lilS7_lilPT5_i
    .private_segment_fixed_size: 80
    .sgpr_count:     48
    .sgpr_spill_count: 0
    .symbol:         _ZL23rocblas_gemvt_sn_kernelILb1ELi256ELi4ElPK19rocblas_complex_numIdES3_S1_EviiT4_lPKT3_lilS7_lilPT5_i.kd
    .uniform_work_group_size: 1
    .uses_dynamic_stack: false
    .vgpr_count:     84
    .vgpr_spill_count: 0
    .wavefront_size: 32
    .workgroup_processor_mode: 1
  - .args:
      - .offset:         0
        .size:           4
        .value_kind:     by_value
      - .offset:         4
        .size:           4
        .value_kind:     by_value
      - .offset:         8
        .size:           16
        .value_kind:     by_value
      - .offset:         24
        .size:           8
        .value_kind:     by_value
      - .address_space:  global
        .offset:         32
        .size:           8
        .value_kind:     global_buffer
      - .offset:         40
        .size:           8
        .value_kind:     by_value
      - .offset:         48
        .size:           4
        .value_kind:     by_value
      - .offset:         56
        .size:           8
        .value_kind:     by_value
      - .address_space:  global
        .offset:         64
        .size:           8
        .value_kind:     global_buffer
      - .offset:         72
        .size:           8
        .value_kind:     by_value
      - .offset:         80
        .size:           4
        .value_kind:     by_value
      - .offset:         88
        .size:           8
        .value_kind:     by_value
      - .address_space:  global
        .offset:         96
        .size:           8
        .value_kind:     global_buffer
      - .offset:         104
        .size:           4
        .value_kind:     by_value
      - .offset:         112
        .size:           4
        .value_kind:     hidden_block_count_x
      - .offset:         116
        .size:           4
        .value_kind:     hidden_block_count_y
      - .offset:         120
        .size:           4
        .value_kind:     hidden_block_count_z
      - .offset:         124
        .size:           2
        .value_kind:     hidden_group_size_x
      - .offset:         126
        .size:           2
        .value_kind:     hidden_group_size_y
      - .offset:         128
        .size:           2
        .value_kind:     hidden_group_size_z
      - .offset:         130
        .size:           2
        .value_kind:     hidden_remainder_x
      - .offset:         132
        .size:           2
        .value_kind:     hidden_remainder_y
      - .offset:         134
        .size:           2
        .value_kind:     hidden_remainder_z
      - .offset:         152
        .size:           8
        .value_kind:     hidden_global_offset_x
      - .offset:         160
        .size:           8
        .value_kind:     hidden_global_offset_y
      - .offset:         168
        .size:           8
        .value_kind:     hidden_global_offset_z
      - .offset:         176
        .size:           2
        .value_kind:     hidden_grid_dims
    .group_segment_fixed_size: 512
    .kernarg_segment_align: 8
    .kernarg_segment_size: 368
    .language:       OpenCL C
    .language_version:
      - 2
      - 0
    .max_flat_workgroup_size: 256
    .name:           _ZL23rocblas_gemvt_sn_kernelILb1ELi256ELi4EiPK19rocblas_complex_numIdES1_S1_EviiT4_lPKT3_lilS7_lilPT5_i
    .private_segment_fixed_size: 80
    .sgpr_count:     48
    .sgpr_spill_count: 0
    .symbol:         _ZL23rocblas_gemvt_sn_kernelILb1ELi256ELi4EiPK19rocblas_complex_numIdES1_S1_EviiT4_lPKT3_lilS7_lilPT5_i.kd
    .uniform_work_group_size: 1
    .uses_dynamic_stack: false
    .vgpr_count:     78
    .vgpr_spill_count: 0
    .wavefront_size: 32
    .workgroup_processor_mode: 1
  - .args:
      - .offset:         0
        .size:           4
        .value_kind:     by_value
      - .offset:         4
        .size:           4
        .value_kind:     by_value
      - .offset:         8
        .size:           16
        .value_kind:     by_value
      - .offset:         24
        .size:           8
        .value_kind:     by_value
      - .address_space:  global
        .offset:         32
        .size:           8
        .value_kind:     global_buffer
      - .offset:         40
        .size:           8
        .value_kind:     by_value
      - .offset:         48
        .size:           4
        .value_kind:     by_value
      - .offset:         56
        .size:           8
        .value_kind:     by_value
      - .address_space:  global
        .offset:         64
        .size:           8
        .value_kind:     global_buffer
      - .offset:         72
        .size:           8
        .value_kind:     by_value
      - .offset:         80
        .size:           4
        .value_kind:     by_value
      - .offset:         88
        .size:           8
        .value_kind:     by_value
      - .address_space:  global
        .offset:         96
        .size:           8
        .value_kind:     global_buffer
      - .offset:         104
        .size:           4
        .value_kind:     by_value
      - .offset:         112
        .size:           4
        .value_kind:     hidden_block_count_x
      - .offset:         116
        .size:           4
        .value_kind:     hidden_block_count_y
      - .offset:         120
        .size:           4
        .value_kind:     hidden_block_count_z
      - .offset:         124
        .size:           2
        .value_kind:     hidden_group_size_x
      - .offset:         126
        .size:           2
        .value_kind:     hidden_group_size_y
      - .offset:         128
        .size:           2
        .value_kind:     hidden_group_size_z
      - .offset:         130
        .size:           2
        .value_kind:     hidden_remainder_x
      - .offset:         132
        .size:           2
        .value_kind:     hidden_remainder_y
      - .offset:         134
        .size:           2
        .value_kind:     hidden_remainder_z
      - .offset:         152
        .size:           8
        .value_kind:     hidden_global_offset_x
      - .offset:         160
        .size:           8
        .value_kind:     hidden_global_offset_y
      - .offset:         168
        .size:           8
        .value_kind:     hidden_global_offset_z
      - .offset:         176
        .size:           2
        .value_kind:     hidden_grid_dims
    .group_segment_fixed_size: 512
    .kernarg_segment_align: 8
    .kernarg_segment_size: 368
    .language:       OpenCL C
    .language_version:
      - 2
      - 0
    .max_flat_workgroup_size: 256
    .name:           _ZL23rocblas_gemvt_sn_kernelILb1ELi256ELi4ElPK19rocblas_complex_numIdES1_S1_EviiT4_lPKT3_lilS7_lilPT5_i
    .private_segment_fixed_size: 80
    .sgpr_count:     48
    .sgpr_spill_count: 0
    .symbol:         _ZL23rocblas_gemvt_sn_kernelILb1ELi256ELi4ElPK19rocblas_complex_numIdES1_S1_EviiT4_lPKT3_lilS7_lilPT5_i.kd
    .uniform_work_group_size: 1
    .uses_dynamic_stack: false
    .vgpr_count:     84
    .vgpr_spill_count: 0
    .wavefront_size: 32
    .workgroup_processor_mode: 1
  - .args:
      - .offset:         0
        .size:           4
        .value_kind:     by_value
      - .offset:         4
        .size:           4
        .value_kind:     by_value
      - .address_space:  global
        .offset:         8
        .size:           8
        .value_kind:     global_buffer
      - .offset:         16
        .size:           8
        .value_kind:     by_value
      - .address_space:  global
        .offset:         24
        .size:           8
        .value_kind:     global_buffer
      - .offset:         32
        .size:           8
        .value_kind:     by_value
      - .offset:         40
        .size:           4
        .value_kind:     by_value
      - .offset:         48
        .size:           8
        .value_kind:     by_value
      - .address_space:  global
        .offset:         56
        .size:           8
        .value_kind:     global_buffer
      - .offset:         64
        .size:           8
        .value_kind:     by_value
      - .offset:         72
        .size:           4
        .value_kind:     by_value
      - .offset:         80
        .size:           8
        .value_kind:     by_value
      - .address_space:  global
        .offset:         88
        .size:           8
        .value_kind:     global_buffer
      - .offset:         96
        .size:           8
        .value_kind:     by_value
      - .address_space:  global
        .offset:         104
        .size:           8
        .value_kind:     global_buffer
      - .offset:         112
        .size:           8
        .value_kind:     by_value
      - .offset:         120
        .size:           4
        .value_kind:     by_value
      - .offset:         128
        .size:           8
        .value_kind:     by_value
      - .offset:         136
        .size:           4
        .value_kind:     by_value
    .group_segment_fixed_size: 4096
    .kernarg_segment_align: 8
    .kernarg_segment_size: 140
    .language:       OpenCL C
    .language_version:
      - 2
      - 0
    .max_flat_workgroup_size: 256
    .name:           _ZL20rocblas_gemvt_kernelILb1ELi256EPK19rocblas_complex_numIdES3_KPS1_EviiT2_lPKT1_lilS9_lilS6_lPT3_lili
    .private_segment_fixed_size: 0
    .sgpr_count:     34
    .sgpr_spill_count: 0
    .symbol:         _ZL20rocblas_gemvt_kernelILb1ELi256EPK19rocblas_complex_numIdES3_KPS1_EviiT2_lPKT1_lilS9_lilS6_lPT3_lili.kd
    .uniform_work_group_size: 1
    .uses_dynamic_stack: false
    .vgpr_count:     21
    .vgpr_spill_count: 0
    .wavefront_size: 32
    .workgroup_processor_mode: 1
  - .args:
      - .offset:         0
        .size:           4
        .value_kind:     by_value
      - .offset:         4
        .size:           4
        .value_kind:     by_value
      - .offset:         8
        .size:           16
        .value_kind:     by_value
      - .offset:         24
        .size:           8
        .value_kind:     by_value
      - .address_space:  global
        .offset:         32
        .size:           8
        .value_kind:     global_buffer
      - .offset:         40
        .size:           8
        .value_kind:     by_value
      - .offset:         48
        .size:           4
        .value_kind:     by_value
      - .offset:         56
        .size:           8
        .value_kind:     by_value
      - .address_space:  global
        .offset:         64
        .size:           8
        .value_kind:     global_buffer
      - .offset:         72
        .size:           8
        .value_kind:     by_value
      - .offset:         80
        .size:           4
        .value_kind:     by_value
      - .offset:         88
        .size:           8
        .value_kind:     by_value
      - .offset:         96
        .size:           16
        .value_kind:     by_value
      - .offset:         112
        .size:           8
        .value_kind:     by_value
      - .address_space:  global
        .offset:         120
        .size:           8
        .value_kind:     global_buffer
      - .offset:         128
        .size:           8
        .value_kind:     by_value
      - .offset:         136
        .size:           4
        .value_kind:     by_value
      - .offset:         144
        .size:           8
        .value_kind:     by_value
      - .offset:         152
        .size:           4
        .value_kind:     by_value
    .group_segment_fixed_size: 4096
    .kernarg_segment_align: 8
    .kernarg_segment_size: 156
    .language:       OpenCL C
    .language_version:
      - 2
      - 0
    .max_flat_workgroup_size: 256
    .name:           _ZL20rocblas_gemvt_kernelILb1ELi256EPK19rocblas_complex_numIdES1_KPS1_EviiT2_lPKT1_lilS9_lilS6_lPT3_lili
    .private_segment_fixed_size: 0
    .sgpr_count:     30
    .sgpr_spill_count: 0
    .symbol:         _ZL20rocblas_gemvt_kernelILb1ELi256EPK19rocblas_complex_numIdES1_KPS1_EviiT2_lPKT1_lilS9_lilS6_lPT3_lili.kd
    .uniform_work_group_size: 1
    .uses_dynamic_stack: false
    .vgpr_count:     21
    .vgpr_spill_count: 0
    .wavefront_size: 32
    .workgroup_processor_mode: 1
  - .args:
      - .offset:         0
        .size:           4
        .value_kind:     by_value
      - .offset:         4
        .size:           4
        .value_kind:     by_value
      - .address_space:  global
        .offset:         8
        .size:           8
        .value_kind:     global_buffer
      - .offset:         16
        .size:           8
        .value_kind:     by_value
      - .address_space:  global
        .offset:         24
        .size:           8
        .value_kind:     global_buffer
      - .offset:         32
        .size:           8
        .value_kind:     by_value
      - .offset:         40
        .size:           4
        .value_kind:     by_value
      - .offset:         48
        .size:           8
        .value_kind:     by_value
      - .address_space:  global
        .offset:         56
        .size:           8
        .value_kind:     global_buffer
      - .offset:         64
        .size:           8
        .value_kind:     by_value
      - .offset:         72
        .size:           4
        .value_kind:     by_value
      - .offset:         80
        .size:           8
        .value_kind:     by_value
      - .address_space:  global
        .offset:         88
        .size:           8
        .value_kind:     global_buffer
      - .offset:         96
        .size:           8
        .value_kind:     by_value
      - .address_space:  global
        .offset:         104
        .size:           8
        .value_kind:     global_buffer
      - .offset:         112
        .size:           8
        .value_kind:     by_value
      - .offset:         120
        .size:           4
        .value_kind:     by_value
      - .offset:         128
        .size:           8
        .value_kind:     by_value
      - .offset:         136
        .size:           4
        .value_kind:     by_value
    .group_segment_fixed_size: 512
    .kernarg_segment_align: 8
    .kernarg_segment_size: 140
    .language:       OpenCL C
    .language_version:
      - 2
      - 0
    .max_flat_workgroup_size: 1024
    .name:           _ZL32rocblas_gemvt_warp_reduce_kernelILb1ELi1024EiPK19rocblas_complex_numIdES3_KPS1_EviiT3_lPKT2_lT1_lS9_lSA_lS6_lPT4_lSA_li
    .private_segment_fixed_size: 0
    .sgpr_count:     34
    .sgpr_spill_count: 0
    .symbol:         _ZL32rocblas_gemvt_warp_reduce_kernelILb1ELi1024EiPK19rocblas_complex_numIdES3_KPS1_EviiT3_lPKT2_lT1_lS9_lSA_lS6_lPT4_lSA_li.kd
    .uniform_work_group_size: 1
    .uses_dynamic_stack: false
    .vgpr_count:     22
    .vgpr_spill_count: 0
    .wavefront_size: 32
    .workgroup_processor_mode: 1
  - .args:
      - .offset:         0
        .size:           4
        .value_kind:     by_value
      - .offset:         4
        .size:           4
        .value_kind:     by_value
      - .address_space:  global
        .offset:         8
        .size:           8
        .value_kind:     global_buffer
      - .offset:         16
        .size:           8
        .value_kind:     by_value
      - .address_space:  global
        .offset:         24
        .size:           8
        .value_kind:     global_buffer
      - .offset:         32
        .size:           8
        .value_kind:     by_value
      - .offset:         40
        .size:           8
        .value_kind:     by_value
      - .offset:         48
        .size:           8
        .value_kind:     by_value
      - .address_space:  global
        .offset:         56
        .size:           8
        .value_kind:     global_buffer
      - .offset:         64
        .size:           8
        .value_kind:     by_value
      - .offset:         72
        .size:           8
        .value_kind:     by_value
      - .offset:         80
        .size:           8
        .value_kind:     by_value
      - .address_space:  global
        .offset:         88
        .size:           8
        .value_kind:     global_buffer
      - .offset:         96
        .size:           8
        .value_kind:     by_value
      - .address_space:  global
        .offset:         104
        .size:           8
        .value_kind:     global_buffer
      - .offset:         112
        .size:           8
        .value_kind:     by_value
      - .offset:         120
        .size:           8
        .value_kind:     by_value
      - .offset:         128
        .size:           8
        .value_kind:     by_value
      - .offset:         136
        .size:           4
        .value_kind:     by_value
    .group_segment_fixed_size: 512
    .kernarg_segment_align: 8
    .kernarg_segment_size: 140
    .language:       OpenCL C
    .language_version:
      - 2
      - 0
    .max_flat_workgroup_size: 1024
    .name:           _ZL32rocblas_gemvt_warp_reduce_kernelILb1ELi1024ElPK19rocblas_complex_numIdES3_KPS1_EviiT3_lPKT2_lT1_lS9_lSA_lS6_lPT4_lSA_li
    .private_segment_fixed_size: 0
    .sgpr_count:     42
    .sgpr_spill_count: 0
    .symbol:         _ZL32rocblas_gemvt_warp_reduce_kernelILb1ELi1024ElPK19rocblas_complex_numIdES3_KPS1_EviiT3_lPKT2_lT1_lS9_lSA_lS6_lPT4_lSA_li.kd
    .uniform_work_group_size: 1
    .uses_dynamic_stack: false
    .vgpr_count:     22
    .vgpr_spill_count: 0
    .wavefront_size: 32
    .workgroup_processor_mode: 1
  - .args:
      - .offset:         0
        .size:           4
        .value_kind:     by_value
      - .offset:         4
        .size:           4
        .value_kind:     by_value
      - .offset:         8
        .size:           16
        .value_kind:     by_value
      - .offset:         24
        .size:           8
        .value_kind:     by_value
      - .address_space:  global
        .offset:         32
        .size:           8
        .value_kind:     global_buffer
      - .offset:         40
        .size:           8
        .value_kind:     by_value
      - .offset:         48
        .size:           4
        .value_kind:     by_value
      - .offset:         56
        .size:           8
        .value_kind:     by_value
      - .address_space:  global
        .offset:         64
        .size:           8
        .value_kind:     global_buffer
      - .offset:         72
        .size:           8
        .value_kind:     by_value
      - .offset:         80
        .size:           4
        .value_kind:     by_value
      - .offset:         88
        .size:           8
        .value_kind:     by_value
      - .offset:         96
        .size:           16
        .value_kind:     by_value
      - .offset:         112
        .size:           8
        .value_kind:     by_value
      - .address_space:  global
        .offset:         120
        .size:           8
        .value_kind:     global_buffer
      - .offset:         128
        .size:           8
        .value_kind:     by_value
      - .offset:         136
        .size:           4
        .value_kind:     by_value
      - .offset:         144
        .size:           8
        .value_kind:     by_value
      - .offset:         152
        .size:           4
        .value_kind:     by_value
    .group_segment_fixed_size: 512
    .kernarg_segment_align: 8
    .kernarg_segment_size: 156
    .language:       OpenCL C
    .language_version:
      - 2
      - 0
    .max_flat_workgroup_size: 1024
    .name:           _ZL32rocblas_gemvt_warp_reduce_kernelILb1ELi1024EiPK19rocblas_complex_numIdES1_KPS1_EviiT3_lPKT2_lT1_lS9_lSA_lS6_lPT4_lSA_li
    .private_segment_fixed_size: 0
    .sgpr_count:     30
    .sgpr_spill_count: 0
    .symbol:         _ZL32rocblas_gemvt_warp_reduce_kernelILb1ELi1024EiPK19rocblas_complex_numIdES1_KPS1_EviiT3_lPKT2_lT1_lS9_lSA_lS6_lPT4_lSA_li.kd
    .uniform_work_group_size: 1
    .uses_dynamic_stack: false
    .vgpr_count:     22
    .vgpr_spill_count: 0
    .wavefront_size: 32
    .workgroup_processor_mode: 1
  - .args:
      - .offset:         0
        .size:           4
        .value_kind:     by_value
      - .offset:         4
        .size:           4
        .value_kind:     by_value
      - .offset:         8
        .size:           16
        .value_kind:     by_value
      - .offset:         24
        .size:           8
        .value_kind:     by_value
      - .address_space:  global
        .offset:         32
        .size:           8
        .value_kind:     global_buffer
      - .offset:         40
        .size:           8
        .value_kind:     by_value
      - .offset:         48
        .size:           8
        .value_kind:     by_value
      - .offset:         56
        .size:           8
        .value_kind:     by_value
      - .address_space:  global
        .offset:         64
        .size:           8
        .value_kind:     global_buffer
      - .offset:         72
        .size:           8
        .value_kind:     by_value
      - .offset:         80
        .size:           8
        .value_kind:     by_value
      - .offset:         88
        .size:           8
        .value_kind:     by_value
      - .offset:         96
        .size:           16
        .value_kind:     by_value
      - .offset:         112
        .size:           8
        .value_kind:     by_value
      - .address_space:  global
        .offset:         120
        .size:           8
        .value_kind:     global_buffer
      - .offset:         128
        .size:           8
        .value_kind:     by_value
      - .offset:         136
        .size:           8
        .value_kind:     by_value
      - .offset:         144
        .size:           8
        .value_kind:     by_value
      - .offset:         152
        .size:           4
        .value_kind:     by_value
    .group_segment_fixed_size: 512
    .kernarg_segment_align: 8
    .kernarg_segment_size: 156
    .language:       OpenCL C
    .language_version:
      - 2
      - 0
    .max_flat_workgroup_size: 1024
    .name:           _ZL32rocblas_gemvt_warp_reduce_kernelILb1ELi1024ElPK19rocblas_complex_numIdES1_KPS1_EviiT3_lPKT2_lT1_lS9_lSA_lS6_lPT4_lSA_li
    .private_segment_fixed_size: 0
    .sgpr_count:     42
    .sgpr_spill_count: 0
    .symbol:         _ZL32rocblas_gemvt_warp_reduce_kernelILb1ELi1024ElPK19rocblas_complex_numIdES1_KPS1_EviiT3_lPKT2_lT1_lS9_lSA_lS6_lPT4_lSA_li.kd
    .uniform_work_group_size: 1
    .uses_dynamic_stack: false
    .vgpr_count:     22
    .vgpr_spill_count: 0
    .wavefront_size: 32
    .workgroup_processor_mode: 1
  - .args:
      - .offset:         0
        .size:           4
        .value_kind:     by_value
      - .offset:         4
        .size:           4
        .value_kind:     by_value
      - .address_space:  global
        .offset:         8
        .size:           8
        .value_kind:     global_buffer
      - .offset:         16
        .size:           8
        .value_kind:     by_value
      - .address_space:  global
        .offset:         24
        .size:           8
        .value_kind:     global_buffer
      - .offset:         32
        .size:           8
        .value_kind:     by_value
      - .offset:         40
        .size:           4
        .value_kind:     by_value
      - .offset:         48
        .size:           8
        .value_kind:     by_value
      - .address_space:  global
        .offset:         56
        .size:           8
        .value_kind:     global_buffer
      - .offset:         64
        .size:           8
        .value_kind:     by_value
      - .offset:         72
        .size:           4
        .value_kind:     by_value
      - .offset:         80
        .size:           8
        .value_kind:     by_value
      - .address_space:  global
        .offset:         88
        .size:           8
        .value_kind:     global_buffer
      - .offset:         96
        .size:           8
        .value_kind:     by_value
      - .address_space:  global
        .offset:         104
        .size:           8
        .value_kind:     global_buffer
      - .offset:         112
        .size:           8
        .value_kind:     by_value
      - .offset:         120
        .size:           4
        .value_kind:     by_value
      - .offset:         128
        .size:           8
        .value_kind:     by_value
      - .offset:         136
        .size:           4
        .value_kind:     by_value
    .group_segment_fixed_size: 0
    .kernarg_segment_align: 8
    .kernarg_segment_size: 140
    .language:       OpenCL C
    .language_version:
      - 2
      - 0
    .max_flat_workgroup_size: 768
    .name:           _ZL34rocblas_gemvn_sm_mn_batched_kernelILi32ELi24EDF16_PKfDF16_EviiT2_lPKT1_lilS5_lilS2_lPT3_lili
    .private_segment_fixed_size: 0
    .sgpr_count:     0
    .sgpr_spill_count: 0
    .symbol:         _ZL34rocblas_gemvn_sm_mn_batched_kernelILi32ELi24EDF16_PKfDF16_EviiT2_lPKT1_lilS5_lilS2_lPT3_lili.kd
    .uniform_work_group_size: 1
    .uses_dynamic_stack: false
    .vgpr_count:     0
    .vgpr_spill_count: 0
    .wavefront_size: 32
    .workgroup_processor_mode: 1
  - .args:
      - .offset:         0
        .size:           4
        .value_kind:     by_value
      - .offset:         4
        .size:           4
        .value_kind:     by_value
      - .offset:         8
        .size:           4
        .value_kind:     by_value
      - .offset:         16
        .size:           8
        .value_kind:     by_value
      - .address_space:  global
        .offset:         24
        .size:           8
        .value_kind:     global_buffer
      - .offset:         32
        .size:           8
        .value_kind:     by_value
      - .offset:         40
        .size:           4
        .value_kind:     by_value
      - .offset:         48
        .size:           8
        .value_kind:     by_value
      - .address_space:  global
        .offset:         56
        .size:           8
        .value_kind:     global_buffer
      - .offset:         64
        .size:           8
        .value_kind:     by_value
      - .offset:         72
        .size:           4
        .value_kind:     by_value
      - .offset:         80
        .size:           8
        .value_kind:     by_value
      - .offset:         88
        .size:           4
        .value_kind:     by_value
      - .offset:         96
        .size:           8
        .value_kind:     by_value
      - .address_space:  global
        .offset:         104
        .size:           8
        .value_kind:     global_buffer
      - .offset:         112
        .size:           8
        .value_kind:     by_value
      - .offset:         120
        .size:           4
        .value_kind:     by_value
      - .offset:         128
        .size:           8
        .value_kind:     by_value
      - .offset:         136
        .size:           4
        .value_kind:     by_value
    .group_segment_fixed_size: 0
    .kernarg_segment_align: 8
    .kernarg_segment_size: 140
    .language:       OpenCL C
    .language_version:
      - 2
      - 0
    .max_flat_workgroup_size: 768
    .name:           _ZL34rocblas_gemvn_sm_mn_batched_kernelILi32ELi24EDF16_fDF16_EviiT2_lPKT1_lilS3_lilS0_lPT3_lili
    .private_segment_fixed_size: 0
    .sgpr_count:     0
    .sgpr_spill_count: 0
    .symbol:         _ZL34rocblas_gemvn_sm_mn_batched_kernelILi32ELi24EDF16_fDF16_EviiT2_lPKT1_lilS3_lilS0_lPT3_lili.kd
    .uniform_work_group_size: 1
    .uses_dynamic_stack: false
    .vgpr_count:     0
    .vgpr_spill_count: 0
    .wavefront_size: 32
    .workgroup_processor_mode: 1
  - .args:
      - .offset:         0
        .size:           4
        .value_kind:     by_value
      - .offset:         4
        .size:           4
        .value_kind:     by_value
      - .address_space:  global
        .offset:         8
        .size:           8
        .value_kind:     global_buffer
      - .offset:         16
        .size:           8
        .value_kind:     by_value
      - .address_space:  global
        .offset:         24
        .size:           8
        .value_kind:     global_buffer
      - .offset:         32
        .size:           8
        .value_kind:     by_value
      - .offset:         40
        .size:           4
        .value_kind:     by_value
      - .offset:         48
        .size:           8
        .value_kind:     by_value
      - .address_space:  global
        .offset:         56
        .size:           8
        .value_kind:     global_buffer
      - .offset:         64
        .size:           8
        .value_kind:     by_value
      - .offset:         72
        .size:           4
        .value_kind:     by_value
      - .offset:         80
        .size:           8
        .value_kind:     by_value
      - .address_space:  global
        .offset:         88
        .size:           8
        .value_kind:     global_buffer
      - .offset:         96
        .size:           8
        .value_kind:     by_value
      - .address_space:  global
        .offset:         104
        .size:           8
        .value_kind:     global_buffer
      - .offset:         112
        .size:           8
        .value_kind:     by_value
      - .offset:         120
        .size:           4
        .value_kind:     by_value
      - .offset:         128
        .size:           8
        .value_kind:     by_value
      - .offset:         136
        .size:           4
        .value_kind:     by_value
      - .offset:         144
        .size:           4
        .value_kind:     hidden_block_count_x
      - .offset:         148
        .size:           4
        .value_kind:     hidden_block_count_y
      - .offset:         152
        .size:           4
        .value_kind:     hidden_block_count_z
      - .offset:         156
        .size:           2
        .value_kind:     hidden_group_size_x
      - .offset:         158
        .size:           2
        .value_kind:     hidden_group_size_y
      - .offset:         160
        .size:           2
        .value_kind:     hidden_group_size_z
      - .offset:         162
        .size:           2
        .value_kind:     hidden_remainder_x
      - .offset:         164
        .size:           2
        .value_kind:     hidden_remainder_y
      - .offset:         166
        .size:           2
        .value_kind:     hidden_remainder_z
      - .offset:         184
        .size:           8
        .value_kind:     hidden_global_offset_x
      - .offset:         192
        .size:           8
        .value_kind:     hidden_global_offset_y
      - .offset:         200
        .size:           8
        .value_kind:     hidden_global_offset_z
      - .offset:         208
        .size:           2
        .value_kind:     hidden_grid_dims
    .group_segment_fixed_size: 4096
    .kernarg_segment_align: 8
    .kernarg_segment_size: 400
    .language:       OpenCL C
    .language_version:
      - 2
      - 0
    .max_flat_workgroup_size: 256
    .name:           _ZL20rocblas_gemvn_kernelILi64ELi4EiDF16_PKfDF16_EviiT3_lPKT2_lT1_lS5_lS6_lS2_lPT4_lS6_li
    .private_segment_fixed_size: 0
    .sgpr_count:     30
    .sgpr_spill_count: 0
    .symbol:         _ZL20rocblas_gemvn_kernelILi64ELi4EiDF16_PKfDF16_EviiT3_lPKT2_lT1_lS5_lS6_lS2_lPT4_lS6_li.kd
    .uniform_work_group_size: 1
    .uses_dynamic_stack: false
    .vgpr_count:     45
    .vgpr_spill_count: 0
    .wavefront_size: 32
    .workgroup_processor_mode: 1
  - .args:
      - .offset:         0
        .size:           4
        .value_kind:     by_value
      - .offset:         4
        .size:           4
        .value_kind:     by_value
      - .address_space:  global
        .offset:         8
        .size:           8
        .value_kind:     global_buffer
      - .offset:         16
        .size:           8
        .value_kind:     by_value
      - .address_space:  global
        .offset:         24
        .size:           8
        .value_kind:     global_buffer
      - .offset:         32
        .size:           8
        .value_kind:     by_value
      - .offset:         40
        .size:           8
        .value_kind:     by_value
      - .offset:         48
        .size:           8
        .value_kind:     by_value
      - .address_space:  global
        .offset:         56
        .size:           8
        .value_kind:     global_buffer
      - .offset:         64
        .size:           8
        .value_kind:     by_value
      - .offset:         72
        .size:           8
        .value_kind:     by_value
      - .offset:         80
        .size:           8
        .value_kind:     by_value
      - .address_space:  global
        .offset:         88
        .size:           8
        .value_kind:     global_buffer
      - .offset:         96
        .size:           8
        .value_kind:     by_value
      - .address_space:  global
        .offset:         104
        .size:           8
        .value_kind:     global_buffer
      - .offset:         112
        .size:           8
        .value_kind:     by_value
      - .offset:         120
        .size:           8
        .value_kind:     by_value
      - .offset:         128
        .size:           8
        .value_kind:     by_value
      - .offset:         136
        .size:           4
        .value_kind:     by_value
      - .offset:         144
        .size:           4
        .value_kind:     hidden_block_count_x
      - .offset:         148
        .size:           4
        .value_kind:     hidden_block_count_y
      - .offset:         152
        .size:           4
        .value_kind:     hidden_block_count_z
      - .offset:         156
        .size:           2
        .value_kind:     hidden_group_size_x
      - .offset:         158
        .size:           2
        .value_kind:     hidden_group_size_y
      - .offset:         160
        .size:           2
        .value_kind:     hidden_group_size_z
      - .offset:         162
        .size:           2
        .value_kind:     hidden_remainder_x
      - .offset:         164
        .size:           2
        .value_kind:     hidden_remainder_y
      - .offset:         166
        .size:           2
        .value_kind:     hidden_remainder_z
      - .offset:         184
        .size:           8
        .value_kind:     hidden_global_offset_x
      - .offset:         192
        .size:           8
        .value_kind:     hidden_global_offset_y
      - .offset:         200
        .size:           8
        .value_kind:     hidden_global_offset_z
      - .offset:         208
        .size:           2
        .value_kind:     hidden_grid_dims
    .group_segment_fixed_size: 4096
    .kernarg_segment_align: 8
    .kernarg_segment_size: 400
    .language:       OpenCL C
    .language_version:
      - 2
      - 0
    .max_flat_workgroup_size: 256
    .name:           _ZL20rocblas_gemvn_kernelILi64ELi4ElDF16_PKfDF16_EviiT3_lPKT2_lT1_lS5_lS6_lS2_lPT4_lS6_li
    .private_segment_fixed_size: 0
    .sgpr_count:     54
    .sgpr_spill_count: 0
    .symbol:         _ZL20rocblas_gemvn_kernelILi64ELi4ElDF16_PKfDF16_EviiT3_lPKT2_lT1_lS5_lS6_lS2_lPT4_lS6_li.kd
    .uniform_work_group_size: 1
    .uses_dynamic_stack: false
    .vgpr_count:     55
    .vgpr_spill_count: 0
    .wavefront_size: 32
    .workgroup_processor_mode: 1
  - .args:
      - .offset:         0
        .size:           4
        .value_kind:     by_value
      - .offset:         4
        .size:           4
        .value_kind:     by_value
      - .offset:         8
        .size:           4
        .value_kind:     by_value
      - .offset:         16
        .size:           8
        .value_kind:     by_value
      - .address_space:  global
        .offset:         24
        .size:           8
        .value_kind:     global_buffer
      - .offset:         32
        .size:           8
        .value_kind:     by_value
      - .offset:         40
        .size:           4
        .value_kind:     by_value
      - .offset:         48
        .size:           8
        .value_kind:     by_value
      - .address_space:  global
        .offset:         56
        .size:           8
        .value_kind:     global_buffer
      - .offset:         64
        .size:           8
        .value_kind:     by_value
      - .offset:         72
        .size:           4
        .value_kind:     by_value
      - .offset:         80
        .size:           8
        .value_kind:     by_value
      - .offset:         88
        .size:           4
        .value_kind:     by_value
      - .offset:         96
        .size:           8
        .value_kind:     by_value
      - .address_space:  global
        .offset:         104
        .size:           8
        .value_kind:     global_buffer
      - .offset:         112
        .size:           8
        .value_kind:     by_value
      - .offset:         120
        .size:           4
        .value_kind:     by_value
      - .offset:         128
        .size:           8
        .value_kind:     by_value
      - .offset:         136
        .size:           4
        .value_kind:     by_value
      - .offset:         144
        .size:           4
        .value_kind:     hidden_block_count_x
      - .offset:         148
        .size:           4
        .value_kind:     hidden_block_count_y
      - .offset:         152
        .size:           4
        .value_kind:     hidden_block_count_z
      - .offset:         156
        .size:           2
        .value_kind:     hidden_group_size_x
      - .offset:         158
        .size:           2
        .value_kind:     hidden_group_size_y
      - .offset:         160
        .size:           2
        .value_kind:     hidden_group_size_z
      - .offset:         162
        .size:           2
        .value_kind:     hidden_remainder_x
      - .offset:         164
        .size:           2
        .value_kind:     hidden_remainder_y
      - .offset:         166
        .size:           2
        .value_kind:     hidden_remainder_z
      - .offset:         184
        .size:           8
        .value_kind:     hidden_global_offset_x
      - .offset:         192
        .size:           8
        .value_kind:     hidden_global_offset_y
      - .offset:         200
        .size:           8
        .value_kind:     hidden_global_offset_z
      - .offset:         208
        .size:           2
        .value_kind:     hidden_grid_dims
    .group_segment_fixed_size: 4096
    .kernarg_segment_align: 8
    .kernarg_segment_size: 400
    .language:       OpenCL C
    .language_version:
      - 2
      - 0
    .max_flat_workgroup_size: 256
    .name:           _ZL20rocblas_gemvn_kernelILi64ELi4EiDF16_fDF16_EviiT3_lPKT2_lT1_lS3_lS4_lS0_lPT4_lS4_li
    .private_segment_fixed_size: 0
    .sgpr_count:     30
    .sgpr_spill_count: 0
    .symbol:         _ZL20rocblas_gemvn_kernelILi64ELi4EiDF16_fDF16_EviiT3_lPKT2_lT1_lS3_lS4_lS0_lPT4_lS4_li.kd
    .uniform_work_group_size: 1
    .uses_dynamic_stack: false
    .vgpr_count:     45
    .vgpr_spill_count: 0
    .wavefront_size: 32
    .workgroup_processor_mode: 1
  - .args:
      - .offset:         0
        .size:           4
        .value_kind:     by_value
      - .offset:         4
        .size:           4
        .value_kind:     by_value
      - .offset:         8
        .size:           4
        .value_kind:     by_value
      - .offset:         16
        .size:           8
        .value_kind:     by_value
      - .address_space:  global
        .offset:         24
        .size:           8
        .value_kind:     global_buffer
      - .offset:         32
        .size:           8
        .value_kind:     by_value
      - .offset:         40
        .size:           8
        .value_kind:     by_value
      - .offset:         48
        .size:           8
        .value_kind:     by_value
      - .address_space:  global
        .offset:         56
        .size:           8
        .value_kind:     global_buffer
      - .offset:         64
        .size:           8
        .value_kind:     by_value
      - .offset:         72
        .size:           8
        .value_kind:     by_value
      - .offset:         80
        .size:           8
        .value_kind:     by_value
      - .offset:         88
        .size:           4
        .value_kind:     by_value
      - .offset:         96
        .size:           8
        .value_kind:     by_value
      - .address_space:  global
        .offset:         104
        .size:           8
        .value_kind:     global_buffer
      - .offset:         112
        .size:           8
        .value_kind:     by_value
      - .offset:         120
        .size:           8
        .value_kind:     by_value
      - .offset:         128
        .size:           8
        .value_kind:     by_value
      - .offset:         136
        .size:           4
        .value_kind:     by_value
      - .offset:         144
        .size:           4
        .value_kind:     hidden_block_count_x
      - .offset:         148
        .size:           4
        .value_kind:     hidden_block_count_y
      - .offset:         152
        .size:           4
        .value_kind:     hidden_block_count_z
      - .offset:         156
        .size:           2
        .value_kind:     hidden_group_size_x
      - .offset:         158
        .size:           2
        .value_kind:     hidden_group_size_y
      - .offset:         160
        .size:           2
        .value_kind:     hidden_group_size_z
      - .offset:         162
        .size:           2
        .value_kind:     hidden_remainder_x
      - .offset:         164
        .size:           2
        .value_kind:     hidden_remainder_y
      - .offset:         166
        .size:           2
        .value_kind:     hidden_remainder_z
      - .offset:         184
        .size:           8
        .value_kind:     hidden_global_offset_x
      - .offset:         192
        .size:           8
        .value_kind:     hidden_global_offset_y
      - .offset:         200
        .size:           8
        .value_kind:     hidden_global_offset_z
      - .offset:         208
        .size:           2
        .value_kind:     hidden_grid_dims
    .group_segment_fixed_size: 4096
    .kernarg_segment_align: 8
    .kernarg_segment_size: 400
    .language:       OpenCL C
    .language_version:
      - 2
      - 0
    .max_flat_workgroup_size: 256
    .name:           _ZL20rocblas_gemvn_kernelILi64ELi4ElDF16_fDF16_EviiT3_lPKT2_lT1_lS3_lS4_lS0_lPT4_lS4_li
    .private_segment_fixed_size: 0
    .sgpr_count:     46
    .sgpr_spill_count: 0
    .symbol:         _ZL20rocblas_gemvn_kernelILi64ELi4ElDF16_fDF16_EviiT3_lPKT2_lT1_lS3_lS4_lS0_lPT4_lS4_li.kd
    .uniform_work_group_size: 1
    .uses_dynamic_stack: false
    .vgpr_count:     55
    .vgpr_spill_count: 0
    .wavefront_size: 32
    .workgroup_processor_mode: 1
  - .args:
      - .offset:         0
        .size:           4
        .value_kind:     by_value
      - .offset:         4
        .size:           4
        .value_kind:     by_value
      - .address_space:  global
        .offset:         8
        .size:           8
        .value_kind:     global_buffer
      - .offset:         16
        .size:           8
        .value_kind:     by_value
      - .address_space:  global
        .offset:         24
        .size:           8
        .value_kind:     global_buffer
      - .offset:         32
        .size:           8
        .value_kind:     by_value
      - .offset:         40
        .size:           4
        .value_kind:     by_value
      - .offset:         48
        .size:           8
        .value_kind:     by_value
      - .address_space:  global
        .offset:         56
        .size:           8
        .value_kind:     global_buffer
      - .offset:         64
        .size:           8
        .value_kind:     by_value
      - .offset:         72
        .size:           4
        .value_kind:     by_value
      - .offset:         80
        .size:           8
        .value_kind:     by_value
      - .address_space:  global
        .offset:         88
        .size:           8
        .value_kind:     global_buffer
      - .offset:         96
        .size:           8
        .value_kind:     by_value
      - .address_space:  global
        .offset:         104
        .size:           8
        .value_kind:     global_buffer
      - .offset:         112
        .size:           8
        .value_kind:     by_value
      - .offset:         120
        .size:           4
        .value_kind:     by_value
      - .offset:         128
        .size:           8
        .value_kind:     by_value
      - .offset:         136
        .size:           4
        .value_kind:     by_value
      - .offset:         144
        .size:           4
        .value_kind:     hidden_block_count_x
      - .offset:         148
        .size:           4
        .value_kind:     hidden_block_count_y
      - .offset:         152
        .size:           4
        .value_kind:     hidden_block_count_z
      - .offset:         156
        .size:           2
        .value_kind:     hidden_group_size_x
      - .offset:         158
        .size:           2
        .value_kind:     hidden_group_size_y
      - .offset:         160
        .size:           2
        .value_kind:     hidden_group_size_z
      - .offset:         162
        .size:           2
        .value_kind:     hidden_remainder_x
      - .offset:         164
        .size:           2
        .value_kind:     hidden_remainder_y
      - .offset:         166
        .size:           2
        .value_kind:     hidden_remainder_z
      - .offset:         184
        .size:           8
        .value_kind:     hidden_global_offset_x
      - .offset:         192
        .size:           8
        .value_kind:     hidden_global_offset_y
      - .offset:         200
        .size:           8
        .value_kind:     hidden_global_offset_z
      - .offset:         208
        .size:           2
        .value_kind:     hidden_grid_dims
    .group_segment_fixed_size: 8192
    .kernarg_segment_align: 8
    .kernarg_segment_size: 400
    .language:       OpenCL C
    .language_version:
      - 2
      - 0
    .max_flat_workgroup_size: 512
    .name:           _ZL20rocblas_gemvn_kernelILi32ELi16EiDF16_PKfDF16_EviiT3_lPKT2_lT1_lS5_lS6_lS2_lPT4_lS6_li
    .private_segment_fixed_size: 0
    .sgpr_count:     30
    .sgpr_spill_count: 0
    .symbol:         _ZL20rocblas_gemvn_kernelILi32ELi16EiDF16_PKfDF16_EviiT3_lPKT2_lT1_lS5_lS6_lS2_lPT4_lS6_li.kd
    .uniform_work_group_size: 1
    .uses_dynamic_stack: false
    .vgpr_count:     45
    .vgpr_spill_count: 0
    .wavefront_size: 32
    .workgroup_processor_mode: 1
  - .args:
      - .offset:         0
        .size:           4
        .value_kind:     by_value
      - .offset:         4
        .size:           4
        .value_kind:     by_value
      - .address_space:  global
        .offset:         8
        .size:           8
        .value_kind:     global_buffer
      - .offset:         16
        .size:           8
        .value_kind:     by_value
      - .address_space:  global
        .offset:         24
        .size:           8
        .value_kind:     global_buffer
      - .offset:         32
        .size:           8
        .value_kind:     by_value
      - .offset:         40
        .size:           8
        .value_kind:     by_value
      - .offset:         48
        .size:           8
        .value_kind:     by_value
      - .address_space:  global
        .offset:         56
        .size:           8
        .value_kind:     global_buffer
      - .offset:         64
        .size:           8
        .value_kind:     by_value
      - .offset:         72
        .size:           8
        .value_kind:     by_value
      - .offset:         80
        .size:           8
        .value_kind:     by_value
      - .address_space:  global
        .offset:         88
        .size:           8
        .value_kind:     global_buffer
      - .offset:         96
        .size:           8
        .value_kind:     by_value
      - .address_space:  global
        .offset:         104
        .size:           8
        .value_kind:     global_buffer
      - .offset:         112
        .size:           8
        .value_kind:     by_value
      - .offset:         120
        .size:           8
        .value_kind:     by_value
      - .offset:         128
        .size:           8
        .value_kind:     by_value
      - .offset:         136
        .size:           4
        .value_kind:     by_value
      - .offset:         144
        .size:           4
        .value_kind:     hidden_block_count_x
      - .offset:         148
        .size:           4
        .value_kind:     hidden_block_count_y
      - .offset:         152
        .size:           4
        .value_kind:     hidden_block_count_z
      - .offset:         156
        .size:           2
        .value_kind:     hidden_group_size_x
      - .offset:         158
        .size:           2
        .value_kind:     hidden_group_size_y
      - .offset:         160
        .size:           2
        .value_kind:     hidden_group_size_z
      - .offset:         162
        .size:           2
        .value_kind:     hidden_remainder_x
      - .offset:         164
        .size:           2
        .value_kind:     hidden_remainder_y
      - .offset:         166
        .size:           2
        .value_kind:     hidden_remainder_z
      - .offset:         184
        .size:           8
        .value_kind:     hidden_global_offset_x
      - .offset:         192
        .size:           8
        .value_kind:     hidden_global_offset_y
      - .offset:         200
        .size:           8
        .value_kind:     hidden_global_offset_z
      - .offset:         208
        .size:           2
        .value_kind:     hidden_grid_dims
    .group_segment_fixed_size: 8192
    .kernarg_segment_align: 8
    .kernarg_segment_size: 400
    .language:       OpenCL C
    .language_version:
      - 2
      - 0
    .max_flat_workgroup_size: 512
    .name:           _ZL20rocblas_gemvn_kernelILi32ELi16ElDF16_PKfDF16_EviiT3_lPKT2_lT1_lS5_lS6_lS2_lPT4_lS6_li
    .private_segment_fixed_size: 0
    .sgpr_count:     54
    .sgpr_spill_count: 0
    .symbol:         _ZL20rocblas_gemvn_kernelILi32ELi16ElDF16_PKfDF16_EviiT3_lPKT2_lT1_lS5_lS6_lS2_lPT4_lS6_li.kd
    .uniform_work_group_size: 1
    .uses_dynamic_stack: false
    .vgpr_count:     55
    .vgpr_spill_count: 0
    .wavefront_size: 32
    .workgroup_processor_mode: 1
  - .args:
      - .offset:         0
        .size:           4
        .value_kind:     by_value
      - .offset:         4
        .size:           4
        .value_kind:     by_value
      - .offset:         8
        .size:           4
        .value_kind:     by_value
      - .offset:         16
        .size:           8
        .value_kind:     by_value
      - .address_space:  global
        .offset:         24
        .size:           8
        .value_kind:     global_buffer
      - .offset:         32
        .size:           8
        .value_kind:     by_value
      - .offset:         40
        .size:           4
        .value_kind:     by_value
      - .offset:         48
        .size:           8
        .value_kind:     by_value
      - .address_space:  global
        .offset:         56
        .size:           8
        .value_kind:     global_buffer
      - .offset:         64
        .size:           8
        .value_kind:     by_value
      - .offset:         72
        .size:           4
        .value_kind:     by_value
      - .offset:         80
        .size:           8
        .value_kind:     by_value
      - .offset:         88
        .size:           4
        .value_kind:     by_value
      - .offset:         96
        .size:           8
        .value_kind:     by_value
      - .address_space:  global
        .offset:         104
        .size:           8
        .value_kind:     global_buffer
      - .offset:         112
        .size:           8
        .value_kind:     by_value
      - .offset:         120
        .size:           4
        .value_kind:     by_value
      - .offset:         128
        .size:           8
        .value_kind:     by_value
      - .offset:         136
        .size:           4
        .value_kind:     by_value
      - .offset:         144
        .size:           4
        .value_kind:     hidden_block_count_x
      - .offset:         148
        .size:           4
        .value_kind:     hidden_block_count_y
      - .offset:         152
        .size:           4
        .value_kind:     hidden_block_count_z
      - .offset:         156
        .size:           2
        .value_kind:     hidden_group_size_x
      - .offset:         158
        .size:           2
        .value_kind:     hidden_group_size_y
      - .offset:         160
        .size:           2
        .value_kind:     hidden_group_size_z
      - .offset:         162
        .size:           2
        .value_kind:     hidden_remainder_x
      - .offset:         164
        .size:           2
        .value_kind:     hidden_remainder_y
      - .offset:         166
        .size:           2
        .value_kind:     hidden_remainder_z
      - .offset:         184
        .size:           8
        .value_kind:     hidden_global_offset_x
      - .offset:         192
        .size:           8
        .value_kind:     hidden_global_offset_y
      - .offset:         200
        .size:           8
        .value_kind:     hidden_global_offset_z
      - .offset:         208
        .size:           2
        .value_kind:     hidden_grid_dims
    .group_segment_fixed_size: 8192
    .kernarg_segment_align: 8
    .kernarg_segment_size: 400
    .language:       OpenCL C
    .language_version:
      - 2
      - 0
    .max_flat_workgroup_size: 512
    .name:           _ZL20rocblas_gemvn_kernelILi32ELi16EiDF16_fDF16_EviiT3_lPKT2_lT1_lS3_lS4_lS0_lPT4_lS4_li
    .private_segment_fixed_size: 0
    .sgpr_count:     30
    .sgpr_spill_count: 0
    .symbol:         _ZL20rocblas_gemvn_kernelILi32ELi16EiDF16_fDF16_EviiT3_lPKT2_lT1_lS3_lS4_lS0_lPT4_lS4_li.kd
    .uniform_work_group_size: 1
    .uses_dynamic_stack: false
    .vgpr_count:     45
    .vgpr_spill_count: 0
    .wavefront_size: 32
    .workgroup_processor_mode: 1
  - .args:
      - .offset:         0
        .size:           4
        .value_kind:     by_value
      - .offset:         4
        .size:           4
        .value_kind:     by_value
      - .offset:         8
        .size:           4
        .value_kind:     by_value
      - .offset:         16
        .size:           8
        .value_kind:     by_value
      - .address_space:  global
        .offset:         24
        .size:           8
        .value_kind:     global_buffer
      - .offset:         32
        .size:           8
        .value_kind:     by_value
      - .offset:         40
        .size:           8
        .value_kind:     by_value
      - .offset:         48
        .size:           8
        .value_kind:     by_value
      - .address_space:  global
        .offset:         56
        .size:           8
        .value_kind:     global_buffer
      - .offset:         64
        .size:           8
        .value_kind:     by_value
      - .offset:         72
        .size:           8
        .value_kind:     by_value
      - .offset:         80
        .size:           8
        .value_kind:     by_value
      - .offset:         88
        .size:           4
        .value_kind:     by_value
      - .offset:         96
        .size:           8
        .value_kind:     by_value
      - .address_space:  global
        .offset:         104
        .size:           8
        .value_kind:     global_buffer
      - .offset:         112
        .size:           8
        .value_kind:     by_value
      - .offset:         120
        .size:           8
        .value_kind:     by_value
      - .offset:         128
        .size:           8
        .value_kind:     by_value
      - .offset:         136
        .size:           4
        .value_kind:     by_value
      - .offset:         144
        .size:           4
        .value_kind:     hidden_block_count_x
      - .offset:         148
        .size:           4
        .value_kind:     hidden_block_count_y
      - .offset:         152
        .size:           4
        .value_kind:     hidden_block_count_z
      - .offset:         156
        .size:           2
        .value_kind:     hidden_group_size_x
      - .offset:         158
        .size:           2
        .value_kind:     hidden_group_size_y
      - .offset:         160
        .size:           2
        .value_kind:     hidden_group_size_z
      - .offset:         162
        .size:           2
        .value_kind:     hidden_remainder_x
      - .offset:         164
        .size:           2
        .value_kind:     hidden_remainder_y
      - .offset:         166
        .size:           2
        .value_kind:     hidden_remainder_z
      - .offset:         184
        .size:           8
        .value_kind:     hidden_global_offset_x
      - .offset:         192
        .size:           8
        .value_kind:     hidden_global_offset_y
      - .offset:         200
        .size:           8
        .value_kind:     hidden_global_offset_z
      - .offset:         208
        .size:           2
        .value_kind:     hidden_grid_dims
    .group_segment_fixed_size: 8192
    .kernarg_segment_align: 8
    .kernarg_segment_size: 400
    .language:       OpenCL C
    .language_version:
      - 2
      - 0
    .max_flat_workgroup_size: 512
    .name:           _ZL20rocblas_gemvn_kernelILi32ELi16ElDF16_fDF16_EviiT3_lPKT2_lT1_lS3_lS4_lS0_lPT4_lS4_li
    .private_segment_fixed_size: 0
    .sgpr_count:     46
    .sgpr_spill_count: 0
    .symbol:         _ZL20rocblas_gemvn_kernelILi32ELi16ElDF16_fDF16_EviiT3_lPKT2_lT1_lS3_lS4_lS0_lPT4_lS4_li.kd
    .uniform_work_group_size: 1
    .uses_dynamic_stack: false
    .vgpr_count:     55
    .vgpr_spill_count: 0
    .wavefront_size: 32
    .workgroup_processor_mode: 1
  - .args:
      - .offset:         0
        .size:           4
        .value_kind:     by_value
      - .offset:         4
        .size:           4
        .value_kind:     by_value
      - .address_space:  global
        .offset:         8
        .size:           8
        .value_kind:     global_buffer
      - .offset:         16
        .size:           8
        .value_kind:     by_value
      - .address_space:  global
        .offset:         24
        .size:           8
        .value_kind:     global_buffer
      - .offset:         32
        .size:           8
        .value_kind:     by_value
      - .offset:         40
        .size:           4
        .value_kind:     by_value
      - .offset:         48
        .size:           8
        .value_kind:     by_value
      - .address_space:  global
        .offset:         56
        .size:           8
        .value_kind:     global_buffer
      - .offset:         64
        .size:           8
        .value_kind:     by_value
      - .offset:         72
        .size:           4
        .value_kind:     by_value
      - .offset:         80
        .size:           8
        .value_kind:     by_value
      - .address_space:  global
        .offset:         88
        .size:           8
        .value_kind:     global_buffer
      - .offset:         96
        .size:           8
        .value_kind:     by_value
      - .address_space:  global
        .offset:         104
        .size:           8
        .value_kind:     global_buffer
      - .offset:         112
        .size:           8
        .value_kind:     by_value
      - .offset:         120
        .size:           4
        .value_kind:     by_value
      - .offset:         128
        .size:           8
        .value_kind:     by_value
      - .offset:         136
        .size:           4
        .value_kind:     by_value
      - .offset:         144
        .size:           4
        .value_kind:     hidden_block_count_x
      - .offset:         148
        .size:           4
        .value_kind:     hidden_block_count_y
      - .offset:         152
        .size:           4
        .value_kind:     hidden_block_count_z
      - .offset:         156
        .size:           2
        .value_kind:     hidden_group_size_x
      - .offset:         158
        .size:           2
        .value_kind:     hidden_group_size_y
      - .offset:         160
        .size:           2
        .value_kind:     hidden_group_size_z
      - .offset:         162
        .size:           2
        .value_kind:     hidden_remainder_x
      - .offset:         164
        .size:           2
        .value_kind:     hidden_remainder_y
      - .offset:         166
        .size:           2
        .value_kind:     hidden_remainder_z
      - .offset:         184
        .size:           8
        .value_kind:     hidden_global_offset_x
      - .offset:         192
        .size:           8
        .value_kind:     hidden_global_offset_y
      - .offset:         200
        .size:           8
        .value_kind:     hidden_global_offset_z
      - .offset:         208
        .size:           2
        .value_kind:     hidden_grid_dims
    .group_segment_fixed_size: 16384
    .kernarg_segment_align: 8
    .kernarg_segment_size: 400
    .language:       OpenCL C
    .language_version:
      - 2
      - 0
    .max_flat_workgroup_size: 1024
    .name:           _ZL20rocblas_gemvn_kernelILi64ELi16EiDF16_PKfDF16_EviiT3_lPKT2_lT1_lS5_lS6_lS2_lPT4_lS6_li
    .private_segment_fixed_size: 0
    .sgpr_count:     30
    .sgpr_spill_count: 0
    .symbol:         _ZL20rocblas_gemvn_kernelILi64ELi16EiDF16_PKfDF16_EviiT3_lPKT2_lT1_lS5_lS6_lS2_lPT4_lS6_li.kd
    .uniform_work_group_size: 1
    .uses_dynamic_stack: false
    .vgpr_count:     45
    .vgpr_spill_count: 0
    .wavefront_size: 32
    .workgroup_processor_mode: 1
  - .args:
      - .offset:         0
        .size:           4
        .value_kind:     by_value
      - .offset:         4
        .size:           4
        .value_kind:     by_value
      - .address_space:  global
        .offset:         8
        .size:           8
        .value_kind:     global_buffer
      - .offset:         16
        .size:           8
        .value_kind:     by_value
      - .address_space:  global
        .offset:         24
        .size:           8
        .value_kind:     global_buffer
      - .offset:         32
        .size:           8
        .value_kind:     by_value
      - .offset:         40
        .size:           8
        .value_kind:     by_value
      - .offset:         48
        .size:           8
        .value_kind:     by_value
      - .address_space:  global
        .offset:         56
        .size:           8
        .value_kind:     global_buffer
      - .offset:         64
        .size:           8
        .value_kind:     by_value
      - .offset:         72
        .size:           8
        .value_kind:     by_value
      - .offset:         80
        .size:           8
        .value_kind:     by_value
      - .address_space:  global
        .offset:         88
        .size:           8
        .value_kind:     global_buffer
      - .offset:         96
        .size:           8
        .value_kind:     by_value
      - .address_space:  global
        .offset:         104
        .size:           8
        .value_kind:     global_buffer
      - .offset:         112
        .size:           8
        .value_kind:     by_value
      - .offset:         120
        .size:           8
        .value_kind:     by_value
      - .offset:         128
        .size:           8
        .value_kind:     by_value
      - .offset:         136
        .size:           4
        .value_kind:     by_value
      - .offset:         144
        .size:           4
        .value_kind:     hidden_block_count_x
      - .offset:         148
        .size:           4
        .value_kind:     hidden_block_count_y
      - .offset:         152
        .size:           4
        .value_kind:     hidden_block_count_z
      - .offset:         156
        .size:           2
        .value_kind:     hidden_group_size_x
      - .offset:         158
        .size:           2
        .value_kind:     hidden_group_size_y
      - .offset:         160
        .size:           2
        .value_kind:     hidden_group_size_z
      - .offset:         162
        .size:           2
        .value_kind:     hidden_remainder_x
      - .offset:         164
        .size:           2
        .value_kind:     hidden_remainder_y
      - .offset:         166
        .size:           2
        .value_kind:     hidden_remainder_z
      - .offset:         184
        .size:           8
        .value_kind:     hidden_global_offset_x
      - .offset:         192
        .size:           8
        .value_kind:     hidden_global_offset_y
      - .offset:         200
        .size:           8
        .value_kind:     hidden_global_offset_z
      - .offset:         208
        .size:           2
        .value_kind:     hidden_grid_dims
    .group_segment_fixed_size: 16384
    .kernarg_segment_align: 8
    .kernarg_segment_size: 400
    .language:       OpenCL C
    .language_version:
      - 2
      - 0
    .max_flat_workgroup_size: 1024
    .name:           _ZL20rocblas_gemvn_kernelILi64ELi16ElDF16_PKfDF16_EviiT3_lPKT2_lT1_lS5_lS6_lS2_lPT4_lS6_li
    .private_segment_fixed_size: 0
    .sgpr_count:     54
    .sgpr_spill_count: 0
    .symbol:         _ZL20rocblas_gemvn_kernelILi64ELi16ElDF16_PKfDF16_EviiT3_lPKT2_lT1_lS5_lS6_lS2_lPT4_lS6_li.kd
    .uniform_work_group_size: 1
    .uses_dynamic_stack: false
    .vgpr_count:     55
    .vgpr_spill_count: 0
    .wavefront_size: 32
    .workgroup_processor_mode: 1
  - .args:
      - .offset:         0
        .size:           4
        .value_kind:     by_value
      - .offset:         4
        .size:           4
        .value_kind:     by_value
      - .offset:         8
        .size:           4
        .value_kind:     by_value
      - .offset:         16
        .size:           8
        .value_kind:     by_value
      - .address_space:  global
        .offset:         24
        .size:           8
        .value_kind:     global_buffer
      - .offset:         32
        .size:           8
        .value_kind:     by_value
      - .offset:         40
        .size:           4
        .value_kind:     by_value
      - .offset:         48
        .size:           8
        .value_kind:     by_value
      - .address_space:  global
        .offset:         56
        .size:           8
        .value_kind:     global_buffer
      - .offset:         64
        .size:           8
        .value_kind:     by_value
      - .offset:         72
        .size:           4
        .value_kind:     by_value
      - .offset:         80
        .size:           8
        .value_kind:     by_value
      - .offset:         88
        .size:           4
        .value_kind:     by_value
      - .offset:         96
        .size:           8
        .value_kind:     by_value
      - .address_space:  global
        .offset:         104
        .size:           8
        .value_kind:     global_buffer
      - .offset:         112
        .size:           8
        .value_kind:     by_value
      - .offset:         120
        .size:           4
        .value_kind:     by_value
      - .offset:         128
        .size:           8
        .value_kind:     by_value
      - .offset:         136
        .size:           4
        .value_kind:     by_value
      - .offset:         144
        .size:           4
        .value_kind:     hidden_block_count_x
      - .offset:         148
        .size:           4
        .value_kind:     hidden_block_count_y
      - .offset:         152
        .size:           4
        .value_kind:     hidden_block_count_z
      - .offset:         156
        .size:           2
        .value_kind:     hidden_group_size_x
      - .offset:         158
        .size:           2
        .value_kind:     hidden_group_size_y
      - .offset:         160
        .size:           2
        .value_kind:     hidden_group_size_z
      - .offset:         162
        .size:           2
        .value_kind:     hidden_remainder_x
      - .offset:         164
        .size:           2
        .value_kind:     hidden_remainder_y
      - .offset:         166
        .size:           2
        .value_kind:     hidden_remainder_z
      - .offset:         184
        .size:           8
        .value_kind:     hidden_global_offset_x
      - .offset:         192
        .size:           8
        .value_kind:     hidden_global_offset_y
      - .offset:         200
        .size:           8
        .value_kind:     hidden_global_offset_z
      - .offset:         208
        .size:           2
        .value_kind:     hidden_grid_dims
    .group_segment_fixed_size: 16384
    .kernarg_segment_align: 8
    .kernarg_segment_size: 400
    .language:       OpenCL C
    .language_version:
      - 2
      - 0
    .max_flat_workgroup_size: 1024
    .name:           _ZL20rocblas_gemvn_kernelILi64ELi16EiDF16_fDF16_EviiT3_lPKT2_lT1_lS3_lS4_lS0_lPT4_lS4_li
    .private_segment_fixed_size: 0
    .sgpr_count:     30
    .sgpr_spill_count: 0
    .symbol:         _ZL20rocblas_gemvn_kernelILi64ELi16EiDF16_fDF16_EviiT3_lPKT2_lT1_lS3_lS4_lS0_lPT4_lS4_li.kd
    .uniform_work_group_size: 1
    .uses_dynamic_stack: false
    .vgpr_count:     45
    .vgpr_spill_count: 0
    .wavefront_size: 32
    .workgroup_processor_mode: 1
  - .args:
      - .offset:         0
        .size:           4
        .value_kind:     by_value
      - .offset:         4
        .size:           4
        .value_kind:     by_value
      - .offset:         8
        .size:           4
        .value_kind:     by_value
      - .offset:         16
        .size:           8
        .value_kind:     by_value
      - .address_space:  global
        .offset:         24
        .size:           8
        .value_kind:     global_buffer
      - .offset:         32
        .size:           8
        .value_kind:     by_value
      - .offset:         40
        .size:           8
        .value_kind:     by_value
      - .offset:         48
        .size:           8
        .value_kind:     by_value
      - .address_space:  global
        .offset:         56
        .size:           8
        .value_kind:     global_buffer
      - .offset:         64
        .size:           8
        .value_kind:     by_value
      - .offset:         72
        .size:           8
        .value_kind:     by_value
      - .offset:         80
        .size:           8
        .value_kind:     by_value
      - .offset:         88
        .size:           4
        .value_kind:     by_value
      - .offset:         96
        .size:           8
        .value_kind:     by_value
      - .address_space:  global
        .offset:         104
        .size:           8
        .value_kind:     global_buffer
      - .offset:         112
        .size:           8
        .value_kind:     by_value
      - .offset:         120
        .size:           8
        .value_kind:     by_value
      - .offset:         128
        .size:           8
        .value_kind:     by_value
      - .offset:         136
        .size:           4
        .value_kind:     by_value
      - .offset:         144
        .size:           4
        .value_kind:     hidden_block_count_x
      - .offset:         148
        .size:           4
        .value_kind:     hidden_block_count_y
      - .offset:         152
        .size:           4
        .value_kind:     hidden_block_count_z
      - .offset:         156
        .size:           2
        .value_kind:     hidden_group_size_x
      - .offset:         158
        .size:           2
        .value_kind:     hidden_group_size_y
      - .offset:         160
        .size:           2
        .value_kind:     hidden_group_size_z
      - .offset:         162
        .size:           2
        .value_kind:     hidden_remainder_x
      - .offset:         164
        .size:           2
        .value_kind:     hidden_remainder_y
      - .offset:         166
        .size:           2
        .value_kind:     hidden_remainder_z
      - .offset:         184
        .size:           8
        .value_kind:     hidden_global_offset_x
      - .offset:         192
        .size:           8
        .value_kind:     hidden_global_offset_y
      - .offset:         200
        .size:           8
        .value_kind:     hidden_global_offset_z
      - .offset:         208
        .size:           2
        .value_kind:     hidden_grid_dims
    .group_segment_fixed_size: 16384
    .kernarg_segment_align: 8
    .kernarg_segment_size: 400
    .language:       OpenCL C
    .language_version:
      - 2
      - 0
    .max_flat_workgroup_size: 1024
    .name:           _ZL20rocblas_gemvn_kernelILi64ELi16ElDF16_fDF16_EviiT3_lPKT2_lT1_lS3_lS4_lS0_lPT4_lS4_li
    .private_segment_fixed_size: 0
    .sgpr_count:     46
    .sgpr_spill_count: 0
    .symbol:         _ZL20rocblas_gemvn_kernelILi64ELi16ElDF16_fDF16_EviiT3_lPKT2_lT1_lS3_lS4_lS0_lPT4_lS4_li.kd
    .uniform_work_group_size: 1
    .uses_dynamic_stack: false
    .vgpr_count:     55
    .vgpr_spill_count: 0
    .wavefront_size: 32
    .workgroup_processor_mode: 1
  - .args:
      - .offset:         0
        .size:           4
        .value_kind:     by_value
      - .offset:         4
        .size:           4
        .value_kind:     by_value
      - .address_space:  global
        .offset:         8
        .size:           8
        .value_kind:     global_buffer
      - .offset:         16
        .size:           8
        .value_kind:     by_value
      - .address_space:  global
        .offset:         24
        .size:           8
        .value_kind:     global_buffer
      - .offset:         32
        .size:           8
        .value_kind:     by_value
      - .offset:         40
        .size:           4
        .value_kind:     by_value
      - .offset:         48
        .size:           8
        .value_kind:     by_value
      - .address_space:  global
        .offset:         56
        .size:           8
        .value_kind:     global_buffer
      - .offset:         64
        .size:           8
        .value_kind:     by_value
      - .offset:         72
        .size:           4
        .value_kind:     by_value
      - .offset:         80
        .size:           8
        .value_kind:     by_value
      - .address_space:  global
        .offset:         88
        .size:           8
        .value_kind:     global_buffer
      - .offset:         96
        .size:           8
        .value_kind:     by_value
      - .address_space:  global
        .offset:         104
        .size:           8
        .value_kind:     global_buffer
      - .offset:         112
        .size:           8
        .value_kind:     by_value
      - .offset:         120
        .size:           4
        .value_kind:     by_value
      - .offset:         128
        .size:           8
        .value_kind:     by_value
    .group_segment_fixed_size: 256
    .kernarg_segment_align: 8
    .kernarg_segment_size: 136
    .language:       OpenCL C
    .language_version:
      - 2
      - 0
    .max_flat_workgroup_size: 256
    .name:           _ZL22rocblas_gemvtsm_kernelILb0ELi256EDF16_PKfDF16_EviiT2_lPKT1_lilS5_lilS2_lPT3_lil
    .private_segment_fixed_size: 0
    .sgpr_count:     31
    .sgpr_spill_count: 0
    .symbol:         _ZL22rocblas_gemvtsm_kernelILb0ELi256EDF16_PKfDF16_EviiT2_lPKT1_lilS5_lilS2_lPT3_lil.kd
    .uniform_work_group_size: 1
    .uses_dynamic_stack: false
    .vgpr_count:     22
    .vgpr_spill_count: 0
    .wavefront_size: 32
    .workgroup_processor_mode: 1
  - .args:
      - .offset:         0
        .size:           4
        .value_kind:     by_value
      - .offset:         4
        .size:           4
        .value_kind:     by_value
      - .offset:         8
        .size:           4
        .value_kind:     by_value
      - .offset:         16
        .size:           8
        .value_kind:     by_value
      - .address_space:  global
        .offset:         24
        .size:           8
        .value_kind:     global_buffer
      - .offset:         32
        .size:           8
        .value_kind:     by_value
      - .offset:         40
        .size:           4
        .value_kind:     by_value
      - .offset:         48
        .size:           8
        .value_kind:     by_value
      - .address_space:  global
        .offset:         56
        .size:           8
        .value_kind:     global_buffer
      - .offset:         64
        .size:           8
        .value_kind:     by_value
      - .offset:         72
        .size:           4
        .value_kind:     by_value
      - .offset:         80
        .size:           8
        .value_kind:     by_value
      - .offset:         88
        .size:           4
        .value_kind:     by_value
      - .offset:         96
        .size:           8
        .value_kind:     by_value
      - .address_space:  global
        .offset:         104
        .size:           8
        .value_kind:     global_buffer
      - .offset:         112
        .size:           8
        .value_kind:     by_value
      - .offset:         120
        .size:           4
        .value_kind:     by_value
      - .offset:         128
        .size:           8
        .value_kind:     by_value
    .group_segment_fixed_size: 256
    .kernarg_segment_align: 8
    .kernarg_segment_size: 136
    .language:       OpenCL C
    .language_version:
      - 2
      - 0
    .max_flat_workgroup_size: 256
    .name:           _ZL22rocblas_gemvtsm_kernelILb0ELi256EDF16_fDF16_EviiT2_lPKT1_lilS3_lilS0_lPT3_lil
    .private_segment_fixed_size: 0
    .sgpr_count:     27
    .sgpr_spill_count: 0
    .symbol:         _ZL22rocblas_gemvtsm_kernelILb0ELi256EDF16_fDF16_EviiT2_lPKT1_lilS3_lilS0_lPT3_lil.kd
    .uniform_work_group_size: 1
    .uses_dynamic_stack: false
    .vgpr_count:     22
    .vgpr_spill_count: 0
    .wavefront_size: 32
    .workgroup_processor_mode: 1
  - .args:
      - .offset:         0
        .size:           4
        .value_kind:     by_value
      - .offset:         4
        .size:           4
        .value_kind:     by_value
      - .address_space:  global
        .offset:         8
        .size:           8
        .value_kind:     global_buffer
      - .offset:         16
        .size:           8
        .value_kind:     by_value
      - .address_space:  global
        .offset:         24
        .size:           8
        .value_kind:     global_buffer
      - .offset:         32
        .size:           8
        .value_kind:     by_value
      - .offset:         40
        .size:           4
        .value_kind:     by_value
      - .offset:         48
        .size:           8
        .value_kind:     by_value
      - .address_space:  global
        .offset:         56
        .size:           8
        .value_kind:     global_buffer
      - .offset:         64
        .size:           8
        .value_kind:     by_value
      - .offset:         72
        .size:           4
        .value_kind:     by_value
      - .offset:         80
        .size:           8
        .value_kind:     by_value
      - .address_space:  global
        .offset:         88
        .size:           8
        .value_kind:     global_buffer
      - .offset:         96
        .size:           4
        .value_kind:     by_value
      - .offset:         104
        .size:           4
        .value_kind:     hidden_block_count_x
      - .offset:         108
        .size:           4
        .value_kind:     hidden_block_count_y
      - .offset:         112
        .size:           4
        .value_kind:     hidden_block_count_z
      - .offset:         116
        .size:           2
        .value_kind:     hidden_group_size_x
      - .offset:         118
        .size:           2
        .value_kind:     hidden_group_size_y
      - .offset:         120
        .size:           2
        .value_kind:     hidden_group_size_z
      - .offset:         122
        .size:           2
        .value_kind:     hidden_remainder_x
      - .offset:         124
        .size:           2
        .value_kind:     hidden_remainder_y
      - .offset:         126
        .size:           2
        .value_kind:     hidden_remainder_z
      - .offset:         144
        .size:           8
        .value_kind:     hidden_global_offset_x
      - .offset:         152
        .size:           8
        .value_kind:     hidden_global_offset_y
      - .offset:         160
        .size:           8
        .value_kind:     hidden_global_offset_z
      - .offset:         168
        .size:           2
        .value_kind:     hidden_grid_dims
    .group_segment_fixed_size: 128
    .kernarg_segment_align: 8
    .kernarg_segment_size: 360
    .language:       OpenCL C
    .language_version:
      - 2
      - 0
    .max_flat_workgroup_size: 256
    .name:           _ZL23rocblas_gemvt_sn_kernelILb0ELi256ELi4EiDF16_PKffEviiT4_lPKT3_lilS5_lilPT5_i
    .private_segment_fixed_size: 0
    .sgpr_count:     50
    .sgpr_spill_count: 0
    .symbol:         _ZL23rocblas_gemvt_sn_kernelILb0ELi256ELi4EiDF16_PKffEviiT4_lPKT3_lilS5_lilPT5_i.kd
    .uniform_work_group_size: 1
    .uses_dynamic_stack: false
    .vgpr_count:     48
    .vgpr_spill_count: 0
    .wavefront_size: 32
    .workgroup_processor_mode: 1
  - .args:
      - .offset:         0
        .size:           4
        .value_kind:     by_value
      - .offset:         4
        .size:           4
        .value_kind:     by_value
      - .address_space:  global
        .offset:         8
        .size:           8
        .value_kind:     global_buffer
      - .offset:         16
        .size:           8
        .value_kind:     by_value
      - .address_space:  global
        .offset:         24
        .size:           8
        .value_kind:     global_buffer
      - .offset:         32
        .size:           8
        .value_kind:     by_value
      - .offset:         40
        .size:           4
        .value_kind:     by_value
      - .offset:         48
        .size:           8
        .value_kind:     by_value
      - .address_space:  global
        .offset:         56
        .size:           8
        .value_kind:     global_buffer
      - .offset:         64
        .size:           8
        .value_kind:     by_value
      - .offset:         72
        .size:           4
        .value_kind:     by_value
      - .offset:         80
        .size:           8
        .value_kind:     by_value
      - .address_space:  global
        .offset:         88
        .size:           8
        .value_kind:     global_buffer
      - .offset:         96
        .size:           4
        .value_kind:     by_value
      - .offset:         104
        .size:           4
        .value_kind:     hidden_block_count_x
      - .offset:         108
        .size:           4
        .value_kind:     hidden_block_count_y
      - .offset:         112
        .size:           4
        .value_kind:     hidden_block_count_z
      - .offset:         116
        .size:           2
        .value_kind:     hidden_group_size_x
      - .offset:         118
        .size:           2
        .value_kind:     hidden_group_size_y
      - .offset:         120
        .size:           2
        .value_kind:     hidden_group_size_z
      - .offset:         122
        .size:           2
        .value_kind:     hidden_remainder_x
      - .offset:         124
        .size:           2
        .value_kind:     hidden_remainder_y
      - .offset:         126
        .size:           2
        .value_kind:     hidden_remainder_z
      - .offset:         144
        .size:           8
        .value_kind:     hidden_global_offset_x
      - .offset:         152
        .size:           8
        .value_kind:     hidden_global_offset_y
      - .offset:         160
        .size:           8
        .value_kind:     hidden_global_offset_z
      - .offset:         168
        .size:           2
        .value_kind:     hidden_grid_dims
    .group_segment_fixed_size: 128
    .kernarg_segment_align: 8
    .kernarg_segment_size: 360
    .language:       OpenCL C
    .language_version:
      - 2
      - 0
    .max_flat_workgroup_size: 256
    .name:           _ZL23rocblas_gemvt_sn_kernelILb0ELi256ELi4ElDF16_PKffEviiT4_lPKT3_lilS5_lilPT5_i
    .private_segment_fixed_size: 0
    .sgpr_count:     58
    .sgpr_spill_count: 0
    .symbol:         _ZL23rocblas_gemvt_sn_kernelILb0ELi256ELi4ElDF16_PKffEviiT4_lPKT3_lilS5_lilPT5_i.kd
    .uniform_work_group_size: 1
    .uses_dynamic_stack: false
    .vgpr_count:     51
    .vgpr_spill_count: 0
    .wavefront_size: 32
    .workgroup_processor_mode: 1
  - .args:
      - .offset:         0
        .size:           4
        .value_kind:     by_value
      - .address_space:  global
        .offset:         8
        .size:           8
        .value_kind:     global_buffer
      - .offset:         16
        .size:           8
        .value_kind:     by_value
      - .address_space:  global
        .offset:         24
        .size:           8
        .value_kind:     global_buffer
      - .offset:         32
        .size:           8
        .value_kind:     by_value
      - .offset:         40
        .size:           4
        .value_kind:     by_value
      - .offset:         48
        .size:           8
        .value_kind:     by_value
      - .actual_access:  read_only
        .address_space:  global
        .offset:         56
        .size:           8
        .value_kind:     global_buffer
      - .offset:         64
        .size:           4
        .value_kind:     by_value
      - .offset:         72
        .size:           4
        .value_kind:     hidden_block_count_x
      - .offset:         76
        .size:           4
        .value_kind:     hidden_block_count_y
      - .offset:         80
        .size:           4
        .value_kind:     hidden_block_count_z
      - .offset:         84
        .size:           2
        .value_kind:     hidden_group_size_x
      - .offset:         86
        .size:           2
        .value_kind:     hidden_group_size_y
      - .offset:         88
        .size:           2
        .value_kind:     hidden_group_size_z
      - .offset:         90
        .size:           2
        .value_kind:     hidden_remainder_x
      - .offset:         92
        .size:           2
        .value_kind:     hidden_remainder_y
      - .offset:         94
        .size:           2
        .value_kind:     hidden_remainder_z
      - .offset:         112
        .size:           8
        .value_kind:     hidden_global_offset_x
      - .offset:         120
        .size:           8
        .value_kind:     hidden_global_offset_y
      - .offset:         128
        .size:           8
        .value_kind:     hidden_global_offset_z
      - .offset:         136
        .size:           2
        .value_kind:     hidden_grid_dims
    .group_segment_fixed_size: 128
    .kernarg_segment_align: 8
    .kernarg_segment_size: 328
    .language:       OpenCL C
    .language_version:
      - 2
      - 0
    .max_flat_workgroup_size: 256
    .name:           _ZL23rocblas_gemvt_sn_reduceILi256ELi8EfPKfDF16_EviT2_lPT3_lilPT1_i
    .private_segment_fixed_size: 0
    .sgpr_count:     24
    .sgpr_spill_count: 0
    .symbol:         _ZL23rocblas_gemvt_sn_reduceILi256ELi8EfPKfDF16_EviT2_lPT3_lilPT1_i.kd
    .uniform_work_group_size: 1
    .uses_dynamic_stack: false
    .vgpr_count:     13
    .vgpr_spill_count: 0
    .wavefront_size: 32
    .workgroup_processor_mode: 1
  - .args:
      - .offset:         0
        .size:           4
        .value_kind:     by_value
      - .offset:         4
        .size:           4
        .value_kind:     by_value
      - .offset:         8
        .size:           4
        .value_kind:     by_value
      - .offset:         16
        .size:           8
        .value_kind:     by_value
      - .address_space:  global
        .offset:         24
        .size:           8
        .value_kind:     global_buffer
      - .offset:         32
        .size:           8
        .value_kind:     by_value
      - .offset:         40
        .size:           4
        .value_kind:     by_value
      - .offset:         48
        .size:           8
        .value_kind:     by_value
      - .address_space:  global
        .offset:         56
        .size:           8
        .value_kind:     global_buffer
      - .offset:         64
        .size:           8
        .value_kind:     by_value
      - .offset:         72
        .size:           4
        .value_kind:     by_value
      - .offset:         80
        .size:           8
        .value_kind:     by_value
      - .address_space:  global
        .offset:         88
        .size:           8
        .value_kind:     global_buffer
      - .offset:         96
        .size:           4
        .value_kind:     by_value
      - .offset:         104
        .size:           4
        .value_kind:     hidden_block_count_x
      - .offset:         108
        .size:           4
        .value_kind:     hidden_block_count_y
      - .offset:         112
        .size:           4
        .value_kind:     hidden_block_count_z
      - .offset:         116
        .size:           2
        .value_kind:     hidden_group_size_x
      - .offset:         118
        .size:           2
        .value_kind:     hidden_group_size_y
      - .offset:         120
        .size:           2
        .value_kind:     hidden_group_size_z
      - .offset:         122
        .size:           2
        .value_kind:     hidden_remainder_x
      - .offset:         124
        .size:           2
        .value_kind:     hidden_remainder_y
      - .offset:         126
        .size:           2
        .value_kind:     hidden_remainder_z
      - .offset:         144
        .size:           8
        .value_kind:     hidden_global_offset_x
      - .offset:         152
        .size:           8
        .value_kind:     hidden_global_offset_y
      - .offset:         160
        .size:           8
        .value_kind:     hidden_global_offset_z
      - .offset:         168
        .size:           2
        .value_kind:     hidden_grid_dims
    .group_segment_fixed_size: 128
    .kernarg_segment_align: 8
    .kernarg_segment_size: 360
    .language:       OpenCL C
    .language_version:
      - 2
      - 0
    .max_flat_workgroup_size: 256
    .name:           _ZL23rocblas_gemvt_sn_kernelILb0ELi256ELi4EiDF16_ffEviiT4_lPKT3_lilS3_lilPT5_i
    .private_segment_fixed_size: 0
    .sgpr_count:     50
    .sgpr_spill_count: 0
    .symbol:         _ZL23rocblas_gemvt_sn_kernelILb0ELi256ELi4EiDF16_ffEviiT4_lPKT3_lilS3_lilPT5_i.kd
    .uniform_work_group_size: 1
    .uses_dynamic_stack: false
    .vgpr_count:     48
    .vgpr_spill_count: 0
    .wavefront_size: 32
    .workgroup_processor_mode: 1
  - .args:
      - .offset:         0
        .size:           4
        .value_kind:     by_value
      - .offset:         4
        .size:           4
        .value_kind:     by_value
      - .offset:         8
        .size:           4
        .value_kind:     by_value
      - .offset:         16
        .size:           8
        .value_kind:     by_value
      - .address_space:  global
        .offset:         24
        .size:           8
        .value_kind:     global_buffer
      - .offset:         32
        .size:           8
        .value_kind:     by_value
      - .offset:         40
        .size:           4
        .value_kind:     by_value
      - .offset:         48
        .size:           8
        .value_kind:     by_value
      - .address_space:  global
        .offset:         56
        .size:           8
        .value_kind:     global_buffer
      - .offset:         64
        .size:           8
        .value_kind:     by_value
      - .offset:         72
        .size:           4
        .value_kind:     by_value
      - .offset:         80
        .size:           8
        .value_kind:     by_value
      - .address_space:  global
        .offset:         88
        .size:           8
        .value_kind:     global_buffer
      - .offset:         96
        .size:           4
        .value_kind:     by_value
      - .offset:         104
        .size:           4
        .value_kind:     hidden_block_count_x
      - .offset:         108
        .size:           4
        .value_kind:     hidden_block_count_y
      - .offset:         112
        .size:           4
        .value_kind:     hidden_block_count_z
      - .offset:         116
        .size:           2
        .value_kind:     hidden_group_size_x
      - .offset:         118
        .size:           2
        .value_kind:     hidden_group_size_y
      - .offset:         120
        .size:           2
        .value_kind:     hidden_group_size_z
      - .offset:         122
        .size:           2
        .value_kind:     hidden_remainder_x
      - .offset:         124
        .size:           2
        .value_kind:     hidden_remainder_y
      - .offset:         126
        .size:           2
        .value_kind:     hidden_remainder_z
      - .offset:         144
        .size:           8
        .value_kind:     hidden_global_offset_x
      - .offset:         152
        .size:           8
        .value_kind:     hidden_global_offset_y
      - .offset:         160
        .size:           8
        .value_kind:     hidden_global_offset_z
      - .offset:         168
        .size:           2
        .value_kind:     hidden_grid_dims
    .group_segment_fixed_size: 128
    .kernarg_segment_align: 8
    .kernarg_segment_size: 360
    .language:       OpenCL C
    .language_version:
      - 2
      - 0
    .max_flat_workgroup_size: 256
    .name:           _ZL23rocblas_gemvt_sn_kernelILb0ELi256ELi4ElDF16_ffEviiT4_lPKT3_lilS3_lilPT5_i
    .private_segment_fixed_size: 0
    .sgpr_count:     58
    .sgpr_spill_count: 0
    .symbol:         _ZL23rocblas_gemvt_sn_kernelILb0ELi256ELi4ElDF16_ffEviiT4_lPKT3_lilS3_lilPT5_i.kd
    .uniform_work_group_size: 1
    .uses_dynamic_stack: false
    .vgpr_count:     51
    .vgpr_spill_count: 0
    .wavefront_size: 32
    .workgroup_processor_mode: 1
  - .args:
      - .offset:         0
        .size:           4
        .value_kind:     by_value
      - .offset:         4
        .size:           4
        .value_kind:     by_value
      - .offset:         8
        .size:           8
        .value_kind:     by_value
      - .address_space:  global
        .offset:         16
        .size:           8
        .value_kind:     global_buffer
      - .offset:         24
        .size:           8
        .value_kind:     by_value
      - .offset:         32
        .size:           4
        .value_kind:     by_value
      - .offset:         40
        .size:           8
        .value_kind:     by_value
      - .actual_access:  read_only
        .address_space:  global
        .offset:         48
        .size:           8
        .value_kind:     global_buffer
      - .offset:         56
        .size:           4
        .value_kind:     by_value
      - .offset:         64
        .size:           4
        .value_kind:     hidden_block_count_x
      - .offset:         68
        .size:           4
        .value_kind:     hidden_block_count_y
      - .offset:         72
        .size:           4
        .value_kind:     hidden_block_count_z
      - .offset:         76
        .size:           2
        .value_kind:     hidden_group_size_x
      - .offset:         78
        .size:           2
        .value_kind:     hidden_group_size_y
      - .offset:         80
        .size:           2
        .value_kind:     hidden_group_size_z
      - .offset:         82
        .size:           2
        .value_kind:     hidden_remainder_x
      - .offset:         84
        .size:           2
        .value_kind:     hidden_remainder_y
      - .offset:         86
        .size:           2
        .value_kind:     hidden_remainder_z
      - .offset:         104
        .size:           8
        .value_kind:     hidden_global_offset_x
      - .offset:         112
        .size:           8
        .value_kind:     hidden_global_offset_y
      - .offset:         120
        .size:           8
        .value_kind:     hidden_global_offset_z
      - .offset:         128
        .size:           2
        .value_kind:     hidden_grid_dims
    .group_segment_fixed_size: 128
    .kernarg_segment_align: 8
    .kernarg_segment_size: 320
    .language:       OpenCL C
    .language_version:
      - 2
      - 0
    .max_flat_workgroup_size: 256
    .name:           _ZL23rocblas_gemvt_sn_reduceILi256ELi8EffDF16_EviT2_lPT3_lilPT1_i
    .private_segment_fixed_size: 0
    .sgpr_count:     18
    .sgpr_spill_count: 0
    .symbol:         _ZL23rocblas_gemvt_sn_reduceILi256ELi8EffDF16_EviT2_lPT3_lilPT1_i.kd
    .uniform_work_group_size: 1
    .uses_dynamic_stack: false
    .vgpr_count:     13
    .vgpr_spill_count: 0
    .wavefront_size: 32
    .workgroup_processor_mode: 1
  - .args:
      - .offset:         0
        .size:           4
        .value_kind:     by_value
      - .offset:         4
        .size:           4
        .value_kind:     by_value
      - .address_space:  global
        .offset:         8
        .size:           8
        .value_kind:     global_buffer
      - .offset:         16
        .size:           8
        .value_kind:     by_value
      - .address_space:  global
        .offset:         24
        .size:           8
        .value_kind:     global_buffer
      - .offset:         32
        .size:           8
        .value_kind:     by_value
      - .offset:         40
        .size:           4
        .value_kind:     by_value
      - .offset:         48
        .size:           8
        .value_kind:     by_value
      - .address_space:  global
        .offset:         56
        .size:           8
        .value_kind:     global_buffer
      - .offset:         64
        .size:           8
        .value_kind:     by_value
      - .offset:         72
        .size:           4
        .value_kind:     by_value
      - .offset:         80
        .size:           8
        .value_kind:     by_value
      - .address_space:  global
        .offset:         88
        .size:           8
        .value_kind:     global_buffer
      - .offset:         96
        .size:           8
        .value_kind:     by_value
      - .address_space:  global
        .offset:         104
        .size:           8
        .value_kind:     global_buffer
      - .offset:         112
        .size:           8
        .value_kind:     by_value
      - .offset:         120
        .size:           4
        .value_kind:     by_value
      - .offset:         128
        .size:           8
        .value_kind:     by_value
      - .offset:         136
        .size:           4
        .value_kind:     by_value
    .group_segment_fixed_size: 128
    .kernarg_segment_align: 8
    .kernarg_segment_size: 140
    .language:       OpenCL C
    .language_version:
      - 2
      - 0
    .max_flat_workgroup_size: 256
    .name:           _ZL32rocblas_gemvt_warp_reduce_kernelILb0ELi256EiDF16_PKfDF16_EviiT3_lPKT2_lT1_lS5_lS6_lS2_lPT4_lS6_li
    .private_segment_fixed_size: 0
    .sgpr_count:     27
    .sgpr_spill_count: 0
    .symbol:         _ZL32rocblas_gemvt_warp_reduce_kernelILb0ELi256EiDF16_PKfDF16_EviiT3_lPKT2_lT1_lS5_lS6_lS2_lPT4_lS6_li.kd
    .uniform_work_group_size: 1
    .uses_dynamic_stack: false
    .vgpr_count:     11
    .vgpr_spill_count: 0
    .wavefront_size: 32
    .workgroup_processor_mode: 1
  - .args:
      - .offset:         0
        .size:           4
        .value_kind:     by_value
      - .offset:         4
        .size:           4
        .value_kind:     by_value
      - .address_space:  global
        .offset:         8
        .size:           8
        .value_kind:     global_buffer
      - .offset:         16
        .size:           8
        .value_kind:     by_value
      - .address_space:  global
        .offset:         24
        .size:           8
        .value_kind:     global_buffer
      - .offset:         32
        .size:           8
        .value_kind:     by_value
      - .offset:         40
        .size:           8
        .value_kind:     by_value
      - .offset:         48
        .size:           8
        .value_kind:     by_value
      - .address_space:  global
        .offset:         56
        .size:           8
        .value_kind:     global_buffer
      - .offset:         64
        .size:           8
        .value_kind:     by_value
      - .offset:         72
        .size:           8
        .value_kind:     by_value
      - .offset:         80
        .size:           8
        .value_kind:     by_value
      - .address_space:  global
        .offset:         88
        .size:           8
        .value_kind:     global_buffer
      - .offset:         96
        .size:           8
        .value_kind:     by_value
      - .address_space:  global
        .offset:         104
        .size:           8
        .value_kind:     global_buffer
      - .offset:         112
        .size:           8
        .value_kind:     by_value
      - .offset:         120
        .size:           8
        .value_kind:     by_value
      - .offset:         128
        .size:           8
        .value_kind:     by_value
      - .offset:         136
        .size:           4
        .value_kind:     by_value
    .group_segment_fixed_size: 128
    .kernarg_segment_align: 8
    .kernarg_segment_size: 140
    .language:       OpenCL C
    .language_version:
      - 2
      - 0
    .max_flat_workgroup_size: 256
    .name:           _ZL32rocblas_gemvt_warp_reduce_kernelILb0ELi256ElDF16_PKfDF16_EviiT3_lPKT2_lT1_lS5_lS6_lS2_lPT4_lS6_li
    .private_segment_fixed_size: 0
    .sgpr_count:     54
    .sgpr_spill_count: 0
    .symbol:         _ZL32rocblas_gemvt_warp_reduce_kernelILb0ELi256ElDF16_PKfDF16_EviiT3_lPKT2_lT1_lS5_lS6_lS2_lPT4_lS6_li.kd
    .uniform_work_group_size: 1
    .uses_dynamic_stack: false
    .vgpr_count:     11
    .vgpr_spill_count: 0
    .wavefront_size: 32
    .workgroup_processor_mode: 1
  - .args:
      - .offset:         0
        .size:           4
        .value_kind:     by_value
      - .offset:         4
        .size:           4
        .value_kind:     by_value
      - .offset:         8
        .size:           4
        .value_kind:     by_value
      - .offset:         16
        .size:           8
        .value_kind:     by_value
      - .address_space:  global
        .offset:         24
        .size:           8
        .value_kind:     global_buffer
      - .offset:         32
        .size:           8
        .value_kind:     by_value
      - .offset:         40
        .size:           4
        .value_kind:     by_value
      - .offset:         48
        .size:           8
        .value_kind:     by_value
      - .address_space:  global
        .offset:         56
        .size:           8
        .value_kind:     global_buffer
      - .offset:         64
        .size:           8
        .value_kind:     by_value
      - .offset:         72
        .size:           4
        .value_kind:     by_value
      - .offset:         80
        .size:           8
        .value_kind:     by_value
      - .offset:         88
        .size:           4
        .value_kind:     by_value
      - .offset:         96
        .size:           8
        .value_kind:     by_value
      - .address_space:  global
        .offset:         104
        .size:           8
        .value_kind:     global_buffer
      - .offset:         112
        .size:           8
        .value_kind:     by_value
      - .offset:         120
        .size:           4
        .value_kind:     by_value
      - .offset:         128
        .size:           8
        .value_kind:     by_value
      - .offset:         136
        .size:           4
        .value_kind:     by_value
    .group_segment_fixed_size: 128
    .kernarg_segment_align: 8
    .kernarg_segment_size: 140
    .language:       OpenCL C
    .language_version:
      - 2
      - 0
    .max_flat_workgroup_size: 256
    .name:           _ZL32rocblas_gemvt_warp_reduce_kernelILb0ELi256EiDF16_fDF16_EviiT3_lPKT2_lT1_lS3_lS4_lS0_lPT4_lS4_li
    .private_segment_fixed_size: 0
    .sgpr_count:     26
    .sgpr_spill_count: 0
    .symbol:         _ZL32rocblas_gemvt_warp_reduce_kernelILb0ELi256EiDF16_fDF16_EviiT3_lPKT2_lT1_lS3_lS4_lS0_lPT4_lS4_li.kd
    .uniform_work_group_size: 1
    .uses_dynamic_stack: false
    .vgpr_count:     11
    .vgpr_spill_count: 0
    .wavefront_size: 32
    .workgroup_processor_mode: 1
  - .args:
      - .offset:         0
        .size:           4
        .value_kind:     by_value
      - .offset:         4
        .size:           4
        .value_kind:     by_value
      - .offset:         8
        .size:           4
        .value_kind:     by_value
      - .offset:         16
        .size:           8
        .value_kind:     by_value
      - .address_space:  global
        .offset:         24
        .size:           8
        .value_kind:     global_buffer
      - .offset:         32
        .size:           8
        .value_kind:     by_value
      - .offset:         40
        .size:           8
        .value_kind:     by_value
      - .offset:         48
        .size:           8
        .value_kind:     by_value
      - .address_space:  global
        .offset:         56
        .size:           8
        .value_kind:     global_buffer
      - .offset:         64
        .size:           8
        .value_kind:     by_value
      - .offset:         72
        .size:           8
        .value_kind:     by_value
      - .offset:         80
        .size:           8
        .value_kind:     by_value
      - .offset:         88
        .size:           4
        .value_kind:     by_value
      - .offset:         96
        .size:           8
        .value_kind:     by_value
      - .address_space:  global
        .offset:         104
        .size:           8
        .value_kind:     global_buffer
      - .offset:         112
        .size:           8
        .value_kind:     by_value
      - .offset:         120
        .size:           8
        .value_kind:     by_value
      - .offset:         128
        .size:           8
        .value_kind:     by_value
      - .offset:         136
        .size:           4
        .value_kind:     by_value
    .group_segment_fixed_size: 128
    .kernarg_segment_align: 8
    .kernarg_segment_size: 140
    .language:       OpenCL C
    .language_version:
      - 2
      - 0
    .max_flat_workgroup_size: 256
    .name:           _ZL32rocblas_gemvt_warp_reduce_kernelILb0ELi256ElDF16_fDF16_EviiT3_lPKT2_lT1_lS3_lS4_lS0_lPT4_lS4_li
    .private_segment_fixed_size: 0
    .sgpr_count:     36
    .sgpr_spill_count: 0
    .symbol:         _ZL32rocblas_gemvt_warp_reduce_kernelILb0ELi256ElDF16_fDF16_EviiT3_lPKT2_lT1_lS3_lS4_lS0_lPT4_lS4_li.kd
    .uniform_work_group_size: 1
    .uses_dynamic_stack: false
    .vgpr_count:     11
    .vgpr_spill_count: 0
    .wavefront_size: 32
    .workgroup_processor_mode: 1
  - .args:
      - .offset:         0
        .size:           4
        .value_kind:     by_value
      - .offset:         4
        .size:           4
        .value_kind:     by_value
      - .address_space:  global
        .offset:         8
        .size:           8
        .value_kind:     global_buffer
      - .offset:         16
        .size:           8
        .value_kind:     by_value
      - .address_space:  global
        .offset:         24
        .size:           8
        .value_kind:     global_buffer
      - .offset:         32
        .size:           8
        .value_kind:     by_value
      - .offset:         40
        .size:           4
        .value_kind:     by_value
      - .offset:         48
        .size:           8
        .value_kind:     by_value
      - .address_space:  global
        .offset:         56
        .size:           8
        .value_kind:     global_buffer
      - .offset:         64
        .size:           8
        .value_kind:     by_value
      - .offset:         72
        .size:           4
        .value_kind:     by_value
      - .offset:         80
        .size:           8
        .value_kind:     by_value
      - .address_space:  global
        .offset:         88
        .size:           8
        .value_kind:     global_buffer
      - .offset:         96
        .size:           8
        .value_kind:     by_value
      - .address_space:  global
        .offset:         104
        .size:           8
        .value_kind:     global_buffer
      - .offset:         112
        .size:           8
        .value_kind:     by_value
      - .offset:         120
        .size:           4
        .value_kind:     by_value
      - .offset:         128
        .size:           8
        .value_kind:     by_value
      - .offset:         136
        .size:           4
        .value_kind:     by_value
    .group_segment_fixed_size: 1024
    .kernarg_segment_align: 8
    .kernarg_segment_size: 140
    .language:       OpenCL C
    .language_version:
      - 2
      - 0
    .max_flat_workgroup_size: 256
    .name:           _ZL20rocblas_gemvt_kernelILb0ELi256EDF16_PKfDF16_EviiT2_lPKT1_lilS5_lilS2_lPT3_lili
    .private_segment_fixed_size: 0
    .sgpr_count:     28
    .sgpr_spill_count: 0
    .symbol:         _ZL20rocblas_gemvt_kernelILb0ELi256EDF16_PKfDF16_EviiT2_lPKT1_lilS5_lilS2_lPT3_lili.kd
    .uniform_work_group_size: 1
    .uses_dynamic_stack: false
    .vgpr_count:     10
    .vgpr_spill_count: 0
    .wavefront_size: 32
    .workgroup_processor_mode: 1
  - .args:
      - .offset:         0
        .size:           4
        .value_kind:     by_value
      - .offset:         4
        .size:           4
        .value_kind:     by_value
      - .offset:         8
        .size:           4
        .value_kind:     by_value
      - .offset:         16
        .size:           8
        .value_kind:     by_value
      - .address_space:  global
        .offset:         24
        .size:           8
        .value_kind:     global_buffer
      - .offset:         32
        .size:           8
        .value_kind:     by_value
      - .offset:         40
        .size:           4
        .value_kind:     by_value
      - .offset:         48
        .size:           8
        .value_kind:     by_value
      - .address_space:  global
        .offset:         56
        .size:           8
        .value_kind:     global_buffer
      - .offset:         64
        .size:           8
        .value_kind:     by_value
      - .offset:         72
        .size:           4
        .value_kind:     by_value
      - .offset:         80
        .size:           8
        .value_kind:     by_value
      - .offset:         88
        .size:           4
        .value_kind:     by_value
      - .offset:         96
        .size:           8
        .value_kind:     by_value
      - .address_space:  global
        .offset:         104
        .size:           8
        .value_kind:     global_buffer
      - .offset:         112
        .size:           8
        .value_kind:     by_value
      - .offset:         120
        .size:           4
        .value_kind:     by_value
      - .offset:         128
        .size:           8
        .value_kind:     by_value
      - .offset:         136
        .size:           4
        .value_kind:     by_value
    .group_segment_fixed_size: 1024
    .kernarg_segment_align: 8
    .kernarg_segment_size: 140
    .language:       OpenCL C
    .language_version:
      - 2
      - 0
    .max_flat_workgroup_size: 256
    .name:           _ZL20rocblas_gemvt_kernelILb0ELi256EDF16_fDF16_EviiT2_lPKT1_lilS3_lilS0_lPT3_lili
    .private_segment_fixed_size: 0
    .sgpr_count:     30
    .sgpr_spill_count: 0
    .symbol:         _ZL20rocblas_gemvt_kernelILb0ELi256EDF16_fDF16_EviiT2_lPKT1_lilS3_lilS0_lPT3_lili.kd
    .uniform_work_group_size: 1
    .uses_dynamic_stack: false
    .vgpr_count:     10
    .vgpr_spill_count: 0
    .wavefront_size: 32
    .workgroup_processor_mode: 1
  - .args:
      - .offset:         0
        .size:           4
        .value_kind:     by_value
      - .offset:         4
        .size:           4
        .value_kind:     by_value
      - .address_space:  global
        .offset:         8
        .size:           8
        .value_kind:     global_buffer
      - .offset:         16
        .size:           8
        .value_kind:     by_value
      - .address_space:  global
        .offset:         24
        .size:           8
        .value_kind:     global_buffer
      - .offset:         32
        .size:           8
        .value_kind:     by_value
      - .offset:         40
        .size:           4
        .value_kind:     by_value
      - .offset:         48
        .size:           8
        .value_kind:     by_value
      - .address_space:  global
        .offset:         56
        .size:           8
        .value_kind:     global_buffer
      - .offset:         64
        .size:           8
        .value_kind:     by_value
      - .offset:         72
        .size:           4
        .value_kind:     by_value
      - .offset:         80
        .size:           8
        .value_kind:     by_value
      - .address_space:  global
        .offset:         88
        .size:           8
        .value_kind:     global_buffer
      - .offset:         96
        .size:           8
        .value_kind:     by_value
      - .address_space:  global
        .offset:         104
        .size:           8
        .value_kind:     global_buffer
      - .offset:         112
        .size:           8
        .value_kind:     by_value
      - .offset:         120
        .size:           4
        .value_kind:     by_value
      - .offset:         128
        .size:           8
        .value_kind:     by_value
      - .offset:         136
        .size:           4
        .value_kind:     by_value
    .group_segment_fixed_size: 128
    .kernarg_segment_align: 8
    .kernarg_segment_size: 140
    .language:       OpenCL C
    .language_version:
      - 2
      - 0
    .max_flat_workgroup_size: 1024
    .name:           _ZL32rocblas_gemvt_warp_reduce_kernelILb0ELi1024EiDF16_PKfDF16_EviiT3_lPKT2_lT1_lS5_lS6_lS2_lPT4_lS6_li
    .private_segment_fixed_size: 0
    .sgpr_count:     27
    .sgpr_spill_count: 0
    .symbol:         _ZL32rocblas_gemvt_warp_reduce_kernelILb0ELi1024EiDF16_PKfDF16_EviiT3_lPKT2_lT1_lS5_lS6_lS2_lPT4_lS6_li.kd
    .uniform_work_group_size: 1
    .uses_dynamic_stack: false
    .vgpr_count:     11
    .vgpr_spill_count: 0
    .wavefront_size: 32
    .workgroup_processor_mode: 1
  - .args:
      - .offset:         0
        .size:           4
        .value_kind:     by_value
      - .offset:         4
        .size:           4
        .value_kind:     by_value
      - .address_space:  global
        .offset:         8
        .size:           8
        .value_kind:     global_buffer
      - .offset:         16
        .size:           8
        .value_kind:     by_value
      - .address_space:  global
        .offset:         24
        .size:           8
        .value_kind:     global_buffer
      - .offset:         32
        .size:           8
        .value_kind:     by_value
      - .offset:         40
        .size:           8
        .value_kind:     by_value
      - .offset:         48
        .size:           8
        .value_kind:     by_value
      - .address_space:  global
        .offset:         56
        .size:           8
        .value_kind:     global_buffer
      - .offset:         64
        .size:           8
        .value_kind:     by_value
      - .offset:         72
        .size:           8
        .value_kind:     by_value
      - .offset:         80
        .size:           8
        .value_kind:     by_value
      - .address_space:  global
        .offset:         88
        .size:           8
        .value_kind:     global_buffer
      - .offset:         96
        .size:           8
        .value_kind:     by_value
      - .address_space:  global
        .offset:         104
        .size:           8
        .value_kind:     global_buffer
      - .offset:         112
        .size:           8
        .value_kind:     by_value
      - .offset:         120
        .size:           8
        .value_kind:     by_value
      - .offset:         128
        .size:           8
        .value_kind:     by_value
      - .offset:         136
        .size:           4
        .value_kind:     by_value
    .group_segment_fixed_size: 128
    .kernarg_segment_align: 8
    .kernarg_segment_size: 140
    .language:       OpenCL C
    .language_version:
      - 2
      - 0
    .max_flat_workgroup_size: 1024
    .name:           _ZL32rocblas_gemvt_warp_reduce_kernelILb0ELi1024ElDF16_PKfDF16_EviiT3_lPKT2_lT1_lS5_lS6_lS2_lPT4_lS6_li
    .private_segment_fixed_size: 0
    .sgpr_count:     54
    .sgpr_spill_count: 0
    .symbol:         _ZL32rocblas_gemvt_warp_reduce_kernelILb0ELi1024ElDF16_PKfDF16_EviiT3_lPKT2_lT1_lS5_lS6_lS2_lPT4_lS6_li.kd
    .uniform_work_group_size: 1
    .uses_dynamic_stack: false
    .vgpr_count:     11
    .vgpr_spill_count: 0
    .wavefront_size: 32
    .workgroup_processor_mode: 1
  - .args:
      - .offset:         0
        .size:           4
        .value_kind:     by_value
      - .offset:         4
        .size:           4
        .value_kind:     by_value
      - .offset:         8
        .size:           4
        .value_kind:     by_value
      - .offset:         16
        .size:           8
        .value_kind:     by_value
      - .address_space:  global
        .offset:         24
        .size:           8
        .value_kind:     global_buffer
      - .offset:         32
        .size:           8
        .value_kind:     by_value
      - .offset:         40
        .size:           4
        .value_kind:     by_value
      - .offset:         48
        .size:           8
        .value_kind:     by_value
      - .address_space:  global
        .offset:         56
        .size:           8
        .value_kind:     global_buffer
      - .offset:         64
        .size:           8
        .value_kind:     by_value
      - .offset:         72
        .size:           4
        .value_kind:     by_value
      - .offset:         80
        .size:           8
        .value_kind:     by_value
      - .offset:         88
        .size:           4
        .value_kind:     by_value
      - .offset:         96
        .size:           8
        .value_kind:     by_value
      - .address_space:  global
        .offset:         104
        .size:           8
        .value_kind:     global_buffer
      - .offset:         112
        .size:           8
        .value_kind:     by_value
      - .offset:         120
        .size:           4
        .value_kind:     by_value
      - .offset:         128
        .size:           8
        .value_kind:     by_value
      - .offset:         136
        .size:           4
        .value_kind:     by_value
    .group_segment_fixed_size: 128
    .kernarg_segment_align: 8
    .kernarg_segment_size: 140
    .language:       OpenCL C
    .language_version:
      - 2
      - 0
    .max_flat_workgroup_size: 1024
    .name:           _ZL32rocblas_gemvt_warp_reduce_kernelILb0ELi1024EiDF16_fDF16_EviiT3_lPKT2_lT1_lS3_lS4_lS0_lPT4_lS4_li
    .private_segment_fixed_size: 0
    .sgpr_count:     26
    .sgpr_spill_count: 0
    .symbol:         _ZL32rocblas_gemvt_warp_reduce_kernelILb0ELi1024EiDF16_fDF16_EviiT3_lPKT2_lT1_lS3_lS4_lS0_lPT4_lS4_li.kd
    .uniform_work_group_size: 1
    .uses_dynamic_stack: false
    .vgpr_count:     11
    .vgpr_spill_count: 0
    .wavefront_size: 32
    .workgroup_processor_mode: 1
  - .args:
      - .offset:         0
        .size:           4
        .value_kind:     by_value
      - .offset:         4
        .size:           4
        .value_kind:     by_value
      - .offset:         8
        .size:           4
        .value_kind:     by_value
      - .offset:         16
        .size:           8
        .value_kind:     by_value
      - .address_space:  global
        .offset:         24
        .size:           8
        .value_kind:     global_buffer
      - .offset:         32
        .size:           8
        .value_kind:     by_value
      - .offset:         40
        .size:           8
        .value_kind:     by_value
      - .offset:         48
        .size:           8
        .value_kind:     by_value
      - .address_space:  global
        .offset:         56
        .size:           8
        .value_kind:     global_buffer
      - .offset:         64
        .size:           8
        .value_kind:     by_value
      - .offset:         72
        .size:           8
        .value_kind:     by_value
      - .offset:         80
        .size:           8
        .value_kind:     by_value
      - .offset:         88
        .size:           4
        .value_kind:     by_value
      - .offset:         96
        .size:           8
        .value_kind:     by_value
      - .address_space:  global
        .offset:         104
        .size:           8
        .value_kind:     global_buffer
      - .offset:         112
        .size:           8
        .value_kind:     by_value
      - .offset:         120
        .size:           8
        .value_kind:     by_value
      - .offset:         128
        .size:           8
        .value_kind:     by_value
      - .offset:         136
        .size:           4
        .value_kind:     by_value
    .group_segment_fixed_size: 128
    .kernarg_segment_align: 8
    .kernarg_segment_size: 140
    .language:       OpenCL C
    .language_version:
      - 2
      - 0
    .max_flat_workgroup_size: 1024
    .name:           _ZL32rocblas_gemvt_warp_reduce_kernelILb0ELi1024ElDF16_fDF16_EviiT3_lPKT2_lT1_lS3_lS4_lS0_lPT4_lS4_li
    .private_segment_fixed_size: 0
    .sgpr_count:     36
    .sgpr_spill_count: 0
    .symbol:         _ZL32rocblas_gemvt_warp_reduce_kernelILb0ELi1024ElDF16_fDF16_EviiT3_lPKT2_lT1_lS3_lS4_lS0_lPT4_lS4_li.kd
    .uniform_work_group_size: 1
    .uses_dynamic_stack: false
    .vgpr_count:     11
    .vgpr_spill_count: 0
    .wavefront_size: 32
    .workgroup_processor_mode: 1
  - .args:
      - .offset:         0
        .size:           4
        .value_kind:     by_value
      - .offset:         4
        .size:           4
        .value_kind:     by_value
      - .address_space:  global
        .offset:         8
        .size:           8
        .value_kind:     global_buffer
      - .offset:         16
        .size:           8
        .value_kind:     by_value
      - .address_space:  global
        .offset:         24
        .size:           8
        .value_kind:     global_buffer
      - .offset:         32
        .size:           8
        .value_kind:     by_value
      - .offset:         40
        .size:           4
        .value_kind:     by_value
      - .offset:         48
        .size:           8
        .value_kind:     by_value
      - .address_space:  global
        .offset:         56
        .size:           8
        .value_kind:     global_buffer
      - .offset:         64
        .size:           8
        .value_kind:     by_value
      - .offset:         72
        .size:           4
        .value_kind:     by_value
      - .offset:         80
        .size:           8
        .value_kind:     by_value
      - .address_space:  global
        .offset:         88
        .size:           8
        .value_kind:     global_buffer
      - .offset:         96
        .size:           8
        .value_kind:     by_value
      - .address_space:  global
        .offset:         104
        .size:           8
        .value_kind:     global_buffer
      - .offset:         112
        .size:           8
        .value_kind:     by_value
      - .offset:         120
        .size:           4
        .value_kind:     by_value
      - .offset:         128
        .size:           8
        .value_kind:     by_value
    .group_segment_fixed_size: 256
    .kernarg_segment_align: 8
    .kernarg_segment_size: 136
    .language:       OpenCL C
    .language_version:
      - 2
      - 0
    .max_flat_workgroup_size: 256
    .name:           _ZL22rocblas_gemvtsm_kernelILb1ELi256EDF16_PKfDF16_EviiT2_lPKT1_lilS5_lilS2_lPT3_lil
    .private_segment_fixed_size: 0
    .sgpr_count:     31
    .sgpr_spill_count: 0
    .symbol:         _ZL22rocblas_gemvtsm_kernelILb1ELi256EDF16_PKfDF16_EviiT2_lPKT1_lilS5_lilS2_lPT3_lil.kd
    .uniform_work_group_size: 1
    .uses_dynamic_stack: false
    .vgpr_count:     22
    .vgpr_spill_count: 0
    .wavefront_size: 32
    .workgroup_processor_mode: 1
  - .args:
      - .offset:         0
        .size:           4
        .value_kind:     by_value
      - .offset:         4
        .size:           4
        .value_kind:     by_value
      - .offset:         8
        .size:           4
        .value_kind:     by_value
      - .offset:         16
        .size:           8
        .value_kind:     by_value
      - .address_space:  global
        .offset:         24
        .size:           8
        .value_kind:     global_buffer
      - .offset:         32
        .size:           8
        .value_kind:     by_value
      - .offset:         40
        .size:           4
        .value_kind:     by_value
      - .offset:         48
        .size:           8
        .value_kind:     by_value
      - .address_space:  global
        .offset:         56
        .size:           8
        .value_kind:     global_buffer
      - .offset:         64
        .size:           8
        .value_kind:     by_value
      - .offset:         72
        .size:           4
        .value_kind:     by_value
      - .offset:         80
        .size:           8
        .value_kind:     by_value
      - .offset:         88
        .size:           4
        .value_kind:     by_value
      - .offset:         96
        .size:           8
        .value_kind:     by_value
      - .address_space:  global
        .offset:         104
        .size:           8
        .value_kind:     global_buffer
      - .offset:         112
        .size:           8
        .value_kind:     by_value
      - .offset:         120
        .size:           4
        .value_kind:     by_value
      - .offset:         128
        .size:           8
        .value_kind:     by_value
    .group_segment_fixed_size: 256
    .kernarg_segment_align: 8
    .kernarg_segment_size: 136
    .language:       OpenCL C
    .language_version:
      - 2
      - 0
    .max_flat_workgroup_size: 256
    .name:           _ZL22rocblas_gemvtsm_kernelILb1ELi256EDF16_fDF16_EviiT2_lPKT1_lilS3_lilS0_lPT3_lil
    .private_segment_fixed_size: 0
    .sgpr_count:     27
    .sgpr_spill_count: 0
    .symbol:         _ZL22rocblas_gemvtsm_kernelILb1ELi256EDF16_fDF16_EviiT2_lPKT1_lilS3_lilS0_lPT3_lil.kd
    .uniform_work_group_size: 1
    .uses_dynamic_stack: false
    .vgpr_count:     22
    .vgpr_spill_count: 0
    .wavefront_size: 32
    .workgroup_processor_mode: 1
  - .args:
      - .offset:         0
        .size:           4
        .value_kind:     by_value
      - .offset:         4
        .size:           4
        .value_kind:     by_value
      - .address_space:  global
        .offset:         8
        .size:           8
        .value_kind:     global_buffer
      - .offset:         16
        .size:           8
        .value_kind:     by_value
      - .address_space:  global
        .offset:         24
        .size:           8
        .value_kind:     global_buffer
      - .offset:         32
        .size:           8
        .value_kind:     by_value
      - .offset:         40
        .size:           4
        .value_kind:     by_value
      - .offset:         48
        .size:           8
        .value_kind:     by_value
      - .address_space:  global
        .offset:         56
        .size:           8
        .value_kind:     global_buffer
      - .offset:         64
        .size:           8
        .value_kind:     by_value
      - .offset:         72
        .size:           4
        .value_kind:     by_value
      - .offset:         80
        .size:           8
        .value_kind:     by_value
      - .address_space:  global
        .offset:         88
        .size:           8
        .value_kind:     global_buffer
      - .offset:         96
        .size:           4
        .value_kind:     by_value
      - .offset:         104
        .size:           4
        .value_kind:     hidden_block_count_x
      - .offset:         108
        .size:           4
        .value_kind:     hidden_block_count_y
      - .offset:         112
        .size:           4
        .value_kind:     hidden_block_count_z
      - .offset:         116
        .size:           2
        .value_kind:     hidden_group_size_x
      - .offset:         118
        .size:           2
        .value_kind:     hidden_group_size_y
      - .offset:         120
        .size:           2
        .value_kind:     hidden_group_size_z
      - .offset:         122
        .size:           2
        .value_kind:     hidden_remainder_x
      - .offset:         124
        .size:           2
        .value_kind:     hidden_remainder_y
      - .offset:         126
        .size:           2
        .value_kind:     hidden_remainder_z
      - .offset:         144
        .size:           8
        .value_kind:     hidden_global_offset_x
      - .offset:         152
        .size:           8
        .value_kind:     hidden_global_offset_y
      - .offset:         160
        .size:           8
        .value_kind:     hidden_global_offset_z
      - .offset:         168
        .size:           2
        .value_kind:     hidden_grid_dims
    .group_segment_fixed_size: 128
    .kernarg_segment_align: 8
    .kernarg_segment_size: 360
    .language:       OpenCL C
    .language_version:
      - 2
      - 0
    .max_flat_workgroup_size: 256
    .name:           _ZL23rocblas_gemvt_sn_kernelILb1ELi256ELi4EiDF16_PKffEviiT4_lPKT3_lilS5_lilPT5_i
    .private_segment_fixed_size: 0
    .sgpr_count:     50
    .sgpr_spill_count: 0
    .symbol:         _ZL23rocblas_gemvt_sn_kernelILb1ELi256ELi4EiDF16_PKffEviiT4_lPKT3_lilS5_lilPT5_i.kd
    .uniform_work_group_size: 1
    .uses_dynamic_stack: false
    .vgpr_count:     48
    .vgpr_spill_count: 0
    .wavefront_size: 32
    .workgroup_processor_mode: 1
  - .args:
      - .offset:         0
        .size:           4
        .value_kind:     by_value
      - .offset:         4
        .size:           4
        .value_kind:     by_value
      - .address_space:  global
        .offset:         8
        .size:           8
        .value_kind:     global_buffer
      - .offset:         16
        .size:           8
        .value_kind:     by_value
      - .address_space:  global
        .offset:         24
        .size:           8
        .value_kind:     global_buffer
      - .offset:         32
        .size:           8
        .value_kind:     by_value
      - .offset:         40
        .size:           4
        .value_kind:     by_value
      - .offset:         48
        .size:           8
        .value_kind:     by_value
      - .address_space:  global
        .offset:         56
        .size:           8
        .value_kind:     global_buffer
      - .offset:         64
        .size:           8
        .value_kind:     by_value
      - .offset:         72
        .size:           4
        .value_kind:     by_value
      - .offset:         80
        .size:           8
        .value_kind:     by_value
      - .address_space:  global
        .offset:         88
        .size:           8
        .value_kind:     global_buffer
      - .offset:         96
        .size:           4
        .value_kind:     by_value
      - .offset:         104
        .size:           4
        .value_kind:     hidden_block_count_x
      - .offset:         108
        .size:           4
        .value_kind:     hidden_block_count_y
      - .offset:         112
        .size:           4
        .value_kind:     hidden_block_count_z
      - .offset:         116
        .size:           2
        .value_kind:     hidden_group_size_x
      - .offset:         118
        .size:           2
        .value_kind:     hidden_group_size_y
      - .offset:         120
        .size:           2
        .value_kind:     hidden_group_size_z
      - .offset:         122
        .size:           2
        .value_kind:     hidden_remainder_x
      - .offset:         124
        .size:           2
        .value_kind:     hidden_remainder_y
      - .offset:         126
        .size:           2
        .value_kind:     hidden_remainder_z
      - .offset:         144
        .size:           8
        .value_kind:     hidden_global_offset_x
      - .offset:         152
        .size:           8
        .value_kind:     hidden_global_offset_y
      - .offset:         160
        .size:           8
        .value_kind:     hidden_global_offset_z
      - .offset:         168
        .size:           2
        .value_kind:     hidden_grid_dims
    .group_segment_fixed_size: 128
    .kernarg_segment_align: 8
    .kernarg_segment_size: 360
    .language:       OpenCL C
    .language_version:
      - 2
      - 0
    .max_flat_workgroup_size: 256
    .name:           _ZL23rocblas_gemvt_sn_kernelILb1ELi256ELi4ElDF16_PKffEviiT4_lPKT3_lilS5_lilPT5_i
    .private_segment_fixed_size: 0
    .sgpr_count:     58
    .sgpr_spill_count: 0
    .symbol:         _ZL23rocblas_gemvt_sn_kernelILb1ELi256ELi4ElDF16_PKffEviiT4_lPKT3_lilS5_lilPT5_i.kd
    .uniform_work_group_size: 1
    .uses_dynamic_stack: false
    .vgpr_count:     51
    .vgpr_spill_count: 0
    .wavefront_size: 32
    .workgroup_processor_mode: 1
  - .args:
      - .offset:         0
        .size:           4
        .value_kind:     by_value
      - .offset:         4
        .size:           4
        .value_kind:     by_value
      - .offset:         8
        .size:           4
        .value_kind:     by_value
      - .offset:         16
        .size:           8
        .value_kind:     by_value
      - .address_space:  global
        .offset:         24
        .size:           8
        .value_kind:     global_buffer
      - .offset:         32
        .size:           8
        .value_kind:     by_value
      - .offset:         40
        .size:           4
        .value_kind:     by_value
      - .offset:         48
        .size:           8
        .value_kind:     by_value
      - .address_space:  global
        .offset:         56
        .size:           8
        .value_kind:     global_buffer
      - .offset:         64
        .size:           8
        .value_kind:     by_value
      - .offset:         72
        .size:           4
        .value_kind:     by_value
      - .offset:         80
        .size:           8
        .value_kind:     by_value
      - .address_space:  global
        .offset:         88
        .size:           8
        .value_kind:     global_buffer
      - .offset:         96
        .size:           4
        .value_kind:     by_value
      - .offset:         104
        .size:           4
        .value_kind:     hidden_block_count_x
      - .offset:         108
        .size:           4
        .value_kind:     hidden_block_count_y
      - .offset:         112
        .size:           4
        .value_kind:     hidden_block_count_z
      - .offset:         116
        .size:           2
        .value_kind:     hidden_group_size_x
      - .offset:         118
        .size:           2
        .value_kind:     hidden_group_size_y
      - .offset:         120
        .size:           2
        .value_kind:     hidden_group_size_z
      - .offset:         122
        .size:           2
        .value_kind:     hidden_remainder_x
      - .offset:         124
        .size:           2
        .value_kind:     hidden_remainder_y
      - .offset:         126
        .size:           2
        .value_kind:     hidden_remainder_z
      - .offset:         144
        .size:           8
        .value_kind:     hidden_global_offset_x
      - .offset:         152
        .size:           8
        .value_kind:     hidden_global_offset_y
      - .offset:         160
        .size:           8
        .value_kind:     hidden_global_offset_z
      - .offset:         168
        .size:           2
        .value_kind:     hidden_grid_dims
    .group_segment_fixed_size: 128
    .kernarg_segment_align: 8
    .kernarg_segment_size: 360
    .language:       OpenCL C
    .language_version:
      - 2
      - 0
    .max_flat_workgroup_size: 256
    .name:           _ZL23rocblas_gemvt_sn_kernelILb1ELi256ELi4EiDF16_ffEviiT4_lPKT3_lilS3_lilPT5_i
    .private_segment_fixed_size: 0
    .sgpr_count:     50
    .sgpr_spill_count: 0
    .symbol:         _ZL23rocblas_gemvt_sn_kernelILb1ELi256ELi4EiDF16_ffEviiT4_lPKT3_lilS3_lilPT5_i.kd
    .uniform_work_group_size: 1
    .uses_dynamic_stack: false
    .vgpr_count:     48
    .vgpr_spill_count: 0
    .wavefront_size: 32
    .workgroup_processor_mode: 1
  - .args:
      - .offset:         0
        .size:           4
        .value_kind:     by_value
      - .offset:         4
        .size:           4
        .value_kind:     by_value
      - .offset:         8
        .size:           4
        .value_kind:     by_value
      - .offset:         16
        .size:           8
        .value_kind:     by_value
      - .address_space:  global
        .offset:         24
        .size:           8
        .value_kind:     global_buffer
      - .offset:         32
        .size:           8
        .value_kind:     by_value
      - .offset:         40
        .size:           4
        .value_kind:     by_value
      - .offset:         48
        .size:           8
        .value_kind:     by_value
      - .address_space:  global
        .offset:         56
        .size:           8
        .value_kind:     global_buffer
      - .offset:         64
        .size:           8
        .value_kind:     by_value
      - .offset:         72
        .size:           4
        .value_kind:     by_value
      - .offset:         80
        .size:           8
        .value_kind:     by_value
      - .address_space:  global
        .offset:         88
        .size:           8
        .value_kind:     global_buffer
      - .offset:         96
        .size:           4
        .value_kind:     by_value
      - .offset:         104
        .size:           4
        .value_kind:     hidden_block_count_x
      - .offset:         108
        .size:           4
        .value_kind:     hidden_block_count_y
      - .offset:         112
        .size:           4
        .value_kind:     hidden_block_count_z
      - .offset:         116
        .size:           2
        .value_kind:     hidden_group_size_x
      - .offset:         118
        .size:           2
        .value_kind:     hidden_group_size_y
      - .offset:         120
        .size:           2
        .value_kind:     hidden_group_size_z
      - .offset:         122
        .size:           2
        .value_kind:     hidden_remainder_x
      - .offset:         124
        .size:           2
        .value_kind:     hidden_remainder_y
      - .offset:         126
        .size:           2
        .value_kind:     hidden_remainder_z
      - .offset:         144
        .size:           8
        .value_kind:     hidden_global_offset_x
      - .offset:         152
        .size:           8
        .value_kind:     hidden_global_offset_y
      - .offset:         160
        .size:           8
        .value_kind:     hidden_global_offset_z
      - .offset:         168
        .size:           2
        .value_kind:     hidden_grid_dims
    .group_segment_fixed_size: 128
    .kernarg_segment_align: 8
    .kernarg_segment_size: 360
    .language:       OpenCL C
    .language_version:
      - 2
      - 0
    .max_flat_workgroup_size: 256
    .name:           _ZL23rocblas_gemvt_sn_kernelILb1ELi256ELi4ElDF16_ffEviiT4_lPKT3_lilS3_lilPT5_i
    .private_segment_fixed_size: 0
    .sgpr_count:     58
    .sgpr_spill_count: 0
    .symbol:         _ZL23rocblas_gemvt_sn_kernelILb1ELi256ELi4ElDF16_ffEviiT4_lPKT3_lilS3_lilPT5_i.kd
    .uniform_work_group_size: 1
    .uses_dynamic_stack: false
    .vgpr_count:     51
    .vgpr_spill_count: 0
    .wavefront_size: 32
    .workgroup_processor_mode: 1
  - .args:
      - .offset:         0
        .size:           4
        .value_kind:     by_value
      - .offset:         4
        .size:           4
        .value_kind:     by_value
      - .address_space:  global
        .offset:         8
        .size:           8
        .value_kind:     global_buffer
      - .offset:         16
        .size:           8
        .value_kind:     by_value
      - .address_space:  global
        .offset:         24
        .size:           8
        .value_kind:     global_buffer
      - .offset:         32
        .size:           8
        .value_kind:     by_value
      - .offset:         40
        .size:           4
        .value_kind:     by_value
      - .offset:         48
        .size:           8
        .value_kind:     by_value
      - .address_space:  global
        .offset:         56
        .size:           8
        .value_kind:     global_buffer
      - .offset:         64
        .size:           8
        .value_kind:     by_value
      - .offset:         72
        .size:           4
        .value_kind:     by_value
      - .offset:         80
        .size:           8
        .value_kind:     by_value
      - .address_space:  global
        .offset:         88
        .size:           8
        .value_kind:     global_buffer
      - .offset:         96
        .size:           8
        .value_kind:     by_value
      - .address_space:  global
        .offset:         104
        .size:           8
        .value_kind:     global_buffer
      - .offset:         112
        .size:           8
        .value_kind:     by_value
      - .offset:         120
        .size:           4
        .value_kind:     by_value
      - .offset:         128
        .size:           8
        .value_kind:     by_value
      - .offset:         136
        .size:           4
        .value_kind:     by_value
    .group_segment_fixed_size: 1024
    .kernarg_segment_align: 8
    .kernarg_segment_size: 140
    .language:       OpenCL C
    .language_version:
      - 2
      - 0
    .max_flat_workgroup_size: 256
    .name:           _ZL20rocblas_gemvt_kernelILb1ELi256EDF16_PKfDF16_EviiT2_lPKT1_lilS5_lilS2_lPT3_lili
    .private_segment_fixed_size: 0
    .sgpr_count:     28
    .sgpr_spill_count: 0
    .symbol:         _ZL20rocblas_gemvt_kernelILb1ELi256EDF16_PKfDF16_EviiT2_lPKT1_lilS5_lilS2_lPT3_lili.kd
    .uniform_work_group_size: 1
    .uses_dynamic_stack: false
    .vgpr_count:     10
    .vgpr_spill_count: 0
    .wavefront_size: 32
    .workgroup_processor_mode: 1
  - .args:
      - .offset:         0
        .size:           4
        .value_kind:     by_value
      - .offset:         4
        .size:           4
        .value_kind:     by_value
      - .offset:         8
        .size:           4
        .value_kind:     by_value
      - .offset:         16
        .size:           8
        .value_kind:     by_value
      - .address_space:  global
        .offset:         24
        .size:           8
        .value_kind:     global_buffer
      - .offset:         32
        .size:           8
        .value_kind:     by_value
      - .offset:         40
        .size:           4
        .value_kind:     by_value
      - .offset:         48
        .size:           8
        .value_kind:     by_value
      - .address_space:  global
        .offset:         56
        .size:           8
        .value_kind:     global_buffer
      - .offset:         64
        .size:           8
        .value_kind:     by_value
      - .offset:         72
        .size:           4
        .value_kind:     by_value
      - .offset:         80
        .size:           8
        .value_kind:     by_value
      - .offset:         88
        .size:           4
        .value_kind:     by_value
      - .offset:         96
        .size:           8
        .value_kind:     by_value
      - .address_space:  global
        .offset:         104
        .size:           8
        .value_kind:     global_buffer
      - .offset:         112
        .size:           8
        .value_kind:     by_value
      - .offset:         120
        .size:           4
        .value_kind:     by_value
      - .offset:         128
        .size:           8
        .value_kind:     by_value
      - .offset:         136
        .size:           4
        .value_kind:     by_value
    .group_segment_fixed_size: 1024
    .kernarg_segment_align: 8
    .kernarg_segment_size: 140
    .language:       OpenCL C
    .language_version:
      - 2
      - 0
    .max_flat_workgroup_size: 256
    .name:           _ZL20rocblas_gemvt_kernelILb1ELi256EDF16_fDF16_EviiT2_lPKT1_lilS3_lilS0_lPT3_lili
    .private_segment_fixed_size: 0
    .sgpr_count:     30
    .sgpr_spill_count: 0
    .symbol:         _ZL20rocblas_gemvt_kernelILb1ELi256EDF16_fDF16_EviiT2_lPKT1_lilS3_lilS0_lPT3_lili.kd
    .uniform_work_group_size: 1
    .uses_dynamic_stack: false
    .vgpr_count:     10
    .vgpr_spill_count: 0
    .wavefront_size: 32
    .workgroup_processor_mode: 1
  - .args:
      - .offset:         0
        .size:           4
        .value_kind:     by_value
      - .offset:         4
        .size:           4
        .value_kind:     by_value
      - .address_space:  global
        .offset:         8
        .size:           8
        .value_kind:     global_buffer
      - .offset:         16
        .size:           8
        .value_kind:     by_value
      - .address_space:  global
        .offset:         24
        .size:           8
        .value_kind:     global_buffer
      - .offset:         32
        .size:           8
        .value_kind:     by_value
      - .offset:         40
        .size:           4
        .value_kind:     by_value
      - .offset:         48
        .size:           8
        .value_kind:     by_value
      - .address_space:  global
        .offset:         56
        .size:           8
        .value_kind:     global_buffer
      - .offset:         64
        .size:           8
        .value_kind:     by_value
      - .offset:         72
        .size:           4
        .value_kind:     by_value
      - .offset:         80
        .size:           8
        .value_kind:     by_value
      - .address_space:  global
        .offset:         88
        .size:           8
        .value_kind:     global_buffer
      - .offset:         96
        .size:           8
        .value_kind:     by_value
      - .address_space:  global
        .offset:         104
        .size:           8
        .value_kind:     global_buffer
      - .offset:         112
        .size:           8
        .value_kind:     by_value
      - .offset:         120
        .size:           4
        .value_kind:     by_value
      - .offset:         128
        .size:           8
        .value_kind:     by_value
      - .offset:         136
        .size:           4
        .value_kind:     by_value
    .group_segment_fixed_size: 128
    .kernarg_segment_align: 8
    .kernarg_segment_size: 140
    .language:       OpenCL C
    .language_version:
      - 2
      - 0
    .max_flat_workgroup_size: 1024
    .name:           _ZL32rocblas_gemvt_warp_reduce_kernelILb1ELi1024EiDF16_PKfDF16_EviiT3_lPKT2_lT1_lS5_lS6_lS2_lPT4_lS6_li
    .private_segment_fixed_size: 0
    .sgpr_count:     27
    .sgpr_spill_count: 0
    .symbol:         _ZL32rocblas_gemvt_warp_reduce_kernelILb1ELi1024EiDF16_PKfDF16_EviiT3_lPKT2_lT1_lS5_lS6_lS2_lPT4_lS6_li.kd
    .uniform_work_group_size: 1
    .uses_dynamic_stack: false
    .vgpr_count:     11
    .vgpr_spill_count: 0
    .wavefront_size: 32
    .workgroup_processor_mode: 1
  - .args:
      - .offset:         0
        .size:           4
        .value_kind:     by_value
      - .offset:         4
        .size:           4
        .value_kind:     by_value
      - .address_space:  global
        .offset:         8
        .size:           8
        .value_kind:     global_buffer
      - .offset:         16
        .size:           8
        .value_kind:     by_value
      - .address_space:  global
        .offset:         24
        .size:           8
        .value_kind:     global_buffer
      - .offset:         32
        .size:           8
        .value_kind:     by_value
      - .offset:         40
        .size:           8
        .value_kind:     by_value
      - .offset:         48
        .size:           8
        .value_kind:     by_value
      - .address_space:  global
        .offset:         56
        .size:           8
        .value_kind:     global_buffer
      - .offset:         64
        .size:           8
        .value_kind:     by_value
      - .offset:         72
        .size:           8
        .value_kind:     by_value
      - .offset:         80
        .size:           8
        .value_kind:     by_value
      - .address_space:  global
        .offset:         88
        .size:           8
        .value_kind:     global_buffer
      - .offset:         96
        .size:           8
        .value_kind:     by_value
      - .address_space:  global
        .offset:         104
        .size:           8
        .value_kind:     global_buffer
      - .offset:         112
        .size:           8
        .value_kind:     by_value
      - .offset:         120
        .size:           8
        .value_kind:     by_value
      - .offset:         128
        .size:           8
        .value_kind:     by_value
      - .offset:         136
        .size:           4
        .value_kind:     by_value
    .group_segment_fixed_size: 128
    .kernarg_segment_align: 8
    .kernarg_segment_size: 140
    .language:       OpenCL C
    .language_version:
      - 2
      - 0
    .max_flat_workgroup_size: 1024
    .name:           _ZL32rocblas_gemvt_warp_reduce_kernelILb1ELi1024ElDF16_PKfDF16_EviiT3_lPKT2_lT1_lS5_lS6_lS2_lPT4_lS6_li
    .private_segment_fixed_size: 0
    .sgpr_count:     54
    .sgpr_spill_count: 0
    .symbol:         _ZL32rocblas_gemvt_warp_reduce_kernelILb1ELi1024ElDF16_PKfDF16_EviiT3_lPKT2_lT1_lS5_lS6_lS2_lPT4_lS6_li.kd
    .uniform_work_group_size: 1
    .uses_dynamic_stack: false
    .vgpr_count:     11
    .vgpr_spill_count: 0
    .wavefront_size: 32
    .workgroup_processor_mode: 1
  - .args:
      - .offset:         0
        .size:           4
        .value_kind:     by_value
      - .offset:         4
        .size:           4
        .value_kind:     by_value
      - .offset:         8
        .size:           4
        .value_kind:     by_value
      - .offset:         16
        .size:           8
        .value_kind:     by_value
      - .address_space:  global
        .offset:         24
        .size:           8
        .value_kind:     global_buffer
      - .offset:         32
        .size:           8
        .value_kind:     by_value
      - .offset:         40
        .size:           4
        .value_kind:     by_value
      - .offset:         48
        .size:           8
        .value_kind:     by_value
      - .address_space:  global
        .offset:         56
        .size:           8
        .value_kind:     global_buffer
      - .offset:         64
        .size:           8
        .value_kind:     by_value
      - .offset:         72
        .size:           4
        .value_kind:     by_value
      - .offset:         80
        .size:           8
        .value_kind:     by_value
      - .offset:         88
        .size:           4
        .value_kind:     by_value
      - .offset:         96
        .size:           8
        .value_kind:     by_value
      - .address_space:  global
        .offset:         104
        .size:           8
        .value_kind:     global_buffer
      - .offset:         112
        .size:           8
        .value_kind:     by_value
      - .offset:         120
        .size:           4
        .value_kind:     by_value
      - .offset:         128
        .size:           8
        .value_kind:     by_value
      - .offset:         136
        .size:           4
        .value_kind:     by_value
    .group_segment_fixed_size: 128
    .kernarg_segment_align: 8
    .kernarg_segment_size: 140
    .language:       OpenCL C
    .language_version:
      - 2
      - 0
    .max_flat_workgroup_size: 1024
    .name:           _ZL32rocblas_gemvt_warp_reduce_kernelILb1ELi1024EiDF16_fDF16_EviiT3_lPKT2_lT1_lS3_lS4_lS0_lPT4_lS4_li
    .private_segment_fixed_size: 0
    .sgpr_count:     26
    .sgpr_spill_count: 0
    .symbol:         _ZL32rocblas_gemvt_warp_reduce_kernelILb1ELi1024EiDF16_fDF16_EviiT3_lPKT2_lT1_lS3_lS4_lS0_lPT4_lS4_li.kd
    .uniform_work_group_size: 1
    .uses_dynamic_stack: false
    .vgpr_count:     11
    .vgpr_spill_count: 0
    .wavefront_size: 32
    .workgroup_processor_mode: 1
  - .args:
      - .offset:         0
        .size:           4
        .value_kind:     by_value
      - .offset:         4
        .size:           4
        .value_kind:     by_value
      - .offset:         8
        .size:           4
        .value_kind:     by_value
      - .offset:         16
        .size:           8
        .value_kind:     by_value
      - .address_space:  global
        .offset:         24
        .size:           8
        .value_kind:     global_buffer
      - .offset:         32
        .size:           8
        .value_kind:     by_value
      - .offset:         40
        .size:           8
        .value_kind:     by_value
      - .offset:         48
        .size:           8
        .value_kind:     by_value
      - .address_space:  global
        .offset:         56
        .size:           8
        .value_kind:     global_buffer
      - .offset:         64
        .size:           8
        .value_kind:     by_value
      - .offset:         72
        .size:           8
        .value_kind:     by_value
      - .offset:         80
        .size:           8
        .value_kind:     by_value
      - .offset:         88
        .size:           4
        .value_kind:     by_value
      - .offset:         96
        .size:           8
        .value_kind:     by_value
      - .address_space:  global
        .offset:         104
        .size:           8
        .value_kind:     global_buffer
      - .offset:         112
        .size:           8
        .value_kind:     by_value
      - .offset:         120
        .size:           8
        .value_kind:     by_value
      - .offset:         128
        .size:           8
        .value_kind:     by_value
      - .offset:         136
        .size:           4
        .value_kind:     by_value
    .group_segment_fixed_size: 128
    .kernarg_segment_align: 8
    .kernarg_segment_size: 140
    .language:       OpenCL C
    .language_version:
      - 2
      - 0
    .max_flat_workgroup_size: 1024
    .name:           _ZL32rocblas_gemvt_warp_reduce_kernelILb1ELi1024ElDF16_fDF16_EviiT3_lPKT2_lT1_lS3_lS4_lS0_lPT4_lS4_li
    .private_segment_fixed_size: 0
    .sgpr_count:     36
    .sgpr_spill_count: 0
    .symbol:         _ZL32rocblas_gemvt_warp_reduce_kernelILb1ELi1024ElDF16_fDF16_EviiT3_lPKT2_lT1_lS3_lS4_lS0_lPT4_lS4_li.kd
    .uniform_work_group_size: 1
    .uses_dynamic_stack: false
    .vgpr_count:     11
    .vgpr_spill_count: 0
    .wavefront_size: 32
    .workgroup_processor_mode: 1
  - .args:
      - .offset:         0
        .size:           4
        .value_kind:     by_value
      - .offset:         4
        .size:           4
        .value_kind:     by_value
      - .address_space:  global
        .offset:         8
        .size:           8
        .value_kind:     global_buffer
      - .offset:         16
        .size:           8
        .value_kind:     by_value
      - .address_space:  global
        .offset:         24
        .size:           8
        .value_kind:     global_buffer
      - .offset:         32
        .size:           8
        .value_kind:     by_value
      - .offset:         40
        .size:           4
        .value_kind:     by_value
      - .offset:         48
        .size:           8
        .value_kind:     by_value
      - .address_space:  global
        .offset:         56
        .size:           8
        .value_kind:     global_buffer
      - .offset:         64
        .size:           8
        .value_kind:     by_value
      - .offset:         72
        .size:           4
        .value_kind:     by_value
      - .offset:         80
        .size:           8
        .value_kind:     by_value
      - .address_space:  global
        .offset:         88
        .size:           8
        .value_kind:     global_buffer
      - .offset:         96
        .size:           8
        .value_kind:     by_value
      - .address_space:  global
        .offset:         104
        .size:           8
        .value_kind:     global_buffer
      - .offset:         112
        .size:           8
        .value_kind:     by_value
      - .offset:         120
        .size:           4
        .value_kind:     by_value
      - .offset:         128
        .size:           8
        .value_kind:     by_value
      - .offset:         136
        .size:           4
        .value_kind:     by_value
    .group_segment_fixed_size: 0
    .kernarg_segment_align: 8
    .kernarg_segment_size: 140
    .language:       OpenCL C
    .language_version:
      - 2
      - 0
    .max_flat_workgroup_size: 768
    .name:           _ZL34rocblas_gemvn_sm_mn_batched_kernelILi32ELi24EPKDF16_PKfKPDF16_EviiT2_lPKT1_lilS9_lilS6_lPT3_lili
    .private_segment_fixed_size: 0
    .sgpr_count:     0
    .sgpr_spill_count: 0
    .symbol:         _ZL34rocblas_gemvn_sm_mn_batched_kernelILi32ELi24EPKDF16_PKfKPDF16_EviiT2_lPKT1_lilS9_lilS6_lPT3_lili.kd
    .uniform_work_group_size: 1
    .uses_dynamic_stack: false
    .vgpr_count:     0
    .vgpr_spill_count: 0
    .wavefront_size: 32
    .workgroup_processor_mode: 1
  - .args:
      - .offset:         0
        .size:           4
        .value_kind:     by_value
      - .offset:         4
        .size:           4
        .value_kind:     by_value
      - .offset:         8
        .size:           4
        .value_kind:     by_value
      - .offset:         16
        .size:           8
        .value_kind:     by_value
      - .address_space:  global
        .offset:         24
        .size:           8
        .value_kind:     global_buffer
      - .offset:         32
        .size:           8
        .value_kind:     by_value
      - .offset:         40
        .size:           4
        .value_kind:     by_value
      - .offset:         48
        .size:           8
        .value_kind:     by_value
      - .address_space:  global
        .offset:         56
        .size:           8
        .value_kind:     global_buffer
      - .offset:         64
        .size:           8
        .value_kind:     by_value
      - .offset:         72
        .size:           4
        .value_kind:     by_value
      - .offset:         80
        .size:           8
        .value_kind:     by_value
      - .offset:         88
        .size:           4
        .value_kind:     by_value
      - .offset:         96
        .size:           8
        .value_kind:     by_value
      - .address_space:  global
        .offset:         104
        .size:           8
        .value_kind:     global_buffer
      - .offset:         112
        .size:           8
        .value_kind:     by_value
      - .offset:         120
        .size:           4
        .value_kind:     by_value
      - .offset:         128
        .size:           8
        .value_kind:     by_value
      - .offset:         136
        .size:           4
        .value_kind:     by_value
    .group_segment_fixed_size: 0
    .kernarg_segment_align: 8
    .kernarg_segment_size: 140
    .language:       OpenCL C
    .language_version:
      - 2
      - 0
    .max_flat_workgroup_size: 768
    .name:           _ZL34rocblas_gemvn_sm_mn_batched_kernelILi32ELi24EPKDF16_fKPDF16_EviiT2_lPKT1_lilS7_lilS4_lPT3_lili
    .private_segment_fixed_size: 0
    .sgpr_count:     0
    .sgpr_spill_count: 0
    .symbol:         _ZL34rocblas_gemvn_sm_mn_batched_kernelILi32ELi24EPKDF16_fKPDF16_EviiT2_lPKT1_lilS7_lilS4_lPT3_lili.kd
    .uniform_work_group_size: 1
    .uses_dynamic_stack: false
    .vgpr_count:     0
    .vgpr_spill_count: 0
    .wavefront_size: 32
    .workgroup_processor_mode: 1
  - .args:
      - .offset:         0
        .size:           4
        .value_kind:     by_value
      - .offset:         4
        .size:           4
        .value_kind:     by_value
      - .address_space:  global
        .offset:         8
        .size:           8
        .value_kind:     global_buffer
      - .offset:         16
        .size:           8
        .value_kind:     by_value
      - .address_space:  global
        .offset:         24
        .size:           8
        .value_kind:     global_buffer
      - .offset:         32
        .size:           8
        .value_kind:     by_value
      - .offset:         40
        .size:           4
        .value_kind:     by_value
      - .offset:         48
        .size:           8
        .value_kind:     by_value
      - .address_space:  global
        .offset:         56
        .size:           8
        .value_kind:     global_buffer
      - .offset:         64
        .size:           8
        .value_kind:     by_value
      - .offset:         72
        .size:           4
        .value_kind:     by_value
      - .offset:         80
        .size:           8
        .value_kind:     by_value
      - .address_space:  global
        .offset:         88
        .size:           8
        .value_kind:     global_buffer
      - .offset:         96
        .size:           8
        .value_kind:     by_value
      - .address_space:  global
        .offset:         104
        .size:           8
        .value_kind:     global_buffer
      - .offset:         112
        .size:           8
        .value_kind:     by_value
      - .offset:         120
        .size:           4
        .value_kind:     by_value
      - .offset:         128
        .size:           8
        .value_kind:     by_value
      - .offset:         136
        .size:           4
        .value_kind:     by_value
      - .offset:         144
        .size:           4
        .value_kind:     hidden_block_count_x
      - .offset:         148
        .size:           4
        .value_kind:     hidden_block_count_y
      - .offset:         152
        .size:           4
        .value_kind:     hidden_block_count_z
      - .offset:         156
        .size:           2
        .value_kind:     hidden_group_size_x
      - .offset:         158
        .size:           2
        .value_kind:     hidden_group_size_y
      - .offset:         160
        .size:           2
        .value_kind:     hidden_group_size_z
      - .offset:         162
        .size:           2
        .value_kind:     hidden_remainder_x
      - .offset:         164
        .size:           2
        .value_kind:     hidden_remainder_y
      - .offset:         166
        .size:           2
        .value_kind:     hidden_remainder_z
      - .offset:         184
        .size:           8
        .value_kind:     hidden_global_offset_x
      - .offset:         192
        .size:           8
        .value_kind:     hidden_global_offset_y
      - .offset:         200
        .size:           8
        .value_kind:     hidden_global_offset_z
      - .offset:         208
        .size:           2
        .value_kind:     hidden_grid_dims
    .group_segment_fixed_size: 4096
    .kernarg_segment_align: 8
    .kernarg_segment_size: 400
    .language:       OpenCL C
    .language_version:
      - 2
      - 0
    .max_flat_workgroup_size: 256
    .name:           _ZL20rocblas_gemvn_kernelILi64ELi4EiPKDF16_PKfKPDF16_EviiT3_lPKT2_lT1_lS9_lSA_lS6_lPT4_lSA_li
    .private_segment_fixed_size: 0
    .sgpr_count:     30
    .sgpr_spill_count: 0
    .symbol:         _ZL20rocblas_gemvn_kernelILi64ELi4EiPKDF16_PKfKPDF16_EviiT3_lPKT2_lT1_lS9_lSA_lS6_lPT4_lSA_li.kd
    .uniform_work_group_size: 1
    .uses_dynamic_stack: false
    .vgpr_count:     45
    .vgpr_spill_count: 0
    .wavefront_size: 32
    .workgroup_processor_mode: 1
  - .args:
      - .offset:         0
        .size:           4
        .value_kind:     by_value
      - .offset:         4
        .size:           4
        .value_kind:     by_value
      - .address_space:  global
        .offset:         8
        .size:           8
        .value_kind:     global_buffer
      - .offset:         16
        .size:           8
        .value_kind:     by_value
      - .address_space:  global
        .offset:         24
        .size:           8
        .value_kind:     global_buffer
      - .offset:         32
        .size:           8
        .value_kind:     by_value
      - .offset:         40
        .size:           8
        .value_kind:     by_value
      - .offset:         48
        .size:           8
        .value_kind:     by_value
      - .address_space:  global
        .offset:         56
        .size:           8
        .value_kind:     global_buffer
      - .offset:         64
        .size:           8
        .value_kind:     by_value
      - .offset:         72
        .size:           8
        .value_kind:     by_value
      - .offset:         80
        .size:           8
        .value_kind:     by_value
      - .address_space:  global
        .offset:         88
        .size:           8
        .value_kind:     global_buffer
      - .offset:         96
        .size:           8
        .value_kind:     by_value
      - .address_space:  global
        .offset:         104
        .size:           8
        .value_kind:     global_buffer
      - .offset:         112
        .size:           8
        .value_kind:     by_value
      - .offset:         120
        .size:           8
        .value_kind:     by_value
      - .offset:         128
        .size:           8
        .value_kind:     by_value
      - .offset:         136
        .size:           4
        .value_kind:     by_value
      - .offset:         144
        .size:           4
        .value_kind:     hidden_block_count_x
      - .offset:         148
        .size:           4
        .value_kind:     hidden_block_count_y
      - .offset:         152
        .size:           4
        .value_kind:     hidden_block_count_z
      - .offset:         156
        .size:           2
        .value_kind:     hidden_group_size_x
      - .offset:         158
        .size:           2
        .value_kind:     hidden_group_size_y
      - .offset:         160
        .size:           2
        .value_kind:     hidden_group_size_z
      - .offset:         162
        .size:           2
        .value_kind:     hidden_remainder_x
      - .offset:         164
        .size:           2
        .value_kind:     hidden_remainder_y
      - .offset:         166
        .size:           2
        .value_kind:     hidden_remainder_z
      - .offset:         184
        .size:           8
        .value_kind:     hidden_global_offset_x
      - .offset:         192
        .size:           8
        .value_kind:     hidden_global_offset_y
      - .offset:         200
        .size:           8
        .value_kind:     hidden_global_offset_z
      - .offset:         208
        .size:           2
        .value_kind:     hidden_grid_dims
    .group_segment_fixed_size: 4096
    .kernarg_segment_align: 8
    .kernarg_segment_size: 400
    .language:       OpenCL C
    .language_version:
      - 2
      - 0
    .max_flat_workgroup_size: 256
    .name:           _ZL20rocblas_gemvn_kernelILi64ELi4ElPKDF16_PKfKPDF16_EviiT3_lPKT2_lT1_lS9_lSA_lS6_lPT4_lSA_li
    .private_segment_fixed_size: 0
    .sgpr_count:     37
    .sgpr_spill_count: 0
    .symbol:         _ZL20rocblas_gemvn_kernelILi64ELi4ElPKDF16_PKfKPDF16_EviiT3_lPKT2_lT1_lS9_lSA_lS6_lPT4_lSA_li.kd
    .uniform_work_group_size: 1
    .uses_dynamic_stack: false
    .vgpr_count:     55
    .vgpr_spill_count: 0
    .wavefront_size: 32
    .workgroup_processor_mode: 1
  - .args:
      - .offset:         0
        .size:           4
        .value_kind:     by_value
      - .offset:         4
        .size:           4
        .value_kind:     by_value
      - .offset:         8
        .size:           4
        .value_kind:     by_value
      - .offset:         16
        .size:           8
        .value_kind:     by_value
      - .address_space:  global
        .offset:         24
        .size:           8
        .value_kind:     global_buffer
      - .offset:         32
        .size:           8
        .value_kind:     by_value
      - .offset:         40
        .size:           4
        .value_kind:     by_value
      - .offset:         48
        .size:           8
        .value_kind:     by_value
      - .address_space:  global
        .offset:         56
        .size:           8
        .value_kind:     global_buffer
      - .offset:         64
        .size:           8
        .value_kind:     by_value
      - .offset:         72
        .size:           4
        .value_kind:     by_value
      - .offset:         80
        .size:           8
        .value_kind:     by_value
      - .offset:         88
        .size:           4
        .value_kind:     by_value
      - .offset:         96
        .size:           8
        .value_kind:     by_value
      - .address_space:  global
        .offset:         104
        .size:           8
        .value_kind:     global_buffer
      - .offset:         112
        .size:           8
        .value_kind:     by_value
      - .offset:         120
        .size:           4
        .value_kind:     by_value
      - .offset:         128
        .size:           8
        .value_kind:     by_value
      - .offset:         136
        .size:           4
        .value_kind:     by_value
      - .offset:         144
        .size:           4
        .value_kind:     hidden_block_count_x
      - .offset:         148
        .size:           4
        .value_kind:     hidden_block_count_y
      - .offset:         152
        .size:           4
        .value_kind:     hidden_block_count_z
      - .offset:         156
        .size:           2
        .value_kind:     hidden_group_size_x
      - .offset:         158
        .size:           2
        .value_kind:     hidden_group_size_y
      - .offset:         160
        .size:           2
        .value_kind:     hidden_group_size_z
      - .offset:         162
        .size:           2
        .value_kind:     hidden_remainder_x
      - .offset:         164
        .size:           2
        .value_kind:     hidden_remainder_y
      - .offset:         166
        .size:           2
        .value_kind:     hidden_remainder_z
      - .offset:         184
        .size:           8
        .value_kind:     hidden_global_offset_x
      - .offset:         192
        .size:           8
        .value_kind:     hidden_global_offset_y
      - .offset:         200
        .size:           8
        .value_kind:     hidden_global_offset_z
      - .offset:         208
        .size:           2
        .value_kind:     hidden_grid_dims
    .group_segment_fixed_size: 4096
    .kernarg_segment_align: 8
    .kernarg_segment_size: 400
    .language:       OpenCL C
    .language_version:
      - 2
      - 0
    .max_flat_workgroup_size: 256
    .name:           _ZL20rocblas_gemvn_kernelILi64ELi4EiPKDF16_fKPDF16_EviiT3_lPKT2_lT1_lS7_lS8_lS4_lPT4_lS8_li
    .private_segment_fixed_size: 0
    .sgpr_count:     30
    .sgpr_spill_count: 0
    .symbol:         _ZL20rocblas_gemvn_kernelILi64ELi4EiPKDF16_fKPDF16_EviiT3_lPKT2_lT1_lS7_lS8_lS4_lPT4_lS8_li.kd
    .uniform_work_group_size: 1
    .uses_dynamic_stack: false
    .vgpr_count:     45
    .vgpr_spill_count: 0
    .wavefront_size: 32
    .workgroup_processor_mode: 1
  - .args:
      - .offset:         0
        .size:           4
        .value_kind:     by_value
      - .offset:         4
        .size:           4
        .value_kind:     by_value
      - .offset:         8
        .size:           4
        .value_kind:     by_value
      - .offset:         16
        .size:           8
        .value_kind:     by_value
      - .address_space:  global
        .offset:         24
        .size:           8
        .value_kind:     global_buffer
      - .offset:         32
        .size:           8
        .value_kind:     by_value
      - .offset:         40
        .size:           8
        .value_kind:     by_value
      - .offset:         48
        .size:           8
        .value_kind:     by_value
      - .address_space:  global
        .offset:         56
        .size:           8
        .value_kind:     global_buffer
      - .offset:         64
        .size:           8
        .value_kind:     by_value
      - .offset:         72
        .size:           8
        .value_kind:     by_value
      - .offset:         80
        .size:           8
        .value_kind:     by_value
      - .offset:         88
        .size:           4
        .value_kind:     by_value
      - .offset:         96
        .size:           8
        .value_kind:     by_value
      - .address_space:  global
        .offset:         104
        .size:           8
        .value_kind:     global_buffer
      - .offset:         112
        .size:           8
        .value_kind:     by_value
      - .offset:         120
        .size:           8
        .value_kind:     by_value
      - .offset:         128
        .size:           8
        .value_kind:     by_value
      - .offset:         136
        .size:           4
        .value_kind:     by_value
      - .offset:         144
        .size:           4
        .value_kind:     hidden_block_count_x
      - .offset:         148
        .size:           4
        .value_kind:     hidden_block_count_y
      - .offset:         152
        .size:           4
        .value_kind:     hidden_block_count_z
      - .offset:         156
        .size:           2
        .value_kind:     hidden_group_size_x
      - .offset:         158
        .size:           2
        .value_kind:     hidden_group_size_y
      - .offset:         160
        .size:           2
        .value_kind:     hidden_group_size_z
      - .offset:         162
        .size:           2
        .value_kind:     hidden_remainder_x
      - .offset:         164
        .size:           2
        .value_kind:     hidden_remainder_y
      - .offset:         166
        .size:           2
        .value_kind:     hidden_remainder_z
      - .offset:         184
        .size:           8
        .value_kind:     hidden_global_offset_x
      - .offset:         192
        .size:           8
        .value_kind:     hidden_global_offset_y
      - .offset:         200
        .size:           8
        .value_kind:     hidden_global_offset_z
      - .offset:         208
        .size:           2
        .value_kind:     hidden_grid_dims
    .group_segment_fixed_size: 4096
    .kernarg_segment_align: 8
    .kernarg_segment_size: 400
    .language:       OpenCL C
    .language_version:
      - 2
      - 0
    .max_flat_workgroup_size: 256
    .name:           _ZL20rocblas_gemvn_kernelILi64ELi4ElPKDF16_fKPDF16_EviiT3_lPKT2_lT1_lS7_lS8_lS4_lPT4_lS8_li
    .private_segment_fixed_size: 0
    .sgpr_count:     37
    .sgpr_spill_count: 0
    .symbol:         _ZL20rocblas_gemvn_kernelILi64ELi4ElPKDF16_fKPDF16_EviiT3_lPKT2_lT1_lS7_lS8_lS4_lPT4_lS8_li.kd
    .uniform_work_group_size: 1
    .uses_dynamic_stack: false
    .vgpr_count:     55
    .vgpr_spill_count: 0
    .wavefront_size: 32
    .workgroup_processor_mode: 1
  - .args:
      - .offset:         0
        .size:           4
        .value_kind:     by_value
      - .offset:         4
        .size:           4
        .value_kind:     by_value
      - .address_space:  global
        .offset:         8
        .size:           8
        .value_kind:     global_buffer
      - .offset:         16
        .size:           8
        .value_kind:     by_value
      - .address_space:  global
        .offset:         24
        .size:           8
        .value_kind:     global_buffer
      - .offset:         32
        .size:           8
        .value_kind:     by_value
      - .offset:         40
        .size:           4
        .value_kind:     by_value
      - .offset:         48
        .size:           8
        .value_kind:     by_value
      - .address_space:  global
        .offset:         56
        .size:           8
        .value_kind:     global_buffer
      - .offset:         64
        .size:           8
        .value_kind:     by_value
      - .offset:         72
        .size:           4
        .value_kind:     by_value
      - .offset:         80
        .size:           8
        .value_kind:     by_value
      - .address_space:  global
        .offset:         88
        .size:           8
        .value_kind:     global_buffer
      - .offset:         96
        .size:           8
        .value_kind:     by_value
      - .address_space:  global
        .offset:         104
        .size:           8
        .value_kind:     global_buffer
      - .offset:         112
        .size:           8
        .value_kind:     by_value
      - .offset:         120
        .size:           4
        .value_kind:     by_value
      - .offset:         128
        .size:           8
        .value_kind:     by_value
      - .offset:         136
        .size:           4
        .value_kind:     by_value
      - .offset:         144
        .size:           4
        .value_kind:     hidden_block_count_x
      - .offset:         148
        .size:           4
        .value_kind:     hidden_block_count_y
      - .offset:         152
        .size:           4
        .value_kind:     hidden_block_count_z
      - .offset:         156
        .size:           2
        .value_kind:     hidden_group_size_x
      - .offset:         158
        .size:           2
        .value_kind:     hidden_group_size_y
      - .offset:         160
        .size:           2
        .value_kind:     hidden_group_size_z
      - .offset:         162
        .size:           2
        .value_kind:     hidden_remainder_x
      - .offset:         164
        .size:           2
        .value_kind:     hidden_remainder_y
      - .offset:         166
        .size:           2
        .value_kind:     hidden_remainder_z
      - .offset:         184
        .size:           8
        .value_kind:     hidden_global_offset_x
      - .offset:         192
        .size:           8
        .value_kind:     hidden_global_offset_y
      - .offset:         200
        .size:           8
        .value_kind:     hidden_global_offset_z
      - .offset:         208
        .size:           2
        .value_kind:     hidden_grid_dims
    .group_segment_fixed_size: 8192
    .kernarg_segment_align: 8
    .kernarg_segment_size: 400
    .language:       OpenCL C
    .language_version:
      - 2
      - 0
    .max_flat_workgroup_size: 512
    .name:           _ZL20rocblas_gemvn_kernelILi32ELi16EiPKDF16_PKfKPDF16_EviiT3_lPKT2_lT1_lS9_lSA_lS6_lPT4_lSA_li
    .private_segment_fixed_size: 0
    .sgpr_count:     30
    .sgpr_spill_count: 0
    .symbol:         _ZL20rocblas_gemvn_kernelILi32ELi16EiPKDF16_PKfKPDF16_EviiT3_lPKT2_lT1_lS9_lSA_lS6_lPT4_lSA_li.kd
    .uniform_work_group_size: 1
    .uses_dynamic_stack: false
    .vgpr_count:     45
    .vgpr_spill_count: 0
    .wavefront_size: 32
    .workgroup_processor_mode: 1
  - .args:
      - .offset:         0
        .size:           4
        .value_kind:     by_value
      - .offset:         4
        .size:           4
        .value_kind:     by_value
      - .address_space:  global
        .offset:         8
        .size:           8
        .value_kind:     global_buffer
      - .offset:         16
        .size:           8
        .value_kind:     by_value
      - .address_space:  global
        .offset:         24
        .size:           8
        .value_kind:     global_buffer
      - .offset:         32
        .size:           8
        .value_kind:     by_value
      - .offset:         40
        .size:           8
        .value_kind:     by_value
      - .offset:         48
        .size:           8
        .value_kind:     by_value
      - .address_space:  global
        .offset:         56
        .size:           8
        .value_kind:     global_buffer
      - .offset:         64
        .size:           8
        .value_kind:     by_value
      - .offset:         72
        .size:           8
        .value_kind:     by_value
      - .offset:         80
        .size:           8
        .value_kind:     by_value
      - .address_space:  global
        .offset:         88
        .size:           8
        .value_kind:     global_buffer
      - .offset:         96
        .size:           8
        .value_kind:     by_value
      - .address_space:  global
        .offset:         104
        .size:           8
        .value_kind:     global_buffer
      - .offset:         112
        .size:           8
        .value_kind:     by_value
      - .offset:         120
        .size:           8
        .value_kind:     by_value
      - .offset:         128
        .size:           8
        .value_kind:     by_value
      - .offset:         136
        .size:           4
        .value_kind:     by_value
      - .offset:         144
        .size:           4
        .value_kind:     hidden_block_count_x
      - .offset:         148
        .size:           4
        .value_kind:     hidden_block_count_y
      - .offset:         152
        .size:           4
        .value_kind:     hidden_block_count_z
      - .offset:         156
        .size:           2
        .value_kind:     hidden_group_size_x
      - .offset:         158
        .size:           2
        .value_kind:     hidden_group_size_y
      - .offset:         160
        .size:           2
        .value_kind:     hidden_group_size_z
      - .offset:         162
        .size:           2
        .value_kind:     hidden_remainder_x
      - .offset:         164
        .size:           2
        .value_kind:     hidden_remainder_y
      - .offset:         166
        .size:           2
        .value_kind:     hidden_remainder_z
      - .offset:         184
        .size:           8
        .value_kind:     hidden_global_offset_x
      - .offset:         192
        .size:           8
        .value_kind:     hidden_global_offset_y
      - .offset:         200
        .size:           8
        .value_kind:     hidden_global_offset_z
      - .offset:         208
        .size:           2
        .value_kind:     hidden_grid_dims
    .group_segment_fixed_size: 8192
    .kernarg_segment_align: 8
    .kernarg_segment_size: 400
    .language:       OpenCL C
    .language_version:
      - 2
      - 0
    .max_flat_workgroup_size: 512
    .name:           _ZL20rocblas_gemvn_kernelILi32ELi16ElPKDF16_PKfKPDF16_EviiT3_lPKT2_lT1_lS9_lSA_lS6_lPT4_lSA_li
    .private_segment_fixed_size: 0
    .sgpr_count:     37
    .sgpr_spill_count: 0
    .symbol:         _ZL20rocblas_gemvn_kernelILi32ELi16ElPKDF16_PKfKPDF16_EviiT3_lPKT2_lT1_lS9_lSA_lS6_lPT4_lSA_li.kd
    .uniform_work_group_size: 1
    .uses_dynamic_stack: false
    .vgpr_count:     55
    .vgpr_spill_count: 0
    .wavefront_size: 32
    .workgroup_processor_mode: 1
  - .args:
      - .offset:         0
        .size:           4
        .value_kind:     by_value
      - .offset:         4
        .size:           4
        .value_kind:     by_value
      - .offset:         8
        .size:           4
        .value_kind:     by_value
      - .offset:         16
        .size:           8
        .value_kind:     by_value
      - .address_space:  global
        .offset:         24
        .size:           8
        .value_kind:     global_buffer
      - .offset:         32
        .size:           8
        .value_kind:     by_value
      - .offset:         40
        .size:           4
        .value_kind:     by_value
      - .offset:         48
        .size:           8
        .value_kind:     by_value
      - .address_space:  global
        .offset:         56
        .size:           8
        .value_kind:     global_buffer
      - .offset:         64
        .size:           8
        .value_kind:     by_value
      - .offset:         72
        .size:           4
        .value_kind:     by_value
      - .offset:         80
        .size:           8
        .value_kind:     by_value
      - .offset:         88
        .size:           4
        .value_kind:     by_value
      - .offset:         96
        .size:           8
        .value_kind:     by_value
      - .address_space:  global
        .offset:         104
        .size:           8
        .value_kind:     global_buffer
      - .offset:         112
        .size:           8
        .value_kind:     by_value
      - .offset:         120
        .size:           4
        .value_kind:     by_value
      - .offset:         128
        .size:           8
        .value_kind:     by_value
      - .offset:         136
        .size:           4
        .value_kind:     by_value
      - .offset:         144
        .size:           4
        .value_kind:     hidden_block_count_x
      - .offset:         148
        .size:           4
        .value_kind:     hidden_block_count_y
      - .offset:         152
        .size:           4
        .value_kind:     hidden_block_count_z
      - .offset:         156
        .size:           2
        .value_kind:     hidden_group_size_x
      - .offset:         158
        .size:           2
        .value_kind:     hidden_group_size_y
      - .offset:         160
        .size:           2
        .value_kind:     hidden_group_size_z
      - .offset:         162
        .size:           2
        .value_kind:     hidden_remainder_x
      - .offset:         164
        .size:           2
        .value_kind:     hidden_remainder_y
      - .offset:         166
        .size:           2
        .value_kind:     hidden_remainder_z
      - .offset:         184
        .size:           8
        .value_kind:     hidden_global_offset_x
      - .offset:         192
        .size:           8
        .value_kind:     hidden_global_offset_y
      - .offset:         200
        .size:           8
        .value_kind:     hidden_global_offset_z
      - .offset:         208
        .size:           2
        .value_kind:     hidden_grid_dims
    .group_segment_fixed_size: 8192
    .kernarg_segment_align: 8
    .kernarg_segment_size: 400
    .language:       OpenCL C
    .language_version:
      - 2
      - 0
    .max_flat_workgroup_size: 512
    .name:           _ZL20rocblas_gemvn_kernelILi32ELi16EiPKDF16_fKPDF16_EviiT3_lPKT2_lT1_lS7_lS8_lS4_lPT4_lS8_li
    .private_segment_fixed_size: 0
    .sgpr_count:     30
    .sgpr_spill_count: 0
    .symbol:         _ZL20rocblas_gemvn_kernelILi32ELi16EiPKDF16_fKPDF16_EviiT3_lPKT2_lT1_lS7_lS8_lS4_lPT4_lS8_li.kd
    .uniform_work_group_size: 1
    .uses_dynamic_stack: false
    .vgpr_count:     45
    .vgpr_spill_count: 0
    .wavefront_size: 32
    .workgroup_processor_mode: 1
  - .args:
      - .offset:         0
        .size:           4
        .value_kind:     by_value
      - .offset:         4
        .size:           4
        .value_kind:     by_value
      - .offset:         8
        .size:           4
        .value_kind:     by_value
      - .offset:         16
        .size:           8
        .value_kind:     by_value
      - .address_space:  global
        .offset:         24
        .size:           8
        .value_kind:     global_buffer
      - .offset:         32
        .size:           8
        .value_kind:     by_value
      - .offset:         40
        .size:           8
        .value_kind:     by_value
      - .offset:         48
        .size:           8
        .value_kind:     by_value
      - .address_space:  global
        .offset:         56
        .size:           8
        .value_kind:     global_buffer
      - .offset:         64
        .size:           8
        .value_kind:     by_value
      - .offset:         72
        .size:           8
        .value_kind:     by_value
      - .offset:         80
        .size:           8
        .value_kind:     by_value
      - .offset:         88
        .size:           4
        .value_kind:     by_value
      - .offset:         96
        .size:           8
        .value_kind:     by_value
      - .address_space:  global
        .offset:         104
        .size:           8
        .value_kind:     global_buffer
      - .offset:         112
        .size:           8
        .value_kind:     by_value
      - .offset:         120
        .size:           8
        .value_kind:     by_value
      - .offset:         128
        .size:           8
        .value_kind:     by_value
      - .offset:         136
        .size:           4
        .value_kind:     by_value
      - .offset:         144
        .size:           4
        .value_kind:     hidden_block_count_x
      - .offset:         148
        .size:           4
        .value_kind:     hidden_block_count_y
      - .offset:         152
        .size:           4
        .value_kind:     hidden_block_count_z
      - .offset:         156
        .size:           2
        .value_kind:     hidden_group_size_x
      - .offset:         158
        .size:           2
        .value_kind:     hidden_group_size_y
      - .offset:         160
        .size:           2
        .value_kind:     hidden_group_size_z
      - .offset:         162
        .size:           2
        .value_kind:     hidden_remainder_x
      - .offset:         164
        .size:           2
        .value_kind:     hidden_remainder_y
      - .offset:         166
        .size:           2
        .value_kind:     hidden_remainder_z
      - .offset:         184
        .size:           8
        .value_kind:     hidden_global_offset_x
      - .offset:         192
        .size:           8
        .value_kind:     hidden_global_offset_y
      - .offset:         200
        .size:           8
        .value_kind:     hidden_global_offset_z
      - .offset:         208
        .size:           2
        .value_kind:     hidden_grid_dims
    .group_segment_fixed_size: 8192
    .kernarg_segment_align: 8
    .kernarg_segment_size: 400
    .language:       OpenCL C
    .language_version:
      - 2
      - 0
    .max_flat_workgroup_size: 512
    .name:           _ZL20rocblas_gemvn_kernelILi32ELi16ElPKDF16_fKPDF16_EviiT3_lPKT2_lT1_lS7_lS8_lS4_lPT4_lS8_li
    .private_segment_fixed_size: 0
    .sgpr_count:     37
    .sgpr_spill_count: 0
    .symbol:         _ZL20rocblas_gemvn_kernelILi32ELi16ElPKDF16_fKPDF16_EviiT3_lPKT2_lT1_lS7_lS8_lS4_lPT4_lS8_li.kd
    .uniform_work_group_size: 1
    .uses_dynamic_stack: false
    .vgpr_count:     55
    .vgpr_spill_count: 0
    .wavefront_size: 32
    .workgroup_processor_mode: 1
  - .args:
      - .offset:         0
        .size:           4
        .value_kind:     by_value
      - .offset:         4
        .size:           4
        .value_kind:     by_value
      - .address_space:  global
        .offset:         8
        .size:           8
        .value_kind:     global_buffer
      - .offset:         16
        .size:           8
        .value_kind:     by_value
      - .address_space:  global
        .offset:         24
        .size:           8
        .value_kind:     global_buffer
      - .offset:         32
        .size:           8
        .value_kind:     by_value
      - .offset:         40
        .size:           4
        .value_kind:     by_value
      - .offset:         48
        .size:           8
        .value_kind:     by_value
      - .address_space:  global
        .offset:         56
        .size:           8
        .value_kind:     global_buffer
      - .offset:         64
        .size:           8
        .value_kind:     by_value
      - .offset:         72
        .size:           4
        .value_kind:     by_value
      - .offset:         80
        .size:           8
        .value_kind:     by_value
      - .address_space:  global
        .offset:         88
        .size:           8
        .value_kind:     global_buffer
      - .offset:         96
        .size:           8
        .value_kind:     by_value
      - .address_space:  global
        .offset:         104
        .size:           8
        .value_kind:     global_buffer
      - .offset:         112
        .size:           8
        .value_kind:     by_value
      - .offset:         120
        .size:           4
        .value_kind:     by_value
      - .offset:         128
        .size:           8
        .value_kind:     by_value
      - .offset:         136
        .size:           4
        .value_kind:     by_value
      - .offset:         144
        .size:           4
        .value_kind:     hidden_block_count_x
      - .offset:         148
        .size:           4
        .value_kind:     hidden_block_count_y
      - .offset:         152
        .size:           4
        .value_kind:     hidden_block_count_z
      - .offset:         156
        .size:           2
        .value_kind:     hidden_group_size_x
      - .offset:         158
        .size:           2
        .value_kind:     hidden_group_size_y
      - .offset:         160
        .size:           2
        .value_kind:     hidden_group_size_z
      - .offset:         162
        .size:           2
        .value_kind:     hidden_remainder_x
      - .offset:         164
        .size:           2
        .value_kind:     hidden_remainder_y
      - .offset:         166
        .size:           2
        .value_kind:     hidden_remainder_z
      - .offset:         184
        .size:           8
        .value_kind:     hidden_global_offset_x
      - .offset:         192
        .size:           8
        .value_kind:     hidden_global_offset_y
      - .offset:         200
        .size:           8
        .value_kind:     hidden_global_offset_z
      - .offset:         208
        .size:           2
        .value_kind:     hidden_grid_dims
    .group_segment_fixed_size: 16384
    .kernarg_segment_align: 8
    .kernarg_segment_size: 400
    .language:       OpenCL C
    .language_version:
      - 2
      - 0
    .max_flat_workgroup_size: 1024
    .name:           _ZL20rocblas_gemvn_kernelILi64ELi16EiPKDF16_PKfKPDF16_EviiT3_lPKT2_lT1_lS9_lSA_lS6_lPT4_lSA_li
    .private_segment_fixed_size: 0
    .sgpr_count:     30
    .sgpr_spill_count: 0
    .symbol:         _ZL20rocblas_gemvn_kernelILi64ELi16EiPKDF16_PKfKPDF16_EviiT3_lPKT2_lT1_lS9_lSA_lS6_lPT4_lSA_li.kd
    .uniform_work_group_size: 1
    .uses_dynamic_stack: false
    .vgpr_count:     45
    .vgpr_spill_count: 0
    .wavefront_size: 32
    .workgroup_processor_mode: 1
  - .args:
      - .offset:         0
        .size:           4
        .value_kind:     by_value
      - .offset:         4
        .size:           4
        .value_kind:     by_value
      - .address_space:  global
        .offset:         8
        .size:           8
        .value_kind:     global_buffer
      - .offset:         16
        .size:           8
        .value_kind:     by_value
      - .address_space:  global
        .offset:         24
        .size:           8
        .value_kind:     global_buffer
      - .offset:         32
        .size:           8
        .value_kind:     by_value
      - .offset:         40
        .size:           8
        .value_kind:     by_value
      - .offset:         48
        .size:           8
        .value_kind:     by_value
      - .address_space:  global
        .offset:         56
        .size:           8
        .value_kind:     global_buffer
      - .offset:         64
        .size:           8
        .value_kind:     by_value
      - .offset:         72
        .size:           8
        .value_kind:     by_value
      - .offset:         80
        .size:           8
        .value_kind:     by_value
      - .address_space:  global
        .offset:         88
        .size:           8
        .value_kind:     global_buffer
      - .offset:         96
        .size:           8
        .value_kind:     by_value
      - .address_space:  global
        .offset:         104
        .size:           8
        .value_kind:     global_buffer
      - .offset:         112
        .size:           8
        .value_kind:     by_value
      - .offset:         120
        .size:           8
        .value_kind:     by_value
      - .offset:         128
        .size:           8
        .value_kind:     by_value
      - .offset:         136
        .size:           4
        .value_kind:     by_value
      - .offset:         144
        .size:           4
        .value_kind:     hidden_block_count_x
      - .offset:         148
        .size:           4
        .value_kind:     hidden_block_count_y
      - .offset:         152
        .size:           4
        .value_kind:     hidden_block_count_z
      - .offset:         156
        .size:           2
        .value_kind:     hidden_group_size_x
      - .offset:         158
        .size:           2
        .value_kind:     hidden_group_size_y
      - .offset:         160
        .size:           2
        .value_kind:     hidden_group_size_z
      - .offset:         162
        .size:           2
        .value_kind:     hidden_remainder_x
      - .offset:         164
        .size:           2
        .value_kind:     hidden_remainder_y
      - .offset:         166
        .size:           2
        .value_kind:     hidden_remainder_z
      - .offset:         184
        .size:           8
        .value_kind:     hidden_global_offset_x
      - .offset:         192
        .size:           8
        .value_kind:     hidden_global_offset_y
      - .offset:         200
        .size:           8
        .value_kind:     hidden_global_offset_z
      - .offset:         208
        .size:           2
        .value_kind:     hidden_grid_dims
    .group_segment_fixed_size: 16384
    .kernarg_segment_align: 8
    .kernarg_segment_size: 400
    .language:       OpenCL C
    .language_version:
      - 2
      - 0
    .max_flat_workgroup_size: 1024
    .name:           _ZL20rocblas_gemvn_kernelILi64ELi16ElPKDF16_PKfKPDF16_EviiT3_lPKT2_lT1_lS9_lSA_lS6_lPT4_lSA_li
    .private_segment_fixed_size: 0
    .sgpr_count:     37
    .sgpr_spill_count: 0
    .symbol:         _ZL20rocblas_gemvn_kernelILi64ELi16ElPKDF16_PKfKPDF16_EviiT3_lPKT2_lT1_lS9_lSA_lS6_lPT4_lSA_li.kd
    .uniform_work_group_size: 1
    .uses_dynamic_stack: false
    .vgpr_count:     55
    .vgpr_spill_count: 0
    .wavefront_size: 32
    .workgroup_processor_mode: 1
  - .args:
      - .offset:         0
        .size:           4
        .value_kind:     by_value
      - .offset:         4
        .size:           4
        .value_kind:     by_value
      - .offset:         8
        .size:           4
        .value_kind:     by_value
      - .offset:         16
        .size:           8
        .value_kind:     by_value
      - .address_space:  global
        .offset:         24
        .size:           8
        .value_kind:     global_buffer
      - .offset:         32
        .size:           8
        .value_kind:     by_value
      - .offset:         40
        .size:           4
        .value_kind:     by_value
      - .offset:         48
        .size:           8
        .value_kind:     by_value
      - .address_space:  global
        .offset:         56
        .size:           8
        .value_kind:     global_buffer
      - .offset:         64
        .size:           8
        .value_kind:     by_value
      - .offset:         72
        .size:           4
        .value_kind:     by_value
      - .offset:         80
        .size:           8
        .value_kind:     by_value
      - .offset:         88
        .size:           4
        .value_kind:     by_value
      - .offset:         96
        .size:           8
        .value_kind:     by_value
      - .address_space:  global
        .offset:         104
        .size:           8
        .value_kind:     global_buffer
      - .offset:         112
        .size:           8
        .value_kind:     by_value
      - .offset:         120
        .size:           4
        .value_kind:     by_value
      - .offset:         128
        .size:           8
        .value_kind:     by_value
      - .offset:         136
        .size:           4
        .value_kind:     by_value
      - .offset:         144
        .size:           4
        .value_kind:     hidden_block_count_x
      - .offset:         148
        .size:           4
        .value_kind:     hidden_block_count_y
      - .offset:         152
        .size:           4
        .value_kind:     hidden_block_count_z
      - .offset:         156
        .size:           2
        .value_kind:     hidden_group_size_x
      - .offset:         158
        .size:           2
        .value_kind:     hidden_group_size_y
      - .offset:         160
        .size:           2
        .value_kind:     hidden_group_size_z
      - .offset:         162
        .size:           2
        .value_kind:     hidden_remainder_x
      - .offset:         164
        .size:           2
        .value_kind:     hidden_remainder_y
      - .offset:         166
        .size:           2
        .value_kind:     hidden_remainder_z
      - .offset:         184
        .size:           8
        .value_kind:     hidden_global_offset_x
      - .offset:         192
        .size:           8
        .value_kind:     hidden_global_offset_y
      - .offset:         200
        .size:           8
        .value_kind:     hidden_global_offset_z
      - .offset:         208
        .size:           2
        .value_kind:     hidden_grid_dims
    .group_segment_fixed_size: 16384
    .kernarg_segment_align: 8
    .kernarg_segment_size: 400
    .language:       OpenCL C
    .language_version:
      - 2
      - 0
    .max_flat_workgroup_size: 1024
    .name:           _ZL20rocblas_gemvn_kernelILi64ELi16EiPKDF16_fKPDF16_EviiT3_lPKT2_lT1_lS7_lS8_lS4_lPT4_lS8_li
    .private_segment_fixed_size: 0
    .sgpr_count:     30
    .sgpr_spill_count: 0
    .symbol:         _ZL20rocblas_gemvn_kernelILi64ELi16EiPKDF16_fKPDF16_EviiT3_lPKT2_lT1_lS7_lS8_lS4_lPT4_lS8_li.kd
    .uniform_work_group_size: 1
    .uses_dynamic_stack: false
    .vgpr_count:     45
    .vgpr_spill_count: 0
    .wavefront_size: 32
    .workgroup_processor_mode: 1
  - .args:
      - .offset:         0
        .size:           4
        .value_kind:     by_value
      - .offset:         4
        .size:           4
        .value_kind:     by_value
      - .offset:         8
        .size:           4
        .value_kind:     by_value
      - .offset:         16
        .size:           8
        .value_kind:     by_value
      - .address_space:  global
        .offset:         24
        .size:           8
        .value_kind:     global_buffer
      - .offset:         32
        .size:           8
        .value_kind:     by_value
      - .offset:         40
        .size:           8
        .value_kind:     by_value
      - .offset:         48
        .size:           8
        .value_kind:     by_value
      - .address_space:  global
        .offset:         56
        .size:           8
        .value_kind:     global_buffer
      - .offset:         64
        .size:           8
        .value_kind:     by_value
      - .offset:         72
        .size:           8
        .value_kind:     by_value
      - .offset:         80
        .size:           8
        .value_kind:     by_value
      - .offset:         88
        .size:           4
        .value_kind:     by_value
      - .offset:         96
        .size:           8
        .value_kind:     by_value
      - .address_space:  global
        .offset:         104
        .size:           8
        .value_kind:     global_buffer
      - .offset:         112
        .size:           8
        .value_kind:     by_value
      - .offset:         120
        .size:           8
        .value_kind:     by_value
      - .offset:         128
        .size:           8
        .value_kind:     by_value
      - .offset:         136
        .size:           4
        .value_kind:     by_value
      - .offset:         144
        .size:           4
        .value_kind:     hidden_block_count_x
      - .offset:         148
        .size:           4
        .value_kind:     hidden_block_count_y
      - .offset:         152
        .size:           4
        .value_kind:     hidden_block_count_z
      - .offset:         156
        .size:           2
        .value_kind:     hidden_group_size_x
      - .offset:         158
        .size:           2
        .value_kind:     hidden_group_size_y
      - .offset:         160
        .size:           2
        .value_kind:     hidden_group_size_z
      - .offset:         162
        .size:           2
        .value_kind:     hidden_remainder_x
      - .offset:         164
        .size:           2
        .value_kind:     hidden_remainder_y
      - .offset:         166
        .size:           2
        .value_kind:     hidden_remainder_z
      - .offset:         184
        .size:           8
        .value_kind:     hidden_global_offset_x
      - .offset:         192
        .size:           8
        .value_kind:     hidden_global_offset_y
      - .offset:         200
        .size:           8
        .value_kind:     hidden_global_offset_z
      - .offset:         208
        .size:           2
        .value_kind:     hidden_grid_dims
    .group_segment_fixed_size: 16384
    .kernarg_segment_align: 8
    .kernarg_segment_size: 400
    .language:       OpenCL C
    .language_version:
      - 2
      - 0
    .max_flat_workgroup_size: 1024
    .name:           _ZL20rocblas_gemvn_kernelILi64ELi16ElPKDF16_fKPDF16_EviiT3_lPKT2_lT1_lS7_lS8_lS4_lPT4_lS8_li
    .private_segment_fixed_size: 0
    .sgpr_count:     37
    .sgpr_spill_count: 0
    .symbol:         _ZL20rocblas_gemvn_kernelILi64ELi16ElPKDF16_fKPDF16_EviiT3_lPKT2_lT1_lS7_lS8_lS4_lPT4_lS8_li.kd
    .uniform_work_group_size: 1
    .uses_dynamic_stack: false
    .vgpr_count:     55
    .vgpr_spill_count: 0
    .wavefront_size: 32
    .workgroup_processor_mode: 1
  - .args:
      - .offset:         0
        .size:           4
        .value_kind:     by_value
      - .offset:         4
        .size:           4
        .value_kind:     by_value
      - .address_space:  global
        .offset:         8
        .size:           8
        .value_kind:     global_buffer
      - .offset:         16
        .size:           8
        .value_kind:     by_value
      - .address_space:  global
        .offset:         24
        .size:           8
        .value_kind:     global_buffer
      - .offset:         32
        .size:           8
        .value_kind:     by_value
      - .offset:         40
        .size:           4
        .value_kind:     by_value
      - .offset:         48
        .size:           8
        .value_kind:     by_value
      - .address_space:  global
        .offset:         56
        .size:           8
        .value_kind:     global_buffer
      - .offset:         64
        .size:           8
        .value_kind:     by_value
      - .offset:         72
        .size:           4
        .value_kind:     by_value
      - .offset:         80
        .size:           8
        .value_kind:     by_value
      - .address_space:  global
        .offset:         88
        .size:           8
        .value_kind:     global_buffer
      - .offset:         96
        .size:           8
        .value_kind:     by_value
      - .address_space:  global
        .offset:         104
        .size:           8
        .value_kind:     global_buffer
      - .offset:         112
        .size:           8
        .value_kind:     by_value
      - .offset:         120
        .size:           4
        .value_kind:     by_value
      - .offset:         128
        .size:           8
        .value_kind:     by_value
    .group_segment_fixed_size: 256
    .kernarg_segment_align: 8
    .kernarg_segment_size: 136
    .language:       OpenCL C
    .language_version:
      - 2
      - 0
    .max_flat_workgroup_size: 256
    .name:           _ZL22rocblas_gemvtsm_kernelILb0ELi256EPKDF16_PKfKPDF16_EviiT2_lPKT1_lilS9_lilS6_lPT3_lil
    .private_segment_fixed_size: 0
    .sgpr_count:     24
    .sgpr_spill_count: 0
    .symbol:         _ZL22rocblas_gemvtsm_kernelILb0ELi256EPKDF16_PKfKPDF16_EviiT2_lPKT1_lilS9_lilS6_lPT3_lil.kd
    .uniform_work_group_size: 1
    .uses_dynamic_stack: false
    .vgpr_count:     20
    .vgpr_spill_count: 0
    .wavefront_size: 32
    .workgroup_processor_mode: 1
  - .args:
      - .offset:         0
        .size:           4
        .value_kind:     by_value
      - .offset:         4
        .size:           4
        .value_kind:     by_value
      - .offset:         8
        .size:           4
        .value_kind:     by_value
      - .offset:         16
        .size:           8
        .value_kind:     by_value
      - .address_space:  global
        .offset:         24
        .size:           8
        .value_kind:     global_buffer
      - .offset:         32
        .size:           8
        .value_kind:     by_value
      - .offset:         40
        .size:           4
        .value_kind:     by_value
      - .offset:         48
        .size:           8
        .value_kind:     by_value
      - .address_space:  global
        .offset:         56
        .size:           8
        .value_kind:     global_buffer
      - .offset:         64
        .size:           8
        .value_kind:     by_value
      - .offset:         72
        .size:           4
        .value_kind:     by_value
      - .offset:         80
        .size:           8
        .value_kind:     by_value
      - .offset:         88
        .size:           4
        .value_kind:     by_value
      - .offset:         96
        .size:           8
        .value_kind:     by_value
      - .address_space:  global
        .offset:         104
        .size:           8
        .value_kind:     global_buffer
      - .offset:         112
        .size:           8
        .value_kind:     by_value
      - .offset:         120
        .size:           4
        .value_kind:     by_value
      - .offset:         128
        .size:           8
        .value_kind:     by_value
    .group_segment_fixed_size: 256
    .kernarg_segment_align: 8
    .kernarg_segment_size: 136
    .language:       OpenCL C
    .language_version:
      - 2
      - 0
    .max_flat_workgroup_size: 256
    .name:           _ZL22rocblas_gemvtsm_kernelILb0ELi256EPKDF16_fKPDF16_EviiT2_lPKT1_lilS7_lilS4_lPT3_lil
    .private_segment_fixed_size: 0
    .sgpr_count:     22
    .sgpr_spill_count: 0
    .symbol:         _ZL22rocblas_gemvtsm_kernelILb0ELi256EPKDF16_fKPDF16_EviiT2_lPKT1_lilS7_lilS4_lPT3_lil.kd
    .uniform_work_group_size: 1
    .uses_dynamic_stack: false
    .vgpr_count:     20
    .vgpr_spill_count: 0
    .wavefront_size: 32
    .workgroup_processor_mode: 1
  - .args:
      - .offset:         0
        .size:           4
        .value_kind:     by_value
      - .offset:         4
        .size:           4
        .value_kind:     by_value
      - .address_space:  global
        .offset:         8
        .size:           8
        .value_kind:     global_buffer
      - .offset:         16
        .size:           8
        .value_kind:     by_value
      - .address_space:  global
        .offset:         24
        .size:           8
        .value_kind:     global_buffer
      - .offset:         32
        .size:           8
        .value_kind:     by_value
      - .offset:         40
        .size:           4
        .value_kind:     by_value
      - .offset:         48
        .size:           8
        .value_kind:     by_value
      - .address_space:  global
        .offset:         56
        .size:           8
        .value_kind:     global_buffer
      - .offset:         64
        .size:           8
        .value_kind:     by_value
      - .offset:         72
        .size:           4
        .value_kind:     by_value
      - .offset:         80
        .size:           8
        .value_kind:     by_value
      - .address_space:  global
        .offset:         88
        .size:           8
        .value_kind:     global_buffer
      - .offset:         96
        .size:           4
        .value_kind:     by_value
      - .offset:         104
        .size:           4
        .value_kind:     hidden_block_count_x
      - .offset:         108
        .size:           4
        .value_kind:     hidden_block_count_y
      - .offset:         112
        .size:           4
        .value_kind:     hidden_block_count_z
      - .offset:         116
        .size:           2
        .value_kind:     hidden_group_size_x
      - .offset:         118
        .size:           2
        .value_kind:     hidden_group_size_y
      - .offset:         120
        .size:           2
        .value_kind:     hidden_group_size_z
      - .offset:         122
        .size:           2
        .value_kind:     hidden_remainder_x
      - .offset:         124
        .size:           2
        .value_kind:     hidden_remainder_y
      - .offset:         126
        .size:           2
        .value_kind:     hidden_remainder_z
      - .offset:         144
        .size:           8
        .value_kind:     hidden_global_offset_x
      - .offset:         152
        .size:           8
        .value_kind:     hidden_global_offset_y
      - .offset:         160
        .size:           8
        .value_kind:     hidden_global_offset_z
      - .offset:         168
        .size:           2
        .value_kind:     hidden_grid_dims
    .group_segment_fixed_size: 128
    .kernarg_segment_align: 8
    .kernarg_segment_size: 360
    .language:       OpenCL C
    .language_version:
      - 2
      - 0
    .max_flat_workgroup_size: 256
    .name:           _ZL23rocblas_gemvt_sn_kernelILb0ELi256ELi4EiPKDF16_PKffEviiT4_lPKT3_lilS7_lilPT5_i
    .private_segment_fixed_size: 0
    .sgpr_count:     44
    .sgpr_spill_count: 0
    .symbol:         _ZL23rocblas_gemvt_sn_kernelILb0ELi256ELi4EiPKDF16_PKffEviiT4_lPKT3_lilS7_lilPT5_i.kd
    .uniform_work_group_size: 1
    .uses_dynamic_stack: false
    .vgpr_count:     44
    .vgpr_spill_count: 0
    .wavefront_size: 32
    .workgroup_processor_mode: 1
  - .args:
      - .offset:         0
        .size:           4
        .value_kind:     by_value
      - .offset:         4
        .size:           4
        .value_kind:     by_value
      - .address_space:  global
        .offset:         8
        .size:           8
        .value_kind:     global_buffer
      - .offset:         16
        .size:           8
        .value_kind:     by_value
      - .address_space:  global
        .offset:         24
        .size:           8
        .value_kind:     global_buffer
      - .offset:         32
        .size:           8
        .value_kind:     by_value
      - .offset:         40
        .size:           4
        .value_kind:     by_value
      - .offset:         48
        .size:           8
        .value_kind:     by_value
      - .address_space:  global
        .offset:         56
        .size:           8
        .value_kind:     global_buffer
      - .offset:         64
        .size:           8
        .value_kind:     by_value
      - .offset:         72
        .size:           4
        .value_kind:     by_value
      - .offset:         80
        .size:           8
        .value_kind:     by_value
      - .address_space:  global
        .offset:         88
        .size:           8
        .value_kind:     global_buffer
      - .offset:         96
        .size:           4
        .value_kind:     by_value
      - .offset:         104
        .size:           4
        .value_kind:     hidden_block_count_x
      - .offset:         108
        .size:           4
        .value_kind:     hidden_block_count_y
      - .offset:         112
        .size:           4
        .value_kind:     hidden_block_count_z
      - .offset:         116
        .size:           2
        .value_kind:     hidden_group_size_x
      - .offset:         118
        .size:           2
        .value_kind:     hidden_group_size_y
      - .offset:         120
        .size:           2
        .value_kind:     hidden_group_size_z
      - .offset:         122
        .size:           2
        .value_kind:     hidden_remainder_x
      - .offset:         124
        .size:           2
        .value_kind:     hidden_remainder_y
      - .offset:         126
        .size:           2
        .value_kind:     hidden_remainder_z
      - .offset:         144
        .size:           8
        .value_kind:     hidden_global_offset_x
      - .offset:         152
        .size:           8
        .value_kind:     hidden_global_offset_y
      - .offset:         160
        .size:           8
        .value_kind:     hidden_global_offset_z
      - .offset:         168
        .size:           2
        .value_kind:     hidden_grid_dims
    .group_segment_fixed_size: 128
    .kernarg_segment_align: 8
    .kernarg_segment_size: 360
    .language:       OpenCL C
    .language_version:
      - 2
      - 0
    .max_flat_workgroup_size: 256
    .name:           _ZL23rocblas_gemvt_sn_kernelILb0ELi256ELi4ElPKDF16_PKffEviiT4_lPKT3_lilS7_lilPT5_i
    .private_segment_fixed_size: 0
    .sgpr_count:     48
    .sgpr_spill_count: 0
    .symbol:         _ZL23rocblas_gemvt_sn_kernelILb0ELi256ELi4ElPKDF16_PKffEviiT4_lPKT3_lilS7_lilPT5_i.kd
    .uniform_work_group_size: 1
    .uses_dynamic_stack: false
    .vgpr_count:     49
    .vgpr_spill_count: 0
    .wavefront_size: 32
    .workgroup_processor_mode: 1
  - .args:
      - .offset:         0
        .size:           4
        .value_kind:     by_value
      - .address_space:  global
        .offset:         8
        .size:           8
        .value_kind:     global_buffer
      - .offset:         16
        .size:           8
        .value_kind:     by_value
      - .address_space:  global
        .offset:         24
        .size:           8
        .value_kind:     global_buffer
      - .offset:         32
        .size:           8
        .value_kind:     by_value
      - .offset:         40
        .size:           4
        .value_kind:     by_value
      - .offset:         48
        .size:           8
        .value_kind:     by_value
      - .actual_access:  read_only
        .address_space:  global
        .offset:         56
        .size:           8
        .value_kind:     global_buffer
      - .offset:         64
        .size:           4
        .value_kind:     by_value
      - .offset:         72
        .size:           4
        .value_kind:     hidden_block_count_x
      - .offset:         76
        .size:           4
        .value_kind:     hidden_block_count_y
      - .offset:         80
        .size:           4
        .value_kind:     hidden_block_count_z
      - .offset:         84
        .size:           2
        .value_kind:     hidden_group_size_x
      - .offset:         86
        .size:           2
        .value_kind:     hidden_group_size_y
      - .offset:         88
        .size:           2
        .value_kind:     hidden_group_size_z
      - .offset:         90
        .size:           2
        .value_kind:     hidden_remainder_x
      - .offset:         92
        .size:           2
        .value_kind:     hidden_remainder_y
      - .offset:         94
        .size:           2
        .value_kind:     hidden_remainder_z
      - .offset:         112
        .size:           8
        .value_kind:     hidden_global_offset_x
      - .offset:         120
        .size:           8
        .value_kind:     hidden_global_offset_y
      - .offset:         128
        .size:           8
        .value_kind:     hidden_global_offset_z
      - .offset:         136
        .size:           2
        .value_kind:     hidden_grid_dims
    .group_segment_fixed_size: 128
    .kernarg_segment_align: 8
    .kernarg_segment_size: 328
    .language:       OpenCL C
    .language_version:
      - 2
      - 0
    .max_flat_workgroup_size: 256
    .name:           _ZL23rocblas_gemvt_sn_reduceILi256ELi8EfPKfKPDF16_EviT2_lPT3_lilPT1_i
    .private_segment_fixed_size: 0
    .sgpr_count:     24
    .sgpr_spill_count: 0
    .symbol:         _ZL23rocblas_gemvt_sn_reduceILi256ELi8EfPKfKPDF16_EviT2_lPT3_lilPT1_i.kd
    .uniform_work_group_size: 1
    .uses_dynamic_stack: false
    .vgpr_count:     13
    .vgpr_spill_count: 0
    .wavefront_size: 32
    .workgroup_processor_mode: 1
  - .args:
      - .offset:         0
        .size:           4
        .value_kind:     by_value
      - .offset:         4
        .size:           4
        .value_kind:     by_value
      - .offset:         8
        .size:           4
        .value_kind:     by_value
      - .offset:         16
        .size:           8
        .value_kind:     by_value
      - .address_space:  global
        .offset:         24
        .size:           8
        .value_kind:     global_buffer
      - .offset:         32
        .size:           8
        .value_kind:     by_value
      - .offset:         40
        .size:           4
        .value_kind:     by_value
      - .offset:         48
        .size:           8
        .value_kind:     by_value
      - .address_space:  global
        .offset:         56
        .size:           8
        .value_kind:     global_buffer
      - .offset:         64
        .size:           8
        .value_kind:     by_value
      - .offset:         72
        .size:           4
        .value_kind:     by_value
      - .offset:         80
        .size:           8
        .value_kind:     by_value
      - .address_space:  global
        .offset:         88
        .size:           8
        .value_kind:     global_buffer
      - .offset:         96
        .size:           4
        .value_kind:     by_value
      - .offset:         104
        .size:           4
        .value_kind:     hidden_block_count_x
      - .offset:         108
        .size:           4
        .value_kind:     hidden_block_count_y
      - .offset:         112
        .size:           4
        .value_kind:     hidden_block_count_z
      - .offset:         116
        .size:           2
        .value_kind:     hidden_group_size_x
      - .offset:         118
        .size:           2
        .value_kind:     hidden_group_size_y
      - .offset:         120
        .size:           2
        .value_kind:     hidden_group_size_z
      - .offset:         122
        .size:           2
        .value_kind:     hidden_remainder_x
      - .offset:         124
        .size:           2
        .value_kind:     hidden_remainder_y
      - .offset:         126
        .size:           2
        .value_kind:     hidden_remainder_z
      - .offset:         144
        .size:           8
        .value_kind:     hidden_global_offset_x
      - .offset:         152
        .size:           8
        .value_kind:     hidden_global_offset_y
      - .offset:         160
        .size:           8
        .value_kind:     hidden_global_offset_z
      - .offset:         168
        .size:           2
        .value_kind:     hidden_grid_dims
    .group_segment_fixed_size: 128
    .kernarg_segment_align: 8
    .kernarg_segment_size: 360
    .language:       OpenCL C
    .language_version:
      - 2
      - 0
    .max_flat_workgroup_size: 256
    .name:           _ZL23rocblas_gemvt_sn_kernelILb0ELi256ELi4EiPKDF16_ffEviiT4_lPKT3_lilS5_lilPT5_i
    .private_segment_fixed_size: 0
    .sgpr_count:     44
    .sgpr_spill_count: 0
    .symbol:         _ZL23rocblas_gemvt_sn_kernelILb0ELi256ELi4EiPKDF16_ffEviiT4_lPKT3_lilS5_lilPT5_i.kd
    .uniform_work_group_size: 1
    .uses_dynamic_stack: false
    .vgpr_count:     44
    .vgpr_spill_count: 0
    .wavefront_size: 32
    .workgroup_processor_mode: 1
  - .args:
      - .offset:         0
        .size:           4
        .value_kind:     by_value
      - .offset:         4
        .size:           4
        .value_kind:     by_value
      - .offset:         8
        .size:           4
        .value_kind:     by_value
      - .offset:         16
        .size:           8
        .value_kind:     by_value
      - .address_space:  global
        .offset:         24
        .size:           8
        .value_kind:     global_buffer
      - .offset:         32
        .size:           8
        .value_kind:     by_value
      - .offset:         40
        .size:           4
        .value_kind:     by_value
      - .offset:         48
        .size:           8
        .value_kind:     by_value
      - .address_space:  global
        .offset:         56
        .size:           8
        .value_kind:     global_buffer
      - .offset:         64
        .size:           8
        .value_kind:     by_value
      - .offset:         72
        .size:           4
        .value_kind:     by_value
      - .offset:         80
        .size:           8
        .value_kind:     by_value
      - .address_space:  global
        .offset:         88
        .size:           8
        .value_kind:     global_buffer
      - .offset:         96
        .size:           4
        .value_kind:     by_value
      - .offset:         104
        .size:           4
        .value_kind:     hidden_block_count_x
      - .offset:         108
        .size:           4
        .value_kind:     hidden_block_count_y
      - .offset:         112
        .size:           4
        .value_kind:     hidden_block_count_z
      - .offset:         116
        .size:           2
        .value_kind:     hidden_group_size_x
      - .offset:         118
        .size:           2
        .value_kind:     hidden_group_size_y
      - .offset:         120
        .size:           2
        .value_kind:     hidden_group_size_z
      - .offset:         122
        .size:           2
        .value_kind:     hidden_remainder_x
      - .offset:         124
        .size:           2
        .value_kind:     hidden_remainder_y
      - .offset:         126
        .size:           2
        .value_kind:     hidden_remainder_z
      - .offset:         144
        .size:           8
        .value_kind:     hidden_global_offset_x
      - .offset:         152
        .size:           8
        .value_kind:     hidden_global_offset_y
      - .offset:         160
        .size:           8
        .value_kind:     hidden_global_offset_z
      - .offset:         168
        .size:           2
        .value_kind:     hidden_grid_dims
    .group_segment_fixed_size: 128
    .kernarg_segment_align: 8
    .kernarg_segment_size: 360
    .language:       OpenCL C
    .language_version:
      - 2
      - 0
    .max_flat_workgroup_size: 256
    .name:           _ZL23rocblas_gemvt_sn_kernelILb0ELi256ELi4ElPKDF16_ffEviiT4_lPKT3_lilS5_lilPT5_i
    .private_segment_fixed_size: 0
    .sgpr_count:     48
    .sgpr_spill_count: 0
    .symbol:         _ZL23rocblas_gemvt_sn_kernelILb0ELi256ELi4ElPKDF16_ffEviiT4_lPKT3_lilS5_lilPT5_i.kd
    .uniform_work_group_size: 1
    .uses_dynamic_stack: false
    .vgpr_count:     49
    .vgpr_spill_count: 0
    .wavefront_size: 32
    .workgroup_processor_mode: 1
  - .args:
      - .offset:         0
        .size:           4
        .value_kind:     by_value
      - .offset:         4
        .size:           4
        .value_kind:     by_value
      - .offset:         8
        .size:           8
        .value_kind:     by_value
      - .address_space:  global
        .offset:         16
        .size:           8
        .value_kind:     global_buffer
      - .offset:         24
        .size:           8
        .value_kind:     by_value
      - .offset:         32
        .size:           4
        .value_kind:     by_value
      - .offset:         40
        .size:           8
        .value_kind:     by_value
      - .actual_access:  read_only
        .address_space:  global
        .offset:         48
        .size:           8
        .value_kind:     global_buffer
      - .offset:         56
        .size:           4
        .value_kind:     by_value
      - .offset:         64
        .size:           4
        .value_kind:     hidden_block_count_x
      - .offset:         68
        .size:           4
        .value_kind:     hidden_block_count_y
      - .offset:         72
        .size:           4
        .value_kind:     hidden_block_count_z
      - .offset:         76
        .size:           2
        .value_kind:     hidden_group_size_x
      - .offset:         78
        .size:           2
        .value_kind:     hidden_group_size_y
      - .offset:         80
        .size:           2
        .value_kind:     hidden_group_size_z
      - .offset:         82
        .size:           2
        .value_kind:     hidden_remainder_x
      - .offset:         84
        .size:           2
        .value_kind:     hidden_remainder_y
      - .offset:         86
        .size:           2
        .value_kind:     hidden_remainder_z
      - .offset:         104
        .size:           8
        .value_kind:     hidden_global_offset_x
      - .offset:         112
        .size:           8
        .value_kind:     hidden_global_offset_y
      - .offset:         120
        .size:           8
        .value_kind:     hidden_global_offset_z
      - .offset:         128
        .size:           2
        .value_kind:     hidden_grid_dims
    .group_segment_fixed_size: 128
    .kernarg_segment_align: 8
    .kernarg_segment_size: 320
    .language:       OpenCL C
    .language_version:
      - 2
      - 0
    .max_flat_workgroup_size: 256
    .name:           _ZL23rocblas_gemvt_sn_reduceILi256ELi8EffKPDF16_EviT2_lPT3_lilPT1_i
    .private_segment_fixed_size: 0
    .sgpr_count:     24
    .sgpr_spill_count: 0
    .symbol:         _ZL23rocblas_gemvt_sn_reduceILi256ELi8EffKPDF16_EviT2_lPT3_lilPT1_i.kd
    .uniform_work_group_size: 1
    .uses_dynamic_stack: false
    .vgpr_count:     13
    .vgpr_spill_count: 0
    .wavefront_size: 32
    .workgroup_processor_mode: 1
  - .args:
      - .offset:         0
        .size:           4
        .value_kind:     by_value
      - .offset:         4
        .size:           4
        .value_kind:     by_value
      - .address_space:  global
        .offset:         8
        .size:           8
        .value_kind:     global_buffer
      - .offset:         16
        .size:           8
        .value_kind:     by_value
      - .address_space:  global
        .offset:         24
        .size:           8
        .value_kind:     global_buffer
      - .offset:         32
        .size:           8
        .value_kind:     by_value
      - .offset:         40
        .size:           4
        .value_kind:     by_value
      - .offset:         48
        .size:           8
        .value_kind:     by_value
      - .address_space:  global
        .offset:         56
        .size:           8
        .value_kind:     global_buffer
      - .offset:         64
        .size:           8
        .value_kind:     by_value
      - .offset:         72
        .size:           4
        .value_kind:     by_value
      - .offset:         80
        .size:           8
        .value_kind:     by_value
      - .address_space:  global
        .offset:         88
        .size:           8
        .value_kind:     global_buffer
      - .offset:         96
        .size:           8
        .value_kind:     by_value
      - .address_space:  global
        .offset:         104
        .size:           8
        .value_kind:     global_buffer
      - .offset:         112
        .size:           8
        .value_kind:     by_value
      - .offset:         120
        .size:           4
        .value_kind:     by_value
      - .offset:         128
        .size:           8
        .value_kind:     by_value
      - .offset:         136
        .size:           4
        .value_kind:     by_value
    .group_segment_fixed_size: 128
    .kernarg_segment_align: 8
    .kernarg_segment_size: 140
    .language:       OpenCL C
    .language_version:
      - 2
      - 0
    .max_flat_workgroup_size: 256
    .name:           _ZL32rocblas_gemvt_warp_reduce_kernelILb0ELi256EiPKDF16_PKfKPDF16_EviiT3_lPKT2_lT1_lS9_lSA_lS6_lPT4_lSA_li
    .private_segment_fixed_size: 0
    .sgpr_count:     26
    .sgpr_spill_count: 0
    .symbol:         _ZL32rocblas_gemvt_warp_reduce_kernelILb0ELi256EiPKDF16_PKfKPDF16_EviiT3_lPKT2_lT1_lS9_lSA_lS6_lPT4_lSA_li.kd
    .uniform_work_group_size: 1
    .uses_dynamic_stack: false
    .vgpr_count:     11
    .vgpr_spill_count: 0
    .wavefront_size: 32
    .workgroup_processor_mode: 1
  - .args:
      - .offset:         0
        .size:           4
        .value_kind:     by_value
      - .offset:         4
        .size:           4
        .value_kind:     by_value
      - .address_space:  global
        .offset:         8
        .size:           8
        .value_kind:     global_buffer
      - .offset:         16
        .size:           8
        .value_kind:     by_value
      - .address_space:  global
        .offset:         24
        .size:           8
        .value_kind:     global_buffer
      - .offset:         32
        .size:           8
        .value_kind:     by_value
      - .offset:         40
        .size:           8
        .value_kind:     by_value
      - .offset:         48
        .size:           8
        .value_kind:     by_value
      - .address_space:  global
        .offset:         56
        .size:           8
        .value_kind:     global_buffer
      - .offset:         64
        .size:           8
        .value_kind:     by_value
      - .offset:         72
        .size:           8
        .value_kind:     by_value
      - .offset:         80
        .size:           8
        .value_kind:     by_value
      - .address_space:  global
        .offset:         88
        .size:           8
        .value_kind:     global_buffer
      - .offset:         96
        .size:           8
        .value_kind:     by_value
      - .address_space:  global
        .offset:         104
        .size:           8
        .value_kind:     global_buffer
      - .offset:         112
        .size:           8
        .value_kind:     by_value
      - .offset:         120
        .size:           8
        .value_kind:     by_value
      - .offset:         128
        .size:           8
        .value_kind:     by_value
      - .offset:         136
        .size:           4
        .value_kind:     by_value
    .group_segment_fixed_size: 128
    .kernarg_segment_align: 8
    .kernarg_segment_size: 140
    .language:       OpenCL C
    .language_version:
      - 2
      - 0
    .max_flat_workgroup_size: 256
    .name:           _ZL32rocblas_gemvt_warp_reduce_kernelILb0ELi256ElPKDF16_PKfKPDF16_EviiT3_lPKT2_lT1_lS9_lSA_lS6_lPT4_lSA_li
    .private_segment_fixed_size: 0
    .sgpr_count:     33
    .sgpr_spill_count: 0
    .symbol:         _ZL32rocblas_gemvt_warp_reduce_kernelILb0ELi256ElPKDF16_PKfKPDF16_EviiT3_lPKT2_lT1_lS9_lSA_lS6_lPT4_lSA_li.kd
    .uniform_work_group_size: 1
    .uses_dynamic_stack: false
    .vgpr_count:     11
    .vgpr_spill_count: 0
    .wavefront_size: 32
    .workgroup_processor_mode: 1
  - .args:
      - .offset:         0
        .size:           4
        .value_kind:     by_value
      - .offset:         4
        .size:           4
        .value_kind:     by_value
      - .offset:         8
        .size:           4
        .value_kind:     by_value
      - .offset:         16
        .size:           8
        .value_kind:     by_value
      - .address_space:  global
        .offset:         24
        .size:           8
        .value_kind:     global_buffer
      - .offset:         32
        .size:           8
        .value_kind:     by_value
      - .offset:         40
        .size:           4
        .value_kind:     by_value
      - .offset:         48
        .size:           8
        .value_kind:     by_value
      - .address_space:  global
        .offset:         56
        .size:           8
        .value_kind:     global_buffer
      - .offset:         64
        .size:           8
        .value_kind:     by_value
      - .offset:         72
        .size:           4
        .value_kind:     by_value
      - .offset:         80
        .size:           8
        .value_kind:     by_value
      - .offset:         88
        .size:           4
        .value_kind:     by_value
      - .offset:         96
        .size:           8
        .value_kind:     by_value
      - .address_space:  global
        .offset:         104
        .size:           8
        .value_kind:     global_buffer
      - .offset:         112
        .size:           8
        .value_kind:     by_value
      - .offset:         120
        .size:           4
        .value_kind:     by_value
      - .offset:         128
        .size:           8
        .value_kind:     by_value
      - .offset:         136
        .size:           4
        .value_kind:     by_value
    .group_segment_fixed_size: 128
    .kernarg_segment_align: 8
    .kernarg_segment_size: 140
    .language:       OpenCL C
    .language_version:
      - 2
      - 0
    .max_flat_workgroup_size: 256
    .name:           _ZL32rocblas_gemvt_warp_reduce_kernelILb0ELi256EiPKDF16_fKPDF16_EviiT3_lPKT2_lT1_lS7_lS8_lS4_lPT4_lS8_li
    .private_segment_fixed_size: 0
    .sgpr_count:     22
    .sgpr_spill_count: 0
    .symbol:         _ZL32rocblas_gemvt_warp_reduce_kernelILb0ELi256EiPKDF16_fKPDF16_EviiT3_lPKT2_lT1_lS7_lS8_lS4_lPT4_lS8_li.kd
    .uniform_work_group_size: 1
    .uses_dynamic_stack: false
    .vgpr_count:     11
    .vgpr_spill_count: 0
    .wavefront_size: 32
    .workgroup_processor_mode: 1
  - .args:
      - .offset:         0
        .size:           4
        .value_kind:     by_value
      - .offset:         4
        .size:           4
        .value_kind:     by_value
      - .offset:         8
        .size:           4
        .value_kind:     by_value
      - .offset:         16
        .size:           8
        .value_kind:     by_value
      - .address_space:  global
        .offset:         24
        .size:           8
        .value_kind:     global_buffer
      - .offset:         32
        .size:           8
        .value_kind:     by_value
      - .offset:         40
        .size:           8
        .value_kind:     by_value
      - .offset:         48
        .size:           8
        .value_kind:     by_value
      - .address_space:  global
        .offset:         56
        .size:           8
        .value_kind:     global_buffer
      - .offset:         64
        .size:           8
        .value_kind:     by_value
      - .offset:         72
        .size:           8
        .value_kind:     by_value
      - .offset:         80
        .size:           8
        .value_kind:     by_value
      - .offset:         88
        .size:           4
        .value_kind:     by_value
      - .offset:         96
        .size:           8
        .value_kind:     by_value
      - .address_space:  global
        .offset:         104
        .size:           8
        .value_kind:     global_buffer
      - .offset:         112
        .size:           8
        .value_kind:     by_value
      - .offset:         120
        .size:           8
        .value_kind:     by_value
      - .offset:         128
        .size:           8
        .value_kind:     by_value
      - .offset:         136
        .size:           4
        .value_kind:     by_value
    .group_segment_fixed_size: 128
    .kernarg_segment_align: 8
    .kernarg_segment_size: 140
    .language:       OpenCL C
    .language_version:
      - 2
      - 0
    .max_flat_workgroup_size: 256
    .name:           _ZL32rocblas_gemvt_warp_reduce_kernelILb0ELi256ElPKDF16_fKPDF16_EviiT3_lPKT2_lT1_lS7_lS8_lS4_lPT4_lS8_li
    .private_segment_fixed_size: 0
    .sgpr_count:     28
    .sgpr_spill_count: 0
    .symbol:         _ZL32rocblas_gemvt_warp_reduce_kernelILb0ELi256ElPKDF16_fKPDF16_EviiT3_lPKT2_lT1_lS7_lS8_lS4_lPT4_lS8_li.kd
    .uniform_work_group_size: 1
    .uses_dynamic_stack: false
    .vgpr_count:     11
    .vgpr_spill_count: 0
    .wavefront_size: 32
    .workgroup_processor_mode: 1
  - .args:
      - .offset:         0
        .size:           4
        .value_kind:     by_value
      - .offset:         4
        .size:           4
        .value_kind:     by_value
      - .address_space:  global
        .offset:         8
        .size:           8
        .value_kind:     global_buffer
      - .offset:         16
        .size:           8
        .value_kind:     by_value
      - .address_space:  global
        .offset:         24
        .size:           8
        .value_kind:     global_buffer
      - .offset:         32
        .size:           8
        .value_kind:     by_value
      - .offset:         40
        .size:           4
        .value_kind:     by_value
      - .offset:         48
        .size:           8
        .value_kind:     by_value
      - .address_space:  global
        .offset:         56
        .size:           8
        .value_kind:     global_buffer
      - .offset:         64
        .size:           8
        .value_kind:     by_value
      - .offset:         72
        .size:           4
        .value_kind:     by_value
      - .offset:         80
        .size:           8
        .value_kind:     by_value
      - .address_space:  global
        .offset:         88
        .size:           8
        .value_kind:     global_buffer
      - .offset:         96
        .size:           8
        .value_kind:     by_value
      - .address_space:  global
        .offset:         104
        .size:           8
        .value_kind:     global_buffer
      - .offset:         112
        .size:           8
        .value_kind:     by_value
      - .offset:         120
        .size:           4
        .value_kind:     by_value
      - .offset:         128
        .size:           8
        .value_kind:     by_value
      - .offset:         136
        .size:           4
        .value_kind:     by_value
    .group_segment_fixed_size: 1024
    .kernarg_segment_align: 8
    .kernarg_segment_size: 140
    .language:       OpenCL C
    .language_version:
      - 2
      - 0
    .max_flat_workgroup_size: 256
    .name:           _ZL20rocblas_gemvt_kernelILb0ELi256EPKDF16_PKfKPDF16_EviiT2_lPKT1_lilS9_lilS6_lPT3_lili
    .private_segment_fixed_size: 0
    .sgpr_count:     26
    .sgpr_spill_count: 0
    .symbol:         _ZL20rocblas_gemvt_kernelILb0ELi256EPKDF16_PKfKPDF16_EviiT2_lPKT1_lilS9_lilS6_lPT3_lili.kd
    .uniform_work_group_size: 1
    .uses_dynamic_stack: false
    .vgpr_count:     10
    .vgpr_spill_count: 0
    .wavefront_size: 32
    .workgroup_processor_mode: 1
  - .args:
      - .offset:         0
        .size:           4
        .value_kind:     by_value
      - .offset:         4
        .size:           4
        .value_kind:     by_value
      - .offset:         8
        .size:           4
        .value_kind:     by_value
      - .offset:         16
        .size:           8
        .value_kind:     by_value
      - .address_space:  global
        .offset:         24
        .size:           8
        .value_kind:     global_buffer
      - .offset:         32
        .size:           8
        .value_kind:     by_value
      - .offset:         40
        .size:           4
        .value_kind:     by_value
      - .offset:         48
        .size:           8
        .value_kind:     by_value
      - .address_space:  global
        .offset:         56
        .size:           8
        .value_kind:     global_buffer
      - .offset:         64
        .size:           8
        .value_kind:     by_value
      - .offset:         72
        .size:           4
        .value_kind:     by_value
      - .offset:         80
        .size:           8
        .value_kind:     by_value
      - .offset:         88
        .size:           4
        .value_kind:     by_value
      - .offset:         96
        .size:           8
        .value_kind:     by_value
      - .address_space:  global
        .offset:         104
        .size:           8
        .value_kind:     global_buffer
      - .offset:         112
        .size:           8
        .value_kind:     by_value
      - .offset:         120
        .size:           4
        .value_kind:     by_value
      - .offset:         128
        .size:           8
        .value_kind:     by_value
      - .offset:         136
        .size:           4
        .value_kind:     by_value
    .group_segment_fixed_size: 1024
    .kernarg_segment_align: 8
    .kernarg_segment_size: 140
    .language:       OpenCL C
    .language_version:
      - 2
      - 0
    .max_flat_workgroup_size: 256
    .name:           _ZL20rocblas_gemvt_kernelILb0ELi256EPKDF16_fKPDF16_EviiT2_lPKT1_lilS7_lilS4_lPT3_lili
    .private_segment_fixed_size: 0
    .sgpr_count:     22
    .sgpr_spill_count: 0
    .symbol:         _ZL20rocblas_gemvt_kernelILb0ELi256EPKDF16_fKPDF16_EviiT2_lPKT1_lilS7_lilS4_lPT3_lili.kd
    .uniform_work_group_size: 1
    .uses_dynamic_stack: false
    .vgpr_count:     10
    .vgpr_spill_count: 0
    .wavefront_size: 32
    .workgroup_processor_mode: 1
  - .args:
      - .offset:         0
        .size:           4
        .value_kind:     by_value
      - .offset:         4
        .size:           4
        .value_kind:     by_value
      - .address_space:  global
        .offset:         8
        .size:           8
        .value_kind:     global_buffer
      - .offset:         16
        .size:           8
        .value_kind:     by_value
      - .address_space:  global
        .offset:         24
        .size:           8
        .value_kind:     global_buffer
      - .offset:         32
        .size:           8
        .value_kind:     by_value
      - .offset:         40
        .size:           4
        .value_kind:     by_value
      - .offset:         48
        .size:           8
        .value_kind:     by_value
      - .address_space:  global
        .offset:         56
        .size:           8
        .value_kind:     global_buffer
      - .offset:         64
        .size:           8
        .value_kind:     by_value
      - .offset:         72
        .size:           4
        .value_kind:     by_value
      - .offset:         80
        .size:           8
        .value_kind:     by_value
      - .address_space:  global
        .offset:         88
        .size:           8
        .value_kind:     global_buffer
      - .offset:         96
        .size:           8
        .value_kind:     by_value
      - .address_space:  global
        .offset:         104
        .size:           8
        .value_kind:     global_buffer
      - .offset:         112
        .size:           8
        .value_kind:     by_value
      - .offset:         120
        .size:           4
        .value_kind:     by_value
      - .offset:         128
        .size:           8
        .value_kind:     by_value
      - .offset:         136
        .size:           4
        .value_kind:     by_value
    .group_segment_fixed_size: 128
    .kernarg_segment_align: 8
    .kernarg_segment_size: 140
    .language:       OpenCL C
    .language_version:
      - 2
      - 0
    .max_flat_workgroup_size: 1024
    .name:           _ZL32rocblas_gemvt_warp_reduce_kernelILb0ELi1024EiPKDF16_PKfKPDF16_EviiT3_lPKT2_lT1_lS9_lSA_lS6_lPT4_lSA_li
    .private_segment_fixed_size: 0
    .sgpr_count:     26
    .sgpr_spill_count: 0
    .symbol:         _ZL32rocblas_gemvt_warp_reduce_kernelILb0ELi1024EiPKDF16_PKfKPDF16_EviiT3_lPKT2_lT1_lS9_lSA_lS6_lPT4_lSA_li.kd
    .uniform_work_group_size: 1
    .uses_dynamic_stack: false
    .vgpr_count:     11
    .vgpr_spill_count: 0
    .wavefront_size: 32
    .workgroup_processor_mode: 1
  - .args:
      - .offset:         0
        .size:           4
        .value_kind:     by_value
      - .offset:         4
        .size:           4
        .value_kind:     by_value
      - .address_space:  global
        .offset:         8
        .size:           8
        .value_kind:     global_buffer
      - .offset:         16
        .size:           8
        .value_kind:     by_value
      - .address_space:  global
        .offset:         24
        .size:           8
        .value_kind:     global_buffer
      - .offset:         32
        .size:           8
        .value_kind:     by_value
      - .offset:         40
        .size:           8
        .value_kind:     by_value
      - .offset:         48
        .size:           8
        .value_kind:     by_value
      - .address_space:  global
        .offset:         56
        .size:           8
        .value_kind:     global_buffer
      - .offset:         64
        .size:           8
        .value_kind:     by_value
      - .offset:         72
        .size:           8
        .value_kind:     by_value
      - .offset:         80
        .size:           8
        .value_kind:     by_value
      - .address_space:  global
        .offset:         88
        .size:           8
        .value_kind:     global_buffer
      - .offset:         96
        .size:           8
        .value_kind:     by_value
      - .address_space:  global
        .offset:         104
        .size:           8
        .value_kind:     global_buffer
      - .offset:         112
        .size:           8
        .value_kind:     by_value
      - .offset:         120
        .size:           8
        .value_kind:     by_value
      - .offset:         128
        .size:           8
        .value_kind:     by_value
      - .offset:         136
        .size:           4
        .value_kind:     by_value
    .group_segment_fixed_size: 128
    .kernarg_segment_align: 8
    .kernarg_segment_size: 140
    .language:       OpenCL C
    .language_version:
      - 2
      - 0
    .max_flat_workgroup_size: 1024
    .name:           _ZL32rocblas_gemvt_warp_reduce_kernelILb0ELi1024ElPKDF16_PKfKPDF16_EviiT3_lPKT2_lT1_lS9_lSA_lS6_lPT4_lSA_li
    .private_segment_fixed_size: 0
    .sgpr_count:     33
    .sgpr_spill_count: 0
    .symbol:         _ZL32rocblas_gemvt_warp_reduce_kernelILb0ELi1024ElPKDF16_PKfKPDF16_EviiT3_lPKT2_lT1_lS9_lSA_lS6_lPT4_lSA_li.kd
    .uniform_work_group_size: 1
    .uses_dynamic_stack: false
    .vgpr_count:     11
    .vgpr_spill_count: 0
    .wavefront_size: 32
    .workgroup_processor_mode: 1
  - .args:
      - .offset:         0
        .size:           4
        .value_kind:     by_value
      - .offset:         4
        .size:           4
        .value_kind:     by_value
      - .offset:         8
        .size:           4
        .value_kind:     by_value
      - .offset:         16
        .size:           8
        .value_kind:     by_value
      - .address_space:  global
        .offset:         24
        .size:           8
        .value_kind:     global_buffer
      - .offset:         32
        .size:           8
        .value_kind:     by_value
      - .offset:         40
        .size:           4
        .value_kind:     by_value
      - .offset:         48
        .size:           8
        .value_kind:     by_value
      - .address_space:  global
        .offset:         56
        .size:           8
        .value_kind:     global_buffer
      - .offset:         64
        .size:           8
        .value_kind:     by_value
      - .offset:         72
        .size:           4
        .value_kind:     by_value
      - .offset:         80
        .size:           8
        .value_kind:     by_value
      - .offset:         88
        .size:           4
        .value_kind:     by_value
      - .offset:         96
        .size:           8
        .value_kind:     by_value
      - .address_space:  global
        .offset:         104
        .size:           8
        .value_kind:     global_buffer
      - .offset:         112
        .size:           8
        .value_kind:     by_value
      - .offset:         120
        .size:           4
        .value_kind:     by_value
      - .offset:         128
        .size:           8
        .value_kind:     by_value
      - .offset:         136
        .size:           4
        .value_kind:     by_value
    .group_segment_fixed_size: 128
    .kernarg_segment_align: 8
    .kernarg_segment_size: 140
    .language:       OpenCL C
    .language_version:
      - 2
      - 0
    .max_flat_workgroup_size: 1024
    .name:           _ZL32rocblas_gemvt_warp_reduce_kernelILb0ELi1024EiPKDF16_fKPDF16_EviiT3_lPKT2_lT1_lS7_lS8_lS4_lPT4_lS8_li
    .private_segment_fixed_size: 0
    .sgpr_count:     22
    .sgpr_spill_count: 0
    .symbol:         _ZL32rocblas_gemvt_warp_reduce_kernelILb0ELi1024EiPKDF16_fKPDF16_EviiT3_lPKT2_lT1_lS7_lS8_lS4_lPT4_lS8_li.kd
    .uniform_work_group_size: 1
    .uses_dynamic_stack: false
    .vgpr_count:     11
    .vgpr_spill_count: 0
    .wavefront_size: 32
    .workgroup_processor_mode: 1
  - .args:
      - .offset:         0
        .size:           4
        .value_kind:     by_value
      - .offset:         4
        .size:           4
        .value_kind:     by_value
      - .offset:         8
        .size:           4
        .value_kind:     by_value
      - .offset:         16
        .size:           8
        .value_kind:     by_value
      - .address_space:  global
        .offset:         24
        .size:           8
        .value_kind:     global_buffer
      - .offset:         32
        .size:           8
        .value_kind:     by_value
      - .offset:         40
        .size:           8
        .value_kind:     by_value
      - .offset:         48
        .size:           8
        .value_kind:     by_value
      - .address_space:  global
        .offset:         56
        .size:           8
        .value_kind:     global_buffer
      - .offset:         64
        .size:           8
        .value_kind:     by_value
      - .offset:         72
        .size:           8
        .value_kind:     by_value
      - .offset:         80
        .size:           8
        .value_kind:     by_value
      - .offset:         88
        .size:           4
        .value_kind:     by_value
      - .offset:         96
        .size:           8
        .value_kind:     by_value
      - .address_space:  global
        .offset:         104
        .size:           8
        .value_kind:     global_buffer
      - .offset:         112
        .size:           8
        .value_kind:     by_value
      - .offset:         120
        .size:           8
        .value_kind:     by_value
      - .offset:         128
        .size:           8
        .value_kind:     by_value
      - .offset:         136
        .size:           4
        .value_kind:     by_value
    .group_segment_fixed_size: 128
    .kernarg_segment_align: 8
    .kernarg_segment_size: 140
    .language:       OpenCL C
    .language_version:
      - 2
      - 0
    .max_flat_workgroup_size: 1024
    .name:           _ZL32rocblas_gemvt_warp_reduce_kernelILb0ELi1024ElPKDF16_fKPDF16_EviiT3_lPKT2_lT1_lS7_lS8_lS4_lPT4_lS8_li
    .private_segment_fixed_size: 0
    .sgpr_count:     28
    .sgpr_spill_count: 0
    .symbol:         _ZL32rocblas_gemvt_warp_reduce_kernelILb0ELi1024ElPKDF16_fKPDF16_EviiT3_lPKT2_lT1_lS7_lS8_lS4_lPT4_lS8_li.kd
    .uniform_work_group_size: 1
    .uses_dynamic_stack: false
    .vgpr_count:     11
    .vgpr_spill_count: 0
    .wavefront_size: 32
    .workgroup_processor_mode: 1
  - .args:
      - .offset:         0
        .size:           4
        .value_kind:     by_value
      - .offset:         4
        .size:           4
        .value_kind:     by_value
      - .address_space:  global
        .offset:         8
        .size:           8
        .value_kind:     global_buffer
      - .offset:         16
        .size:           8
        .value_kind:     by_value
      - .address_space:  global
        .offset:         24
        .size:           8
        .value_kind:     global_buffer
      - .offset:         32
        .size:           8
        .value_kind:     by_value
      - .offset:         40
        .size:           4
        .value_kind:     by_value
      - .offset:         48
        .size:           8
        .value_kind:     by_value
      - .address_space:  global
        .offset:         56
        .size:           8
        .value_kind:     global_buffer
      - .offset:         64
        .size:           8
        .value_kind:     by_value
      - .offset:         72
        .size:           4
        .value_kind:     by_value
      - .offset:         80
        .size:           8
        .value_kind:     by_value
      - .address_space:  global
        .offset:         88
        .size:           8
        .value_kind:     global_buffer
      - .offset:         96
        .size:           8
        .value_kind:     by_value
      - .address_space:  global
        .offset:         104
        .size:           8
        .value_kind:     global_buffer
      - .offset:         112
        .size:           8
        .value_kind:     by_value
      - .offset:         120
        .size:           4
        .value_kind:     by_value
      - .offset:         128
        .size:           8
        .value_kind:     by_value
    .group_segment_fixed_size: 256
    .kernarg_segment_align: 8
    .kernarg_segment_size: 136
    .language:       OpenCL C
    .language_version:
      - 2
      - 0
    .max_flat_workgroup_size: 256
    .name:           _ZL22rocblas_gemvtsm_kernelILb1ELi256EPKDF16_PKfKPDF16_EviiT2_lPKT1_lilS9_lilS6_lPT3_lil
    .private_segment_fixed_size: 0
    .sgpr_count:     24
    .sgpr_spill_count: 0
    .symbol:         _ZL22rocblas_gemvtsm_kernelILb1ELi256EPKDF16_PKfKPDF16_EviiT2_lPKT1_lilS9_lilS6_lPT3_lil.kd
    .uniform_work_group_size: 1
    .uses_dynamic_stack: false
    .vgpr_count:     20
    .vgpr_spill_count: 0
    .wavefront_size: 32
    .workgroup_processor_mode: 1
  - .args:
      - .offset:         0
        .size:           4
        .value_kind:     by_value
      - .offset:         4
        .size:           4
        .value_kind:     by_value
      - .offset:         8
        .size:           4
        .value_kind:     by_value
      - .offset:         16
        .size:           8
        .value_kind:     by_value
      - .address_space:  global
        .offset:         24
        .size:           8
        .value_kind:     global_buffer
      - .offset:         32
        .size:           8
        .value_kind:     by_value
      - .offset:         40
        .size:           4
        .value_kind:     by_value
      - .offset:         48
        .size:           8
        .value_kind:     by_value
      - .address_space:  global
        .offset:         56
        .size:           8
        .value_kind:     global_buffer
      - .offset:         64
        .size:           8
        .value_kind:     by_value
      - .offset:         72
        .size:           4
        .value_kind:     by_value
      - .offset:         80
        .size:           8
        .value_kind:     by_value
      - .offset:         88
        .size:           4
        .value_kind:     by_value
      - .offset:         96
        .size:           8
        .value_kind:     by_value
      - .address_space:  global
        .offset:         104
        .size:           8
        .value_kind:     global_buffer
      - .offset:         112
        .size:           8
        .value_kind:     by_value
      - .offset:         120
        .size:           4
        .value_kind:     by_value
      - .offset:         128
        .size:           8
        .value_kind:     by_value
    .group_segment_fixed_size: 256
    .kernarg_segment_align: 8
    .kernarg_segment_size: 136
    .language:       OpenCL C
    .language_version:
      - 2
      - 0
    .max_flat_workgroup_size: 256
    .name:           _ZL22rocblas_gemvtsm_kernelILb1ELi256EPKDF16_fKPDF16_EviiT2_lPKT1_lilS7_lilS4_lPT3_lil
    .private_segment_fixed_size: 0
    .sgpr_count:     22
    .sgpr_spill_count: 0
    .symbol:         _ZL22rocblas_gemvtsm_kernelILb1ELi256EPKDF16_fKPDF16_EviiT2_lPKT1_lilS7_lilS4_lPT3_lil.kd
    .uniform_work_group_size: 1
    .uses_dynamic_stack: false
    .vgpr_count:     20
    .vgpr_spill_count: 0
    .wavefront_size: 32
    .workgroup_processor_mode: 1
  - .args:
      - .offset:         0
        .size:           4
        .value_kind:     by_value
      - .offset:         4
        .size:           4
        .value_kind:     by_value
      - .address_space:  global
        .offset:         8
        .size:           8
        .value_kind:     global_buffer
      - .offset:         16
        .size:           8
        .value_kind:     by_value
      - .address_space:  global
        .offset:         24
        .size:           8
        .value_kind:     global_buffer
      - .offset:         32
        .size:           8
        .value_kind:     by_value
      - .offset:         40
        .size:           4
        .value_kind:     by_value
      - .offset:         48
        .size:           8
        .value_kind:     by_value
      - .address_space:  global
        .offset:         56
        .size:           8
        .value_kind:     global_buffer
      - .offset:         64
        .size:           8
        .value_kind:     by_value
      - .offset:         72
        .size:           4
        .value_kind:     by_value
      - .offset:         80
        .size:           8
        .value_kind:     by_value
      - .address_space:  global
        .offset:         88
        .size:           8
        .value_kind:     global_buffer
      - .offset:         96
        .size:           4
        .value_kind:     by_value
      - .offset:         104
        .size:           4
        .value_kind:     hidden_block_count_x
      - .offset:         108
        .size:           4
        .value_kind:     hidden_block_count_y
      - .offset:         112
        .size:           4
        .value_kind:     hidden_block_count_z
      - .offset:         116
        .size:           2
        .value_kind:     hidden_group_size_x
      - .offset:         118
        .size:           2
        .value_kind:     hidden_group_size_y
      - .offset:         120
        .size:           2
        .value_kind:     hidden_group_size_z
      - .offset:         122
        .size:           2
        .value_kind:     hidden_remainder_x
      - .offset:         124
        .size:           2
        .value_kind:     hidden_remainder_y
      - .offset:         126
        .size:           2
        .value_kind:     hidden_remainder_z
      - .offset:         144
        .size:           8
        .value_kind:     hidden_global_offset_x
      - .offset:         152
        .size:           8
        .value_kind:     hidden_global_offset_y
      - .offset:         160
        .size:           8
        .value_kind:     hidden_global_offset_z
      - .offset:         168
        .size:           2
        .value_kind:     hidden_grid_dims
    .group_segment_fixed_size: 128
    .kernarg_segment_align: 8
    .kernarg_segment_size: 360
    .language:       OpenCL C
    .language_version:
      - 2
      - 0
    .max_flat_workgroup_size: 256
    .name:           _ZL23rocblas_gemvt_sn_kernelILb1ELi256ELi4EiPKDF16_PKffEviiT4_lPKT3_lilS7_lilPT5_i
    .private_segment_fixed_size: 0
    .sgpr_count:     44
    .sgpr_spill_count: 0
    .symbol:         _ZL23rocblas_gemvt_sn_kernelILb1ELi256ELi4EiPKDF16_PKffEviiT4_lPKT3_lilS7_lilPT5_i.kd
    .uniform_work_group_size: 1
    .uses_dynamic_stack: false
    .vgpr_count:     44
    .vgpr_spill_count: 0
    .wavefront_size: 32
    .workgroup_processor_mode: 1
  - .args:
      - .offset:         0
        .size:           4
        .value_kind:     by_value
      - .offset:         4
        .size:           4
        .value_kind:     by_value
      - .address_space:  global
        .offset:         8
        .size:           8
        .value_kind:     global_buffer
      - .offset:         16
        .size:           8
        .value_kind:     by_value
      - .address_space:  global
        .offset:         24
        .size:           8
        .value_kind:     global_buffer
      - .offset:         32
        .size:           8
        .value_kind:     by_value
      - .offset:         40
        .size:           4
        .value_kind:     by_value
      - .offset:         48
        .size:           8
        .value_kind:     by_value
      - .address_space:  global
        .offset:         56
        .size:           8
        .value_kind:     global_buffer
      - .offset:         64
        .size:           8
        .value_kind:     by_value
      - .offset:         72
        .size:           4
        .value_kind:     by_value
      - .offset:         80
        .size:           8
        .value_kind:     by_value
      - .address_space:  global
        .offset:         88
        .size:           8
        .value_kind:     global_buffer
      - .offset:         96
        .size:           4
        .value_kind:     by_value
      - .offset:         104
        .size:           4
        .value_kind:     hidden_block_count_x
      - .offset:         108
        .size:           4
        .value_kind:     hidden_block_count_y
      - .offset:         112
        .size:           4
        .value_kind:     hidden_block_count_z
      - .offset:         116
        .size:           2
        .value_kind:     hidden_group_size_x
      - .offset:         118
        .size:           2
        .value_kind:     hidden_group_size_y
      - .offset:         120
        .size:           2
        .value_kind:     hidden_group_size_z
      - .offset:         122
        .size:           2
        .value_kind:     hidden_remainder_x
      - .offset:         124
        .size:           2
        .value_kind:     hidden_remainder_y
      - .offset:         126
        .size:           2
        .value_kind:     hidden_remainder_z
      - .offset:         144
        .size:           8
        .value_kind:     hidden_global_offset_x
      - .offset:         152
        .size:           8
        .value_kind:     hidden_global_offset_y
      - .offset:         160
        .size:           8
        .value_kind:     hidden_global_offset_z
      - .offset:         168
        .size:           2
        .value_kind:     hidden_grid_dims
    .group_segment_fixed_size: 128
    .kernarg_segment_align: 8
    .kernarg_segment_size: 360
    .language:       OpenCL C
    .language_version:
      - 2
      - 0
    .max_flat_workgroup_size: 256
    .name:           _ZL23rocblas_gemvt_sn_kernelILb1ELi256ELi4ElPKDF16_PKffEviiT4_lPKT3_lilS7_lilPT5_i
    .private_segment_fixed_size: 0
    .sgpr_count:     48
    .sgpr_spill_count: 0
    .symbol:         _ZL23rocblas_gemvt_sn_kernelILb1ELi256ELi4ElPKDF16_PKffEviiT4_lPKT3_lilS7_lilPT5_i.kd
    .uniform_work_group_size: 1
    .uses_dynamic_stack: false
    .vgpr_count:     49
    .vgpr_spill_count: 0
    .wavefront_size: 32
    .workgroup_processor_mode: 1
  - .args:
      - .offset:         0
        .size:           4
        .value_kind:     by_value
      - .offset:         4
        .size:           4
        .value_kind:     by_value
      - .offset:         8
        .size:           4
        .value_kind:     by_value
      - .offset:         16
        .size:           8
        .value_kind:     by_value
      - .address_space:  global
        .offset:         24
        .size:           8
        .value_kind:     global_buffer
      - .offset:         32
        .size:           8
        .value_kind:     by_value
      - .offset:         40
        .size:           4
        .value_kind:     by_value
      - .offset:         48
        .size:           8
        .value_kind:     by_value
      - .address_space:  global
        .offset:         56
        .size:           8
        .value_kind:     global_buffer
      - .offset:         64
        .size:           8
        .value_kind:     by_value
      - .offset:         72
        .size:           4
        .value_kind:     by_value
      - .offset:         80
        .size:           8
        .value_kind:     by_value
      - .address_space:  global
        .offset:         88
        .size:           8
        .value_kind:     global_buffer
      - .offset:         96
        .size:           4
        .value_kind:     by_value
      - .offset:         104
        .size:           4
        .value_kind:     hidden_block_count_x
      - .offset:         108
        .size:           4
        .value_kind:     hidden_block_count_y
      - .offset:         112
        .size:           4
        .value_kind:     hidden_block_count_z
      - .offset:         116
        .size:           2
        .value_kind:     hidden_group_size_x
      - .offset:         118
        .size:           2
        .value_kind:     hidden_group_size_y
      - .offset:         120
        .size:           2
        .value_kind:     hidden_group_size_z
      - .offset:         122
        .size:           2
        .value_kind:     hidden_remainder_x
      - .offset:         124
        .size:           2
        .value_kind:     hidden_remainder_y
      - .offset:         126
        .size:           2
        .value_kind:     hidden_remainder_z
      - .offset:         144
        .size:           8
        .value_kind:     hidden_global_offset_x
      - .offset:         152
        .size:           8
        .value_kind:     hidden_global_offset_y
      - .offset:         160
        .size:           8
        .value_kind:     hidden_global_offset_z
      - .offset:         168
        .size:           2
        .value_kind:     hidden_grid_dims
    .group_segment_fixed_size: 128
    .kernarg_segment_align: 8
    .kernarg_segment_size: 360
    .language:       OpenCL C
    .language_version:
      - 2
      - 0
    .max_flat_workgroup_size: 256
    .name:           _ZL23rocblas_gemvt_sn_kernelILb1ELi256ELi4EiPKDF16_ffEviiT4_lPKT3_lilS5_lilPT5_i
    .private_segment_fixed_size: 0
    .sgpr_count:     44
    .sgpr_spill_count: 0
    .symbol:         _ZL23rocblas_gemvt_sn_kernelILb1ELi256ELi4EiPKDF16_ffEviiT4_lPKT3_lilS5_lilPT5_i.kd
    .uniform_work_group_size: 1
    .uses_dynamic_stack: false
    .vgpr_count:     44
    .vgpr_spill_count: 0
    .wavefront_size: 32
    .workgroup_processor_mode: 1
  - .args:
      - .offset:         0
        .size:           4
        .value_kind:     by_value
      - .offset:         4
        .size:           4
        .value_kind:     by_value
      - .offset:         8
        .size:           4
        .value_kind:     by_value
      - .offset:         16
        .size:           8
        .value_kind:     by_value
      - .address_space:  global
        .offset:         24
        .size:           8
        .value_kind:     global_buffer
      - .offset:         32
        .size:           8
        .value_kind:     by_value
      - .offset:         40
        .size:           4
        .value_kind:     by_value
      - .offset:         48
        .size:           8
        .value_kind:     by_value
      - .address_space:  global
        .offset:         56
        .size:           8
        .value_kind:     global_buffer
      - .offset:         64
        .size:           8
        .value_kind:     by_value
      - .offset:         72
        .size:           4
        .value_kind:     by_value
      - .offset:         80
        .size:           8
        .value_kind:     by_value
      - .address_space:  global
        .offset:         88
        .size:           8
        .value_kind:     global_buffer
      - .offset:         96
        .size:           4
        .value_kind:     by_value
      - .offset:         104
        .size:           4
        .value_kind:     hidden_block_count_x
      - .offset:         108
        .size:           4
        .value_kind:     hidden_block_count_y
      - .offset:         112
        .size:           4
        .value_kind:     hidden_block_count_z
      - .offset:         116
        .size:           2
        .value_kind:     hidden_group_size_x
      - .offset:         118
        .size:           2
        .value_kind:     hidden_group_size_y
      - .offset:         120
        .size:           2
        .value_kind:     hidden_group_size_z
      - .offset:         122
        .size:           2
        .value_kind:     hidden_remainder_x
      - .offset:         124
        .size:           2
        .value_kind:     hidden_remainder_y
      - .offset:         126
        .size:           2
        .value_kind:     hidden_remainder_z
      - .offset:         144
        .size:           8
        .value_kind:     hidden_global_offset_x
      - .offset:         152
        .size:           8
        .value_kind:     hidden_global_offset_y
      - .offset:         160
        .size:           8
        .value_kind:     hidden_global_offset_z
      - .offset:         168
        .size:           2
        .value_kind:     hidden_grid_dims
    .group_segment_fixed_size: 128
    .kernarg_segment_align: 8
    .kernarg_segment_size: 360
    .language:       OpenCL C
    .language_version:
      - 2
      - 0
    .max_flat_workgroup_size: 256
    .name:           _ZL23rocblas_gemvt_sn_kernelILb1ELi256ELi4ElPKDF16_ffEviiT4_lPKT3_lilS5_lilPT5_i
    .private_segment_fixed_size: 0
    .sgpr_count:     48
    .sgpr_spill_count: 0
    .symbol:         _ZL23rocblas_gemvt_sn_kernelILb1ELi256ELi4ElPKDF16_ffEviiT4_lPKT3_lilS5_lilPT5_i.kd
    .uniform_work_group_size: 1
    .uses_dynamic_stack: false
    .vgpr_count:     49
    .vgpr_spill_count: 0
    .wavefront_size: 32
    .workgroup_processor_mode: 1
  - .args:
      - .offset:         0
        .size:           4
        .value_kind:     by_value
      - .offset:         4
        .size:           4
        .value_kind:     by_value
      - .address_space:  global
        .offset:         8
        .size:           8
        .value_kind:     global_buffer
      - .offset:         16
        .size:           8
        .value_kind:     by_value
      - .address_space:  global
        .offset:         24
        .size:           8
        .value_kind:     global_buffer
      - .offset:         32
        .size:           8
        .value_kind:     by_value
      - .offset:         40
        .size:           4
        .value_kind:     by_value
      - .offset:         48
        .size:           8
        .value_kind:     by_value
      - .address_space:  global
        .offset:         56
        .size:           8
        .value_kind:     global_buffer
      - .offset:         64
        .size:           8
        .value_kind:     by_value
      - .offset:         72
        .size:           4
        .value_kind:     by_value
      - .offset:         80
        .size:           8
        .value_kind:     by_value
      - .address_space:  global
        .offset:         88
        .size:           8
        .value_kind:     global_buffer
      - .offset:         96
        .size:           8
        .value_kind:     by_value
      - .address_space:  global
        .offset:         104
        .size:           8
        .value_kind:     global_buffer
      - .offset:         112
        .size:           8
        .value_kind:     by_value
      - .offset:         120
        .size:           4
        .value_kind:     by_value
      - .offset:         128
        .size:           8
        .value_kind:     by_value
      - .offset:         136
        .size:           4
        .value_kind:     by_value
    .group_segment_fixed_size: 1024
    .kernarg_segment_align: 8
    .kernarg_segment_size: 140
    .language:       OpenCL C
    .language_version:
      - 2
      - 0
    .max_flat_workgroup_size: 256
    .name:           _ZL20rocblas_gemvt_kernelILb1ELi256EPKDF16_PKfKPDF16_EviiT2_lPKT1_lilS9_lilS6_lPT3_lili
    .private_segment_fixed_size: 0
    .sgpr_count:     26
    .sgpr_spill_count: 0
    .symbol:         _ZL20rocblas_gemvt_kernelILb1ELi256EPKDF16_PKfKPDF16_EviiT2_lPKT1_lilS9_lilS6_lPT3_lili.kd
    .uniform_work_group_size: 1
    .uses_dynamic_stack: false
    .vgpr_count:     10
    .vgpr_spill_count: 0
    .wavefront_size: 32
    .workgroup_processor_mode: 1
  - .args:
      - .offset:         0
        .size:           4
        .value_kind:     by_value
      - .offset:         4
        .size:           4
        .value_kind:     by_value
      - .offset:         8
        .size:           4
        .value_kind:     by_value
      - .offset:         16
        .size:           8
        .value_kind:     by_value
      - .address_space:  global
        .offset:         24
        .size:           8
        .value_kind:     global_buffer
      - .offset:         32
        .size:           8
        .value_kind:     by_value
      - .offset:         40
        .size:           4
        .value_kind:     by_value
      - .offset:         48
        .size:           8
        .value_kind:     by_value
      - .address_space:  global
        .offset:         56
        .size:           8
        .value_kind:     global_buffer
      - .offset:         64
        .size:           8
        .value_kind:     by_value
      - .offset:         72
        .size:           4
        .value_kind:     by_value
      - .offset:         80
        .size:           8
        .value_kind:     by_value
      - .offset:         88
        .size:           4
        .value_kind:     by_value
      - .offset:         96
        .size:           8
        .value_kind:     by_value
      - .address_space:  global
        .offset:         104
        .size:           8
        .value_kind:     global_buffer
      - .offset:         112
        .size:           8
        .value_kind:     by_value
      - .offset:         120
        .size:           4
        .value_kind:     by_value
      - .offset:         128
        .size:           8
        .value_kind:     by_value
      - .offset:         136
        .size:           4
        .value_kind:     by_value
    .group_segment_fixed_size: 1024
    .kernarg_segment_align: 8
    .kernarg_segment_size: 140
    .language:       OpenCL C
    .language_version:
      - 2
      - 0
    .max_flat_workgroup_size: 256
    .name:           _ZL20rocblas_gemvt_kernelILb1ELi256EPKDF16_fKPDF16_EviiT2_lPKT1_lilS7_lilS4_lPT3_lili
    .private_segment_fixed_size: 0
    .sgpr_count:     22
    .sgpr_spill_count: 0
    .symbol:         _ZL20rocblas_gemvt_kernelILb1ELi256EPKDF16_fKPDF16_EviiT2_lPKT1_lilS7_lilS4_lPT3_lili.kd
    .uniform_work_group_size: 1
    .uses_dynamic_stack: false
    .vgpr_count:     10
    .vgpr_spill_count: 0
    .wavefront_size: 32
    .workgroup_processor_mode: 1
  - .args:
      - .offset:         0
        .size:           4
        .value_kind:     by_value
      - .offset:         4
        .size:           4
        .value_kind:     by_value
      - .address_space:  global
        .offset:         8
        .size:           8
        .value_kind:     global_buffer
      - .offset:         16
        .size:           8
        .value_kind:     by_value
      - .address_space:  global
        .offset:         24
        .size:           8
        .value_kind:     global_buffer
      - .offset:         32
        .size:           8
        .value_kind:     by_value
      - .offset:         40
        .size:           4
        .value_kind:     by_value
      - .offset:         48
        .size:           8
        .value_kind:     by_value
      - .address_space:  global
        .offset:         56
        .size:           8
        .value_kind:     global_buffer
      - .offset:         64
        .size:           8
        .value_kind:     by_value
      - .offset:         72
        .size:           4
        .value_kind:     by_value
      - .offset:         80
        .size:           8
        .value_kind:     by_value
      - .address_space:  global
        .offset:         88
        .size:           8
        .value_kind:     global_buffer
      - .offset:         96
        .size:           8
        .value_kind:     by_value
      - .address_space:  global
        .offset:         104
        .size:           8
        .value_kind:     global_buffer
      - .offset:         112
        .size:           8
        .value_kind:     by_value
      - .offset:         120
        .size:           4
        .value_kind:     by_value
      - .offset:         128
        .size:           8
        .value_kind:     by_value
      - .offset:         136
        .size:           4
        .value_kind:     by_value
    .group_segment_fixed_size: 128
    .kernarg_segment_align: 8
    .kernarg_segment_size: 140
    .language:       OpenCL C
    .language_version:
      - 2
      - 0
    .max_flat_workgroup_size: 1024
    .name:           _ZL32rocblas_gemvt_warp_reduce_kernelILb1ELi1024EiPKDF16_PKfKPDF16_EviiT3_lPKT2_lT1_lS9_lSA_lS6_lPT4_lSA_li
    .private_segment_fixed_size: 0
    .sgpr_count:     26
    .sgpr_spill_count: 0
    .symbol:         _ZL32rocblas_gemvt_warp_reduce_kernelILb1ELi1024EiPKDF16_PKfKPDF16_EviiT3_lPKT2_lT1_lS9_lSA_lS6_lPT4_lSA_li.kd
    .uniform_work_group_size: 1
    .uses_dynamic_stack: false
    .vgpr_count:     11
    .vgpr_spill_count: 0
    .wavefront_size: 32
    .workgroup_processor_mode: 1
  - .args:
      - .offset:         0
        .size:           4
        .value_kind:     by_value
      - .offset:         4
        .size:           4
        .value_kind:     by_value
      - .address_space:  global
        .offset:         8
        .size:           8
        .value_kind:     global_buffer
      - .offset:         16
        .size:           8
        .value_kind:     by_value
      - .address_space:  global
        .offset:         24
        .size:           8
        .value_kind:     global_buffer
      - .offset:         32
        .size:           8
        .value_kind:     by_value
      - .offset:         40
        .size:           8
        .value_kind:     by_value
      - .offset:         48
        .size:           8
        .value_kind:     by_value
      - .address_space:  global
        .offset:         56
        .size:           8
        .value_kind:     global_buffer
      - .offset:         64
        .size:           8
        .value_kind:     by_value
      - .offset:         72
        .size:           8
        .value_kind:     by_value
      - .offset:         80
        .size:           8
        .value_kind:     by_value
      - .address_space:  global
        .offset:         88
        .size:           8
        .value_kind:     global_buffer
      - .offset:         96
        .size:           8
        .value_kind:     by_value
      - .address_space:  global
        .offset:         104
        .size:           8
        .value_kind:     global_buffer
      - .offset:         112
        .size:           8
        .value_kind:     by_value
      - .offset:         120
        .size:           8
        .value_kind:     by_value
      - .offset:         128
        .size:           8
        .value_kind:     by_value
      - .offset:         136
        .size:           4
        .value_kind:     by_value
    .group_segment_fixed_size: 128
    .kernarg_segment_align: 8
    .kernarg_segment_size: 140
    .language:       OpenCL C
    .language_version:
      - 2
      - 0
    .max_flat_workgroup_size: 1024
    .name:           _ZL32rocblas_gemvt_warp_reduce_kernelILb1ELi1024ElPKDF16_PKfKPDF16_EviiT3_lPKT2_lT1_lS9_lSA_lS6_lPT4_lSA_li
    .private_segment_fixed_size: 0
    .sgpr_count:     33
    .sgpr_spill_count: 0
    .symbol:         _ZL32rocblas_gemvt_warp_reduce_kernelILb1ELi1024ElPKDF16_PKfKPDF16_EviiT3_lPKT2_lT1_lS9_lSA_lS6_lPT4_lSA_li.kd
    .uniform_work_group_size: 1
    .uses_dynamic_stack: false
    .vgpr_count:     11
    .vgpr_spill_count: 0
    .wavefront_size: 32
    .workgroup_processor_mode: 1
  - .args:
      - .offset:         0
        .size:           4
        .value_kind:     by_value
      - .offset:         4
        .size:           4
        .value_kind:     by_value
      - .offset:         8
        .size:           4
        .value_kind:     by_value
      - .offset:         16
        .size:           8
        .value_kind:     by_value
      - .address_space:  global
        .offset:         24
        .size:           8
        .value_kind:     global_buffer
      - .offset:         32
        .size:           8
        .value_kind:     by_value
      - .offset:         40
        .size:           4
        .value_kind:     by_value
      - .offset:         48
        .size:           8
        .value_kind:     by_value
      - .address_space:  global
        .offset:         56
        .size:           8
        .value_kind:     global_buffer
      - .offset:         64
        .size:           8
        .value_kind:     by_value
      - .offset:         72
        .size:           4
        .value_kind:     by_value
      - .offset:         80
        .size:           8
        .value_kind:     by_value
      - .offset:         88
        .size:           4
        .value_kind:     by_value
      - .offset:         96
        .size:           8
        .value_kind:     by_value
      - .address_space:  global
        .offset:         104
        .size:           8
        .value_kind:     global_buffer
      - .offset:         112
        .size:           8
        .value_kind:     by_value
      - .offset:         120
        .size:           4
        .value_kind:     by_value
      - .offset:         128
        .size:           8
        .value_kind:     by_value
      - .offset:         136
        .size:           4
        .value_kind:     by_value
    .group_segment_fixed_size: 128
    .kernarg_segment_align: 8
    .kernarg_segment_size: 140
    .language:       OpenCL C
    .language_version:
      - 2
      - 0
    .max_flat_workgroup_size: 1024
    .name:           _ZL32rocblas_gemvt_warp_reduce_kernelILb1ELi1024EiPKDF16_fKPDF16_EviiT3_lPKT2_lT1_lS7_lS8_lS4_lPT4_lS8_li
    .private_segment_fixed_size: 0
    .sgpr_count:     22
    .sgpr_spill_count: 0
    .symbol:         _ZL32rocblas_gemvt_warp_reduce_kernelILb1ELi1024EiPKDF16_fKPDF16_EviiT3_lPKT2_lT1_lS7_lS8_lS4_lPT4_lS8_li.kd
    .uniform_work_group_size: 1
    .uses_dynamic_stack: false
    .vgpr_count:     11
    .vgpr_spill_count: 0
    .wavefront_size: 32
    .workgroup_processor_mode: 1
  - .args:
      - .offset:         0
        .size:           4
        .value_kind:     by_value
      - .offset:         4
        .size:           4
        .value_kind:     by_value
      - .offset:         8
        .size:           4
        .value_kind:     by_value
      - .offset:         16
        .size:           8
        .value_kind:     by_value
      - .address_space:  global
        .offset:         24
        .size:           8
        .value_kind:     global_buffer
      - .offset:         32
        .size:           8
        .value_kind:     by_value
      - .offset:         40
        .size:           8
        .value_kind:     by_value
      - .offset:         48
        .size:           8
        .value_kind:     by_value
      - .address_space:  global
        .offset:         56
        .size:           8
        .value_kind:     global_buffer
      - .offset:         64
        .size:           8
        .value_kind:     by_value
      - .offset:         72
        .size:           8
        .value_kind:     by_value
      - .offset:         80
        .size:           8
        .value_kind:     by_value
      - .offset:         88
        .size:           4
        .value_kind:     by_value
      - .offset:         96
        .size:           8
        .value_kind:     by_value
      - .address_space:  global
        .offset:         104
        .size:           8
        .value_kind:     global_buffer
      - .offset:         112
        .size:           8
        .value_kind:     by_value
      - .offset:         120
        .size:           8
        .value_kind:     by_value
      - .offset:         128
        .size:           8
        .value_kind:     by_value
      - .offset:         136
        .size:           4
        .value_kind:     by_value
    .group_segment_fixed_size: 128
    .kernarg_segment_align: 8
    .kernarg_segment_size: 140
    .language:       OpenCL C
    .language_version:
      - 2
      - 0
    .max_flat_workgroup_size: 1024
    .name:           _ZL32rocblas_gemvt_warp_reduce_kernelILb1ELi1024ElPKDF16_fKPDF16_EviiT3_lPKT2_lT1_lS7_lS8_lS4_lPT4_lS8_li
    .private_segment_fixed_size: 0
    .sgpr_count:     28
    .sgpr_spill_count: 0
    .symbol:         _ZL32rocblas_gemvt_warp_reduce_kernelILb1ELi1024ElPKDF16_fKPDF16_EviiT3_lPKT2_lT1_lS7_lS8_lS4_lPT4_lS8_li.kd
    .uniform_work_group_size: 1
    .uses_dynamic_stack: false
    .vgpr_count:     11
    .vgpr_spill_count: 0
    .wavefront_size: 32
    .workgroup_processor_mode: 1
  - .args:
      - .offset:         0
        .size:           4
        .value_kind:     by_value
      - .offset:         4
        .size:           4
        .value_kind:     by_value
      - .address_space:  global
        .offset:         8
        .size:           8
        .value_kind:     global_buffer
      - .offset:         16
        .size:           8
        .value_kind:     by_value
      - .address_space:  global
        .offset:         24
        .size:           8
        .value_kind:     global_buffer
      - .offset:         32
        .size:           8
        .value_kind:     by_value
      - .offset:         40
        .size:           4
        .value_kind:     by_value
      - .offset:         48
        .size:           8
        .value_kind:     by_value
      - .address_space:  global
        .offset:         56
        .size:           8
        .value_kind:     global_buffer
      - .offset:         64
        .size:           8
        .value_kind:     by_value
      - .offset:         72
        .size:           4
        .value_kind:     by_value
      - .offset:         80
        .size:           8
        .value_kind:     by_value
      - .address_space:  global
        .offset:         88
        .size:           8
        .value_kind:     global_buffer
      - .offset:         96
        .size:           8
        .value_kind:     by_value
      - .address_space:  global
        .offset:         104
        .size:           8
        .value_kind:     global_buffer
      - .offset:         112
        .size:           8
        .value_kind:     by_value
      - .offset:         120
        .size:           4
        .value_kind:     by_value
      - .offset:         128
        .size:           8
        .value_kind:     by_value
      - .offset:         136
        .size:           4
        .value_kind:     by_value
    .group_segment_fixed_size: 0
    .kernarg_segment_align: 8
    .kernarg_segment_size: 140
    .language:       OpenCL C
    .language_version:
      - 2
      - 0
    .max_flat_workgroup_size: 768
    .name:           _ZL34rocblas_gemvn_sm_mn_batched_kernelILi32ELi24EDF16_PKffEviiT2_lPKT1_lilS5_lilS2_lPT3_lili
    .private_segment_fixed_size: 0
    .sgpr_count:     0
    .sgpr_spill_count: 0
    .symbol:         _ZL34rocblas_gemvn_sm_mn_batched_kernelILi32ELi24EDF16_PKffEviiT2_lPKT1_lilS5_lilS2_lPT3_lili.kd
    .uniform_work_group_size: 1
    .uses_dynamic_stack: false
    .vgpr_count:     0
    .vgpr_spill_count: 0
    .wavefront_size: 32
    .workgroup_processor_mode: 1
  - .args:
      - .offset:         0
        .size:           4
        .value_kind:     by_value
      - .offset:         4
        .size:           4
        .value_kind:     by_value
      - .offset:         8
        .size:           4
        .value_kind:     by_value
      - .offset:         16
        .size:           8
        .value_kind:     by_value
      - .address_space:  global
        .offset:         24
        .size:           8
        .value_kind:     global_buffer
      - .offset:         32
        .size:           8
        .value_kind:     by_value
      - .offset:         40
        .size:           4
        .value_kind:     by_value
      - .offset:         48
        .size:           8
        .value_kind:     by_value
      - .address_space:  global
        .offset:         56
        .size:           8
        .value_kind:     global_buffer
      - .offset:         64
        .size:           8
        .value_kind:     by_value
      - .offset:         72
        .size:           4
        .value_kind:     by_value
      - .offset:         80
        .size:           8
        .value_kind:     by_value
      - .offset:         88
        .size:           4
        .value_kind:     by_value
      - .offset:         96
        .size:           8
        .value_kind:     by_value
      - .address_space:  global
        .offset:         104
        .size:           8
        .value_kind:     global_buffer
      - .offset:         112
        .size:           8
        .value_kind:     by_value
      - .offset:         120
        .size:           4
        .value_kind:     by_value
      - .offset:         128
        .size:           8
        .value_kind:     by_value
      - .offset:         136
        .size:           4
        .value_kind:     by_value
    .group_segment_fixed_size: 0
    .kernarg_segment_align: 8
    .kernarg_segment_size: 140
    .language:       OpenCL C
    .language_version:
      - 2
      - 0
    .max_flat_workgroup_size: 768
    .name:           _ZL34rocblas_gemvn_sm_mn_batched_kernelILi32ELi24EDF16_ffEviiT2_lPKT1_lilS3_lilS0_lPT3_lili
    .private_segment_fixed_size: 0
    .sgpr_count:     0
    .sgpr_spill_count: 0
    .symbol:         _ZL34rocblas_gemvn_sm_mn_batched_kernelILi32ELi24EDF16_ffEviiT2_lPKT1_lilS3_lilS0_lPT3_lili.kd
    .uniform_work_group_size: 1
    .uses_dynamic_stack: false
    .vgpr_count:     0
    .vgpr_spill_count: 0
    .wavefront_size: 32
    .workgroup_processor_mode: 1
  - .args:
      - .offset:         0
        .size:           4
        .value_kind:     by_value
      - .offset:         4
        .size:           4
        .value_kind:     by_value
      - .address_space:  global
        .offset:         8
        .size:           8
        .value_kind:     global_buffer
      - .offset:         16
        .size:           8
        .value_kind:     by_value
      - .address_space:  global
        .offset:         24
        .size:           8
        .value_kind:     global_buffer
      - .offset:         32
        .size:           8
        .value_kind:     by_value
      - .offset:         40
        .size:           4
        .value_kind:     by_value
      - .offset:         48
        .size:           8
        .value_kind:     by_value
      - .address_space:  global
        .offset:         56
        .size:           8
        .value_kind:     global_buffer
      - .offset:         64
        .size:           8
        .value_kind:     by_value
      - .offset:         72
        .size:           4
        .value_kind:     by_value
      - .offset:         80
        .size:           8
        .value_kind:     by_value
      - .address_space:  global
        .offset:         88
        .size:           8
        .value_kind:     global_buffer
      - .offset:         96
        .size:           8
        .value_kind:     by_value
      - .address_space:  global
        .offset:         104
        .size:           8
        .value_kind:     global_buffer
      - .offset:         112
        .size:           8
        .value_kind:     by_value
      - .offset:         120
        .size:           4
        .value_kind:     by_value
      - .offset:         128
        .size:           8
        .value_kind:     by_value
      - .offset:         136
        .size:           4
        .value_kind:     by_value
      - .offset:         144
        .size:           4
        .value_kind:     hidden_block_count_x
      - .offset:         148
        .size:           4
        .value_kind:     hidden_block_count_y
      - .offset:         152
        .size:           4
        .value_kind:     hidden_block_count_z
      - .offset:         156
        .size:           2
        .value_kind:     hidden_group_size_x
      - .offset:         158
        .size:           2
        .value_kind:     hidden_group_size_y
      - .offset:         160
        .size:           2
        .value_kind:     hidden_group_size_z
      - .offset:         162
        .size:           2
        .value_kind:     hidden_remainder_x
      - .offset:         164
        .size:           2
        .value_kind:     hidden_remainder_y
      - .offset:         166
        .size:           2
        .value_kind:     hidden_remainder_z
      - .offset:         184
        .size:           8
        .value_kind:     hidden_global_offset_x
      - .offset:         192
        .size:           8
        .value_kind:     hidden_global_offset_y
      - .offset:         200
        .size:           8
        .value_kind:     hidden_global_offset_z
      - .offset:         208
        .size:           2
        .value_kind:     hidden_grid_dims
    .group_segment_fixed_size: 4096
    .kernarg_segment_align: 8
    .kernarg_segment_size: 400
    .language:       OpenCL C
    .language_version:
      - 2
      - 0
    .max_flat_workgroup_size: 256
    .name:           _ZL20rocblas_gemvn_kernelILi64ELi4EiDF16_PKffEviiT3_lPKT2_lT1_lS5_lS6_lS2_lPT4_lS6_li
    .private_segment_fixed_size: 0
    .sgpr_count:     30
    .sgpr_spill_count: 0
    .symbol:         _ZL20rocblas_gemvn_kernelILi64ELi4EiDF16_PKffEviiT3_lPKT2_lT1_lS5_lS6_lS2_lPT4_lS6_li.kd
    .uniform_work_group_size: 1
    .uses_dynamic_stack: false
    .vgpr_count:     45
    .vgpr_spill_count: 0
    .wavefront_size: 32
    .workgroup_processor_mode: 1
  - .args:
      - .offset:         0
        .size:           4
        .value_kind:     by_value
      - .offset:         4
        .size:           4
        .value_kind:     by_value
      - .address_space:  global
        .offset:         8
        .size:           8
        .value_kind:     global_buffer
      - .offset:         16
        .size:           8
        .value_kind:     by_value
      - .address_space:  global
        .offset:         24
        .size:           8
        .value_kind:     global_buffer
      - .offset:         32
        .size:           8
        .value_kind:     by_value
      - .offset:         40
        .size:           8
        .value_kind:     by_value
      - .offset:         48
        .size:           8
        .value_kind:     by_value
      - .address_space:  global
        .offset:         56
        .size:           8
        .value_kind:     global_buffer
      - .offset:         64
        .size:           8
        .value_kind:     by_value
      - .offset:         72
        .size:           8
        .value_kind:     by_value
      - .offset:         80
        .size:           8
        .value_kind:     by_value
      - .address_space:  global
        .offset:         88
        .size:           8
        .value_kind:     global_buffer
      - .offset:         96
        .size:           8
        .value_kind:     by_value
      - .address_space:  global
        .offset:         104
        .size:           8
        .value_kind:     global_buffer
      - .offset:         112
        .size:           8
        .value_kind:     by_value
      - .offset:         120
        .size:           8
        .value_kind:     by_value
      - .offset:         128
        .size:           8
        .value_kind:     by_value
      - .offset:         136
        .size:           4
        .value_kind:     by_value
      - .offset:         144
        .size:           4
        .value_kind:     hidden_block_count_x
      - .offset:         148
        .size:           4
        .value_kind:     hidden_block_count_y
      - .offset:         152
        .size:           4
        .value_kind:     hidden_block_count_z
      - .offset:         156
        .size:           2
        .value_kind:     hidden_group_size_x
      - .offset:         158
        .size:           2
        .value_kind:     hidden_group_size_y
      - .offset:         160
        .size:           2
        .value_kind:     hidden_group_size_z
      - .offset:         162
        .size:           2
        .value_kind:     hidden_remainder_x
      - .offset:         164
        .size:           2
        .value_kind:     hidden_remainder_y
      - .offset:         166
        .size:           2
        .value_kind:     hidden_remainder_z
      - .offset:         184
        .size:           8
        .value_kind:     hidden_global_offset_x
      - .offset:         192
        .size:           8
        .value_kind:     hidden_global_offset_y
      - .offset:         200
        .size:           8
        .value_kind:     hidden_global_offset_z
      - .offset:         208
        .size:           2
        .value_kind:     hidden_grid_dims
    .group_segment_fixed_size: 4096
    .kernarg_segment_align: 8
    .kernarg_segment_size: 400
    .language:       OpenCL C
    .language_version:
      - 2
      - 0
    .max_flat_workgroup_size: 256
    .name:           _ZL20rocblas_gemvn_kernelILi64ELi4ElDF16_PKffEviiT3_lPKT2_lT1_lS5_lS6_lS2_lPT4_lS6_li
    .private_segment_fixed_size: 0
    .sgpr_count:     54
    .sgpr_spill_count: 0
    .symbol:         _ZL20rocblas_gemvn_kernelILi64ELi4ElDF16_PKffEviiT3_lPKT2_lT1_lS5_lS6_lS2_lPT4_lS6_li.kd
    .uniform_work_group_size: 1
    .uses_dynamic_stack: false
    .vgpr_count:     55
    .vgpr_spill_count: 0
    .wavefront_size: 32
    .workgroup_processor_mode: 1
  - .args:
      - .offset:         0
        .size:           4
        .value_kind:     by_value
      - .offset:         4
        .size:           4
        .value_kind:     by_value
      - .offset:         8
        .size:           4
        .value_kind:     by_value
      - .offset:         16
        .size:           8
        .value_kind:     by_value
      - .address_space:  global
        .offset:         24
        .size:           8
        .value_kind:     global_buffer
      - .offset:         32
        .size:           8
        .value_kind:     by_value
      - .offset:         40
        .size:           4
        .value_kind:     by_value
      - .offset:         48
        .size:           8
        .value_kind:     by_value
      - .address_space:  global
        .offset:         56
        .size:           8
        .value_kind:     global_buffer
      - .offset:         64
        .size:           8
        .value_kind:     by_value
      - .offset:         72
        .size:           4
        .value_kind:     by_value
      - .offset:         80
        .size:           8
        .value_kind:     by_value
      - .offset:         88
        .size:           4
        .value_kind:     by_value
      - .offset:         96
        .size:           8
        .value_kind:     by_value
      - .address_space:  global
        .offset:         104
        .size:           8
        .value_kind:     global_buffer
      - .offset:         112
        .size:           8
        .value_kind:     by_value
      - .offset:         120
        .size:           4
        .value_kind:     by_value
      - .offset:         128
        .size:           8
        .value_kind:     by_value
      - .offset:         136
        .size:           4
        .value_kind:     by_value
      - .offset:         144
        .size:           4
        .value_kind:     hidden_block_count_x
      - .offset:         148
        .size:           4
        .value_kind:     hidden_block_count_y
      - .offset:         152
        .size:           4
        .value_kind:     hidden_block_count_z
      - .offset:         156
        .size:           2
        .value_kind:     hidden_group_size_x
      - .offset:         158
        .size:           2
        .value_kind:     hidden_group_size_y
      - .offset:         160
        .size:           2
        .value_kind:     hidden_group_size_z
      - .offset:         162
        .size:           2
        .value_kind:     hidden_remainder_x
      - .offset:         164
        .size:           2
        .value_kind:     hidden_remainder_y
      - .offset:         166
        .size:           2
        .value_kind:     hidden_remainder_z
      - .offset:         184
        .size:           8
        .value_kind:     hidden_global_offset_x
      - .offset:         192
        .size:           8
        .value_kind:     hidden_global_offset_y
      - .offset:         200
        .size:           8
        .value_kind:     hidden_global_offset_z
      - .offset:         208
        .size:           2
        .value_kind:     hidden_grid_dims
    .group_segment_fixed_size: 4096
    .kernarg_segment_align: 8
    .kernarg_segment_size: 400
    .language:       OpenCL C
    .language_version:
      - 2
      - 0
    .max_flat_workgroup_size: 256
    .name:           _ZL20rocblas_gemvn_kernelILi64ELi4EiDF16_ffEviiT3_lPKT2_lT1_lS3_lS4_lS0_lPT4_lS4_li
    .private_segment_fixed_size: 0
    .sgpr_count:     30
    .sgpr_spill_count: 0
    .symbol:         _ZL20rocblas_gemvn_kernelILi64ELi4EiDF16_ffEviiT3_lPKT2_lT1_lS3_lS4_lS0_lPT4_lS4_li.kd
    .uniform_work_group_size: 1
    .uses_dynamic_stack: false
    .vgpr_count:     45
    .vgpr_spill_count: 0
    .wavefront_size: 32
    .workgroup_processor_mode: 1
  - .args:
      - .offset:         0
        .size:           4
        .value_kind:     by_value
      - .offset:         4
        .size:           4
        .value_kind:     by_value
      - .offset:         8
        .size:           4
        .value_kind:     by_value
      - .offset:         16
        .size:           8
        .value_kind:     by_value
      - .address_space:  global
        .offset:         24
        .size:           8
        .value_kind:     global_buffer
      - .offset:         32
        .size:           8
        .value_kind:     by_value
      - .offset:         40
        .size:           8
        .value_kind:     by_value
      - .offset:         48
        .size:           8
        .value_kind:     by_value
      - .address_space:  global
        .offset:         56
        .size:           8
        .value_kind:     global_buffer
      - .offset:         64
        .size:           8
        .value_kind:     by_value
      - .offset:         72
        .size:           8
        .value_kind:     by_value
      - .offset:         80
        .size:           8
        .value_kind:     by_value
      - .offset:         88
        .size:           4
        .value_kind:     by_value
      - .offset:         96
        .size:           8
        .value_kind:     by_value
      - .address_space:  global
        .offset:         104
        .size:           8
        .value_kind:     global_buffer
      - .offset:         112
        .size:           8
        .value_kind:     by_value
      - .offset:         120
        .size:           8
        .value_kind:     by_value
      - .offset:         128
        .size:           8
        .value_kind:     by_value
      - .offset:         136
        .size:           4
        .value_kind:     by_value
      - .offset:         144
        .size:           4
        .value_kind:     hidden_block_count_x
      - .offset:         148
        .size:           4
        .value_kind:     hidden_block_count_y
      - .offset:         152
        .size:           4
        .value_kind:     hidden_block_count_z
      - .offset:         156
        .size:           2
        .value_kind:     hidden_group_size_x
      - .offset:         158
        .size:           2
        .value_kind:     hidden_group_size_y
      - .offset:         160
        .size:           2
        .value_kind:     hidden_group_size_z
      - .offset:         162
        .size:           2
        .value_kind:     hidden_remainder_x
      - .offset:         164
        .size:           2
        .value_kind:     hidden_remainder_y
      - .offset:         166
        .size:           2
        .value_kind:     hidden_remainder_z
      - .offset:         184
        .size:           8
        .value_kind:     hidden_global_offset_x
      - .offset:         192
        .size:           8
        .value_kind:     hidden_global_offset_y
      - .offset:         200
        .size:           8
        .value_kind:     hidden_global_offset_z
      - .offset:         208
        .size:           2
        .value_kind:     hidden_grid_dims
    .group_segment_fixed_size: 4096
    .kernarg_segment_align: 8
    .kernarg_segment_size: 400
    .language:       OpenCL C
    .language_version:
      - 2
      - 0
    .max_flat_workgroup_size: 256
    .name:           _ZL20rocblas_gemvn_kernelILi64ELi4ElDF16_ffEviiT3_lPKT2_lT1_lS3_lS4_lS0_lPT4_lS4_li
    .private_segment_fixed_size: 0
    .sgpr_count:     46
    .sgpr_spill_count: 0
    .symbol:         _ZL20rocblas_gemvn_kernelILi64ELi4ElDF16_ffEviiT3_lPKT2_lT1_lS3_lS4_lS0_lPT4_lS4_li.kd
    .uniform_work_group_size: 1
    .uses_dynamic_stack: false
    .vgpr_count:     55
    .vgpr_spill_count: 0
    .wavefront_size: 32
    .workgroup_processor_mode: 1
  - .args:
      - .offset:         0
        .size:           4
        .value_kind:     by_value
      - .offset:         4
        .size:           4
        .value_kind:     by_value
      - .address_space:  global
        .offset:         8
        .size:           8
        .value_kind:     global_buffer
      - .offset:         16
        .size:           8
        .value_kind:     by_value
      - .address_space:  global
        .offset:         24
        .size:           8
        .value_kind:     global_buffer
      - .offset:         32
        .size:           8
        .value_kind:     by_value
      - .offset:         40
        .size:           4
        .value_kind:     by_value
      - .offset:         48
        .size:           8
        .value_kind:     by_value
      - .address_space:  global
        .offset:         56
        .size:           8
        .value_kind:     global_buffer
      - .offset:         64
        .size:           8
        .value_kind:     by_value
      - .offset:         72
        .size:           4
        .value_kind:     by_value
      - .offset:         80
        .size:           8
        .value_kind:     by_value
      - .address_space:  global
        .offset:         88
        .size:           8
        .value_kind:     global_buffer
      - .offset:         96
        .size:           8
        .value_kind:     by_value
      - .address_space:  global
        .offset:         104
        .size:           8
        .value_kind:     global_buffer
      - .offset:         112
        .size:           8
        .value_kind:     by_value
      - .offset:         120
        .size:           4
        .value_kind:     by_value
      - .offset:         128
        .size:           8
        .value_kind:     by_value
      - .offset:         136
        .size:           4
        .value_kind:     by_value
      - .offset:         144
        .size:           4
        .value_kind:     hidden_block_count_x
      - .offset:         148
        .size:           4
        .value_kind:     hidden_block_count_y
      - .offset:         152
        .size:           4
        .value_kind:     hidden_block_count_z
      - .offset:         156
        .size:           2
        .value_kind:     hidden_group_size_x
      - .offset:         158
        .size:           2
        .value_kind:     hidden_group_size_y
      - .offset:         160
        .size:           2
        .value_kind:     hidden_group_size_z
      - .offset:         162
        .size:           2
        .value_kind:     hidden_remainder_x
      - .offset:         164
        .size:           2
        .value_kind:     hidden_remainder_y
      - .offset:         166
        .size:           2
        .value_kind:     hidden_remainder_z
      - .offset:         184
        .size:           8
        .value_kind:     hidden_global_offset_x
      - .offset:         192
        .size:           8
        .value_kind:     hidden_global_offset_y
      - .offset:         200
        .size:           8
        .value_kind:     hidden_global_offset_z
      - .offset:         208
        .size:           2
        .value_kind:     hidden_grid_dims
    .group_segment_fixed_size: 8192
    .kernarg_segment_align: 8
    .kernarg_segment_size: 400
    .language:       OpenCL C
    .language_version:
      - 2
      - 0
    .max_flat_workgroup_size: 512
    .name:           _ZL20rocblas_gemvn_kernelILi32ELi16EiDF16_PKffEviiT3_lPKT2_lT1_lS5_lS6_lS2_lPT4_lS6_li
    .private_segment_fixed_size: 0
    .sgpr_count:     30
    .sgpr_spill_count: 0
    .symbol:         _ZL20rocblas_gemvn_kernelILi32ELi16EiDF16_PKffEviiT3_lPKT2_lT1_lS5_lS6_lS2_lPT4_lS6_li.kd
    .uniform_work_group_size: 1
    .uses_dynamic_stack: false
    .vgpr_count:     45
    .vgpr_spill_count: 0
    .wavefront_size: 32
    .workgroup_processor_mode: 1
  - .args:
      - .offset:         0
        .size:           4
        .value_kind:     by_value
      - .offset:         4
        .size:           4
        .value_kind:     by_value
      - .address_space:  global
        .offset:         8
        .size:           8
        .value_kind:     global_buffer
      - .offset:         16
        .size:           8
        .value_kind:     by_value
      - .address_space:  global
        .offset:         24
        .size:           8
        .value_kind:     global_buffer
      - .offset:         32
        .size:           8
        .value_kind:     by_value
      - .offset:         40
        .size:           8
        .value_kind:     by_value
      - .offset:         48
        .size:           8
        .value_kind:     by_value
      - .address_space:  global
        .offset:         56
        .size:           8
        .value_kind:     global_buffer
      - .offset:         64
        .size:           8
        .value_kind:     by_value
      - .offset:         72
        .size:           8
        .value_kind:     by_value
      - .offset:         80
        .size:           8
        .value_kind:     by_value
      - .address_space:  global
        .offset:         88
        .size:           8
        .value_kind:     global_buffer
      - .offset:         96
        .size:           8
        .value_kind:     by_value
      - .address_space:  global
        .offset:         104
        .size:           8
        .value_kind:     global_buffer
      - .offset:         112
        .size:           8
        .value_kind:     by_value
      - .offset:         120
        .size:           8
        .value_kind:     by_value
      - .offset:         128
        .size:           8
        .value_kind:     by_value
      - .offset:         136
        .size:           4
        .value_kind:     by_value
      - .offset:         144
        .size:           4
        .value_kind:     hidden_block_count_x
      - .offset:         148
        .size:           4
        .value_kind:     hidden_block_count_y
      - .offset:         152
        .size:           4
        .value_kind:     hidden_block_count_z
      - .offset:         156
        .size:           2
        .value_kind:     hidden_group_size_x
      - .offset:         158
        .size:           2
        .value_kind:     hidden_group_size_y
      - .offset:         160
        .size:           2
        .value_kind:     hidden_group_size_z
      - .offset:         162
        .size:           2
        .value_kind:     hidden_remainder_x
      - .offset:         164
        .size:           2
        .value_kind:     hidden_remainder_y
      - .offset:         166
        .size:           2
        .value_kind:     hidden_remainder_z
      - .offset:         184
        .size:           8
        .value_kind:     hidden_global_offset_x
      - .offset:         192
        .size:           8
        .value_kind:     hidden_global_offset_y
      - .offset:         200
        .size:           8
        .value_kind:     hidden_global_offset_z
      - .offset:         208
        .size:           2
        .value_kind:     hidden_grid_dims
    .group_segment_fixed_size: 8192
    .kernarg_segment_align: 8
    .kernarg_segment_size: 400
    .language:       OpenCL C
    .language_version:
      - 2
      - 0
    .max_flat_workgroup_size: 512
    .name:           _ZL20rocblas_gemvn_kernelILi32ELi16ElDF16_PKffEviiT3_lPKT2_lT1_lS5_lS6_lS2_lPT4_lS6_li
    .private_segment_fixed_size: 0
    .sgpr_count:     54
    .sgpr_spill_count: 0
    .symbol:         _ZL20rocblas_gemvn_kernelILi32ELi16ElDF16_PKffEviiT3_lPKT2_lT1_lS5_lS6_lS2_lPT4_lS6_li.kd
    .uniform_work_group_size: 1
    .uses_dynamic_stack: false
    .vgpr_count:     55
    .vgpr_spill_count: 0
    .wavefront_size: 32
    .workgroup_processor_mode: 1
  - .args:
      - .offset:         0
        .size:           4
        .value_kind:     by_value
      - .offset:         4
        .size:           4
        .value_kind:     by_value
      - .offset:         8
        .size:           4
        .value_kind:     by_value
      - .offset:         16
        .size:           8
        .value_kind:     by_value
      - .address_space:  global
        .offset:         24
        .size:           8
        .value_kind:     global_buffer
      - .offset:         32
        .size:           8
        .value_kind:     by_value
      - .offset:         40
        .size:           4
        .value_kind:     by_value
      - .offset:         48
        .size:           8
        .value_kind:     by_value
      - .address_space:  global
        .offset:         56
        .size:           8
        .value_kind:     global_buffer
      - .offset:         64
        .size:           8
        .value_kind:     by_value
      - .offset:         72
        .size:           4
        .value_kind:     by_value
      - .offset:         80
        .size:           8
        .value_kind:     by_value
      - .offset:         88
        .size:           4
        .value_kind:     by_value
      - .offset:         96
        .size:           8
        .value_kind:     by_value
      - .address_space:  global
        .offset:         104
        .size:           8
        .value_kind:     global_buffer
      - .offset:         112
        .size:           8
        .value_kind:     by_value
      - .offset:         120
        .size:           4
        .value_kind:     by_value
      - .offset:         128
        .size:           8
        .value_kind:     by_value
      - .offset:         136
        .size:           4
        .value_kind:     by_value
      - .offset:         144
        .size:           4
        .value_kind:     hidden_block_count_x
      - .offset:         148
        .size:           4
        .value_kind:     hidden_block_count_y
      - .offset:         152
        .size:           4
        .value_kind:     hidden_block_count_z
      - .offset:         156
        .size:           2
        .value_kind:     hidden_group_size_x
      - .offset:         158
        .size:           2
        .value_kind:     hidden_group_size_y
      - .offset:         160
        .size:           2
        .value_kind:     hidden_group_size_z
      - .offset:         162
        .size:           2
        .value_kind:     hidden_remainder_x
      - .offset:         164
        .size:           2
        .value_kind:     hidden_remainder_y
      - .offset:         166
        .size:           2
        .value_kind:     hidden_remainder_z
      - .offset:         184
        .size:           8
        .value_kind:     hidden_global_offset_x
      - .offset:         192
        .size:           8
        .value_kind:     hidden_global_offset_y
      - .offset:         200
        .size:           8
        .value_kind:     hidden_global_offset_z
      - .offset:         208
        .size:           2
        .value_kind:     hidden_grid_dims
    .group_segment_fixed_size: 8192
    .kernarg_segment_align: 8
    .kernarg_segment_size: 400
    .language:       OpenCL C
    .language_version:
      - 2
      - 0
    .max_flat_workgroup_size: 512
    .name:           _ZL20rocblas_gemvn_kernelILi32ELi16EiDF16_ffEviiT3_lPKT2_lT1_lS3_lS4_lS0_lPT4_lS4_li
    .private_segment_fixed_size: 0
    .sgpr_count:     30
    .sgpr_spill_count: 0
    .symbol:         _ZL20rocblas_gemvn_kernelILi32ELi16EiDF16_ffEviiT3_lPKT2_lT1_lS3_lS4_lS0_lPT4_lS4_li.kd
    .uniform_work_group_size: 1
    .uses_dynamic_stack: false
    .vgpr_count:     45
    .vgpr_spill_count: 0
    .wavefront_size: 32
    .workgroup_processor_mode: 1
  - .args:
      - .offset:         0
        .size:           4
        .value_kind:     by_value
      - .offset:         4
        .size:           4
        .value_kind:     by_value
      - .offset:         8
        .size:           4
        .value_kind:     by_value
      - .offset:         16
        .size:           8
        .value_kind:     by_value
      - .address_space:  global
        .offset:         24
        .size:           8
        .value_kind:     global_buffer
      - .offset:         32
        .size:           8
        .value_kind:     by_value
      - .offset:         40
        .size:           8
        .value_kind:     by_value
      - .offset:         48
        .size:           8
        .value_kind:     by_value
      - .address_space:  global
        .offset:         56
        .size:           8
        .value_kind:     global_buffer
      - .offset:         64
        .size:           8
        .value_kind:     by_value
      - .offset:         72
        .size:           8
        .value_kind:     by_value
      - .offset:         80
        .size:           8
        .value_kind:     by_value
      - .offset:         88
        .size:           4
        .value_kind:     by_value
      - .offset:         96
        .size:           8
        .value_kind:     by_value
      - .address_space:  global
        .offset:         104
        .size:           8
        .value_kind:     global_buffer
      - .offset:         112
        .size:           8
        .value_kind:     by_value
      - .offset:         120
        .size:           8
        .value_kind:     by_value
      - .offset:         128
        .size:           8
        .value_kind:     by_value
      - .offset:         136
        .size:           4
        .value_kind:     by_value
      - .offset:         144
        .size:           4
        .value_kind:     hidden_block_count_x
      - .offset:         148
        .size:           4
        .value_kind:     hidden_block_count_y
      - .offset:         152
        .size:           4
        .value_kind:     hidden_block_count_z
      - .offset:         156
        .size:           2
        .value_kind:     hidden_group_size_x
      - .offset:         158
        .size:           2
        .value_kind:     hidden_group_size_y
      - .offset:         160
        .size:           2
        .value_kind:     hidden_group_size_z
      - .offset:         162
        .size:           2
        .value_kind:     hidden_remainder_x
      - .offset:         164
        .size:           2
        .value_kind:     hidden_remainder_y
      - .offset:         166
        .size:           2
        .value_kind:     hidden_remainder_z
      - .offset:         184
        .size:           8
        .value_kind:     hidden_global_offset_x
      - .offset:         192
        .size:           8
        .value_kind:     hidden_global_offset_y
      - .offset:         200
        .size:           8
        .value_kind:     hidden_global_offset_z
      - .offset:         208
        .size:           2
        .value_kind:     hidden_grid_dims
    .group_segment_fixed_size: 8192
    .kernarg_segment_align: 8
    .kernarg_segment_size: 400
    .language:       OpenCL C
    .language_version:
      - 2
      - 0
    .max_flat_workgroup_size: 512
    .name:           _ZL20rocblas_gemvn_kernelILi32ELi16ElDF16_ffEviiT3_lPKT2_lT1_lS3_lS4_lS0_lPT4_lS4_li
    .private_segment_fixed_size: 0
    .sgpr_count:     46
    .sgpr_spill_count: 0
    .symbol:         _ZL20rocblas_gemvn_kernelILi32ELi16ElDF16_ffEviiT3_lPKT2_lT1_lS3_lS4_lS0_lPT4_lS4_li.kd
    .uniform_work_group_size: 1
    .uses_dynamic_stack: false
    .vgpr_count:     55
    .vgpr_spill_count: 0
    .wavefront_size: 32
    .workgroup_processor_mode: 1
  - .args:
      - .offset:         0
        .size:           4
        .value_kind:     by_value
      - .offset:         4
        .size:           4
        .value_kind:     by_value
      - .address_space:  global
        .offset:         8
        .size:           8
        .value_kind:     global_buffer
      - .offset:         16
        .size:           8
        .value_kind:     by_value
      - .address_space:  global
        .offset:         24
        .size:           8
        .value_kind:     global_buffer
      - .offset:         32
        .size:           8
        .value_kind:     by_value
      - .offset:         40
        .size:           4
        .value_kind:     by_value
      - .offset:         48
        .size:           8
        .value_kind:     by_value
      - .address_space:  global
        .offset:         56
        .size:           8
        .value_kind:     global_buffer
      - .offset:         64
        .size:           8
        .value_kind:     by_value
      - .offset:         72
        .size:           4
        .value_kind:     by_value
      - .offset:         80
        .size:           8
        .value_kind:     by_value
      - .address_space:  global
        .offset:         88
        .size:           8
        .value_kind:     global_buffer
      - .offset:         96
        .size:           8
        .value_kind:     by_value
      - .address_space:  global
        .offset:         104
        .size:           8
        .value_kind:     global_buffer
      - .offset:         112
        .size:           8
        .value_kind:     by_value
      - .offset:         120
        .size:           4
        .value_kind:     by_value
      - .offset:         128
        .size:           8
        .value_kind:     by_value
      - .offset:         136
        .size:           4
        .value_kind:     by_value
      - .offset:         144
        .size:           4
        .value_kind:     hidden_block_count_x
      - .offset:         148
        .size:           4
        .value_kind:     hidden_block_count_y
      - .offset:         152
        .size:           4
        .value_kind:     hidden_block_count_z
      - .offset:         156
        .size:           2
        .value_kind:     hidden_group_size_x
      - .offset:         158
        .size:           2
        .value_kind:     hidden_group_size_y
      - .offset:         160
        .size:           2
        .value_kind:     hidden_group_size_z
      - .offset:         162
        .size:           2
        .value_kind:     hidden_remainder_x
      - .offset:         164
        .size:           2
        .value_kind:     hidden_remainder_y
      - .offset:         166
        .size:           2
        .value_kind:     hidden_remainder_z
      - .offset:         184
        .size:           8
        .value_kind:     hidden_global_offset_x
      - .offset:         192
        .size:           8
        .value_kind:     hidden_global_offset_y
      - .offset:         200
        .size:           8
        .value_kind:     hidden_global_offset_z
      - .offset:         208
        .size:           2
        .value_kind:     hidden_grid_dims
    .group_segment_fixed_size: 16384
    .kernarg_segment_align: 8
    .kernarg_segment_size: 400
    .language:       OpenCL C
    .language_version:
      - 2
      - 0
    .max_flat_workgroup_size: 1024
    .name:           _ZL20rocblas_gemvn_kernelILi64ELi16EiDF16_PKffEviiT3_lPKT2_lT1_lS5_lS6_lS2_lPT4_lS6_li
    .private_segment_fixed_size: 0
    .sgpr_count:     30
    .sgpr_spill_count: 0
    .symbol:         _ZL20rocblas_gemvn_kernelILi64ELi16EiDF16_PKffEviiT3_lPKT2_lT1_lS5_lS6_lS2_lPT4_lS6_li.kd
    .uniform_work_group_size: 1
    .uses_dynamic_stack: false
    .vgpr_count:     45
    .vgpr_spill_count: 0
    .wavefront_size: 32
    .workgroup_processor_mode: 1
  - .args:
      - .offset:         0
        .size:           4
        .value_kind:     by_value
      - .offset:         4
        .size:           4
        .value_kind:     by_value
      - .address_space:  global
        .offset:         8
        .size:           8
        .value_kind:     global_buffer
      - .offset:         16
        .size:           8
        .value_kind:     by_value
      - .address_space:  global
        .offset:         24
        .size:           8
        .value_kind:     global_buffer
      - .offset:         32
        .size:           8
        .value_kind:     by_value
      - .offset:         40
        .size:           8
        .value_kind:     by_value
      - .offset:         48
        .size:           8
        .value_kind:     by_value
      - .address_space:  global
        .offset:         56
        .size:           8
        .value_kind:     global_buffer
      - .offset:         64
        .size:           8
        .value_kind:     by_value
      - .offset:         72
        .size:           8
        .value_kind:     by_value
      - .offset:         80
        .size:           8
        .value_kind:     by_value
      - .address_space:  global
        .offset:         88
        .size:           8
        .value_kind:     global_buffer
      - .offset:         96
        .size:           8
        .value_kind:     by_value
      - .address_space:  global
        .offset:         104
        .size:           8
        .value_kind:     global_buffer
      - .offset:         112
        .size:           8
        .value_kind:     by_value
      - .offset:         120
        .size:           8
        .value_kind:     by_value
      - .offset:         128
        .size:           8
        .value_kind:     by_value
      - .offset:         136
        .size:           4
        .value_kind:     by_value
      - .offset:         144
        .size:           4
        .value_kind:     hidden_block_count_x
      - .offset:         148
        .size:           4
        .value_kind:     hidden_block_count_y
      - .offset:         152
        .size:           4
        .value_kind:     hidden_block_count_z
      - .offset:         156
        .size:           2
        .value_kind:     hidden_group_size_x
      - .offset:         158
        .size:           2
        .value_kind:     hidden_group_size_y
      - .offset:         160
        .size:           2
        .value_kind:     hidden_group_size_z
      - .offset:         162
        .size:           2
        .value_kind:     hidden_remainder_x
      - .offset:         164
        .size:           2
        .value_kind:     hidden_remainder_y
      - .offset:         166
        .size:           2
        .value_kind:     hidden_remainder_z
      - .offset:         184
        .size:           8
        .value_kind:     hidden_global_offset_x
      - .offset:         192
        .size:           8
        .value_kind:     hidden_global_offset_y
      - .offset:         200
        .size:           8
        .value_kind:     hidden_global_offset_z
      - .offset:         208
        .size:           2
        .value_kind:     hidden_grid_dims
    .group_segment_fixed_size: 16384
    .kernarg_segment_align: 8
    .kernarg_segment_size: 400
    .language:       OpenCL C
    .language_version:
      - 2
      - 0
    .max_flat_workgroup_size: 1024
    .name:           _ZL20rocblas_gemvn_kernelILi64ELi16ElDF16_PKffEviiT3_lPKT2_lT1_lS5_lS6_lS2_lPT4_lS6_li
    .private_segment_fixed_size: 0
    .sgpr_count:     54
    .sgpr_spill_count: 0
    .symbol:         _ZL20rocblas_gemvn_kernelILi64ELi16ElDF16_PKffEviiT3_lPKT2_lT1_lS5_lS6_lS2_lPT4_lS6_li.kd
    .uniform_work_group_size: 1
    .uses_dynamic_stack: false
    .vgpr_count:     55
    .vgpr_spill_count: 0
    .wavefront_size: 32
    .workgroup_processor_mode: 1
  - .args:
      - .offset:         0
        .size:           4
        .value_kind:     by_value
      - .offset:         4
        .size:           4
        .value_kind:     by_value
      - .offset:         8
        .size:           4
        .value_kind:     by_value
      - .offset:         16
        .size:           8
        .value_kind:     by_value
      - .address_space:  global
        .offset:         24
        .size:           8
        .value_kind:     global_buffer
      - .offset:         32
        .size:           8
        .value_kind:     by_value
      - .offset:         40
        .size:           4
        .value_kind:     by_value
      - .offset:         48
        .size:           8
        .value_kind:     by_value
      - .address_space:  global
        .offset:         56
        .size:           8
        .value_kind:     global_buffer
      - .offset:         64
        .size:           8
        .value_kind:     by_value
      - .offset:         72
        .size:           4
        .value_kind:     by_value
      - .offset:         80
        .size:           8
        .value_kind:     by_value
      - .offset:         88
        .size:           4
        .value_kind:     by_value
      - .offset:         96
        .size:           8
        .value_kind:     by_value
      - .address_space:  global
        .offset:         104
        .size:           8
        .value_kind:     global_buffer
      - .offset:         112
        .size:           8
        .value_kind:     by_value
      - .offset:         120
        .size:           4
        .value_kind:     by_value
      - .offset:         128
        .size:           8
        .value_kind:     by_value
      - .offset:         136
        .size:           4
        .value_kind:     by_value
      - .offset:         144
        .size:           4
        .value_kind:     hidden_block_count_x
      - .offset:         148
        .size:           4
        .value_kind:     hidden_block_count_y
      - .offset:         152
        .size:           4
        .value_kind:     hidden_block_count_z
      - .offset:         156
        .size:           2
        .value_kind:     hidden_group_size_x
      - .offset:         158
        .size:           2
        .value_kind:     hidden_group_size_y
      - .offset:         160
        .size:           2
        .value_kind:     hidden_group_size_z
      - .offset:         162
        .size:           2
        .value_kind:     hidden_remainder_x
      - .offset:         164
        .size:           2
        .value_kind:     hidden_remainder_y
      - .offset:         166
        .size:           2
        .value_kind:     hidden_remainder_z
      - .offset:         184
        .size:           8
        .value_kind:     hidden_global_offset_x
      - .offset:         192
        .size:           8
        .value_kind:     hidden_global_offset_y
      - .offset:         200
        .size:           8
        .value_kind:     hidden_global_offset_z
      - .offset:         208
        .size:           2
        .value_kind:     hidden_grid_dims
    .group_segment_fixed_size: 16384
    .kernarg_segment_align: 8
    .kernarg_segment_size: 400
    .language:       OpenCL C
    .language_version:
      - 2
      - 0
    .max_flat_workgroup_size: 1024
    .name:           _ZL20rocblas_gemvn_kernelILi64ELi16EiDF16_ffEviiT3_lPKT2_lT1_lS3_lS4_lS0_lPT4_lS4_li
    .private_segment_fixed_size: 0
    .sgpr_count:     30
    .sgpr_spill_count: 0
    .symbol:         _ZL20rocblas_gemvn_kernelILi64ELi16EiDF16_ffEviiT3_lPKT2_lT1_lS3_lS4_lS0_lPT4_lS4_li.kd
    .uniform_work_group_size: 1
    .uses_dynamic_stack: false
    .vgpr_count:     45
    .vgpr_spill_count: 0
    .wavefront_size: 32
    .workgroup_processor_mode: 1
  - .args:
      - .offset:         0
        .size:           4
        .value_kind:     by_value
      - .offset:         4
        .size:           4
        .value_kind:     by_value
      - .offset:         8
        .size:           4
        .value_kind:     by_value
      - .offset:         16
        .size:           8
        .value_kind:     by_value
      - .address_space:  global
        .offset:         24
        .size:           8
        .value_kind:     global_buffer
      - .offset:         32
        .size:           8
        .value_kind:     by_value
      - .offset:         40
        .size:           8
        .value_kind:     by_value
      - .offset:         48
        .size:           8
        .value_kind:     by_value
      - .address_space:  global
        .offset:         56
        .size:           8
        .value_kind:     global_buffer
      - .offset:         64
        .size:           8
        .value_kind:     by_value
      - .offset:         72
        .size:           8
        .value_kind:     by_value
      - .offset:         80
        .size:           8
        .value_kind:     by_value
      - .offset:         88
        .size:           4
        .value_kind:     by_value
      - .offset:         96
        .size:           8
        .value_kind:     by_value
      - .address_space:  global
        .offset:         104
        .size:           8
        .value_kind:     global_buffer
      - .offset:         112
        .size:           8
        .value_kind:     by_value
      - .offset:         120
        .size:           8
        .value_kind:     by_value
      - .offset:         128
        .size:           8
        .value_kind:     by_value
      - .offset:         136
        .size:           4
        .value_kind:     by_value
      - .offset:         144
        .size:           4
        .value_kind:     hidden_block_count_x
      - .offset:         148
        .size:           4
        .value_kind:     hidden_block_count_y
      - .offset:         152
        .size:           4
        .value_kind:     hidden_block_count_z
      - .offset:         156
        .size:           2
        .value_kind:     hidden_group_size_x
      - .offset:         158
        .size:           2
        .value_kind:     hidden_group_size_y
      - .offset:         160
        .size:           2
        .value_kind:     hidden_group_size_z
      - .offset:         162
        .size:           2
        .value_kind:     hidden_remainder_x
      - .offset:         164
        .size:           2
        .value_kind:     hidden_remainder_y
      - .offset:         166
        .size:           2
        .value_kind:     hidden_remainder_z
      - .offset:         184
        .size:           8
        .value_kind:     hidden_global_offset_x
      - .offset:         192
        .size:           8
        .value_kind:     hidden_global_offset_y
      - .offset:         200
        .size:           8
        .value_kind:     hidden_global_offset_z
      - .offset:         208
        .size:           2
        .value_kind:     hidden_grid_dims
    .group_segment_fixed_size: 16384
    .kernarg_segment_align: 8
    .kernarg_segment_size: 400
    .language:       OpenCL C
    .language_version:
      - 2
      - 0
    .max_flat_workgroup_size: 1024
    .name:           _ZL20rocblas_gemvn_kernelILi64ELi16ElDF16_ffEviiT3_lPKT2_lT1_lS3_lS4_lS0_lPT4_lS4_li
    .private_segment_fixed_size: 0
    .sgpr_count:     46
    .sgpr_spill_count: 0
    .symbol:         _ZL20rocblas_gemvn_kernelILi64ELi16ElDF16_ffEviiT3_lPKT2_lT1_lS3_lS4_lS0_lPT4_lS4_li.kd
    .uniform_work_group_size: 1
    .uses_dynamic_stack: false
    .vgpr_count:     55
    .vgpr_spill_count: 0
    .wavefront_size: 32
    .workgroup_processor_mode: 1
  - .args:
      - .offset:         0
        .size:           4
        .value_kind:     by_value
      - .offset:         4
        .size:           4
        .value_kind:     by_value
      - .address_space:  global
        .offset:         8
        .size:           8
        .value_kind:     global_buffer
      - .offset:         16
        .size:           8
        .value_kind:     by_value
      - .address_space:  global
        .offset:         24
        .size:           8
        .value_kind:     global_buffer
      - .offset:         32
        .size:           8
        .value_kind:     by_value
      - .offset:         40
        .size:           4
        .value_kind:     by_value
      - .offset:         48
        .size:           8
        .value_kind:     by_value
      - .address_space:  global
        .offset:         56
        .size:           8
        .value_kind:     global_buffer
      - .offset:         64
        .size:           8
        .value_kind:     by_value
      - .offset:         72
        .size:           4
        .value_kind:     by_value
      - .offset:         80
        .size:           8
        .value_kind:     by_value
      - .address_space:  global
        .offset:         88
        .size:           8
        .value_kind:     global_buffer
      - .offset:         96
        .size:           8
        .value_kind:     by_value
      - .address_space:  global
        .offset:         104
        .size:           8
        .value_kind:     global_buffer
      - .offset:         112
        .size:           8
        .value_kind:     by_value
      - .offset:         120
        .size:           4
        .value_kind:     by_value
      - .offset:         128
        .size:           8
        .value_kind:     by_value
    .group_segment_fixed_size: 256
    .kernarg_segment_align: 8
    .kernarg_segment_size: 136
    .language:       OpenCL C
    .language_version:
      - 2
      - 0
    .max_flat_workgroup_size: 256
    .name:           _ZL22rocblas_gemvtsm_kernelILb0ELi256EDF16_PKffEviiT2_lPKT1_lilS5_lilS2_lPT3_lil
    .private_segment_fixed_size: 0
    .sgpr_count:     31
    .sgpr_spill_count: 0
    .symbol:         _ZL22rocblas_gemvtsm_kernelILb0ELi256EDF16_PKffEviiT2_lPKT1_lilS5_lilS2_lPT3_lil.kd
    .uniform_work_group_size: 1
    .uses_dynamic_stack: false
    .vgpr_count:     22
    .vgpr_spill_count: 0
    .wavefront_size: 32
    .workgroup_processor_mode: 1
  - .args:
      - .offset:         0
        .size:           4
        .value_kind:     by_value
      - .offset:         4
        .size:           4
        .value_kind:     by_value
      - .offset:         8
        .size:           4
        .value_kind:     by_value
      - .offset:         16
        .size:           8
        .value_kind:     by_value
      - .address_space:  global
        .offset:         24
        .size:           8
        .value_kind:     global_buffer
      - .offset:         32
        .size:           8
        .value_kind:     by_value
      - .offset:         40
        .size:           4
        .value_kind:     by_value
      - .offset:         48
        .size:           8
        .value_kind:     by_value
      - .address_space:  global
        .offset:         56
        .size:           8
        .value_kind:     global_buffer
      - .offset:         64
        .size:           8
        .value_kind:     by_value
      - .offset:         72
        .size:           4
        .value_kind:     by_value
      - .offset:         80
        .size:           8
        .value_kind:     by_value
      - .offset:         88
        .size:           4
        .value_kind:     by_value
      - .offset:         96
        .size:           8
        .value_kind:     by_value
      - .address_space:  global
        .offset:         104
        .size:           8
        .value_kind:     global_buffer
      - .offset:         112
        .size:           8
        .value_kind:     by_value
      - .offset:         120
        .size:           4
        .value_kind:     by_value
      - .offset:         128
        .size:           8
        .value_kind:     by_value
    .group_segment_fixed_size: 256
    .kernarg_segment_align: 8
    .kernarg_segment_size: 136
    .language:       OpenCL C
    .language_version:
      - 2
      - 0
    .max_flat_workgroup_size: 256
    .name:           _ZL22rocblas_gemvtsm_kernelILb0ELi256EDF16_ffEviiT2_lPKT1_lilS3_lilS0_lPT3_lil
    .private_segment_fixed_size: 0
    .sgpr_count:     27
    .sgpr_spill_count: 0
    .symbol:         _ZL22rocblas_gemvtsm_kernelILb0ELi256EDF16_ffEviiT2_lPKT1_lilS3_lilS0_lPT3_lil.kd
    .uniform_work_group_size: 1
    .uses_dynamic_stack: false
    .vgpr_count:     22
    .vgpr_spill_count: 0
    .wavefront_size: 32
    .workgroup_processor_mode: 1
  - .args:
      - .offset:         0
        .size:           4
        .value_kind:     by_value
      - .address_space:  global
        .offset:         8
        .size:           8
        .value_kind:     global_buffer
      - .offset:         16
        .size:           8
        .value_kind:     by_value
      - .address_space:  global
        .offset:         24
        .size:           8
        .value_kind:     global_buffer
      - .offset:         32
        .size:           8
        .value_kind:     by_value
      - .offset:         40
        .size:           4
        .value_kind:     by_value
      - .offset:         48
        .size:           8
        .value_kind:     by_value
      - .actual_access:  read_only
        .address_space:  global
        .offset:         56
        .size:           8
        .value_kind:     global_buffer
      - .offset:         64
        .size:           4
        .value_kind:     by_value
      - .offset:         72
        .size:           4
        .value_kind:     hidden_block_count_x
      - .offset:         76
        .size:           4
        .value_kind:     hidden_block_count_y
      - .offset:         80
        .size:           4
        .value_kind:     hidden_block_count_z
      - .offset:         84
        .size:           2
        .value_kind:     hidden_group_size_x
      - .offset:         86
        .size:           2
        .value_kind:     hidden_group_size_y
      - .offset:         88
        .size:           2
        .value_kind:     hidden_group_size_z
      - .offset:         90
        .size:           2
        .value_kind:     hidden_remainder_x
      - .offset:         92
        .size:           2
        .value_kind:     hidden_remainder_y
      - .offset:         94
        .size:           2
        .value_kind:     hidden_remainder_z
      - .offset:         112
        .size:           8
        .value_kind:     hidden_global_offset_x
      - .offset:         120
        .size:           8
        .value_kind:     hidden_global_offset_y
      - .offset:         128
        .size:           8
        .value_kind:     hidden_global_offset_z
      - .offset:         136
        .size:           2
        .value_kind:     hidden_grid_dims
    .group_segment_fixed_size: 128
    .kernarg_segment_align: 8
    .kernarg_segment_size: 328
    .language:       OpenCL C
    .language_version:
      - 2
      - 0
    .max_flat_workgroup_size: 256
    .name:           _ZL23rocblas_gemvt_sn_reduceILi256ELi8EfPKffEviT2_lPT3_lilPT1_i
    .private_segment_fixed_size: 0
    .sgpr_count:     24
    .sgpr_spill_count: 0
    .symbol:         _ZL23rocblas_gemvt_sn_reduceILi256ELi8EfPKffEviT2_lPT3_lilPT1_i.kd
    .uniform_work_group_size: 1
    .uses_dynamic_stack: false
    .vgpr_count:     13
    .vgpr_spill_count: 0
    .wavefront_size: 32
    .workgroup_processor_mode: 1
  - .args:
      - .offset:         0
        .size:           4
        .value_kind:     by_value
      - .offset:         4
        .size:           4
        .value_kind:     by_value
      - .offset:         8
        .size:           8
        .value_kind:     by_value
      - .address_space:  global
        .offset:         16
        .size:           8
        .value_kind:     global_buffer
      - .offset:         24
        .size:           8
        .value_kind:     by_value
      - .offset:         32
        .size:           4
        .value_kind:     by_value
      - .offset:         40
        .size:           8
        .value_kind:     by_value
      - .actual_access:  read_only
        .address_space:  global
        .offset:         48
        .size:           8
        .value_kind:     global_buffer
      - .offset:         56
        .size:           4
        .value_kind:     by_value
      - .offset:         64
        .size:           4
        .value_kind:     hidden_block_count_x
      - .offset:         68
        .size:           4
        .value_kind:     hidden_block_count_y
      - .offset:         72
        .size:           4
        .value_kind:     hidden_block_count_z
      - .offset:         76
        .size:           2
        .value_kind:     hidden_group_size_x
      - .offset:         78
        .size:           2
        .value_kind:     hidden_group_size_y
      - .offset:         80
        .size:           2
        .value_kind:     hidden_group_size_z
      - .offset:         82
        .size:           2
        .value_kind:     hidden_remainder_x
      - .offset:         84
        .size:           2
        .value_kind:     hidden_remainder_y
      - .offset:         86
        .size:           2
        .value_kind:     hidden_remainder_z
      - .offset:         104
        .size:           8
        .value_kind:     hidden_global_offset_x
      - .offset:         112
        .size:           8
        .value_kind:     hidden_global_offset_y
      - .offset:         120
        .size:           8
        .value_kind:     hidden_global_offset_z
      - .offset:         128
        .size:           2
        .value_kind:     hidden_grid_dims
    .group_segment_fixed_size: 128
    .kernarg_segment_align: 8
    .kernarg_segment_size: 320
    .language:       OpenCL C
    .language_version:
      - 2
      - 0
    .max_flat_workgroup_size: 256
    .name:           _ZL23rocblas_gemvt_sn_reduceILi256ELi8EfffEviT2_lPT3_lilPT1_i
    .private_segment_fixed_size: 0
    .sgpr_count:     18
    .sgpr_spill_count: 0
    .symbol:         _ZL23rocblas_gemvt_sn_reduceILi256ELi8EfffEviT2_lPT3_lilPT1_i.kd
    .uniform_work_group_size: 1
    .uses_dynamic_stack: false
    .vgpr_count:     13
    .vgpr_spill_count: 0
    .wavefront_size: 32
    .workgroup_processor_mode: 1
  - .args:
      - .offset:         0
        .size:           4
        .value_kind:     by_value
      - .offset:         4
        .size:           4
        .value_kind:     by_value
      - .address_space:  global
        .offset:         8
        .size:           8
        .value_kind:     global_buffer
      - .offset:         16
        .size:           8
        .value_kind:     by_value
      - .address_space:  global
        .offset:         24
        .size:           8
        .value_kind:     global_buffer
      - .offset:         32
        .size:           8
        .value_kind:     by_value
      - .offset:         40
        .size:           4
        .value_kind:     by_value
      - .offset:         48
        .size:           8
        .value_kind:     by_value
      - .address_space:  global
        .offset:         56
        .size:           8
        .value_kind:     global_buffer
      - .offset:         64
        .size:           8
        .value_kind:     by_value
      - .offset:         72
        .size:           4
        .value_kind:     by_value
      - .offset:         80
        .size:           8
        .value_kind:     by_value
      - .address_space:  global
        .offset:         88
        .size:           8
        .value_kind:     global_buffer
      - .offset:         96
        .size:           8
        .value_kind:     by_value
      - .address_space:  global
        .offset:         104
        .size:           8
        .value_kind:     global_buffer
      - .offset:         112
        .size:           8
        .value_kind:     by_value
      - .offset:         120
        .size:           4
        .value_kind:     by_value
      - .offset:         128
        .size:           8
        .value_kind:     by_value
      - .offset:         136
        .size:           4
        .value_kind:     by_value
    .group_segment_fixed_size: 128
    .kernarg_segment_align: 8
    .kernarg_segment_size: 140
    .language:       OpenCL C
    .language_version:
      - 2
      - 0
    .max_flat_workgroup_size: 256
    .name:           _ZL32rocblas_gemvt_warp_reduce_kernelILb0ELi256EiDF16_PKffEviiT3_lPKT2_lT1_lS5_lS6_lS2_lPT4_lS6_li
    .private_segment_fixed_size: 0
    .sgpr_count:     27
    .sgpr_spill_count: 0
    .symbol:         _ZL32rocblas_gemvt_warp_reduce_kernelILb0ELi256EiDF16_PKffEviiT3_lPKT2_lT1_lS5_lS6_lS2_lPT4_lS6_li.kd
    .uniform_work_group_size: 1
    .uses_dynamic_stack: false
    .vgpr_count:     11
    .vgpr_spill_count: 0
    .wavefront_size: 32
    .workgroup_processor_mode: 1
  - .args:
      - .offset:         0
        .size:           4
        .value_kind:     by_value
      - .offset:         4
        .size:           4
        .value_kind:     by_value
      - .address_space:  global
        .offset:         8
        .size:           8
        .value_kind:     global_buffer
      - .offset:         16
        .size:           8
        .value_kind:     by_value
      - .address_space:  global
        .offset:         24
        .size:           8
        .value_kind:     global_buffer
      - .offset:         32
        .size:           8
        .value_kind:     by_value
      - .offset:         40
        .size:           8
        .value_kind:     by_value
      - .offset:         48
        .size:           8
        .value_kind:     by_value
      - .address_space:  global
        .offset:         56
        .size:           8
        .value_kind:     global_buffer
      - .offset:         64
        .size:           8
        .value_kind:     by_value
      - .offset:         72
        .size:           8
        .value_kind:     by_value
      - .offset:         80
        .size:           8
        .value_kind:     by_value
      - .address_space:  global
        .offset:         88
        .size:           8
        .value_kind:     global_buffer
      - .offset:         96
        .size:           8
        .value_kind:     by_value
      - .address_space:  global
        .offset:         104
        .size:           8
        .value_kind:     global_buffer
      - .offset:         112
        .size:           8
        .value_kind:     by_value
      - .offset:         120
        .size:           8
        .value_kind:     by_value
      - .offset:         128
        .size:           8
        .value_kind:     by_value
      - .offset:         136
        .size:           4
        .value_kind:     by_value
    .group_segment_fixed_size: 128
    .kernarg_segment_align: 8
    .kernarg_segment_size: 140
    .language:       OpenCL C
    .language_version:
      - 2
      - 0
    .max_flat_workgroup_size: 256
    .name:           _ZL32rocblas_gemvt_warp_reduce_kernelILb0ELi256ElDF16_PKffEviiT3_lPKT2_lT1_lS5_lS6_lS2_lPT4_lS6_li
    .private_segment_fixed_size: 0
    .sgpr_count:     54
    .sgpr_spill_count: 0
    .symbol:         _ZL32rocblas_gemvt_warp_reduce_kernelILb0ELi256ElDF16_PKffEviiT3_lPKT2_lT1_lS5_lS6_lS2_lPT4_lS6_li.kd
    .uniform_work_group_size: 1
    .uses_dynamic_stack: false
    .vgpr_count:     11
    .vgpr_spill_count: 0
    .wavefront_size: 32
    .workgroup_processor_mode: 1
  - .args:
      - .offset:         0
        .size:           4
        .value_kind:     by_value
      - .offset:         4
        .size:           4
        .value_kind:     by_value
      - .offset:         8
        .size:           4
        .value_kind:     by_value
      - .offset:         16
        .size:           8
        .value_kind:     by_value
      - .address_space:  global
        .offset:         24
        .size:           8
        .value_kind:     global_buffer
      - .offset:         32
        .size:           8
        .value_kind:     by_value
      - .offset:         40
        .size:           4
        .value_kind:     by_value
      - .offset:         48
        .size:           8
        .value_kind:     by_value
      - .address_space:  global
        .offset:         56
        .size:           8
        .value_kind:     global_buffer
      - .offset:         64
        .size:           8
        .value_kind:     by_value
      - .offset:         72
        .size:           4
        .value_kind:     by_value
      - .offset:         80
        .size:           8
        .value_kind:     by_value
      - .offset:         88
        .size:           4
        .value_kind:     by_value
      - .offset:         96
        .size:           8
        .value_kind:     by_value
      - .address_space:  global
        .offset:         104
        .size:           8
        .value_kind:     global_buffer
      - .offset:         112
        .size:           8
        .value_kind:     by_value
      - .offset:         120
        .size:           4
        .value_kind:     by_value
      - .offset:         128
        .size:           8
        .value_kind:     by_value
      - .offset:         136
        .size:           4
        .value_kind:     by_value
    .group_segment_fixed_size: 128
    .kernarg_segment_align: 8
    .kernarg_segment_size: 140
    .language:       OpenCL C
    .language_version:
      - 2
      - 0
    .max_flat_workgroup_size: 256
    .name:           _ZL32rocblas_gemvt_warp_reduce_kernelILb0ELi256EiDF16_ffEviiT3_lPKT2_lT1_lS3_lS4_lS0_lPT4_lS4_li
    .private_segment_fixed_size: 0
    .sgpr_count:     26
    .sgpr_spill_count: 0
    .symbol:         _ZL32rocblas_gemvt_warp_reduce_kernelILb0ELi256EiDF16_ffEviiT3_lPKT2_lT1_lS3_lS4_lS0_lPT4_lS4_li.kd
    .uniform_work_group_size: 1
    .uses_dynamic_stack: false
    .vgpr_count:     11
    .vgpr_spill_count: 0
    .wavefront_size: 32
    .workgroup_processor_mode: 1
  - .args:
      - .offset:         0
        .size:           4
        .value_kind:     by_value
      - .offset:         4
        .size:           4
        .value_kind:     by_value
      - .offset:         8
        .size:           4
        .value_kind:     by_value
      - .offset:         16
        .size:           8
        .value_kind:     by_value
      - .address_space:  global
        .offset:         24
        .size:           8
        .value_kind:     global_buffer
      - .offset:         32
        .size:           8
        .value_kind:     by_value
      - .offset:         40
        .size:           8
        .value_kind:     by_value
      - .offset:         48
        .size:           8
        .value_kind:     by_value
      - .address_space:  global
        .offset:         56
        .size:           8
        .value_kind:     global_buffer
      - .offset:         64
        .size:           8
        .value_kind:     by_value
      - .offset:         72
        .size:           8
        .value_kind:     by_value
      - .offset:         80
        .size:           8
        .value_kind:     by_value
      - .offset:         88
        .size:           4
        .value_kind:     by_value
      - .offset:         96
        .size:           8
        .value_kind:     by_value
      - .address_space:  global
        .offset:         104
        .size:           8
        .value_kind:     global_buffer
      - .offset:         112
        .size:           8
        .value_kind:     by_value
      - .offset:         120
        .size:           8
        .value_kind:     by_value
      - .offset:         128
        .size:           8
        .value_kind:     by_value
      - .offset:         136
        .size:           4
        .value_kind:     by_value
    .group_segment_fixed_size: 128
    .kernarg_segment_align: 8
    .kernarg_segment_size: 140
    .language:       OpenCL C
    .language_version:
      - 2
      - 0
    .max_flat_workgroup_size: 256
    .name:           _ZL32rocblas_gemvt_warp_reduce_kernelILb0ELi256ElDF16_ffEviiT3_lPKT2_lT1_lS3_lS4_lS0_lPT4_lS4_li
    .private_segment_fixed_size: 0
    .sgpr_count:     36
    .sgpr_spill_count: 0
    .symbol:         _ZL32rocblas_gemvt_warp_reduce_kernelILb0ELi256ElDF16_ffEviiT3_lPKT2_lT1_lS3_lS4_lS0_lPT4_lS4_li.kd
    .uniform_work_group_size: 1
    .uses_dynamic_stack: false
    .vgpr_count:     11
    .vgpr_spill_count: 0
    .wavefront_size: 32
    .workgroup_processor_mode: 1
  - .args:
      - .offset:         0
        .size:           4
        .value_kind:     by_value
      - .offset:         4
        .size:           4
        .value_kind:     by_value
      - .address_space:  global
        .offset:         8
        .size:           8
        .value_kind:     global_buffer
      - .offset:         16
        .size:           8
        .value_kind:     by_value
      - .address_space:  global
        .offset:         24
        .size:           8
        .value_kind:     global_buffer
      - .offset:         32
        .size:           8
        .value_kind:     by_value
      - .offset:         40
        .size:           4
        .value_kind:     by_value
      - .offset:         48
        .size:           8
        .value_kind:     by_value
      - .address_space:  global
        .offset:         56
        .size:           8
        .value_kind:     global_buffer
      - .offset:         64
        .size:           8
        .value_kind:     by_value
      - .offset:         72
        .size:           4
        .value_kind:     by_value
      - .offset:         80
        .size:           8
        .value_kind:     by_value
      - .address_space:  global
        .offset:         88
        .size:           8
        .value_kind:     global_buffer
      - .offset:         96
        .size:           8
        .value_kind:     by_value
      - .address_space:  global
        .offset:         104
        .size:           8
        .value_kind:     global_buffer
      - .offset:         112
        .size:           8
        .value_kind:     by_value
      - .offset:         120
        .size:           4
        .value_kind:     by_value
      - .offset:         128
        .size:           8
        .value_kind:     by_value
      - .offset:         136
        .size:           4
        .value_kind:     by_value
    .group_segment_fixed_size: 1024
    .kernarg_segment_align: 8
    .kernarg_segment_size: 140
    .language:       OpenCL C
    .language_version:
      - 2
      - 0
    .max_flat_workgroup_size: 256
    .name:           _ZL20rocblas_gemvt_kernelILb0ELi256EDF16_PKffEviiT2_lPKT1_lilS5_lilS2_lPT3_lili
    .private_segment_fixed_size: 0
    .sgpr_count:     28
    .sgpr_spill_count: 0
    .symbol:         _ZL20rocblas_gemvt_kernelILb0ELi256EDF16_PKffEviiT2_lPKT1_lilS5_lilS2_lPT3_lili.kd
    .uniform_work_group_size: 1
    .uses_dynamic_stack: false
    .vgpr_count:     10
    .vgpr_spill_count: 0
    .wavefront_size: 32
    .workgroup_processor_mode: 1
  - .args:
      - .offset:         0
        .size:           4
        .value_kind:     by_value
      - .offset:         4
        .size:           4
        .value_kind:     by_value
      - .offset:         8
        .size:           4
        .value_kind:     by_value
      - .offset:         16
        .size:           8
        .value_kind:     by_value
      - .address_space:  global
        .offset:         24
        .size:           8
        .value_kind:     global_buffer
      - .offset:         32
        .size:           8
        .value_kind:     by_value
      - .offset:         40
        .size:           4
        .value_kind:     by_value
      - .offset:         48
        .size:           8
        .value_kind:     by_value
      - .address_space:  global
        .offset:         56
        .size:           8
        .value_kind:     global_buffer
      - .offset:         64
        .size:           8
        .value_kind:     by_value
      - .offset:         72
        .size:           4
        .value_kind:     by_value
      - .offset:         80
        .size:           8
        .value_kind:     by_value
      - .offset:         88
        .size:           4
        .value_kind:     by_value
      - .offset:         96
        .size:           8
        .value_kind:     by_value
      - .address_space:  global
        .offset:         104
        .size:           8
        .value_kind:     global_buffer
      - .offset:         112
        .size:           8
        .value_kind:     by_value
      - .offset:         120
        .size:           4
        .value_kind:     by_value
      - .offset:         128
        .size:           8
        .value_kind:     by_value
      - .offset:         136
        .size:           4
        .value_kind:     by_value
    .group_segment_fixed_size: 1024
    .kernarg_segment_align: 8
    .kernarg_segment_size: 140
    .language:       OpenCL C
    .language_version:
      - 2
      - 0
    .max_flat_workgroup_size: 256
    .name:           _ZL20rocblas_gemvt_kernelILb0ELi256EDF16_ffEviiT2_lPKT1_lilS3_lilS0_lPT3_lili
    .private_segment_fixed_size: 0
    .sgpr_count:     30
    .sgpr_spill_count: 0
    .symbol:         _ZL20rocblas_gemvt_kernelILb0ELi256EDF16_ffEviiT2_lPKT1_lilS3_lilS0_lPT3_lili.kd
    .uniform_work_group_size: 1
    .uses_dynamic_stack: false
    .vgpr_count:     10
    .vgpr_spill_count: 0
    .wavefront_size: 32
    .workgroup_processor_mode: 1
  - .args:
      - .offset:         0
        .size:           4
        .value_kind:     by_value
      - .offset:         4
        .size:           4
        .value_kind:     by_value
      - .address_space:  global
        .offset:         8
        .size:           8
        .value_kind:     global_buffer
      - .offset:         16
        .size:           8
        .value_kind:     by_value
      - .address_space:  global
        .offset:         24
        .size:           8
        .value_kind:     global_buffer
      - .offset:         32
        .size:           8
        .value_kind:     by_value
      - .offset:         40
        .size:           4
        .value_kind:     by_value
      - .offset:         48
        .size:           8
        .value_kind:     by_value
      - .address_space:  global
        .offset:         56
        .size:           8
        .value_kind:     global_buffer
      - .offset:         64
        .size:           8
        .value_kind:     by_value
      - .offset:         72
        .size:           4
        .value_kind:     by_value
      - .offset:         80
        .size:           8
        .value_kind:     by_value
      - .address_space:  global
        .offset:         88
        .size:           8
        .value_kind:     global_buffer
      - .offset:         96
        .size:           8
        .value_kind:     by_value
      - .address_space:  global
        .offset:         104
        .size:           8
        .value_kind:     global_buffer
      - .offset:         112
        .size:           8
        .value_kind:     by_value
      - .offset:         120
        .size:           4
        .value_kind:     by_value
      - .offset:         128
        .size:           8
        .value_kind:     by_value
      - .offset:         136
        .size:           4
        .value_kind:     by_value
    .group_segment_fixed_size: 128
    .kernarg_segment_align: 8
    .kernarg_segment_size: 140
    .language:       OpenCL C
    .language_version:
      - 2
      - 0
    .max_flat_workgroup_size: 1024
    .name:           _ZL32rocblas_gemvt_warp_reduce_kernelILb0ELi1024EiDF16_PKffEviiT3_lPKT2_lT1_lS5_lS6_lS2_lPT4_lS6_li
    .private_segment_fixed_size: 0
    .sgpr_count:     27
    .sgpr_spill_count: 0
    .symbol:         _ZL32rocblas_gemvt_warp_reduce_kernelILb0ELi1024EiDF16_PKffEviiT3_lPKT2_lT1_lS5_lS6_lS2_lPT4_lS6_li.kd
    .uniform_work_group_size: 1
    .uses_dynamic_stack: false
    .vgpr_count:     11
    .vgpr_spill_count: 0
    .wavefront_size: 32
    .workgroup_processor_mode: 1
  - .args:
      - .offset:         0
        .size:           4
        .value_kind:     by_value
      - .offset:         4
        .size:           4
        .value_kind:     by_value
      - .address_space:  global
        .offset:         8
        .size:           8
        .value_kind:     global_buffer
      - .offset:         16
        .size:           8
        .value_kind:     by_value
      - .address_space:  global
        .offset:         24
        .size:           8
        .value_kind:     global_buffer
      - .offset:         32
        .size:           8
        .value_kind:     by_value
      - .offset:         40
        .size:           8
        .value_kind:     by_value
      - .offset:         48
        .size:           8
        .value_kind:     by_value
      - .address_space:  global
        .offset:         56
        .size:           8
        .value_kind:     global_buffer
      - .offset:         64
        .size:           8
        .value_kind:     by_value
      - .offset:         72
        .size:           8
        .value_kind:     by_value
      - .offset:         80
        .size:           8
        .value_kind:     by_value
      - .address_space:  global
        .offset:         88
        .size:           8
        .value_kind:     global_buffer
      - .offset:         96
        .size:           8
        .value_kind:     by_value
      - .address_space:  global
        .offset:         104
        .size:           8
        .value_kind:     global_buffer
      - .offset:         112
        .size:           8
        .value_kind:     by_value
      - .offset:         120
        .size:           8
        .value_kind:     by_value
      - .offset:         128
        .size:           8
        .value_kind:     by_value
      - .offset:         136
        .size:           4
        .value_kind:     by_value
    .group_segment_fixed_size: 128
    .kernarg_segment_align: 8
    .kernarg_segment_size: 140
    .language:       OpenCL C
    .language_version:
      - 2
      - 0
    .max_flat_workgroup_size: 1024
    .name:           _ZL32rocblas_gemvt_warp_reduce_kernelILb0ELi1024ElDF16_PKffEviiT3_lPKT2_lT1_lS5_lS6_lS2_lPT4_lS6_li
    .private_segment_fixed_size: 0
    .sgpr_count:     54
    .sgpr_spill_count: 0
    .symbol:         _ZL32rocblas_gemvt_warp_reduce_kernelILb0ELi1024ElDF16_PKffEviiT3_lPKT2_lT1_lS5_lS6_lS2_lPT4_lS6_li.kd
    .uniform_work_group_size: 1
    .uses_dynamic_stack: false
    .vgpr_count:     11
    .vgpr_spill_count: 0
    .wavefront_size: 32
    .workgroup_processor_mode: 1
  - .args:
      - .offset:         0
        .size:           4
        .value_kind:     by_value
      - .offset:         4
        .size:           4
        .value_kind:     by_value
      - .offset:         8
        .size:           4
        .value_kind:     by_value
      - .offset:         16
        .size:           8
        .value_kind:     by_value
      - .address_space:  global
        .offset:         24
        .size:           8
        .value_kind:     global_buffer
      - .offset:         32
        .size:           8
        .value_kind:     by_value
      - .offset:         40
        .size:           4
        .value_kind:     by_value
      - .offset:         48
        .size:           8
        .value_kind:     by_value
      - .address_space:  global
        .offset:         56
        .size:           8
        .value_kind:     global_buffer
      - .offset:         64
        .size:           8
        .value_kind:     by_value
      - .offset:         72
        .size:           4
        .value_kind:     by_value
      - .offset:         80
        .size:           8
        .value_kind:     by_value
      - .offset:         88
        .size:           4
        .value_kind:     by_value
      - .offset:         96
        .size:           8
        .value_kind:     by_value
      - .address_space:  global
        .offset:         104
        .size:           8
        .value_kind:     global_buffer
      - .offset:         112
        .size:           8
        .value_kind:     by_value
      - .offset:         120
        .size:           4
        .value_kind:     by_value
      - .offset:         128
        .size:           8
        .value_kind:     by_value
      - .offset:         136
        .size:           4
        .value_kind:     by_value
    .group_segment_fixed_size: 128
    .kernarg_segment_align: 8
    .kernarg_segment_size: 140
    .language:       OpenCL C
    .language_version:
      - 2
      - 0
    .max_flat_workgroup_size: 1024
    .name:           _ZL32rocblas_gemvt_warp_reduce_kernelILb0ELi1024EiDF16_ffEviiT3_lPKT2_lT1_lS3_lS4_lS0_lPT4_lS4_li
    .private_segment_fixed_size: 0
    .sgpr_count:     26
    .sgpr_spill_count: 0
    .symbol:         _ZL32rocblas_gemvt_warp_reduce_kernelILb0ELi1024EiDF16_ffEviiT3_lPKT2_lT1_lS3_lS4_lS0_lPT4_lS4_li.kd
    .uniform_work_group_size: 1
    .uses_dynamic_stack: false
    .vgpr_count:     11
    .vgpr_spill_count: 0
    .wavefront_size: 32
    .workgroup_processor_mode: 1
  - .args:
      - .offset:         0
        .size:           4
        .value_kind:     by_value
      - .offset:         4
        .size:           4
        .value_kind:     by_value
      - .offset:         8
        .size:           4
        .value_kind:     by_value
      - .offset:         16
        .size:           8
        .value_kind:     by_value
      - .address_space:  global
        .offset:         24
        .size:           8
        .value_kind:     global_buffer
      - .offset:         32
        .size:           8
        .value_kind:     by_value
      - .offset:         40
        .size:           8
        .value_kind:     by_value
      - .offset:         48
        .size:           8
        .value_kind:     by_value
      - .address_space:  global
        .offset:         56
        .size:           8
        .value_kind:     global_buffer
      - .offset:         64
        .size:           8
        .value_kind:     by_value
      - .offset:         72
        .size:           8
        .value_kind:     by_value
      - .offset:         80
        .size:           8
        .value_kind:     by_value
      - .offset:         88
        .size:           4
        .value_kind:     by_value
      - .offset:         96
        .size:           8
        .value_kind:     by_value
      - .address_space:  global
        .offset:         104
        .size:           8
        .value_kind:     global_buffer
      - .offset:         112
        .size:           8
        .value_kind:     by_value
      - .offset:         120
        .size:           8
        .value_kind:     by_value
      - .offset:         128
        .size:           8
        .value_kind:     by_value
      - .offset:         136
        .size:           4
        .value_kind:     by_value
    .group_segment_fixed_size: 128
    .kernarg_segment_align: 8
    .kernarg_segment_size: 140
    .language:       OpenCL C
    .language_version:
      - 2
      - 0
    .max_flat_workgroup_size: 1024
    .name:           _ZL32rocblas_gemvt_warp_reduce_kernelILb0ELi1024ElDF16_ffEviiT3_lPKT2_lT1_lS3_lS4_lS0_lPT4_lS4_li
    .private_segment_fixed_size: 0
    .sgpr_count:     36
    .sgpr_spill_count: 0
    .symbol:         _ZL32rocblas_gemvt_warp_reduce_kernelILb0ELi1024ElDF16_ffEviiT3_lPKT2_lT1_lS3_lS4_lS0_lPT4_lS4_li.kd
    .uniform_work_group_size: 1
    .uses_dynamic_stack: false
    .vgpr_count:     11
    .vgpr_spill_count: 0
    .wavefront_size: 32
    .workgroup_processor_mode: 1
  - .args:
      - .offset:         0
        .size:           4
        .value_kind:     by_value
      - .offset:         4
        .size:           4
        .value_kind:     by_value
      - .address_space:  global
        .offset:         8
        .size:           8
        .value_kind:     global_buffer
      - .offset:         16
        .size:           8
        .value_kind:     by_value
      - .address_space:  global
        .offset:         24
        .size:           8
        .value_kind:     global_buffer
      - .offset:         32
        .size:           8
        .value_kind:     by_value
      - .offset:         40
        .size:           4
        .value_kind:     by_value
      - .offset:         48
        .size:           8
        .value_kind:     by_value
      - .address_space:  global
        .offset:         56
        .size:           8
        .value_kind:     global_buffer
      - .offset:         64
        .size:           8
        .value_kind:     by_value
      - .offset:         72
        .size:           4
        .value_kind:     by_value
      - .offset:         80
        .size:           8
        .value_kind:     by_value
      - .address_space:  global
        .offset:         88
        .size:           8
        .value_kind:     global_buffer
      - .offset:         96
        .size:           8
        .value_kind:     by_value
      - .address_space:  global
        .offset:         104
        .size:           8
        .value_kind:     global_buffer
      - .offset:         112
        .size:           8
        .value_kind:     by_value
      - .offset:         120
        .size:           4
        .value_kind:     by_value
      - .offset:         128
        .size:           8
        .value_kind:     by_value
    .group_segment_fixed_size: 256
    .kernarg_segment_align: 8
    .kernarg_segment_size: 136
    .language:       OpenCL C
    .language_version:
      - 2
      - 0
    .max_flat_workgroup_size: 256
    .name:           _ZL22rocblas_gemvtsm_kernelILb1ELi256EDF16_PKffEviiT2_lPKT1_lilS5_lilS2_lPT3_lil
    .private_segment_fixed_size: 0
    .sgpr_count:     31
    .sgpr_spill_count: 0
    .symbol:         _ZL22rocblas_gemvtsm_kernelILb1ELi256EDF16_PKffEviiT2_lPKT1_lilS5_lilS2_lPT3_lil.kd
    .uniform_work_group_size: 1
    .uses_dynamic_stack: false
    .vgpr_count:     22
    .vgpr_spill_count: 0
    .wavefront_size: 32
    .workgroup_processor_mode: 1
  - .args:
      - .offset:         0
        .size:           4
        .value_kind:     by_value
      - .offset:         4
        .size:           4
        .value_kind:     by_value
      - .offset:         8
        .size:           4
        .value_kind:     by_value
      - .offset:         16
        .size:           8
        .value_kind:     by_value
      - .address_space:  global
        .offset:         24
        .size:           8
        .value_kind:     global_buffer
      - .offset:         32
        .size:           8
        .value_kind:     by_value
      - .offset:         40
        .size:           4
        .value_kind:     by_value
      - .offset:         48
        .size:           8
        .value_kind:     by_value
      - .address_space:  global
        .offset:         56
        .size:           8
        .value_kind:     global_buffer
      - .offset:         64
        .size:           8
        .value_kind:     by_value
      - .offset:         72
        .size:           4
        .value_kind:     by_value
      - .offset:         80
        .size:           8
        .value_kind:     by_value
      - .offset:         88
        .size:           4
        .value_kind:     by_value
      - .offset:         96
        .size:           8
        .value_kind:     by_value
      - .address_space:  global
        .offset:         104
        .size:           8
        .value_kind:     global_buffer
      - .offset:         112
        .size:           8
        .value_kind:     by_value
      - .offset:         120
        .size:           4
        .value_kind:     by_value
      - .offset:         128
        .size:           8
        .value_kind:     by_value
    .group_segment_fixed_size: 256
    .kernarg_segment_align: 8
    .kernarg_segment_size: 136
    .language:       OpenCL C
    .language_version:
      - 2
      - 0
    .max_flat_workgroup_size: 256
    .name:           _ZL22rocblas_gemvtsm_kernelILb1ELi256EDF16_ffEviiT2_lPKT1_lilS3_lilS0_lPT3_lil
    .private_segment_fixed_size: 0
    .sgpr_count:     27
    .sgpr_spill_count: 0
    .symbol:         _ZL22rocblas_gemvtsm_kernelILb1ELi256EDF16_ffEviiT2_lPKT1_lilS3_lilS0_lPT3_lil.kd
    .uniform_work_group_size: 1
    .uses_dynamic_stack: false
    .vgpr_count:     22
    .vgpr_spill_count: 0
    .wavefront_size: 32
    .workgroup_processor_mode: 1
  - .args:
      - .offset:         0
        .size:           4
        .value_kind:     by_value
      - .offset:         4
        .size:           4
        .value_kind:     by_value
      - .address_space:  global
        .offset:         8
        .size:           8
        .value_kind:     global_buffer
      - .offset:         16
        .size:           8
        .value_kind:     by_value
      - .address_space:  global
        .offset:         24
        .size:           8
        .value_kind:     global_buffer
      - .offset:         32
        .size:           8
        .value_kind:     by_value
      - .offset:         40
        .size:           4
        .value_kind:     by_value
      - .offset:         48
        .size:           8
        .value_kind:     by_value
      - .address_space:  global
        .offset:         56
        .size:           8
        .value_kind:     global_buffer
      - .offset:         64
        .size:           8
        .value_kind:     by_value
      - .offset:         72
        .size:           4
        .value_kind:     by_value
      - .offset:         80
        .size:           8
        .value_kind:     by_value
      - .address_space:  global
        .offset:         88
        .size:           8
        .value_kind:     global_buffer
      - .offset:         96
        .size:           8
        .value_kind:     by_value
      - .address_space:  global
        .offset:         104
        .size:           8
        .value_kind:     global_buffer
      - .offset:         112
        .size:           8
        .value_kind:     by_value
      - .offset:         120
        .size:           4
        .value_kind:     by_value
      - .offset:         128
        .size:           8
        .value_kind:     by_value
      - .offset:         136
        .size:           4
        .value_kind:     by_value
    .group_segment_fixed_size: 1024
    .kernarg_segment_align: 8
    .kernarg_segment_size: 140
    .language:       OpenCL C
    .language_version:
      - 2
      - 0
    .max_flat_workgroup_size: 256
    .name:           _ZL20rocblas_gemvt_kernelILb1ELi256EDF16_PKffEviiT2_lPKT1_lilS5_lilS2_lPT3_lili
    .private_segment_fixed_size: 0
    .sgpr_count:     28
    .sgpr_spill_count: 0
    .symbol:         _ZL20rocblas_gemvt_kernelILb1ELi256EDF16_PKffEviiT2_lPKT1_lilS5_lilS2_lPT3_lili.kd
    .uniform_work_group_size: 1
    .uses_dynamic_stack: false
    .vgpr_count:     10
    .vgpr_spill_count: 0
    .wavefront_size: 32
    .workgroup_processor_mode: 1
  - .args:
      - .offset:         0
        .size:           4
        .value_kind:     by_value
      - .offset:         4
        .size:           4
        .value_kind:     by_value
      - .offset:         8
        .size:           4
        .value_kind:     by_value
      - .offset:         16
        .size:           8
        .value_kind:     by_value
      - .address_space:  global
        .offset:         24
        .size:           8
        .value_kind:     global_buffer
      - .offset:         32
        .size:           8
        .value_kind:     by_value
      - .offset:         40
        .size:           4
        .value_kind:     by_value
      - .offset:         48
        .size:           8
        .value_kind:     by_value
      - .address_space:  global
        .offset:         56
        .size:           8
        .value_kind:     global_buffer
      - .offset:         64
        .size:           8
        .value_kind:     by_value
      - .offset:         72
        .size:           4
        .value_kind:     by_value
      - .offset:         80
        .size:           8
        .value_kind:     by_value
      - .offset:         88
        .size:           4
        .value_kind:     by_value
      - .offset:         96
        .size:           8
        .value_kind:     by_value
      - .address_space:  global
        .offset:         104
        .size:           8
        .value_kind:     global_buffer
      - .offset:         112
        .size:           8
        .value_kind:     by_value
      - .offset:         120
        .size:           4
        .value_kind:     by_value
      - .offset:         128
        .size:           8
        .value_kind:     by_value
      - .offset:         136
        .size:           4
        .value_kind:     by_value
    .group_segment_fixed_size: 1024
    .kernarg_segment_align: 8
    .kernarg_segment_size: 140
    .language:       OpenCL C
    .language_version:
      - 2
      - 0
    .max_flat_workgroup_size: 256
    .name:           _ZL20rocblas_gemvt_kernelILb1ELi256EDF16_ffEviiT2_lPKT1_lilS3_lilS0_lPT3_lili
    .private_segment_fixed_size: 0
    .sgpr_count:     30
    .sgpr_spill_count: 0
    .symbol:         _ZL20rocblas_gemvt_kernelILb1ELi256EDF16_ffEviiT2_lPKT1_lilS3_lilS0_lPT3_lili.kd
    .uniform_work_group_size: 1
    .uses_dynamic_stack: false
    .vgpr_count:     10
    .vgpr_spill_count: 0
    .wavefront_size: 32
    .workgroup_processor_mode: 1
  - .args:
      - .offset:         0
        .size:           4
        .value_kind:     by_value
      - .offset:         4
        .size:           4
        .value_kind:     by_value
      - .address_space:  global
        .offset:         8
        .size:           8
        .value_kind:     global_buffer
      - .offset:         16
        .size:           8
        .value_kind:     by_value
      - .address_space:  global
        .offset:         24
        .size:           8
        .value_kind:     global_buffer
      - .offset:         32
        .size:           8
        .value_kind:     by_value
      - .offset:         40
        .size:           4
        .value_kind:     by_value
      - .offset:         48
        .size:           8
        .value_kind:     by_value
      - .address_space:  global
        .offset:         56
        .size:           8
        .value_kind:     global_buffer
      - .offset:         64
        .size:           8
        .value_kind:     by_value
      - .offset:         72
        .size:           4
        .value_kind:     by_value
      - .offset:         80
        .size:           8
        .value_kind:     by_value
      - .address_space:  global
        .offset:         88
        .size:           8
        .value_kind:     global_buffer
      - .offset:         96
        .size:           8
        .value_kind:     by_value
      - .address_space:  global
        .offset:         104
        .size:           8
        .value_kind:     global_buffer
      - .offset:         112
        .size:           8
        .value_kind:     by_value
      - .offset:         120
        .size:           4
        .value_kind:     by_value
      - .offset:         128
        .size:           8
        .value_kind:     by_value
      - .offset:         136
        .size:           4
        .value_kind:     by_value
    .group_segment_fixed_size: 128
    .kernarg_segment_align: 8
    .kernarg_segment_size: 140
    .language:       OpenCL C
    .language_version:
      - 2
      - 0
    .max_flat_workgroup_size: 1024
    .name:           _ZL32rocblas_gemvt_warp_reduce_kernelILb1ELi1024EiDF16_PKffEviiT3_lPKT2_lT1_lS5_lS6_lS2_lPT4_lS6_li
    .private_segment_fixed_size: 0
    .sgpr_count:     27
    .sgpr_spill_count: 0
    .symbol:         _ZL32rocblas_gemvt_warp_reduce_kernelILb1ELi1024EiDF16_PKffEviiT3_lPKT2_lT1_lS5_lS6_lS2_lPT4_lS6_li.kd
    .uniform_work_group_size: 1
    .uses_dynamic_stack: false
    .vgpr_count:     11
    .vgpr_spill_count: 0
    .wavefront_size: 32
    .workgroup_processor_mode: 1
  - .args:
      - .offset:         0
        .size:           4
        .value_kind:     by_value
      - .offset:         4
        .size:           4
        .value_kind:     by_value
      - .address_space:  global
        .offset:         8
        .size:           8
        .value_kind:     global_buffer
      - .offset:         16
        .size:           8
        .value_kind:     by_value
      - .address_space:  global
        .offset:         24
        .size:           8
        .value_kind:     global_buffer
      - .offset:         32
        .size:           8
        .value_kind:     by_value
      - .offset:         40
        .size:           8
        .value_kind:     by_value
      - .offset:         48
        .size:           8
        .value_kind:     by_value
      - .address_space:  global
        .offset:         56
        .size:           8
        .value_kind:     global_buffer
      - .offset:         64
        .size:           8
        .value_kind:     by_value
      - .offset:         72
        .size:           8
        .value_kind:     by_value
      - .offset:         80
        .size:           8
        .value_kind:     by_value
      - .address_space:  global
        .offset:         88
        .size:           8
        .value_kind:     global_buffer
      - .offset:         96
        .size:           8
        .value_kind:     by_value
      - .address_space:  global
        .offset:         104
        .size:           8
        .value_kind:     global_buffer
      - .offset:         112
        .size:           8
        .value_kind:     by_value
      - .offset:         120
        .size:           8
        .value_kind:     by_value
      - .offset:         128
        .size:           8
        .value_kind:     by_value
      - .offset:         136
        .size:           4
        .value_kind:     by_value
    .group_segment_fixed_size: 128
    .kernarg_segment_align: 8
    .kernarg_segment_size: 140
    .language:       OpenCL C
    .language_version:
      - 2
      - 0
    .max_flat_workgroup_size: 1024
    .name:           _ZL32rocblas_gemvt_warp_reduce_kernelILb1ELi1024ElDF16_PKffEviiT3_lPKT2_lT1_lS5_lS6_lS2_lPT4_lS6_li
    .private_segment_fixed_size: 0
    .sgpr_count:     54
    .sgpr_spill_count: 0
    .symbol:         _ZL32rocblas_gemvt_warp_reduce_kernelILb1ELi1024ElDF16_PKffEviiT3_lPKT2_lT1_lS5_lS6_lS2_lPT4_lS6_li.kd
    .uniform_work_group_size: 1
    .uses_dynamic_stack: false
    .vgpr_count:     11
    .vgpr_spill_count: 0
    .wavefront_size: 32
    .workgroup_processor_mode: 1
  - .args:
      - .offset:         0
        .size:           4
        .value_kind:     by_value
      - .offset:         4
        .size:           4
        .value_kind:     by_value
      - .offset:         8
        .size:           4
        .value_kind:     by_value
      - .offset:         16
        .size:           8
        .value_kind:     by_value
      - .address_space:  global
        .offset:         24
        .size:           8
        .value_kind:     global_buffer
      - .offset:         32
        .size:           8
        .value_kind:     by_value
      - .offset:         40
        .size:           4
        .value_kind:     by_value
      - .offset:         48
        .size:           8
        .value_kind:     by_value
      - .address_space:  global
        .offset:         56
        .size:           8
        .value_kind:     global_buffer
      - .offset:         64
        .size:           8
        .value_kind:     by_value
      - .offset:         72
        .size:           4
        .value_kind:     by_value
      - .offset:         80
        .size:           8
        .value_kind:     by_value
      - .offset:         88
        .size:           4
        .value_kind:     by_value
      - .offset:         96
        .size:           8
        .value_kind:     by_value
      - .address_space:  global
        .offset:         104
        .size:           8
        .value_kind:     global_buffer
      - .offset:         112
        .size:           8
        .value_kind:     by_value
      - .offset:         120
        .size:           4
        .value_kind:     by_value
      - .offset:         128
        .size:           8
        .value_kind:     by_value
      - .offset:         136
        .size:           4
        .value_kind:     by_value
    .group_segment_fixed_size: 128
    .kernarg_segment_align: 8
    .kernarg_segment_size: 140
    .language:       OpenCL C
    .language_version:
      - 2
      - 0
    .max_flat_workgroup_size: 1024
    .name:           _ZL32rocblas_gemvt_warp_reduce_kernelILb1ELi1024EiDF16_ffEviiT3_lPKT2_lT1_lS3_lS4_lS0_lPT4_lS4_li
    .private_segment_fixed_size: 0
    .sgpr_count:     26
    .sgpr_spill_count: 0
    .symbol:         _ZL32rocblas_gemvt_warp_reduce_kernelILb1ELi1024EiDF16_ffEviiT3_lPKT2_lT1_lS3_lS4_lS0_lPT4_lS4_li.kd
    .uniform_work_group_size: 1
    .uses_dynamic_stack: false
    .vgpr_count:     11
    .vgpr_spill_count: 0
    .wavefront_size: 32
    .workgroup_processor_mode: 1
  - .args:
      - .offset:         0
        .size:           4
        .value_kind:     by_value
      - .offset:         4
        .size:           4
        .value_kind:     by_value
      - .offset:         8
        .size:           4
        .value_kind:     by_value
      - .offset:         16
        .size:           8
        .value_kind:     by_value
      - .address_space:  global
        .offset:         24
        .size:           8
        .value_kind:     global_buffer
      - .offset:         32
        .size:           8
        .value_kind:     by_value
      - .offset:         40
        .size:           8
        .value_kind:     by_value
      - .offset:         48
        .size:           8
        .value_kind:     by_value
      - .address_space:  global
        .offset:         56
        .size:           8
        .value_kind:     global_buffer
      - .offset:         64
        .size:           8
        .value_kind:     by_value
      - .offset:         72
        .size:           8
        .value_kind:     by_value
      - .offset:         80
        .size:           8
        .value_kind:     by_value
      - .offset:         88
        .size:           4
        .value_kind:     by_value
      - .offset:         96
        .size:           8
        .value_kind:     by_value
      - .address_space:  global
        .offset:         104
        .size:           8
        .value_kind:     global_buffer
      - .offset:         112
        .size:           8
        .value_kind:     by_value
      - .offset:         120
        .size:           8
        .value_kind:     by_value
      - .offset:         128
        .size:           8
        .value_kind:     by_value
      - .offset:         136
        .size:           4
        .value_kind:     by_value
    .group_segment_fixed_size: 128
    .kernarg_segment_align: 8
    .kernarg_segment_size: 140
    .language:       OpenCL C
    .language_version:
      - 2
      - 0
    .max_flat_workgroup_size: 1024
    .name:           _ZL32rocblas_gemvt_warp_reduce_kernelILb1ELi1024ElDF16_ffEviiT3_lPKT2_lT1_lS3_lS4_lS0_lPT4_lS4_li
    .private_segment_fixed_size: 0
    .sgpr_count:     36
    .sgpr_spill_count: 0
    .symbol:         _ZL32rocblas_gemvt_warp_reduce_kernelILb1ELi1024ElDF16_ffEviiT3_lPKT2_lT1_lS3_lS4_lS0_lPT4_lS4_li.kd
    .uniform_work_group_size: 1
    .uses_dynamic_stack: false
    .vgpr_count:     11
    .vgpr_spill_count: 0
    .wavefront_size: 32
    .workgroup_processor_mode: 1
  - .args:
      - .offset:         0
        .size:           4
        .value_kind:     by_value
      - .offset:         4
        .size:           4
        .value_kind:     by_value
      - .address_space:  global
        .offset:         8
        .size:           8
        .value_kind:     global_buffer
      - .offset:         16
        .size:           8
        .value_kind:     by_value
      - .address_space:  global
        .offset:         24
        .size:           8
        .value_kind:     global_buffer
      - .offset:         32
        .size:           8
        .value_kind:     by_value
      - .offset:         40
        .size:           4
        .value_kind:     by_value
      - .offset:         48
        .size:           8
        .value_kind:     by_value
      - .address_space:  global
        .offset:         56
        .size:           8
        .value_kind:     global_buffer
      - .offset:         64
        .size:           8
        .value_kind:     by_value
      - .offset:         72
        .size:           4
        .value_kind:     by_value
      - .offset:         80
        .size:           8
        .value_kind:     by_value
      - .address_space:  global
        .offset:         88
        .size:           8
        .value_kind:     global_buffer
      - .offset:         96
        .size:           8
        .value_kind:     by_value
      - .address_space:  global
        .offset:         104
        .size:           8
        .value_kind:     global_buffer
      - .offset:         112
        .size:           8
        .value_kind:     by_value
      - .offset:         120
        .size:           4
        .value_kind:     by_value
      - .offset:         128
        .size:           8
        .value_kind:     by_value
      - .offset:         136
        .size:           4
        .value_kind:     by_value
    .group_segment_fixed_size: 0
    .kernarg_segment_align: 8
    .kernarg_segment_size: 140
    .language:       OpenCL C
    .language_version:
      - 2
      - 0
    .max_flat_workgroup_size: 768
    .name:           _ZL34rocblas_gemvn_sm_mn_batched_kernelILi32ELi24EPKDF16_PKfKPfEviiT2_lPKT1_lilS9_lilS6_lPT3_lili
    .private_segment_fixed_size: 0
    .sgpr_count:     0
    .sgpr_spill_count: 0
    .symbol:         _ZL34rocblas_gemvn_sm_mn_batched_kernelILi32ELi24EPKDF16_PKfKPfEviiT2_lPKT1_lilS9_lilS6_lPT3_lili.kd
    .uniform_work_group_size: 1
    .uses_dynamic_stack: false
    .vgpr_count:     0
    .vgpr_spill_count: 0
    .wavefront_size: 32
    .workgroup_processor_mode: 1
  - .args:
      - .offset:         0
        .size:           4
        .value_kind:     by_value
      - .offset:         4
        .size:           4
        .value_kind:     by_value
      - .offset:         8
        .size:           4
        .value_kind:     by_value
      - .offset:         16
        .size:           8
        .value_kind:     by_value
      - .address_space:  global
        .offset:         24
        .size:           8
        .value_kind:     global_buffer
      - .offset:         32
        .size:           8
        .value_kind:     by_value
      - .offset:         40
        .size:           4
        .value_kind:     by_value
      - .offset:         48
        .size:           8
        .value_kind:     by_value
      - .address_space:  global
        .offset:         56
        .size:           8
        .value_kind:     global_buffer
      - .offset:         64
        .size:           8
        .value_kind:     by_value
      - .offset:         72
        .size:           4
        .value_kind:     by_value
      - .offset:         80
        .size:           8
        .value_kind:     by_value
      - .offset:         88
        .size:           4
        .value_kind:     by_value
      - .offset:         96
        .size:           8
        .value_kind:     by_value
      - .address_space:  global
        .offset:         104
        .size:           8
        .value_kind:     global_buffer
      - .offset:         112
        .size:           8
        .value_kind:     by_value
      - .offset:         120
        .size:           4
        .value_kind:     by_value
      - .offset:         128
        .size:           8
        .value_kind:     by_value
      - .offset:         136
        .size:           4
        .value_kind:     by_value
    .group_segment_fixed_size: 0
    .kernarg_segment_align: 8
    .kernarg_segment_size: 140
    .language:       OpenCL C
    .language_version:
      - 2
      - 0
    .max_flat_workgroup_size: 768
    .name:           _ZL34rocblas_gemvn_sm_mn_batched_kernelILi32ELi24EPKDF16_fKPfEviiT2_lPKT1_lilS7_lilS4_lPT3_lili
    .private_segment_fixed_size: 0
    .sgpr_count:     0
    .sgpr_spill_count: 0
    .symbol:         _ZL34rocblas_gemvn_sm_mn_batched_kernelILi32ELi24EPKDF16_fKPfEviiT2_lPKT1_lilS7_lilS4_lPT3_lili.kd
    .uniform_work_group_size: 1
    .uses_dynamic_stack: false
    .vgpr_count:     0
    .vgpr_spill_count: 0
    .wavefront_size: 32
    .workgroup_processor_mode: 1
  - .args:
      - .offset:         0
        .size:           4
        .value_kind:     by_value
      - .offset:         4
        .size:           4
        .value_kind:     by_value
      - .address_space:  global
        .offset:         8
        .size:           8
        .value_kind:     global_buffer
      - .offset:         16
        .size:           8
        .value_kind:     by_value
      - .address_space:  global
        .offset:         24
        .size:           8
        .value_kind:     global_buffer
      - .offset:         32
        .size:           8
        .value_kind:     by_value
      - .offset:         40
        .size:           4
        .value_kind:     by_value
      - .offset:         48
        .size:           8
        .value_kind:     by_value
      - .address_space:  global
        .offset:         56
        .size:           8
        .value_kind:     global_buffer
      - .offset:         64
        .size:           8
        .value_kind:     by_value
      - .offset:         72
        .size:           4
        .value_kind:     by_value
      - .offset:         80
        .size:           8
        .value_kind:     by_value
      - .address_space:  global
        .offset:         88
        .size:           8
        .value_kind:     global_buffer
      - .offset:         96
        .size:           8
        .value_kind:     by_value
      - .address_space:  global
        .offset:         104
        .size:           8
        .value_kind:     global_buffer
      - .offset:         112
        .size:           8
        .value_kind:     by_value
      - .offset:         120
        .size:           4
        .value_kind:     by_value
      - .offset:         128
        .size:           8
        .value_kind:     by_value
      - .offset:         136
        .size:           4
        .value_kind:     by_value
      - .offset:         144
        .size:           4
        .value_kind:     hidden_block_count_x
      - .offset:         148
        .size:           4
        .value_kind:     hidden_block_count_y
      - .offset:         152
        .size:           4
        .value_kind:     hidden_block_count_z
      - .offset:         156
        .size:           2
        .value_kind:     hidden_group_size_x
      - .offset:         158
        .size:           2
        .value_kind:     hidden_group_size_y
      - .offset:         160
        .size:           2
        .value_kind:     hidden_group_size_z
      - .offset:         162
        .size:           2
        .value_kind:     hidden_remainder_x
      - .offset:         164
        .size:           2
        .value_kind:     hidden_remainder_y
      - .offset:         166
        .size:           2
        .value_kind:     hidden_remainder_z
      - .offset:         184
        .size:           8
        .value_kind:     hidden_global_offset_x
      - .offset:         192
        .size:           8
        .value_kind:     hidden_global_offset_y
      - .offset:         200
        .size:           8
        .value_kind:     hidden_global_offset_z
      - .offset:         208
        .size:           2
        .value_kind:     hidden_grid_dims
    .group_segment_fixed_size: 4096
    .kernarg_segment_align: 8
    .kernarg_segment_size: 400
    .language:       OpenCL C
    .language_version:
      - 2
      - 0
    .max_flat_workgroup_size: 256
    .name:           _ZL20rocblas_gemvn_kernelILi64ELi4EiPKDF16_PKfKPfEviiT3_lPKT2_lT1_lS9_lSA_lS6_lPT4_lSA_li
    .private_segment_fixed_size: 0
    .sgpr_count:     30
    .sgpr_spill_count: 0
    .symbol:         _ZL20rocblas_gemvn_kernelILi64ELi4EiPKDF16_PKfKPfEviiT3_lPKT2_lT1_lS9_lSA_lS6_lPT4_lSA_li.kd
    .uniform_work_group_size: 1
    .uses_dynamic_stack: false
    .vgpr_count:     45
    .vgpr_spill_count: 0
    .wavefront_size: 32
    .workgroup_processor_mode: 1
  - .args:
      - .offset:         0
        .size:           4
        .value_kind:     by_value
      - .offset:         4
        .size:           4
        .value_kind:     by_value
      - .address_space:  global
        .offset:         8
        .size:           8
        .value_kind:     global_buffer
      - .offset:         16
        .size:           8
        .value_kind:     by_value
      - .address_space:  global
        .offset:         24
        .size:           8
        .value_kind:     global_buffer
      - .offset:         32
        .size:           8
        .value_kind:     by_value
      - .offset:         40
        .size:           8
        .value_kind:     by_value
      - .offset:         48
        .size:           8
        .value_kind:     by_value
      - .address_space:  global
        .offset:         56
        .size:           8
        .value_kind:     global_buffer
      - .offset:         64
        .size:           8
        .value_kind:     by_value
      - .offset:         72
        .size:           8
        .value_kind:     by_value
      - .offset:         80
        .size:           8
        .value_kind:     by_value
      - .address_space:  global
        .offset:         88
        .size:           8
        .value_kind:     global_buffer
      - .offset:         96
        .size:           8
        .value_kind:     by_value
      - .address_space:  global
        .offset:         104
        .size:           8
        .value_kind:     global_buffer
      - .offset:         112
        .size:           8
        .value_kind:     by_value
      - .offset:         120
        .size:           8
        .value_kind:     by_value
      - .offset:         128
        .size:           8
        .value_kind:     by_value
      - .offset:         136
        .size:           4
        .value_kind:     by_value
      - .offset:         144
        .size:           4
        .value_kind:     hidden_block_count_x
      - .offset:         148
        .size:           4
        .value_kind:     hidden_block_count_y
      - .offset:         152
        .size:           4
        .value_kind:     hidden_block_count_z
      - .offset:         156
        .size:           2
        .value_kind:     hidden_group_size_x
      - .offset:         158
        .size:           2
        .value_kind:     hidden_group_size_y
      - .offset:         160
        .size:           2
        .value_kind:     hidden_group_size_z
      - .offset:         162
        .size:           2
        .value_kind:     hidden_remainder_x
      - .offset:         164
        .size:           2
        .value_kind:     hidden_remainder_y
      - .offset:         166
        .size:           2
        .value_kind:     hidden_remainder_z
      - .offset:         184
        .size:           8
        .value_kind:     hidden_global_offset_x
      - .offset:         192
        .size:           8
        .value_kind:     hidden_global_offset_y
      - .offset:         200
        .size:           8
        .value_kind:     hidden_global_offset_z
      - .offset:         208
        .size:           2
        .value_kind:     hidden_grid_dims
    .group_segment_fixed_size: 4096
    .kernarg_segment_align: 8
    .kernarg_segment_size: 400
    .language:       OpenCL C
    .language_version:
      - 2
      - 0
    .max_flat_workgroup_size: 256
    .name:           _ZL20rocblas_gemvn_kernelILi64ELi4ElPKDF16_PKfKPfEviiT3_lPKT2_lT1_lS9_lSA_lS6_lPT4_lSA_li
    .private_segment_fixed_size: 0
    .sgpr_count:     37
    .sgpr_spill_count: 0
    .symbol:         _ZL20rocblas_gemvn_kernelILi64ELi4ElPKDF16_PKfKPfEviiT3_lPKT2_lT1_lS9_lSA_lS6_lPT4_lSA_li.kd
    .uniform_work_group_size: 1
    .uses_dynamic_stack: false
    .vgpr_count:     55
    .vgpr_spill_count: 0
    .wavefront_size: 32
    .workgroup_processor_mode: 1
  - .args:
      - .offset:         0
        .size:           4
        .value_kind:     by_value
      - .offset:         4
        .size:           4
        .value_kind:     by_value
      - .offset:         8
        .size:           4
        .value_kind:     by_value
      - .offset:         16
        .size:           8
        .value_kind:     by_value
      - .address_space:  global
        .offset:         24
        .size:           8
        .value_kind:     global_buffer
      - .offset:         32
        .size:           8
        .value_kind:     by_value
      - .offset:         40
        .size:           4
        .value_kind:     by_value
      - .offset:         48
        .size:           8
        .value_kind:     by_value
      - .address_space:  global
        .offset:         56
        .size:           8
        .value_kind:     global_buffer
      - .offset:         64
        .size:           8
        .value_kind:     by_value
      - .offset:         72
        .size:           4
        .value_kind:     by_value
      - .offset:         80
        .size:           8
        .value_kind:     by_value
      - .offset:         88
        .size:           4
        .value_kind:     by_value
      - .offset:         96
        .size:           8
        .value_kind:     by_value
      - .address_space:  global
        .offset:         104
        .size:           8
        .value_kind:     global_buffer
      - .offset:         112
        .size:           8
        .value_kind:     by_value
      - .offset:         120
        .size:           4
        .value_kind:     by_value
      - .offset:         128
        .size:           8
        .value_kind:     by_value
      - .offset:         136
        .size:           4
        .value_kind:     by_value
      - .offset:         144
        .size:           4
        .value_kind:     hidden_block_count_x
      - .offset:         148
        .size:           4
        .value_kind:     hidden_block_count_y
      - .offset:         152
        .size:           4
        .value_kind:     hidden_block_count_z
      - .offset:         156
        .size:           2
        .value_kind:     hidden_group_size_x
      - .offset:         158
        .size:           2
        .value_kind:     hidden_group_size_y
      - .offset:         160
        .size:           2
        .value_kind:     hidden_group_size_z
      - .offset:         162
        .size:           2
        .value_kind:     hidden_remainder_x
      - .offset:         164
        .size:           2
        .value_kind:     hidden_remainder_y
      - .offset:         166
        .size:           2
        .value_kind:     hidden_remainder_z
      - .offset:         184
        .size:           8
        .value_kind:     hidden_global_offset_x
      - .offset:         192
        .size:           8
        .value_kind:     hidden_global_offset_y
      - .offset:         200
        .size:           8
        .value_kind:     hidden_global_offset_z
      - .offset:         208
        .size:           2
        .value_kind:     hidden_grid_dims
    .group_segment_fixed_size: 4096
    .kernarg_segment_align: 8
    .kernarg_segment_size: 400
    .language:       OpenCL C
    .language_version:
      - 2
      - 0
    .max_flat_workgroup_size: 256
    .name:           _ZL20rocblas_gemvn_kernelILi64ELi4EiPKDF16_fKPfEviiT3_lPKT2_lT1_lS7_lS8_lS4_lPT4_lS8_li
    .private_segment_fixed_size: 0
    .sgpr_count:     30
    .sgpr_spill_count: 0
    .symbol:         _ZL20rocblas_gemvn_kernelILi64ELi4EiPKDF16_fKPfEviiT3_lPKT2_lT1_lS7_lS8_lS4_lPT4_lS8_li.kd
    .uniform_work_group_size: 1
    .uses_dynamic_stack: false
    .vgpr_count:     45
    .vgpr_spill_count: 0
    .wavefront_size: 32
    .workgroup_processor_mode: 1
  - .args:
      - .offset:         0
        .size:           4
        .value_kind:     by_value
      - .offset:         4
        .size:           4
        .value_kind:     by_value
      - .offset:         8
        .size:           4
        .value_kind:     by_value
      - .offset:         16
        .size:           8
        .value_kind:     by_value
      - .address_space:  global
        .offset:         24
        .size:           8
        .value_kind:     global_buffer
      - .offset:         32
        .size:           8
        .value_kind:     by_value
      - .offset:         40
        .size:           8
        .value_kind:     by_value
      - .offset:         48
        .size:           8
        .value_kind:     by_value
      - .address_space:  global
        .offset:         56
        .size:           8
        .value_kind:     global_buffer
      - .offset:         64
        .size:           8
        .value_kind:     by_value
      - .offset:         72
        .size:           8
        .value_kind:     by_value
      - .offset:         80
        .size:           8
        .value_kind:     by_value
      - .offset:         88
        .size:           4
        .value_kind:     by_value
      - .offset:         96
        .size:           8
        .value_kind:     by_value
      - .address_space:  global
        .offset:         104
        .size:           8
        .value_kind:     global_buffer
      - .offset:         112
        .size:           8
        .value_kind:     by_value
      - .offset:         120
        .size:           8
        .value_kind:     by_value
      - .offset:         128
        .size:           8
        .value_kind:     by_value
      - .offset:         136
        .size:           4
        .value_kind:     by_value
      - .offset:         144
        .size:           4
        .value_kind:     hidden_block_count_x
      - .offset:         148
        .size:           4
        .value_kind:     hidden_block_count_y
      - .offset:         152
        .size:           4
        .value_kind:     hidden_block_count_z
      - .offset:         156
        .size:           2
        .value_kind:     hidden_group_size_x
      - .offset:         158
        .size:           2
        .value_kind:     hidden_group_size_y
      - .offset:         160
        .size:           2
        .value_kind:     hidden_group_size_z
      - .offset:         162
        .size:           2
        .value_kind:     hidden_remainder_x
      - .offset:         164
        .size:           2
        .value_kind:     hidden_remainder_y
      - .offset:         166
        .size:           2
        .value_kind:     hidden_remainder_z
      - .offset:         184
        .size:           8
        .value_kind:     hidden_global_offset_x
      - .offset:         192
        .size:           8
        .value_kind:     hidden_global_offset_y
      - .offset:         200
        .size:           8
        .value_kind:     hidden_global_offset_z
      - .offset:         208
        .size:           2
        .value_kind:     hidden_grid_dims
    .group_segment_fixed_size: 4096
    .kernarg_segment_align: 8
    .kernarg_segment_size: 400
    .language:       OpenCL C
    .language_version:
      - 2
      - 0
    .max_flat_workgroup_size: 256
    .name:           _ZL20rocblas_gemvn_kernelILi64ELi4ElPKDF16_fKPfEviiT3_lPKT2_lT1_lS7_lS8_lS4_lPT4_lS8_li
    .private_segment_fixed_size: 0
    .sgpr_count:     37
    .sgpr_spill_count: 0
    .symbol:         _ZL20rocblas_gemvn_kernelILi64ELi4ElPKDF16_fKPfEviiT3_lPKT2_lT1_lS7_lS8_lS4_lPT4_lS8_li.kd
    .uniform_work_group_size: 1
    .uses_dynamic_stack: false
    .vgpr_count:     55
    .vgpr_spill_count: 0
    .wavefront_size: 32
    .workgroup_processor_mode: 1
  - .args:
      - .offset:         0
        .size:           4
        .value_kind:     by_value
      - .offset:         4
        .size:           4
        .value_kind:     by_value
      - .address_space:  global
        .offset:         8
        .size:           8
        .value_kind:     global_buffer
      - .offset:         16
        .size:           8
        .value_kind:     by_value
      - .address_space:  global
        .offset:         24
        .size:           8
        .value_kind:     global_buffer
      - .offset:         32
        .size:           8
        .value_kind:     by_value
      - .offset:         40
        .size:           4
        .value_kind:     by_value
      - .offset:         48
        .size:           8
        .value_kind:     by_value
      - .address_space:  global
        .offset:         56
        .size:           8
        .value_kind:     global_buffer
      - .offset:         64
        .size:           8
        .value_kind:     by_value
      - .offset:         72
        .size:           4
        .value_kind:     by_value
      - .offset:         80
        .size:           8
        .value_kind:     by_value
      - .address_space:  global
        .offset:         88
        .size:           8
        .value_kind:     global_buffer
      - .offset:         96
        .size:           8
        .value_kind:     by_value
      - .address_space:  global
        .offset:         104
        .size:           8
        .value_kind:     global_buffer
      - .offset:         112
        .size:           8
        .value_kind:     by_value
      - .offset:         120
        .size:           4
        .value_kind:     by_value
      - .offset:         128
        .size:           8
        .value_kind:     by_value
      - .offset:         136
        .size:           4
        .value_kind:     by_value
      - .offset:         144
        .size:           4
        .value_kind:     hidden_block_count_x
      - .offset:         148
        .size:           4
        .value_kind:     hidden_block_count_y
      - .offset:         152
        .size:           4
        .value_kind:     hidden_block_count_z
      - .offset:         156
        .size:           2
        .value_kind:     hidden_group_size_x
      - .offset:         158
        .size:           2
        .value_kind:     hidden_group_size_y
      - .offset:         160
        .size:           2
        .value_kind:     hidden_group_size_z
      - .offset:         162
        .size:           2
        .value_kind:     hidden_remainder_x
      - .offset:         164
        .size:           2
        .value_kind:     hidden_remainder_y
      - .offset:         166
        .size:           2
        .value_kind:     hidden_remainder_z
      - .offset:         184
        .size:           8
        .value_kind:     hidden_global_offset_x
      - .offset:         192
        .size:           8
        .value_kind:     hidden_global_offset_y
      - .offset:         200
        .size:           8
        .value_kind:     hidden_global_offset_z
      - .offset:         208
        .size:           2
        .value_kind:     hidden_grid_dims
    .group_segment_fixed_size: 8192
    .kernarg_segment_align: 8
    .kernarg_segment_size: 400
    .language:       OpenCL C
    .language_version:
      - 2
      - 0
    .max_flat_workgroup_size: 512
    .name:           _ZL20rocblas_gemvn_kernelILi32ELi16EiPKDF16_PKfKPfEviiT3_lPKT2_lT1_lS9_lSA_lS6_lPT4_lSA_li
    .private_segment_fixed_size: 0
    .sgpr_count:     30
    .sgpr_spill_count: 0
    .symbol:         _ZL20rocblas_gemvn_kernelILi32ELi16EiPKDF16_PKfKPfEviiT3_lPKT2_lT1_lS9_lSA_lS6_lPT4_lSA_li.kd
    .uniform_work_group_size: 1
    .uses_dynamic_stack: false
    .vgpr_count:     45
    .vgpr_spill_count: 0
    .wavefront_size: 32
    .workgroup_processor_mode: 1
  - .args:
      - .offset:         0
        .size:           4
        .value_kind:     by_value
      - .offset:         4
        .size:           4
        .value_kind:     by_value
      - .address_space:  global
        .offset:         8
        .size:           8
        .value_kind:     global_buffer
      - .offset:         16
        .size:           8
        .value_kind:     by_value
      - .address_space:  global
        .offset:         24
        .size:           8
        .value_kind:     global_buffer
      - .offset:         32
        .size:           8
        .value_kind:     by_value
      - .offset:         40
        .size:           8
        .value_kind:     by_value
      - .offset:         48
        .size:           8
        .value_kind:     by_value
      - .address_space:  global
        .offset:         56
        .size:           8
        .value_kind:     global_buffer
      - .offset:         64
        .size:           8
        .value_kind:     by_value
      - .offset:         72
        .size:           8
        .value_kind:     by_value
      - .offset:         80
        .size:           8
        .value_kind:     by_value
      - .address_space:  global
        .offset:         88
        .size:           8
        .value_kind:     global_buffer
      - .offset:         96
        .size:           8
        .value_kind:     by_value
      - .address_space:  global
        .offset:         104
        .size:           8
        .value_kind:     global_buffer
      - .offset:         112
        .size:           8
        .value_kind:     by_value
      - .offset:         120
        .size:           8
        .value_kind:     by_value
      - .offset:         128
        .size:           8
        .value_kind:     by_value
      - .offset:         136
        .size:           4
        .value_kind:     by_value
      - .offset:         144
        .size:           4
        .value_kind:     hidden_block_count_x
      - .offset:         148
        .size:           4
        .value_kind:     hidden_block_count_y
      - .offset:         152
        .size:           4
        .value_kind:     hidden_block_count_z
      - .offset:         156
        .size:           2
        .value_kind:     hidden_group_size_x
      - .offset:         158
        .size:           2
        .value_kind:     hidden_group_size_y
      - .offset:         160
        .size:           2
        .value_kind:     hidden_group_size_z
      - .offset:         162
        .size:           2
        .value_kind:     hidden_remainder_x
      - .offset:         164
        .size:           2
        .value_kind:     hidden_remainder_y
      - .offset:         166
        .size:           2
        .value_kind:     hidden_remainder_z
      - .offset:         184
        .size:           8
        .value_kind:     hidden_global_offset_x
      - .offset:         192
        .size:           8
        .value_kind:     hidden_global_offset_y
      - .offset:         200
        .size:           8
        .value_kind:     hidden_global_offset_z
      - .offset:         208
        .size:           2
        .value_kind:     hidden_grid_dims
    .group_segment_fixed_size: 8192
    .kernarg_segment_align: 8
    .kernarg_segment_size: 400
    .language:       OpenCL C
    .language_version:
      - 2
      - 0
    .max_flat_workgroup_size: 512
    .name:           _ZL20rocblas_gemvn_kernelILi32ELi16ElPKDF16_PKfKPfEviiT3_lPKT2_lT1_lS9_lSA_lS6_lPT4_lSA_li
    .private_segment_fixed_size: 0
    .sgpr_count:     37
    .sgpr_spill_count: 0
    .symbol:         _ZL20rocblas_gemvn_kernelILi32ELi16ElPKDF16_PKfKPfEviiT3_lPKT2_lT1_lS9_lSA_lS6_lPT4_lSA_li.kd
    .uniform_work_group_size: 1
    .uses_dynamic_stack: false
    .vgpr_count:     55
    .vgpr_spill_count: 0
    .wavefront_size: 32
    .workgroup_processor_mode: 1
  - .args:
      - .offset:         0
        .size:           4
        .value_kind:     by_value
      - .offset:         4
        .size:           4
        .value_kind:     by_value
      - .offset:         8
        .size:           4
        .value_kind:     by_value
      - .offset:         16
        .size:           8
        .value_kind:     by_value
      - .address_space:  global
        .offset:         24
        .size:           8
        .value_kind:     global_buffer
      - .offset:         32
        .size:           8
        .value_kind:     by_value
      - .offset:         40
        .size:           4
        .value_kind:     by_value
      - .offset:         48
        .size:           8
        .value_kind:     by_value
      - .address_space:  global
        .offset:         56
        .size:           8
        .value_kind:     global_buffer
      - .offset:         64
        .size:           8
        .value_kind:     by_value
      - .offset:         72
        .size:           4
        .value_kind:     by_value
      - .offset:         80
        .size:           8
        .value_kind:     by_value
      - .offset:         88
        .size:           4
        .value_kind:     by_value
      - .offset:         96
        .size:           8
        .value_kind:     by_value
      - .address_space:  global
        .offset:         104
        .size:           8
        .value_kind:     global_buffer
      - .offset:         112
        .size:           8
        .value_kind:     by_value
      - .offset:         120
        .size:           4
        .value_kind:     by_value
      - .offset:         128
        .size:           8
        .value_kind:     by_value
      - .offset:         136
        .size:           4
        .value_kind:     by_value
      - .offset:         144
        .size:           4
        .value_kind:     hidden_block_count_x
      - .offset:         148
        .size:           4
        .value_kind:     hidden_block_count_y
      - .offset:         152
        .size:           4
        .value_kind:     hidden_block_count_z
      - .offset:         156
        .size:           2
        .value_kind:     hidden_group_size_x
      - .offset:         158
        .size:           2
        .value_kind:     hidden_group_size_y
      - .offset:         160
        .size:           2
        .value_kind:     hidden_group_size_z
      - .offset:         162
        .size:           2
        .value_kind:     hidden_remainder_x
      - .offset:         164
        .size:           2
        .value_kind:     hidden_remainder_y
      - .offset:         166
        .size:           2
        .value_kind:     hidden_remainder_z
      - .offset:         184
        .size:           8
        .value_kind:     hidden_global_offset_x
      - .offset:         192
        .size:           8
        .value_kind:     hidden_global_offset_y
      - .offset:         200
        .size:           8
        .value_kind:     hidden_global_offset_z
      - .offset:         208
        .size:           2
        .value_kind:     hidden_grid_dims
    .group_segment_fixed_size: 8192
    .kernarg_segment_align: 8
    .kernarg_segment_size: 400
    .language:       OpenCL C
    .language_version:
      - 2
      - 0
    .max_flat_workgroup_size: 512
    .name:           _ZL20rocblas_gemvn_kernelILi32ELi16EiPKDF16_fKPfEviiT3_lPKT2_lT1_lS7_lS8_lS4_lPT4_lS8_li
    .private_segment_fixed_size: 0
    .sgpr_count:     30
    .sgpr_spill_count: 0
    .symbol:         _ZL20rocblas_gemvn_kernelILi32ELi16EiPKDF16_fKPfEviiT3_lPKT2_lT1_lS7_lS8_lS4_lPT4_lS8_li.kd
    .uniform_work_group_size: 1
    .uses_dynamic_stack: false
    .vgpr_count:     45
    .vgpr_spill_count: 0
    .wavefront_size: 32
    .workgroup_processor_mode: 1
  - .args:
      - .offset:         0
        .size:           4
        .value_kind:     by_value
      - .offset:         4
        .size:           4
        .value_kind:     by_value
      - .offset:         8
        .size:           4
        .value_kind:     by_value
      - .offset:         16
        .size:           8
        .value_kind:     by_value
      - .address_space:  global
        .offset:         24
        .size:           8
        .value_kind:     global_buffer
      - .offset:         32
        .size:           8
        .value_kind:     by_value
      - .offset:         40
        .size:           8
        .value_kind:     by_value
      - .offset:         48
        .size:           8
        .value_kind:     by_value
      - .address_space:  global
        .offset:         56
        .size:           8
        .value_kind:     global_buffer
      - .offset:         64
        .size:           8
        .value_kind:     by_value
      - .offset:         72
        .size:           8
        .value_kind:     by_value
      - .offset:         80
        .size:           8
        .value_kind:     by_value
      - .offset:         88
        .size:           4
        .value_kind:     by_value
      - .offset:         96
        .size:           8
        .value_kind:     by_value
      - .address_space:  global
        .offset:         104
        .size:           8
        .value_kind:     global_buffer
      - .offset:         112
        .size:           8
        .value_kind:     by_value
      - .offset:         120
        .size:           8
        .value_kind:     by_value
      - .offset:         128
        .size:           8
        .value_kind:     by_value
      - .offset:         136
        .size:           4
        .value_kind:     by_value
      - .offset:         144
        .size:           4
        .value_kind:     hidden_block_count_x
      - .offset:         148
        .size:           4
        .value_kind:     hidden_block_count_y
      - .offset:         152
        .size:           4
        .value_kind:     hidden_block_count_z
      - .offset:         156
        .size:           2
        .value_kind:     hidden_group_size_x
      - .offset:         158
        .size:           2
        .value_kind:     hidden_group_size_y
      - .offset:         160
        .size:           2
        .value_kind:     hidden_group_size_z
      - .offset:         162
        .size:           2
        .value_kind:     hidden_remainder_x
      - .offset:         164
        .size:           2
        .value_kind:     hidden_remainder_y
      - .offset:         166
        .size:           2
        .value_kind:     hidden_remainder_z
      - .offset:         184
        .size:           8
        .value_kind:     hidden_global_offset_x
      - .offset:         192
        .size:           8
        .value_kind:     hidden_global_offset_y
      - .offset:         200
        .size:           8
        .value_kind:     hidden_global_offset_z
      - .offset:         208
        .size:           2
        .value_kind:     hidden_grid_dims
    .group_segment_fixed_size: 8192
    .kernarg_segment_align: 8
    .kernarg_segment_size: 400
    .language:       OpenCL C
    .language_version:
      - 2
      - 0
    .max_flat_workgroup_size: 512
    .name:           _ZL20rocblas_gemvn_kernelILi32ELi16ElPKDF16_fKPfEviiT3_lPKT2_lT1_lS7_lS8_lS4_lPT4_lS8_li
    .private_segment_fixed_size: 0
    .sgpr_count:     37
    .sgpr_spill_count: 0
    .symbol:         _ZL20rocblas_gemvn_kernelILi32ELi16ElPKDF16_fKPfEviiT3_lPKT2_lT1_lS7_lS8_lS4_lPT4_lS8_li.kd
    .uniform_work_group_size: 1
    .uses_dynamic_stack: false
    .vgpr_count:     55
    .vgpr_spill_count: 0
    .wavefront_size: 32
    .workgroup_processor_mode: 1
  - .args:
      - .offset:         0
        .size:           4
        .value_kind:     by_value
      - .offset:         4
        .size:           4
        .value_kind:     by_value
      - .address_space:  global
        .offset:         8
        .size:           8
        .value_kind:     global_buffer
      - .offset:         16
        .size:           8
        .value_kind:     by_value
      - .address_space:  global
        .offset:         24
        .size:           8
        .value_kind:     global_buffer
      - .offset:         32
        .size:           8
        .value_kind:     by_value
      - .offset:         40
        .size:           4
        .value_kind:     by_value
      - .offset:         48
        .size:           8
        .value_kind:     by_value
      - .address_space:  global
        .offset:         56
        .size:           8
        .value_kind:     global_buffer
      - .offset:         64
        .size:           8
        .value_kind:     by_value
      - .offset:         72
        .size:           4
        .value_kind:     by_value
      - .offset:         80
        .size:           8
        .value_kind:     by_value
      - .address_space:  global
        .offset:         88
        .size:           8
        .value_kind:     global_buffer
      - .offset:         96
        .size:           8
        .value_kind:     by_value
      - .address_space:  global
        .offset:         104
        .size:           8
        .value_kind:     global_buffer
      - .offset:         112
        .size:           8
        .value_kind:     by_value
      - .offset:         120
        .size:           4
        .value_kind:     by_value
      - .offset:         128
        .size:           8
        .value_kind:     by_value
      - .offset:         136
        .size:           4
        .value_kind:     by_value
      - .offset:         144
        .size:           4
        .value_kind:     hidden_block_count_x
      - .offset:         148
        .size:           4
        .value_kind:     hidden_block_count_y
      - .offset:         152
        .size:           4
        .value_kind:     hidden_block_count_z
      - .offset:         156
        .size:           2
        .value_kind:     hidden_group_size_x
      - .offset:         158
        .size:           2
        .value_kind:     hidden_group_size_y
      - .offset:         160
        .size:           2
        .value_kind:     hidden_group_size_z
      - .offset:         162
        .size:           2
        .value_kind:     hidden_remainder_x
      - .offset:         164
        .size:           2
        .value_kind:     hidden_remainder_y
      - .offset:         166
        .size:           2
        .value_kind:     hidden_remainder_z
      - .offset:         184
        .size:           8
        .value_kind:     hidden_global_offset_x
      - .offset:         192
        .size:           8
        .value_kind:     hidden_global_offset_y
      - .offset:         200
        .size:           8
        .value_kind:     hidden_global_offset_z
      - .offset:         208
        .size:           2
        .value_kind:     hidden_grid_dims
    .group_segment_fixed_size: 16384
    .kernarg_segment_align: 8
    .kernarg_segment_size: 400
    .language:       OpenCL C
    .language_version:
      - 2
      - 0
    .max_flat_workgroup_size: 1024
    .name:           _ZL20rocblas_gemvn_kernelILi64ELi16EiPKDF16_PKfKPfEviiT3_lPKT2_lT1_lS9_lSA_lS6_lPT4_lSA_li
    .private_segment_fixed_size: 0
    .sgpr_count:     30
    .sgpr_spill_count: 0
    .symbol:         _ZL20rocblas_gemvn_kernelILi64ELi16EiPKDF16_PKfKPfEviiT3_lPKT2_lT1_lS9_lSA_lS6_lPT4_lSA_li.kd
    .uniform_work_group_size: 1
    .uses_dynamic_stack: false
    .vgpr_count:     45
    .vgpr_spill_count: 0
    .wavefront_size: 32
    .workgroup_processor_mode: 1
  - .args:
      - .offset:         0
        .size:           4
        .value_kind:     by_value
      - .offset:         4
        .size:           4
        .value_kind:     by_value
      - .address_space:  global
        .offset:         8
        .size:           8
        .value_kind:     global_buffer
      - .offset:         16
        .size:           8
        .value_kind:     by_value
      - .address_space:  global
        .offset:         24
        .size:           8
        .value_kind:     global_buffer
      - .offset:         32
        .size:           8
        .value_kind:     by_value
      - .offset:         40
        .size:           8
        .value_kind:     by_value
      - .offset:         48
        .size:           8
        .value_kind:     by_value
      - .address_space:  global
        .offset:         56
        .size:           8
        .value_kind:     global_buffer
      - .offset:         64
        .size:           8
        .value_kind:     by_value
      - .offset:         72
        .size:           8
        .value_kind:     by_value
      - .offset:         80
        .size:           8
        .value_kind:     by_value
      - .address_space:  global
        .offset:         88
        .size:           8
        .value_kind:     global_buffer
      - .offset:         96
        .size:           8
        .value_kind:     by_value
      - .address_space:  global
        .offset:         104
        .size:           8
        .value_kind:     global_buffer
      - .offset:         112
        .size:           8
        .value_kind:     by_value
      - .offset:         120
        .size:           8
        .value_kind:     by_value
      - .offset:         128
        .size:           8
        .value_kind:     by_value
      - .offset:         136
        .size:           4
        .value_kind:     by_value
      - .offset:         144
        .size:           4
        .value_kind:     hidden_block_count_x
      - .offset:         148
        .size:           4
        .value_kind:     hidden_block_count_y
      - .offset:         152
        .size:           4
        .value_kind:     hidden_block_count_z
      - .offset:         156
        .size:           2
        .value_kind:     hidden_group_size_x
      - .offset:         158
        .size:           2
        .value_kind:     hidden_group_size_y
      - .offset:         160
        .size:           2
        .value_kind:     hidden_group_size_z
      - .offset:         162
        .size:           2
        .value_kind:     hidden_remainder_x
      - .offset:         164
        .size:           2
        .value_kind:     hidden_remainder_y
      - .offset:         166
        .size:           2
        .value_kind:     hidden_remainder_z
      - .offset:         184
        .size:           8
        .value_kind:     hidden_global_offset_x
      - .offset:         192
        .size:           8
        .value_kind:     hidden_global_offset_y
      - .offset:         200
        .size:           8
        .value_kind:     hidden_global_offset_z
      - .offset:         208
        .size:           2
        .value_kind:     hidden_grid_dims
    .group_segment_fixed_size: 16384
    .kernarg_segment_align: 8
    .kernarg_segment_size: 400
    .language:       OpenCL C
    .language_version:
      - 2
      - 0
    .max_flat_workgroup_size: 1024
    .name:           _ZL20rocblas_gemvn_kernelILi64ELi16ElPKDF16_PKfKPfEviiT3_lPKT2_lT1_lS9_lSA_lS6_lPT4_lSA_li
    .private_segment_fixed_size: 0
    .sgpr_count:     37
    .sgpr_spill_count: 0
    .symbol:         _ZL20rocblas_gemvn_kernelILi64ELi16ElPKDF16_PKfKPfEviiT3_lPKT2_lT1_lS9_lSA_lS6_lPT4_lSA_li.kd
    .uniform_work_group_size: 1
    .uses_dynamic_stack: false
    .vgpr_count:     55
    .vgpr_spill_count: 0
    .wavefront_size: 32
    .workgroup_processor_mode: 1
  - .args:
      - .offset:         0
        .size:           4
        .value_kind:     by_value
      - .offset:         4
        .size:           4
        .value_kind:     by_value
      - .offset:         8
        .size:           4
        .value_kind:     by_value
      - .offset:         16
        .size:           8
        .value_kind:     by_value
      - .address_space:  global
        .offset:         24
        .size:           8
        .value_kind:     global_buffer
      - .offset:         32
        .size:           8
        .value_kind:     by_value
      - .offset:         40
        .size:           4
        .value_kind:     by_value
      - .offset:         48
        .size:           8
        .value_kind:     by_value
      - .address_space:  global
        .offset:         56
        .size:           8
        .value_kind:     global_buffer
      - .offset:         64
        .size:           8
        .value_kind:     by_value
      - .offset:         72
        .size:           4
        .value_kind:     by_value
      - .offset:         80
        .size:           8
        .value_kind:     by_value
      - .offset:         88
        .size:           4
        .value_kind:     by_value
      - .offset:         96
        .size:           8
        .value_kind:     by_value
      - .address_space:  global
        .offset:         104
        .size:           8
        .value_kind:     global_buffer
      - .offset:         112
        .size:           8
        .value_kind:     by_value
      - .offset:         120
        .size:           4
        .value_kind:     by_value
      - .offset:         128
        .size:           8
        .value_kind:     by_value
      - .offset:         136
        .size:           4
        .value_kind:     by_value
      - .offset:         144
        .size:           4
        .value_kind:     hidden_block_count_x
      - .offset:         148
        .size:           4
        .value_kind:     hidden_block_count_y
      - .offset:         152
        .size:           4
        .value_kind:     hidden_block_count_z
      - .offset:         156
        .size:           2
        .value_kind:     hidden_group_size_x
      - .offset:         158
        .size:           2
        .value_kind:     hidden_group_size_y
      - .offset:         160
        .size:           2
        .value_kind:     hidden_group_size_z
      - .offset:         162
        .size:           2
        .value_kind:     hidden_remainder_x
      - .offset:         164
        .size:           2
        .value_kind:     hidden_remainder_y
      - .offset:         166
        .size:           2
        .value_kind:     hidden_remainder_z
      - .offset:         184
        .size:           8
        .value_kind:     hidden_global_offset_x
      - .offset:         192
        .size:           8
        .value_kind:     hidden_global_offset_y
      - .offset:         200
        .size:           8
        .value_kind:     hidden_global_offset_z
      - .offset:         208
        .size:           2
        .value_kind:     hidden_grid_dims
    .group_segment_fixed_size: 16384
    .kernarg_segment_align: 8
    .kernarg_segment_size: 400
    .language:       OpenCL C
    .language_version:
      - 2
      - 0
    .max_flat_workgroup_size: 1024
    .name:           _ZL20rocblas_gemvn_kernelILi64ELi16EiPKDF16_fKPfEviiT3_lPKT2_lT1_lS7_lS8_lS4_lPT4_lS8_li
    .private_segment_fixed_size: 0
    .sgpr_count:     30
    .sgpr_spill_count: 0
    .symbol:         _ZL20rocblas_gemvn_kernelILi64ELi16EiPKDF16_fKPfEviiT3_lPKT2_lT1_lS7_lS8_lS4_lPT4_lS8_li.kd
    .uniform_work_group_size: 1
    .uses_dynamic_stack: false
    .vgpr_count:     45
    .vgpr_spill_count: 0
    .wavefront_size: 32
    .workgroup_processor_mode: 1
  - .args:
      - .offset:         0
        .size:           4
        .value_kind:     by_value
      - .offset:         4
        .size:           4
        .value_kind:     by_value
      - .offset:         8
        .size:           4
        .value_kind:     by_value
      - .offset:         16
        .size:           8
        .value_kind:     by_value
      - .address_space:  global
        .offset:         24
        .size:           8
        .value_kind:     global_buffer
      - .offset:         32
        .size:           8
        .value_kind:     by_value
      - .offset:         40
        .size:           8
        .value_kind:     by_value
      - .offset:         48
        .size:           8
        .value_kind:     by_value
      - .address_space:  global
        .offset:         56
        .size:           8
        .value_kind:     global_buffer
      - .offset:         64
        .size:           8
        .value_kind:     by_value
      - .offset:         72
        .size:           8
        .value_kind:     by_value
      - .offset:         80
        .size:           8
        .value_kind:     by_value
      - .offset:         88
        .size:           4
        .value_kind:     by_value
      - .offset:         96
        .size:           8
        .value_kind:     by_value
      - .address_space:  global
        .offset:         104
        .size:           8
        .value_kind:     global_buffer
      - .offset:         112
        .size:           8
        .value_kind:     by_value
      - .offset:         120
        .size:           8
        .value_kind:     by_value
      - .offset:         128
        .size:           8
        .value_kind:     by_value
      - .offset:         136
        .size:           4
        .value_kind:     by_value
      - .offset:         144
        .size:           4
        .value_kind:     hidden_block_count_x
      - .offset:         148
        .size:           4
        .value_kind:     hidden_block_count_y
      - .offset:         152
        .size:           4
        .value_kind:     hidden_block_count_z
      - .offset:         156
        .size:           2
        .value_kind:     hidden_group_size_x
      - .offset:         158
        .size:           2
        .value_kind:     hidden_group_size_y
      - .offset:         160
        .size:           2
        .value_kind:     hidden_group_size_z
      - .offset:         162
        .size:           2
        .value_kind:     hidden_remainder_x
      - .offset:         164
        .size:           2
        .value_kind:     hidden_remainder_y
      - .offset:         166
        .size:           2
        .value_kind:     hidden_remainder_z
      - .offset:         184
        .size:           8
        .value_kind:     hidden_global_offset_x
      - .offset:         192
        .size:           8
        .value_kind:     hidden_global_offset_y
      - .offset:         200
        .size:           8
        .value_kind:     hidden_global_offset_z
      - .offset:         208
        .size:           2
        .value_kind:     hidden_grid_dims
    .group_segment_fixed_size: 16384
    .kernarg_segment_align: 8
    .kernarg_segment_size: 400
    .language:       OpenCL C
    .language_version:
      - 2
      - 0
    .max_flat_workgroup_size: 1024
    .name:           _ZL20rocblas_gemvn_kernelILi64ELi16ElPKDF16_fKPfEviiT3_lPKT2_lT1_lS7_lS8_lS4_lPT4_lS8_li
    .private_segment_fixed_size: 0
    .sgpr_count:     37
    .sgpr_spill_count: 0
    .symbol:         _ZL20rocblas_gemvn_kernelILi64ELi16ElPKDF16_fKPfEviiT3_lPKT2_lT1_lS7_lS8_lS4_lPT4_lS8_li.kd
    .uniform_work_group_size: 1
    .uses_dynamic_stack: false
    .vgpr_count:     55
    .vgpr_spill_count: 0
    .wavefront_size: 32
    .workgroup_processor_mode: 1
  - .args:
      - .offset:         0
        .size:           4
        .value_kind:     by_value
      - .offset:         4
        .size:           4
        .value_kind:     by_value
      - .address_space:  global
        .offset:         8
        .size:           8
        .value_kind:     global_buffer
      - .offset:         16
        .size:           8
        .value_kind:     by_value
      - .address_space:  global
        .offset:         24
        .size:           8
        .value_kind:     global_buffer
      - .offset:         32
        .size:           8
        .value_kind:     by_value
      - .offset:         40
        .size:           4
        .value_kind:     by_value
      - .offset:         48
        .size:           8
        .value_kind:     by_value
      - .address_space:  global
        .offset:         56
        .size:           8
        .value_kind:     global_buffer
      - .offset:         64
        .size:           8
        .value_kind:     by_value
      - .offset:         72
        .size:           4
        .value_kind:     by_value
      - .offset:         80
        .size:           8
        .value_kind:     by_value
      - .address_space:  global
        .offset:         88
        .size:           8
        .value_kind:     global_buffer
      - .offset:         96
        .size:           8
        .value_kind:     by_value
      - .address_space:  global
        .offset:         104
        .size:           8
        .value_kind:     global_buffer
      - .offset:         112
        .size:           8
        .value_kind:     by_value
      - .offset:         120
        .size:           4
        .value_kind:     by_value
      - .offset:         128
        .size:           8
        .value_kind:     by_value
    .group_segment_fixed_size: 256
    .kernarg_segment_align: 8
    .kernarg_segment_size: 136
    .language:       OpenCL C
    .language_version:
      - 2
      - 0
    .max_flat_workgroup_size: 256
    .name:           _ZL22rocblas_gemvtsm_kernelILb0ELi256EPKDF16_PKfKPfEviiT2_lPKT1_lilS9_lilS6_lPT3_lil
    .private_segment_fixed_size: 0
    .sgpr_count:     24
    .sgpr_spill_count: 0
    .symbol:         _ZL22rocblas_gemvtsm_kernelILb0ELi256EPKDF16_PKfKPfEviiT2_lPKT1_lilS9_lilS6_lPT3_lil.kd
    .uniform_work_group_size: 1
    .uses_dynamic_stack: false
    .vgpr_count:     20
    .vgpr_spill_count: 0
    .wavefront_size: 32
    .workgroup_processor_mode: 1
  - .args:
      - .offset:         0
        .size:           4
        .value_kind:     by_value
      - .offset:         4
        .size:           4
        .value_kind:     by_value
      - .offset:         8
        .size:           4
        .value_kind:     by_value
      - .offset:         16
        .size:           8
        .value_kind:     by_value
      - .address_space:  global
        .offset:         24
        .size:           8
        .value_kind:     global_buffer
      - .offset:         32
        .size:           8
        .value_kind:     by_value
      - .offset:         40
        .size:           4
        .value_kind:     by_value
      - .offset:         48
        .size:           8
        .value_kind:     by_value
      - .address_space:  global
        .offset:         56
        .size:           8
        .value_kind:     global_buffer
      - .offset:         64
        .size:           8
        .value_kind:     by_value
      - .offset:         72
        .size:           4
        .value_kind:     by_value
      - .offset:         80
        .size:           8
        .value_kind:     by_value
      - .offset:         88
        .size:           4
        .value_kind:     by_value
      - .offset:         96
        .size:           8
        .value_kind:     by_value
      - .address_space:  global
        .offset:         104
        .size:           8
        .value_kind:     global_buffer
      - .offset:         112
        .size:           8
        .value_kind:     by_value
      - .offset:         120
        .size:           4
        .value_kind:     by_value
      - .offset:         128
        .size:           8
        .value_kind:     by_value
    .group_segment_fixed_size: 256
    .kernarg_segment_align: 8
    .kernarg_segment_size: 136
    .language:       OpenCL C
    .language_version:
      - 2
      - 0
    .max_flat_workgroup_size: 256
    .name:           _ZL22rocblas_gemvtsm_kernelILb0ELi256EPKDF16_fKPfEviiT2_lPKT1_lilS7_lilS4_lPT3_lil
    .private_segment_fixed_size: 0
    .sgpr_count:     22
    .sgpr_spill_count: 0
    .symbol:         _ZL22rocblas_gemvtsm_kernelILb0ELi256EPKDF16_fKPfEviiT2_lPKT1_lilS7_lilS4_lPT3_lil.kd
    .uniform_work_group_size: 1
    .uses_dynamic_stack: false
    .vgpr_count:     20
    .vgpr_spill_count: 0
    .wavefront_size: 32
    .workgroup_processor_mode: 1
  - .args:
      - .offset:         0
        .size:           4
        .value_kind:     by_value
      - .address_space:  global
        .offset:         8
        .size:           8
        .value_kind:     global_buffer
      - .offset:         16
        .size:           8
        .value_kind:     by_value
      - .address_space:  global
        .offset:         24
        .size:           8
        .value_kind:     global_buffer
      - .offset:         32
        .size:           8
        .value_kind:     by_value
      - .offset:         40
        .size:           4
        .value_kind:     by_value
      - .offset:         48
        .size:           8
        .value_kind:     by_value
      - .actual_access:  read_only
        .address_space:  global
        .offset:         56
        .size:           8
        .value_kind:     global_buffer
      - .offset:         64
        .size:           4
        .value_kind:     by_value
      - .offset:         72
        .size:           4
        .value_kind:     hidden_block_count_x
      - .offset:         76
        .size:           4
        .value_kind:     hidden_block_count_y
      - .offset:         80
        .size:           4
        .value_kind:     hidden_block_count_z
      - .offset:         84
        .size:           2
        .value_kind:     hidden_group_size_x
      - .offset:         86
        .size:           2
        .value_kind:     hidden_group_size_y
      - .offset:         88
        .size:           2
        .value_kind:     hidden_group_size_z
      - .offset:         90
        .size:           2
        .value_kind:     hidden_remainder_x
      - .offset:         92
        .size:           2
        .value_kind:     hidden_remainder_y
      - .offset:         94
        .size:           2
        .value_kind:     hidden_remainder_z
      - .offset:         112
        .size:           8
        .value_kind:     hidden_global_offset_x
      - .offset:         120
        .size:           8
        .value_kind:     hidden_global_offset_y
      - .offset:         128
        .size:           8
        .value_kind:     hidden_global_offset_z
      - .offset:         136
        .size:           2
        .value_kind:     hidden_grid_dims
    .group_segment_fixed_size: 128
    .kernarg_segment_align: 8
    .kernarg_segment_size: 328
    .language:       OpenCL C
    .language_version:
      - 2
      - 0
    .max_flat_workgroup_size: 256
    .name:           _ZL23rocblas_gemvt_sn_reduceILi256ELi8EfPKfKPfEviT2_lPT3_lilPT1_i
    .private_segment_fixed_size: 0
    .sgpr_count:     24
    .sgpr_spill_count: 0
    .symbol:         _ZL23rocblas_gemvt_sn_reduceILi256ELi8EfPKfKPfEviT2_lPT3_lilPT1_i.kd
    .uniform_work_group_size: 1
    .uses_dynamic_stack: false
    .vgpr_count:     13
    .vgpr_spill_count: 0
    .wavefront_size: 32
    .workgroup_processor_mode: 1
  - .args:
      - .offset:         0
        .size:           4
        .value_kind:     by_value
      - .offset:         4
        .size:           4
        .value_kind:     by_value
      - .offset:         8
        .size:           8
        .value_kind:     by_value
      - .address_space:  global
        .offset:         16
        .size:           8
        .value_kind:     global_buffer
      - .offset:         24
        .size:           8
        .value_kind:     by_value
      - .offset:         32
        .size:           4
        .value_kind:     by_value
      - .offset:         40
        .size:           8
        .value_kind:     by_value
      - .actual_access:  read_only
        .address_space:  global
        .offset:         48
        .size:           8
        .value_kind:     global_buffer
      - .offset:         56
        .size:           4
        .value_kind:     by_value
      - .offset:         64
        .size:           4
        .value_kind:     hidden_block_count_x
      - .offset:         68
        .size:           4
        .value_kind:     hidden_block_count_y
      - .offset:         72
        .size:           4
        .value_kind:     hidden_block_count_z
      - .offset:         76
        .size:           2
        .value_kind:     hidden_group_size_x
      - .offset:         78
        .size:           2
        .value_kind:     hidden_group_size_y
      - .offset:         80
        .size:           2
        .value_kind:     hidden_group_size_z
      - .offset:         82
        .size:           2
        .value_kind:     hidden_remainder_x
      - .offset:         84
        .size:           2
        .value_kind:     hidden_remainder_y
      - .offset:         86
        .size:           2
        .value_kind:     hidden_remainder_z
      - .offset:         104
        .size:           8
        .value_kind:     hidden_global_offset_x
      - .offset:         112
        .size:           8
        .value_kind:     hidden_global_offset_y
      - .offset:         120
        .size:           8
        .value_kind:     hidden_global_offset_z
      - .offset:         128
        .size:           2
        .value_kind:     hidden_grid_dims
    .group_segment_fixed_size: 128
    .kernarg_segment_align: 8
    .kernarg_segment_size: 320
    .language:       OpenCL C
    .language_version:
      - 2
      - 0
    .max_flat_workgroup_size: 256
    .name:           _ZL23rocblas_gemvt_sn_reduceILi256ELi8EffKPfEviT2_lPT3_lilPT1_i
    .private_segment_fixed_size: 0
    .sgpr_count:     24
    .sgpr_spill_count: 0
    .symbol:         _ZL23rocblas_gemvt_sn_reduceILi256ELi8EffKPfEviT2_lPT3_lilPT1_i.kd
    .uniform_work_group_size: 1
    .uses_dynamic_stack: false
    .vgpr_count:     13
    .vgpr_spill_count: 0
    .wavefront_size: 32
    .workgroup_processor_mode: 1
  - .args:
      - .offset:         0
        .size:           4
        .value_kind:     by_value
      - .offset:         4
        .size:           4
        .value_kind:     by_value
      - .address_space:  global
        .offset:         8
        .size:           8
        .value_kind:     global_buffer
      - .offset:         16
        .size:           8
        .value_kind:     by_value
      - .address_space:  global
        .offset:         24
        .size:           8
        .value_kind:     global_buffer
      - .offset:         32
        .size:           8
        .value_kind:     by_value
      - .offset:         40
        .size:           4
        .value_kind:     by_value
      - .offset:         48
        .size:           8
        .value_kind:     by_value
      - .address_space:  global
        .offset:         56
        .size:           8
        .value_kind:     global_buffer
      - .offset:         64
        .size:           8
        .value_kind:     by_value
      - .offset:         72
        .size:           4
        .value_kind:     by_value
      - .offset:         80
        .size:           8
        .value_kind:     by_value
      - .address_space:  global
        .offset:         88
        .size:           8
        .value_kind:     global_buffer
      - .offset:         96
        .size:           8
        .value_kind:     by_value
      - .address_space:  global
        .offset:         104
        .size:           8
        .value_kind:     global_buffer
      - .offset:         112
        .size:           8
        .value_kind:     by_value
      - .offset:         120
        .size:           4
        .value_kind:     by_value
      - .offset:         128
        .size:           8
        .value_kind:     by_value
      - .offset:         136
        .size:           4
        .value_kind:     by_value
    .group_segment_fixed_size: 128
    .kernarg_segment_align: 8
    .kernarg_segment_size: 140
    .language:       OpenCL C
    .language_version:
      - 2
      - 0
    .max_flat_workgroup_size: 256
    .name:           _ZL32rocblas_gemvt_warp_reduce_kernelILb0ELi256EiPKDF16_PKfKPfEviiT3_lPKT2_lT1_lS9_lSA_lS6_lPT4_lSA_li
    .private_segment_fixed_size: 0
    .sgpr_count:     26
    .sgpr_spill_count: 0
    .symbol:         _ZL32rocblas_gemvt_warp_reduce_kernelILb0ELi256EiPKDF16_PKfKPfEviiT3_lPKT2_lT1_lS9_lSA_lS6_lPT4_lSA_li.kd
    .uniform_work_group_size: 1
    .uses_dynamic_stack: false
    .vgpr_count:     11
    .vgpr_spill_count: 0
    .wavefront_size: 32
    .workgroup_processor_mode: 1
  - .args:
      - .offset:         0
        .size:           4
        .value_kind:     by_value
      - .offset:         4
        .size:           4
        .value_kind:     by_value
      - .address_space:  global
        .offset:         8
        .size:           8
        .value_kind:     global_buffer
      - .offset:         16
        .size:           8
        .value_kind:     by_value
      - .address_space:  global
        .offset:         24
        .size:           8
        .value_kind:     global_buffer
      - .offset:         32
        .size:           8
        .value_kind:     by_value
      - .offset:         40
        .size:           8
        .value_kind:     by_value
      - .offset:         48
        .size:           8
        .value_kind:     by_value
      - .address_space:  global
        .offset:         56
        .size:           8
        .value_kind:     global_buffer
      - .offset:         64
        .size:           8
        .value_kind:     by_value
      - .offset:         72
        .size:           8
        .value_kind:     by_value
      - .offset:         80
        .size:           8
        .value_kind:     by_value
      - .address_space:  global
        .offset:         88
        .size:           8
        .value_kind:     global_buffer
      - .offset:         96
        .size:           8
        .value_kind:     by_value
      - .address_space:  global
        .offset:         104
        .size:           8
        .value_kind:     global_buffer
      - .offset:         112
        .size:           8
        .value_kind:     by_value
      - .offset:         120
        .size:           8
        .value_kind:     by_value
      - .offset:         128
        .size:           8
        .value_kind:     by_value
      - .offset:         136
        .size:           4
        .value_kind:     by_value
    .group_segment_fixed_size: 128
    .kernarg_segment_align: 8
    .kernarg_segment_size: 140
    .language:       OpenCL C
    .language_version:
      - 2
      - 0
    .max_flat_workgroup_size: 256
    .name:           _ZL32rocblas_gemvt_warp_reduce_kernelILb0ELi256ElPKDF16_PKfKPfEviiT3_lPKT2_lT1_lS9_lSA_lS6_lPT4_lSA_li
    .private_segment_fixed_size: 0
    .sgpr_count:     33
    .sgpr_spill_count: 0
    .symbol:         _ZL32rocblas_gemvt_warp_reduce_kernelILb0ELi256ElPKDF16_PKfKPfEviiT3_lPKT2_lT1_lS9_lSA_lS6_lPT4_lSA_li.kd
    .uniform_work_group_size: 1
    .uses_dynamic_stack: false
    .vgpr_count:     11
    .vgpr_spill_count: 0
    .wavefront_size: 32
    .workgroup_processor_mode: 1
  - .args:
      - .offset:         0
        .size:           4
        .value_kind:     by_value
      - .offset:         4
        .size:           4
        .value_kind:     by_value
      - .offset:         8
        .size:           4
        .value_kind:     by_value
      - .offset:         16
        .size:           8
        .value_kind:     by_value
      - .address_space:  global
        .offset:         24
        .size:           8
        .value_kind:     global_buffer
      - .offset:         32
        .size:           8
        .value_kind:     by_value
      - .offset:         40
        .size:           4
        .value_kind:     by_value
      - .offset:         48
        .size:           8
        .value_kind:     by_value
      - .address_space:  global
        .offset:         56
        .size:           8
        .value_kind:     global_buffer
      - .offset:         64
        .size:           8
        .value_kind:     by_value
      - .offset:         72
        .size:           4
        .value_kind:     by_value
      - .offset:         80
        .size:           8
        .value_kind:     by_value
      - .offset:         88
        .size:           4
        .value_kind:     by_value
      - .offset:         96
        .size:           8
        .value_kind:     by_value
      - .address_space:  global
        .offset:         104
        .size:           8
        .value_kind:     global_buffer
      - .offset:         112
        .size:           8
        .value_kind:     by_value
      - .offset:         120
        .size:           4
        .value_kind:     by_value
      - .offset:         128
        .size:           8
        .value_kind:     by_value
      - .offset:         136
        .size:           4
        .value_kind:     by_value
    .group_segment_fixed_size: 128
    .kernarg_segment_align: 8
    .kernarg_segment_size: 140
    .language:       OpenCL C
    .language_version:
      - 2
      - 0
    .max_flat_workgroup_size: 256
    .name:           _ZL32rocblas_gemvt_warp_reduce_kernelILb0ELi256EiPKDF16_fKPfEviiT3_lPKT2_lT1_lS7_lS8_lS4_lPT4_lS8_li
    .private_segment_fixed_size: 0
    .sgpr_count:     22
    .sgpr_spill_count: 0
    .symbol:         _ZL32rocblas_gemvt_warp_reduce_kernelILb0ELi256EiPKDF16_fKPfEviiT3_lPKT2_lT1_lS7_lS8_lS4_lPT4_lS8_li.kd
    .uniform_work_group_size: 1
    .uses_dynamic_stack: false
    .vgpr_count:     11
    .vgpr_spill_count: 0
    .wavefront_size: 32
    .workgroup_processor_mode: 1
  - .args:
      - .offset:         0
        .size:           4
        .value_kind:     by_value
      - .offset:         4
        .size:           4
        .value_kind:     by_value
      - .offset:         8
        .size:           4
        .value_kind:     by_value
      - .offset:         16
        .size:           8
        .value_kind:     by_value
      - .address_space:  global
        .offset:         24
        .size:           8
        .value_kind:     global_buffer
      - .offset:         32
        .size:           8
        .value_kind:     by_value
      - .offset:         40
        .size:           8
        .value_kind:     by_value
      - .offset:         48
        .size:           8
        .value_kind:     by_value
      - .address_space:  global
        .offset:         56
        .size:           8
        .value_kind:     global_buffer
      - .offset:         64
        .size:           8
        .value_kind:     by_value
      - .offset:         72
        .size:           8
        .value_kind:     by_value
      - .offset:         80
        .size:           8
        .value_kind:     by_value
      - .offset:         88
        .size:           4
        .value_kind:     by_value
      - .offset:         96
        .size:           8
        .value_kind:     by_value
      - .address_space:  global
        .offset:         104
        .size:           8
        .value_kind:     global_buffer
      - .offset:         112
        .size:           8
        .value_kind:     by_value
      - .offset:         120
        .size:           8
        .value_kind:     by_value
      - .offset:         128
        .size:           8
        .value_kind:     by_value
      - .offset:         136
        .size:           4
        .value_kind:     by_value
    .group_segment_fixed_size: 128
    .kernarg_segment_align: 8
    .kernarg_segment_size: 140
    .language:       OpenCL C
    .language_version:
      - 2
      - 0
    .max_flat_workgroup_size: 256
    .name:           _ZL32rocblas_gemvt_warp_reduce_kernelILb0ELi256ElPKDF16_fKPfEviiT3_lPKT2_lT1_lS7_lS8_lS4_lPT4_lS8_li
    .private_segment_fixed_size: 0
    .sgpr_count:     28
    .sgpr_spill_count: 0
    .symbol:         _ZL32rocblas_gemvt_warp_reduce_kernelILb0ELi256ElPKDF16_fKPfEviiT3_lPKT2_lT1_lS7_lS8_lS4_lPT4_lS8_li.kd
    .uniform_work_group_size: 1
    .uses_dynamic_stack: false
    .vgpr_count:     11
    .vgpr_spill_count: 0
    .wavefront_size: 32
    .workgroup_processor_mode: 1
  - .args:
      - .offset:         0
        .size:           4
        .value_kind:     by_value
      - .offset:         4
        .size:           4
        .value_kind:     by_value
      - .address_space:  global
        .offset:         8
        .size:           8
        .value_kind:     global_buffer
      - .offset:         16
        .size:           8
        .value_kind:     by_value
      - .address_space:  global
        .offset:         24
        .size:           8
        .value_kind:     global_buffer
      - .offset:         32
        .size:           8
        .value_kind:     by_value
      - .offset:         40
        .size:           4
        .value_kind:     by_value
      - .offset:         48
        .size:           8
        .value_kind:     by_value
      - .address_space:  global
        .offset:         56
        .size:           8
        .value_kind:     global_buffer
      - .offset:         64
        .size:           8
        .value_kind:     by_value
      - .offset:         72
        .size:           4
        .value_kind:     by_value
      - .offset:         80
        .size:           8
        .value_kind:     by_value
      - .address_space:  global
        .offset:         88
        .size:           8
        .value_kind:     global_buffer
      - .offset:         96
        .size:           8
        .value_kind:     by_value
      - .address_space:  global
        .offset:         104
        .size:           8
        .value_kind:     global_buffer
      - .offset:         112
        .size:           8
        .value_kind:     by_value
      - .offset:         120
        .size:           4
        .value_kind:     by_value
      - .offset:         128
        .size:           8
        .value_kind:     by_value
      - .offset:         136
        .size:           4
        .value_kind:     by_value
    .group_segment_fixed_size: 1024
    .kernarg_segment_align: 8
    .kernarg_segment_size: 140
    .language:       OpenCL C
    .language_version:
      - 2
      - 0
    .max_flat_workgroup_size: 256
    .name:           _ZL20rocblas_gemvt_kernelILb0ELi256EPKDF16_PKfKPfEviiT2_lPKT1_lilS9_lilS6_lPT3_lili
    .private_segment_fixed_size: 0
    .sgpr_count:     26
    .sgpr_spill_count: 0
    .symbol:         _ZL20rocblas_gemvt_kernelILb0ELi256EPKDF16_PKfKPfEviiT2_lPKT1_lilS9_lilS6_lPT3_lili.kd
    .uniform_work_group_size: 1
    .uses_dynamic_stack: false
    .vgpr_count:     10
    .vgpr_spill_count: 0
    .wavefront_size: 32
    .workgroup_processor_mode: 1
  - .args:
      - .offset:         0
        .size:           4
        .value_kind:     by_value
      - .offset:         4
        .size:           4
        .value_kind:     by_value
      - .offset:         8
        .size:           4
        .value_kind:     by_value
      - .offset:         16
        .size:           8
        .value_kind:     by_value
      - .address_space:  global
        .offset:         24
        .size:           8
        .value_kind:     global_buffer
      - .offset:         32
        .size:           8
        .value_kind:     by_value
      - .offset:         40
        .size:           4
        .value_kind:     by_value
      - .offset:         48
        .size:           8
        .value_kind:     by_value
      - .address_space:  global
        .offset:         56
        .size:           8
        .value_kind:     global_buffer
      - .offset:         64
        .size:           8
        .value_kind:     by_value
      - .offset:         72
        .size:           4
        .value_kind:     by_value
      - .offset:         80
        .size:           8
        .value_kind:     by_value
      - .offset:         88
        .size:           4
        .value_kind:     by_value
      - .offset:         96
        .size:           8
        .value_kind:     by_value
      - .address_space:  global
        .offset:         104
        .size:           8
        .value_kind:     global_buffer
      - .offset:         112
        .size:           8
        .value_kind:     by_value
      - .offset:         120
        .size:           4
        .value_kind:     by_value
      - .offset:         128
        .size:           8
        .value_kind:     by_value
      - .offset:         136
        .size:           4
        .value_kind:     by_value
    .group_segment_fixed_size: 1024
    .kernarg_segment_align: 8
    .kernarg_segment_size: 140
    .language:       OpenCL C
    .language_version:
      - 2
      - 0
    .max_flat_workgroup_size: 256
    .name:           _ZL20rocblas_gemvt_kernelILb0ELi256EPKDF16_fKPfEviiT2_lPKT1_lilS7_lilS4_lPT3_lili
    .private_segment_fixed_size: 0
    .sgpr_count:     22
    .sgpr_spill_count: 0
    .symbol:         _ZL20rocblas_gemvt_kernelILb0ELi256EPKDF16_fKPfEviiT2_lPKT1_lilS7_lilS4_lPT3_lili.kd
    .uniform_work_group_size: 1
    .uses_dynamic_stack: false
    .vgpr_count:     10
    .vgpr_spill_count: 0
    .wavefront_size: 32
    .workgroup_processor_mode: 1
  - .args:
      - .offset:         0
        .size:           4
        .value_kind:     by_value
      - .offset:         4
        .size:           4
        .value_kind:     by_value
      - .address_space:  global
        .offset:         8
        .size:           8
        .value_kind:     global_buffer
      - .offset:         16
        .size:           8
        .value_kind:     by_value
      - .address_space:  global
        .offset:         24
        .size:           8
        .value_kind:     global_buffer
      - .offset:         32
        .size:           8
        .value_kind:     by_value
      - .offset:         40
        .size:           4
        .value_kind:     by_value
      - .offset:         48
        .size:           8
        .value_kind:     by_value
      - .address_space:  global
        .offset:         56
        .size:           8
        .value_kind:     global_buffer
      - .offset:         64
        .size:           8
        .value_kind:     by_value
      - .offset:         72
        .size:           4
        .value_kind:     by_value
      - .offset:         80
        .size:           8
        .value_kind:     by_value
      - .address_space:  global
        .offset:         88
        .size:           8
        .value_kind:     global_buffer
      - .offset:         96
        .size:           8
        .value_kind:     by_value
      - .address_space:  global
        .offset:         104
        .size:           8
        .value_kind:     global_buffer
      - .offset:         112
        .size:           8
        .value_kind:     by_value
      - .offset:         120
        .size:           4
        .value_kind:     by_value
      - .offset:         128
        .size:           8
        .value_kind:     by_value
      - .offset:         136
        .size:           4
        .value_kind:     by_value
    .group_segment_fixed_size: 128
    .kernarg_segment_align: 8
    .kernarg_segment_size: 140
    .language:       OpenCL C
    .language_version:
      - 2
      - 0
    .max_flat_workgroup_size: 1024
    .name:           _ZL32rocblas_gemvt_warp_reduce_kernelILb0ELi1024EiPKDF16_PKfKPfEviiT3_lPKT2_lT1_lS9_lSA_lS6_lPT4_lSA_li
    .private_segment_fixed_size: 0
    .sgpr_count:     26
    .sgpr_spill_count: 0
    .symbol:         _ZL32rocblas_gemvt_warp_reduce_kernelILb0ELi1024EiPKDF16_PKfKPfEviiT3_lPKT2_lT1_lS9_lSA_lS6_lPT4_lSA_li.kd
    .uniform_work_group_size: 1
    .uses_dynamic_stack: false
    .vgpr_count:     11
    .vgpr_spill_count: 0
    .wavefront_size: 32
    .workgroup_processor_mode: 1
  - .args:
      - .offset:         0
        .size:           4
        .value_kind:     by_value
      - .offset:         4
        .size:           4
        .value_kind:     by_value
      - .address_space:  global
        .offset:         8
        .size:           8
        .value_kind:     global_buffer
      - .offset:         16
        .size:           8
        .value_kind:     by_value
      - .address_space:  global
        .offset:         24
        .size:           8
        .value_kind:     global_buffer
      - .offset:         32
        .size:           8
        .value_kind:     by_value
      - .offset:         40
        .size:           8
        .value_kind:     by_value
      - .offset:         48
        .size:           8
        .value_kind:     by_value
      - .address_space:  global
        .offset:         56
        .size:           8
        .value_kind:     global_buffer
      - .offset:         64
        .size:           8
        .value_kind:     by_value
      - .offset:         72
        .size:           8
        .value_kind:     by_value
      - .offset:         80
        .size:           8
        .value_kind:     by_value
      - .address_space:  global
        .offset:         88
        .size:           8
        .value_kind:     global_buffer
      - .offset:         96
        .size:           8
        .value_kind:     by_value
      - .address_space:  global
        .offset:         104
        .size:           8
        .value_kind:     global_buffer
      - .offset:         112
        .size:           8
        .value_kind:     by_value
      - .offset:         120
        .size:           8
        .value_kind:     by_value
      - .offset:         128
        .size:           8
        .value_kind:     by_value
      - .offset:         136
        .size:           4
        .value_kind:     by_value
    .group_segment_fixed_size: 128
    .kernarg_segment_align: 8
    .kernarg_segment_size: 140
    .language:       OpenCL C
    .language_version:
      - 2
      - 0
    .max_flat_workgroup_size: 1024
    .name:           _ZL32rocblas_gemvt_warp_reduce_kernelILb0ELi1024ElPKDF16_PKfKPfEviiT3_lPKT2_lT1_lS9_lSA_lS6_lPT4_lSA_li
    .private_segment_fixed_size: 0
    .sgpr_count:     33
    .sgpr_spill_count: 0
    .symbol:         _ZL32rocblas_gemvt_warp_reduce_kernelILb0ELi1024ElPKDF16_PKfKPfEviiT3_lPKT2_lT1_lS9_lSA_lS6_lPT4_lSA_li.kd
    .uniform_work_group_size: 1
    .uses_dynamic_stack: false
    .vgpr_count:     11
    .vgpr_spill_count: 0
    .wavefront_size: 32
    .workgroup_processor_mode: 1
  - .args:
      - .offset:         0
        .size:           4
        .value_kind:     by_value
      - .offset:         4
        .size:           4
        .value_kind:     by_value
      - .offset:         8
        .size:           4
        .value_kind:     by_value
      - .offset:         16
        .size:           8
        .value_kind:     by_value
      - .address_space:  global
        .offset:         24
        .size:           8
        .value_kind:     global_buffer
      - .offset:         32
        .size:           8
        .value_kind:     by_value
      - .offset:         40
        .size:           4
        .value_kind:     by_value
      - .offset:         48
        .size:           8
        .value_kind:     by_value
      - .address_space:  global
        .offset:         56
        .size:           8
        .value_kind:     global_buffer
      - .offset:         64
        .size:           8
        .value_kind:     by_value
      - .offset:         72
        .size:           4
        .value_kind:     by_value
      - .offset:         80
        .size:           8
        .value_kind:     by_value
      - .offset:         88
        .size:           4
        .value_kind:     by_value
      - .offset:         96
        .size:           8
        .value_kind:     by_value
      - .address_space:  global
        .offset:         104
        .size:           8
        .value_kind:     global_buffer
      - .offset:         112
        .size:           8
        .value_kind:     by_value
      - .offset:         120
        .size:           4
        .value_kind:     by_value
      - .offset:         128
        .size:           8
        .value_kind:     by_value
      - .offset:         136
        .size:           4
        .value_kind:     by_value
    .group_segment_fixed_size: 128
    .kernarg_segment_align: 8
    .kernarg_segment_size: 140
    .language:       OpenCL C
    .language_version:
      - 2
      - 0
    .max_flat_workgroup_size: 1024
    .name:           _ZL32rocblas_gemvt_warp_reduce_kernelILb0ELi1024EiPKDF16_fKPfEviiT3_lPKT2_lT1_lS7_lS8_lS4_lPT4_lS8_li
    .private_segment_fixed_size: 0
    .sgpr_count:     22
    .sgpr_spill_count: 0
    .symbol:         _ZL32rocblas_gemvt_warp_reduce_kernelILb0ELi1024EiPKDF16_fKPfEviiT3_lPKT2_lT1_lS7_lS8_lS4_lPT4_lS8_li.kd
    .uniform_work_group_size: 1
    .uses_dynamic_stack: false
    .vgpr_count:     11
    .vgpr_spill_count: 0
    .wavefront_size: 32
    .workgroup_processor_mode: 1
  - .args:
      - .offset:         0
        .size:           4
        .value_kind:     by_value
      - .offset:         4
        .size:           4
        .value_kind:     by_value
      - .offset:         8
        .size:           4
        .value_kind:     by_value
      - .offset:         16
        .size:           8
        .value_kind:     by_value
      - .address_space:  global
        .offset:         24
        .size:           8
        .value_kind:     global_buffer
      - .offset:         32
        .size:           8
        .value_kind:     by_value
      - .offset:         40
        .size:           8
        .value_kind:     by_value
      - .offset:         48
        .size:           8
        .value_kind:     by_value
      - .address_space:  global
        .offset:         56
        .size:           8
        .value_kind:     global_buffer
      - .offset:         64
        .size:           8
        .value_kind:     by_value
      - .offset:         72
        .size:           8
        .value_kind:     by_value
      - .offset:         80
        .size:           8
        .value_kind:     by_value
      - .offset:         88
        .size:           4
        .value_kind:     by_value
      - .offset:         96
        .size:           8
        .value_kind:     by_value
      - .address_space:  global
        .offset:         104
        .size:           8
        .value_kind:     global_buffer
      - .offset:         112
        .size:           8
        .value_kind:     by_value
      - .offset:         120
        .size:           8
        .value_kind:     by_value
      - .offset:         128
        .size:           8
        .value_kind:     by_value
      - .offset:         136
        .size:           4
        .value_kind:     by_value
    .group_segment_fixed_size: 128
    .kernarg_segment_align: 8
    .kernarg_segment_size: 140
    .language:       OpenCL C
    .language_version:
      - 2
      - 0
    .max_flat_workgroup_size: 1024
    .name:           _ZL32rocblas_gemvt_warp_reduce_kernelILb0ELi1024ElPKDF16_fKPfEviiT3_lPKT2_lT1_lS7_lS8_lS4_lPT4_lS8_li
    .private_segment_fixed_size: 0
    .sgpr_count:     28
    .sgpr_spill_count: 0
    .symbol:         _ZL32rocblas_gemvt_warp_reduce_kernelILb0ELi1024ElPKDF16_fKPfEviiT3_lPKT2_lT1_lS7_lS8_lS4_lPT4_lS8_li.kd
    .uniform_work_group_size: 1
    .uses_dynamic_stack: false
    .vgpr_count:     11
    .vgpr_spill_count: 0
    .wavefront_size: 32
    .workgroup_processor_mode: 1
  - .args:
      - .offset:         0
        .size:           4
        .value_kind:     by_value
      - .offset:         4
        .size:           4
        .value_kind:     by_value
      - .address_space:  global
        .offset:         8
        .size:           8
        .value_kind:     global_buffer
      - .offset:         16
        .size:           8
        .value_kind:     by_value
      - .address_space:  global
        .offset:         24
        .size:           8
        .value_kind:     global_buffer
      - .offset:         32
        .size:           8
        .value_kind:     by_value
      - .offset:         40
        .size:           4
        .value_kind:     by_value
      - .offset:         48
        .size:           8
        .value_kind:     by_value
      - .address_space:  global
        .offset:         56
        .size:           8
        .value_kind:     global_buffer
      - .offset:         64
        .size:           8
        .value_kind:     by_value
      - .offset:         72
        .size:           4
        .value_kind:     by_value
      - .offset:         80
        .size:           8
        .value_kind:     by_value
      - .address_space:  global
        .offset:         88
        .size:           8
        .value_kind:     global_buffer
      - .offset:         96
        .size:           8
        .value_kind:     by_value
      - .address_space:  global
        .offset:         104
        .size:           8
        .value_kind:     global_buffer
      - .offset:         112
        .size:           8
        .value_kind:     by_value
      - .offset:         120
        .size:           4
        .value_kind:     by_value
      - .offset:         128
        .size:           8
        .value_kind:     by_value
    .group_segment_fixed_size: 256
    .kernarg_segment_align: 8
    .kernarg_segment_size: 136
    .language:       OpenCL C
    .language_version:
      - 2
      - 0
    .max_flat_workgroup_size: 256
    .name:           _ZL22rocblas_gemvtsm_kernelILb1ELi256EPKDF16_PKfKPfEviiT2_lPKT1_lilS9_lilS6_lPT3_lil
    .private_segment_fixed_size: 0
    .sgpr_count:     24
    .sgpr_spill_count: 0
    .symbol:         _ZL22rocblas_gemvtsm_kernelILb1ELi256EPKDF16_PKfKPfEviiT2_lPKT1_lilS9_lilS6_lPT3_lil.kd
    .uniform_work_group_size: 1
    .uses_dynamic_stack: false
    .vgpr_count:     20
    .vgpr_spill_count: 0
    .wavefront_size: 32
    .workgroup_processor_mode: 1
  - .args:
      - .offset:         0
        .size:           4
        .value_kind:     by_value
      - .offset:         4
        .size:           4
        .value_kind:     by_value
      - .offset:         8
        .size:           4
        .value_kind:     by_value
      - .offset:         16
        .size:           8
        .value_kind:     by_value
      - .address_space:  global
        .offset:         24
        .size:           8
        .value_kind:     global_buffer
      - .offset:         32
        .size:           8
        .value_kind:     by_value
      - .offset:         40
        .size:           4
        .value_kind:     by_value
      - .offset:         48
        .size:           8
        .value_kind:     by_value
      - .address_space:  global
        .offset:         56
        .size:           8
        .value_kind:     global_buffer
      - .offset:         64
        .size:           8
        .value_kind:     by_value
      - .offset:         72
        .size:           4
        .value_kind:     by_value
      - .offset:         80
        .size:           8
        .value_kind:     by_value
      - .offset:         88
        .size:           4
        .value_kind:     by_value
      - .offset:         96
        .size:           8
        .value_kind:     by_value
      - .address_space:  global
        .offset:         104
        .size:           8
        .value_kind:     global_buffer
      - .offset:         112
        .size:           8
        .value_kind:     by_value
      - .offset:         120
        .size:           4
        .value_kind:     by_value
      - .offset:         128
        .size:           8
        .value_kind:     by_value
    .group_segment_fixed_size: 256
    .kernarg_segment_align: 8
    .kernarg_segment_size: 136
    .language:       OpenCL C
    .language_version:
      - 2
      - 0
    .max_flat_workgroup_size: 256
    .name:           _ZL22rocblas_gemvtsm_kernelILb1ELi256EPKDF16_fKPfEviiT2_lPKT1_lilS7_lilS4_lPT3_lil
    .private_segment_fixed_size: 0
    .sgpr_count:     22
    .sgpr_spill_count: 0
    .symbol:         _ZL22rocblas_gemvtsm_kernelILb1ELi256EPKDF16_fKPfEviiT2_lPKT1_lilS7_lilS4_lPT3_lil.kd
    .uniform_work_group_size: 1
    .uses_dynamic_stack: false
    .vgpr_count:     20
    .vgpr_spill_count: 0
    .wavefront_size: 32
    .workgroup_processor_mode: 1
  - .args:
      - .offset:         0
        .size:           4
        .value_kind:     by_value
      - .offset:         4
        .size:           4
        .value_kind:     by_value
      - .address_space:  global
        .offset:         8
        .size:           8
        .value_kind:     global_buffer
      - .offset:         16
        .size:           8
        .value_kind:     by_value
      - .address_space:  global
        .offset:         24
        .size:           8
        .value_kind:     global_buffer
      - .offset:         32
        .size:           8
        .value_kind:     by_value
      - .offset:         40
        .size:           4
        .value_kind:     by_value
      - .offset:         48
        .size:           8
        .value_kind:     by_value
      - .address_space:  global
        .offset:         56
        .size:           8
        .value_kind:     global_buffer
      - .offset:         64
        .size:           8
        .value_kind:     by_value
      - .offset:         72
        .size:           4
        .value_kind:     by_value
      - .offset:         80
        .size:           8
        .value_kind:     by_value
      - .address_space:  global
        .offset:         88
        .size:           8
        .value_kind:     global_buffer
      - .offset:         96
        .size:           8
        .value_kind:     by_value
      - .address_space:  global
        .offset:         104
        .size:           8
        .value_kind:     global_buffer
      - .offset:         112
        .size:           8
        .value_kind:     by_value
      - .offset:         120
        .size:           4
        .value_kind:     by_value
      - .offset:         128
        .size:           8
        .value_kind:     by_value
      - .offset:         136
        .size:           4
        .value_kind:     by_value
    .group_segment_fixed_size: 1024
    .kernarg_segment_align: 8
    .kernarg_segment_size: 140
    .language:       OpenCL C
    .language_version:
      - 2
      - 0
    .max_flat_workgroup_size: 256
    .name:           _ZL20rocblas_gemvt_kernelILb1ELi256EPKDF16_PKfKPfEviiT2_lPKT1_lilS9_lilS6_lPT3_lili
    .private_segment_fixed_size: 0
    .sgpr_count:     26
    .sgpr_spill_count: 0
    .symbol:         _ZL20rocblas_gemvt_kernelILb1ELi256EPKDF16_PKfKPfEviiT2_lPKT1_lilS9_lilS6_lPT3_lili.kd
    .uniform_work_group_size: 1
    .uses_dynamic_stack: false
    .vgpr_count:     10
    .vgpr_spill_count: 0
    .wavefront_size: 32
    .workgroup_processor_mode: 1
  - .args:
      - .offset:         0
        .size:           4
        .value_kind:     by_value
      - .offset:         4
        .size:           4
        .value_kind:     by_value
      - .offset:         8
        .size:           4
        .value_kind:     by_value
      - .offset:         16
        .size:           8
        .value_kind:     by_value
      - .address_space:  global
        .offset:         24
        .size:           8
        .value_kind:     global_buffer
      - .offset:         32
        .size:           8
        .value_kind:     by_value
      - .offset:         40
        .size:           4
        .value_kind:     by_value
      - .offset:         48
        .size:           8
        .value_kind:     by_value
      - .address_space:  global
        .offset:         56
        .size:           8
        .value_kind:     global_buffer
      - .offset:         64
        .size:           8
        .value_kind:     by_value
      - .offset:         72
        .size:           4
        .value_kind:     by_value
      - .offset:         80
        .size:           8
        .value_kind:     by_value
      - .offset:         88
        .size:           4
        .value_kind:     by_value
      - .offset:         96
        .size:           8
        .value_kind:     by_value
      - .address_space:  global
        .offset:         104
        .size:           8
        .value_kind:     global_buffer
      - .offset:         112
        .size:           8
        .value_kind:     by_value
      - .offset:         120
        .size:           4
        .value_kind:     by_value
      - .offset:         128
        .size:           8
        .value_kind:     by_value
      - .offset:         136
        .size:           4
        .value_kind:     by_value
    .group_segment_fixed_size: 1024
    .kernarg_segment_align: 8
    .kernarg_segment_size: 140
    .language:       OpenCL C
    .language_version:
      - 2
      - 0
    .max_flat_workgroup_size: 256
    .name:           _ZL20rocblas_gemvt_kernelILb1ELi256EPKDF16_fKPfEviiT2_lPKT1_lilS7_lilS4_lPT3_lili
    .private_segment_fixed_size: 0
    .sgpr_count:     22
    .sgpr_spill_count: 0
    .symbol:         _ZL20rocblas_gemvt_kernelILb1ELi256EPKDF16_fKPfEviiT2_lPKT1_lilS7_lilS4_lPT3_lili.kd
    .uniform_work_group_size: 1
    .uses_dynamic_stack: false
    .vgpr_count:     10
    .vgpr_spill_count: 0
    .wavefront_size: 32
    .workgroup_processor_mode: 1
  - .args:
      - .offset:         0
        .size:           4
        .value_kind:     by_value
      - .offset:         4
        .size:           4
        .value_kind:     by_value
      - .address_space:  global
        .offset:         8
        .size:           8
        .value_kind:     global_buffer
      - .offset:         16
        .size:           8
        .value_kind:     by_value
      - .address_space:  global
        .offset:         24
        .size:           8
        .value_kind:     global_buffer
      - .offset:         32
        .size:           8
        .value_kind:     by_value
      - .offset:         40
        .size:           4
        .value_kind:     by_value
      - .offset:         48
        .size:           8
        .value_kind:     by_value
      - .address_space:  global
        .offset:         56
        .size:           8
        .value_kind:     global_buffer
      - .offset:         64
        .size:           8
        .value_kind:     by_value
      - .offset:         72
        .size:           4
        .value_kind:     by_value
      - .offset:         80
        .size:           8
        .value_kind:     by_value
      - .address_space:  global
        .offset:         88
        .size:           8
        .value_kind:     global_buffer
      - .offset:         96
        .size:           8
        .value_kind:     by_value
      - .address_space:  global
        .offset:         104
        .size:           8
        .value_kind:     global_buffer
      - .offset:         112
        .size:           8
        .value_kind:     by_value
      - .offset:         120
        .size:           4
        .value_kind:     by_value
      - .offset:         128
        .size:           8
        .value_kind:     by_value
      - .offset:         136
        .size:           4
        .value_kind:     by_value
    .group_segment_fixed_size: 128
    .kernarg_segment_align: 8
    .kernarg_segment_size: 140
    .language:       OpenCL C
    .language_version:
      - 2
      - 0
    .max_flat_workgroup_size: 1024
    .name:           _ZL32rocblas_gemvt_warp_reduce_kernelILb1ELi1024EiPKDF16_PKfKPfEviiT3_lPKT2_lT1_lS9_lSA_lS6_lPT4_lSA_li
    .private_segment_fixed_size: 0
    .sgpr_count:     26
    .sgpr_spill_count: 0
    .symbol:         _ZL32rocblas_gemvt_warp_reduce_kernelILb1ELi1024EiPKDF16_PKfKPfEviiT3_lPKT2_lT1_lS9_lSA_lS6_lPT4_lSA_li.kd
    .uniform_work_group_size: 1
    .uses_dynamic_stack: false
    .vgpr_count:     11
    .vgpr_spill_count: 0
    .wavefront_size: 32
    .workgroup_processor_mode: 1
  - .args:
      - .offset:         0
        .size:           4
        .value_kind:     by_value
      - .offset:         4
        .size:           4
        .value_kind:     by_value
      - .address_space:  global
        .offset:         8
        .size:           8
        .value_kind:     global_buffer
      - .offset:         16
        .size:           8
        .value_kind:     by_value
      - .address_space:  global
        .offset:         24
        .size:           8
        .value_kind:     global_buffer
      - .offset:         32
        .size:           8
        .value_kind:     by_value
      - .offset:         40
        .size:           8
        .value_kind:     by_value
      - .offset:         48
        .size:           8
        .value_kind:     by_value
      - .address_space:  global
        .offset:         56
        .size:           8
        .value_kind:     global_buffer
      - .offset:         64
        .size:           8
        .value_kind:     by_value
      - .offset:         72
        .size:           8
        .value_kind:     by_value
      - .offset:         80
        .size:           8
        .value_kind:     by_value
      - .address_space:  global
        .offset:         88
        .size:           8
        .value_kind:     global_buffer
      - .offset:         96
        .size:           8
        .value_kind:     by_value
      - .address_space:  global
        .offset:         104
        .size:           8
        .value_kind:     global_buffer
      - .offset:         112
        .size:           8
        .value_kind:     by_value
      - .offset:         120
        .size:           8
        .value_kind:     by_value
      - .offset:         128
        .size:           8
        .value_kind:     by_value
      - .offset:         136
        .size:           4
        .value_kind:     by_value
    .group_segment_fixed_size: 128
    .kernarg_segment_align: 8
    .kernarg_segment_size: 140
    .language:       OpenCL C
    .language_version:
      - 2
      - 0
    .max_flat_workgroup_size: 1024
    .name:           _ZL32rocblas_gemvt_warp_reduce_kernelILb1ELi1024ElPKDF16_PKfKPfEviiT3_lPKT2_lT1_lS9_lSA_lS6_lPT4_lSA_li
    .private_segment_fixed_size: 0
    .sgpr_count:     33
    .sgpr_spill_count: 0
    .symbol:         _ZL32rocblas_gemvt_warp_reduce_kernelILb1ELi1024ElPKDF16_PKfKPfEviiT3_lPKT2_lT1_lS9_lSA_lS6_lPT4_lSA_li.kd
    .uniform_work_group_size: 1
    .uses_dynamic_stack: false
    .vgpr_count:     11
    .vgpr_spill_count: 0
    .wavefront_size: 32
    .workgroup_processor_mode: 1
  - .args:
      - .offset:         0
        .size:           4
        .value_kind:     by_value
      - .offset:         4
        .size:           4
        .value_kind:     by_value
      - .offset:         8
        .size:           4
        .value_kind:     by_value
      - .offset:         16
        .size:           8
        .value_kind:     by_value
      - .address_space:  global
        .offset:         24
        .size:           8
        .value_kind:     global_buffer
      - .offset:         32
        .size:           8
        .value_kind:     by_value
      - .offset:         40
        .size:           4
        .value_kind:     by_value
      - .offset:         48
        .size:           8
        .value_kind:     by_value
      - .address_space:  global
        .offset:         56
        .size:           8
        .value_kind:     global_buffer
      - .offset:         64
        .size:           8
        .value_kind:     by_value
      - .offset:         72
        .size:           4
        .value_kind:     by_value
      - .offset:         80
        .size:           8
        .value_kind:     by_value
      - .offset:         88
        .size:           4
        .value_kind:     by_value
      - .offset:         96
        .size:           8
        .value_kind:     by_value
      - .address_space:  global
        .offset:         104
        .size:           8
        .value_kind:     global_buffer
      - .offset:         112
        .size:           8
        .value_kind:     by_value
      - .offset:         120
        .size:           4
        .value_kind:     by_value
      - .offset:         128
        .size:           8
        .value_kind:     by_value
      - .offset:         136
        .size:           4
        .value_kind:     by_value
    .group_segment_fixed_size: 128
    .kernarg_segment_align: 8
    .kernarg_segment_size: 140
    .language:       OpenCL C
    .language_version:
      - 2
      - 0
    .max_flat_workgroup_size: 1024
    .name:           _ZL32rocblas_gemvt_warp_reduce_kernelILb1ELi1024EiPKDF16_fKPfEviiT3_lPKT2_lT1_lS7_lS8_lS4_lPT4_lS8_li
    .private_segment_fixed_size: 0
    .sgpr_count:     22
    .sgpr_spill_count: 0
    .symbol:         _ZL32rocblas_gemvt_warp_reduce_kernelILb1ELi1024EiPKDF16_fKPfEviiT3_lPKT2_lT1_lS7_lS8_lS4_lPT4_lS8_li.kd
    .uniform_work_group_size: 1
    .uses_dynamic_stack: false
    .vgpr_count:     11
    .vgpr_spill_count: 0
    .wavefront_size: 32
    .workgroup_processor_mode: 1
  - .args:
      - .offset:         0
        .size:           4
        .value_kind:     by_value
      - .offset:         4
        .size:           4
        .value_kind:     by_value
      - .offset:         8
        .size:           4
        .value_kind:     by_value
      - .offset:         16
        .size:           8
        .value_kind:     by_value
      - .address_space:  global
        .offset:         24
        .size:           8
        .value_kind:     global_buffer
      - .offset:         32
        .size:           8
        .value_kind:     by_value
      - .offset:         40
        .size:           8
        .value_kind:     by_value
      - .offset:         48
        .size:           8
        .value_kind:     by_value
      - .address_space:  global
        .offset:         56
        .size:           8
        .value_kind:     global_buffer
      - .offset:         64
        .size:           8
        .value_kind:     by_value
      - .offset:         72
        .size:           8
        .value_kind:     by_value
      - .offset:         80
        .size:           8
        .value_kind:     by_value
      - .offset:         88
        .size:           4
        .value_kind:     by_value
      - .offset:         96
        .size:           8
        .value_kind:     by_value
      - .address_space:  global
        .offset:         104
        .size:           8
        .value_kind:     global_buffer
      - .offset:         112
        .size:           8
        .value_kind:     by_value
      - .offset:         120
        .size:           8
        .value_kind:     by_value
      - .offset:         128
        .size:           8
        .value_kind:     by_value
      - .offset:         136
        .size:           4
        .value_kind:     by_value
    .group_segment_fixed_size: 128
    .kernarg_segment_align: 8
    .kernarg_segment_size: 140
    .language:       OpenCL C
    .language_version:
      - 2
      - 0
    .max_flat_workgroup_size: 1024
    .name:           _ZL32rocblas_gemvt_warp_reduce_kernelILb1ELi1024ElPKDF16_fKPfEviiT3_lPKT2_lT1_lS7_lS8_lS4_lPT4_lS8_li
    .private_segment_fixed_size: 0
    .sgpr_count:     28
    .sgpr_spill_count: 0
    .symbol:         _ZL32rocblas_gemvt_warp_reduce_kernelILb1ELi1024ElPKDF16_fKPfEviiT3_lPKT2_lT1_lS7_lS8_lS4_lPT4_lS8_li.kd
    .uniform_work_group_size: 1
    .uses_dynamic_stack: false
    .vgpr_count:     11
    .vgpr_spill_count: 0
    .wavefront_size: 32
    .workgroup_processor_mode: 1
  - .args:
      - .offset:         0
        .size:           4
        .value_kind:     by_value
      - .offset:         4
        .size:           4
        .value_kind:     by_value
      - .address_space:  global
        .offset:         8
        .size:           8
        .value_kind:     global_buffer
      - .offset:         16
        .size:           8
        .value_kind:     by_value
      - .address_space:  global
        .offset:         24
        .size:           8
        .value_kind:     global_buffer
      - .offset:         32
        .size:           8
        .value_kind:     by_value
      - .offset:         40
        .size:           4
        .value_kind:     by_value
      - .offset:         48
        .size:           8
        .value_kind:     by_value
      - .address_space:  global
        .offset:         56
        .size:           8
        .value_kind:     global_buffer
      - .offset:         64
        .size:           8
        .value_kind:     by_value
      - .offset:         72
        .size:           4
        .value_kind:     by_value
      - .offset:         80
        .size:           8
        .value_kind:     by_value
      - .address_space:  global
        .offset:         88
        .size:           8
        .value_kind:     global_buffer
      - .offset:         96
        .size:           8
        .value_kind:     by_value
      - .address_space:  global
        .offset:         104
        .size:           8
        .value_kind:     global_buffer
      - .offset:         112
        .size:           8
        .value_kind:     by_value
      - .offset:         120
        .size:           4
        .value_kind:     by_value
      - .offset:         128
        .size:           8
        .value_kind:     by_value
      - .offset:         136
        .size:           4
        .value_kind:     by_value
    .group_segment_fixed_size: 0
    .kernarg_segment_align: 8
    .kernarg_segment_size: 140
    .language:       OpenCL C
    .language_version:
      - 2
      - 0
    .max_flat_workgroup_size: 768
    .name:           _ZL34rocblas_gemvn_sm_mn_batched_kernelILi32ELi24E16rocblas_bfloat16PKfS0_EviiT2_lPKT1_lilS6_lilS3_lPT3_lili
    .private_segment_fixed_size: 0
    .sgpr_count:     0
    .sgpr_spill_count: 0
    .symbol:         _ZL34rocblas_gemvn_sm_mn_batched_kernelILi32ELi24E16rocblas_bfloat16PKfS0_EviiT2_lPKT1_lilS6_lilS3_lPT3_lili.kd
    .uniform_work_group_size: 1
    .uses_dynamic_stack: false
    .vgpr_count:     0
    .vgpr_spill_count: 0
    .wavefront_size: 32
    .workgroup_processor_mode: 1
  - .args:
      - .offset:         0
        .size:           4
        .value_kind:     by_value
      - .offset:         4
        .size:           4
        .value_kind:     by_value
      - .offset:         8
        .size:           4
        .value_kind:     by_value
      - .offset:         16
        .size:           8
        .value_kind:     by_value
      - .address_space:  global
        .offset:         24
        .size:           8
        .value_kind:     global_buffer
      - .offset:         32
        .size:           8
        .value_kind:     by_value
      - .offset:         40
        .size:           4
        .value_kind:     by_value
      - .offset:         48
        .size:           8
        .value_kind:     by_value
      - .address_space:  global
        .offset:         56
        .size:           8
        .value_kind:     global_buffer
      - .offset:         64
        .size:           8
        .value_kind:     by_value
      - .offset:         72
        .size:           4
        .value_kind:     by_value
      - .offset:         80
        .size:           8
        .value_kind:     by_value
      - .offset:         88
        .size:           4
        .value_kind:     by_value
      - .offset:         96
        .size:           8
        .value_kind:     by_value
      - .address_space:  global
        .offset:         104
        .size:           8
        .value_kind:     global_buffer
      - .offset:         112
        .size:           8
        .value_kind:     by_value
      - .offset:         120
        .size:           4
        .value_kind:     by_value
      - .offset:         128
        .size:           8
        .value_kind:     by_value
      - .offset:         136
        .size:           4
        .value_kind:     by_value
    .group_segment_fixed_size: 0
    .kernarg_segment_align: 8
    .kernarg_segment_size: 140
    .language:       OpenCL C
    .language_version:
      - 2
      - 0
    .max_flat_workgroup_size: 768
    .name:           _ZL34rocblas_gemvn_sm_mn_batched_kernelILi32ELi24E16rocblas_bfloat16fS0_EviiT2_lPKT1_lilS4_lilS1_lPT3_lili
    .private_segment_fixed_size: 0
    .sgpr_count:     0
    .sgpr_spill_count: 0
    .symbol:         _ZL34rocblas_gemvn_sm_mn_batched_kernelILi32ELi24E16rocblas_bfloat16fS0_EviiT2_lPKT1_lilS4_lilS1_lPT3_lili.kd
    .uniform_work_group_size: 1
    .uses_dynamic_stack: false
    .vgpr_count:     0
    .vgpr_spill_count: 0
    .wavefront_size: 32
    .workgroup_processor_mode: 1
  - .args:
      - .offset:         0
        .size:           4
        .value_kind:     by_value
      - .offset:         4
        .size:           4
        .value_kind:     by_value
      - .address_space:  global
        .offset:         8
        .size:           8
        .value_kind:     global_buffer
      - .offset:         16
        .size:           8
        .value_kind:     by_value
      - .address_space:  global
        .offset:         24
        .size:           8
        .value_kind:     global_buffer
      - .offset:         32
        .size:           8
        .value_kind:     by_value
      - .offset:         40
        .size:           4
        .value_kind:     by_value
      - .offset:         48
        .size:           8
        .value_kind:     by_value
      - .address_space:  global
        .offset:         56
        .size:           8
        .value_kind:     global_buffer
      - .offset:         64
        .size:           8
        .value_kind:     by_value
      - .offset:         72
        .size:           4
        .value_kind:     by_value
      - .offset:         80
        .size:           8
        .value_kind:     by_value
      - .address_space:  global
        .offset:         88
        .size:           8
        .value_kind:     global_buffer
      - .offset:         96
        .size:           8
        .value_kind:     by_value
      - .address_space:  global
        .offset:         104
        .size:           8
        .value_kind:     global_buffer
      - .offset:         112
        .size:           8
        .value_kind:     by_value
      - .offset:         120
        .size:           4
        .value_kind:     by_value
      - .offset:         128
        .size:           8
        .value_kind:     by_value
      - .offset:         136
        .size:           4
        .value_kind:     by_value
      - .offset:         144
        .size:           4
        .value_kind:     hidden_block_count_x
      - .offset:         148
        .size:           4
        .value_kind:     hidden_block_count_y
      - .offset:         152
        .size:           4
        .value_kind:     hidden_block_count_z
      - .offset:         156
        .size:           2
        .value_kind:     hidden_group_size_x
      - .offset:         158
        .size:           2
        .value_kind:     hidden_group_size_y
      - .offset:         160
        .size:           2
        .value_kind:     hidden_group_size_z
      - .offset:         162
        .size:           2
        .value_kind:     hidden_remainder_x
      - .offset:         164
        .size:           2
        .value_kind:     hidden_remainder_y
      - .offset:         166
        .size:           2
        .value_kind:     hidden_remainder_z
      - .offset:         184
        .size:           8
        .value_kind:     hidden_global_offset_x
      - .offset:         192
        .size:           8
        .value_kind:     hidden_global_offset_y
      - .offset:         200
        .size:           8
        .value_kind:     hidden_global_offset_z
      - .offset:         208
        .size:           2
        .value_kind:     hidden_grid_dims
    .group_segment_fixed_size: 4096
    .kernarg_segment_align: 8
    .kernarg_segment_size: 400
    .language:       OpenCL C
    .language_version:
      - 2
      - 0
    .max_flat_workgroup_size: 256
    .name:           _ZL20rocblas_gemvn_kernelILi64ELi4Ei16rocblas_bfloat16PKfS0_EviiT3_lPKT2_lT1_lS6_lS7_lS3_lPT4_lS7_li
    .private_segment_fixed_size: 0
    .sgpr_count:     30
    .sgpr_spill_count: 0
    .symbol:         _ZL20rocblas_gemvn_kernelILi64ELi4Ei16rocblas_bfloat16PKfS0_EviiT3_lPKT2_lT1_lS6_lS7_lS3_lPT4_lS7_li.kd
    .uniform_work_group_size: 1
    .uses_dynamic_stack: false
    .vgpr_count:     41
    .vgpr_spill_count: 0
    .wavefront_size: 32
    .workgroup_processor_mode: 1
  - .args:
      - .offset:         0
        .size:           4
        .value_kind:     by_value
      - .offset:         4
        .size:           4
        .value_kind:     by_value
      - .address_space:  global
        .offset:         8
        .size:           8
        .value_kind:     global_buffer
      - .offset:         16
        .size:           8
        .value_kind:     by_value
      - .address_space:  global
        .offset:         24
        .size:           8
        .value_kind:     global_buffer
      - .offset:         32
        .size:           8
        .value_kind:     by_value
      - .offset:         40
        .size:           8
        .value_kind:     by_value
      - .offset:         48
        .size:           8
        .value_kind:     by_value
      - .address_space:  global
        .offset:         56
        .size:           8
        .value_kind:     global_buffer
      - .offset:         64
        .size:           8
        .value_kind:     by_value
      - .offset:         72
        .size:           8
        .value_kind:     by_value
      - .offset:         80
        .size:           8
        .value_kind:     by_value
      - .address_space:  global
        .offset:         88
        .size:           8
        .value_kind:     global_buffer
      - .offset:         96
        .size:           8
        .value_kind:     by_value
      - .address_space:  global
        .offset:         104
        .size:           8
        .value_kind:     global_buffer
      - .offset:         112
        .size:           8
        .value_kind:     by_value
      - .offset:         120
        .size:           8
        .value_kind:     by_value
      - .offset:         128
        .size:           8
        .value_kind:     by_value
      - .offset:         136
        .size:           4
        .value_kind:     by_value
      - .offset:         144
        .size:           4
        .value_kind:     hidden_block_count_x
      - .offset:         148
        .size:           4
        .value_kind:     hidden_block_count_y
      - .offset:         152
        .size:           4
        .value_kind:     hidden_block_count_z
      - .offset:         156
        .size:           2
        .value_kind:     hidden_group_size_x
      - .offset:         158
        .size:           2
        .value_kind:     hidden_group_size_y
      - .offset:         160
        .size:           2
        .value_kind:     hidden_group_size_z
      - .offset:         162
        .size:           2
        .value_kind:     hidden_remainder_x
      - .offset:         164
        .size:           2
        .value_kind:     hidden_remainder_y
      - .offset:         166
        .size:           2
        .value_kind:     hidden_remainder_z
      - .offset:         184
        .size:           8
        .value_kind:     hidden_global_offset_x
      - .offset:         192
        .size:           8
        .value_kind:     hidden_global_offset_y
      - .offset:         200
        .size:           8
        .value_kind:     hidden_global_offset_z
      - .offset:         208
        .size:           2
        .value_kind:     hidden_grid_dims
    .group_segment_fixed_size: 4096
    .kernarg_segment_align: 8
    .kernarg_segment_size: 400
    .language:       OpenCL C
    .language_version:
      - 2
      - 0
    .max_flat_workgroup_size: 256
    .name:           _ZL20rocblas_gemvn_kernelILi64ELi4El16rocblas_bfloat16PKfS0_EviiT3_lPKT2_lT1_lS6_lS7_lS3_lPT4_lS7_li
    .private_segment_fixed_size: 0
    .sgpr_count:     54
    .sgpr_spill_count: 0
    .symbol:         _ZL20rocblas_gemvn_kernelILi64ELi4El16rocblas_bfloat16PKfS0_EviiT3_lPKT2_lT1_lS6_lS7_lS3_lPT4_lS7_li.kd
    .uniform_work_group_size: 1
    .uses_dynamic_stack: false
    .vgpr_count:     51
    .vgpr_spill_count: 0
    .wavefront_size: 32
    .workgroup_processor_mode: 1
  - .args:
      - .offset:         0
        .size:           4
        .value_kind:     by_value
      - .offset:         4
        .size:           4
        .value_kind:     by_value
      - .offset:         8
        .size:           4
        .value_kind:     by_value
      - .offset:         16
        .size:           8
        .value_kind:     by_value
      - .address_space:  global
        .offset:         24
        .size:           8
        .value_kind:     global_buffer
      - .offset:         32
        .size:           8
        .value_kind:     by_value
      - .offset:         40
        .size:           4
        .value_kind:     by_value
      - .offset:         48
        .size:           8
        .value_kind:     by_value
      - .address_space:  global
        .offset:         56
        .size:           8
        .value_kind:     global_buffer
      - .offset:         64
        .size:           8
        .value_kind:     by_value
      - .offset:         72
        .size:           4
        .value_kind:     by_value
      - .offset:         80
        .size:           8
        .value_kind:     by_value
      - .offset:         88
        .size:           4
        .value_kind:     by_value
      - .offset:         96
        .size:           8
        .value_kind:     by_value
      - .address_space:  global
        .offset:         104
        .size:           8
        .value_kind:     global_buffer
      - .offset:         112
        .size:           8
        .value_kind:     by_value
      - .offset:         120
        .size:           4
        .value_kind:     by_value
      - .offset:         128
        .size:           8
        .value_kind:     by_value
      - .offset:         136
        .size:           4
        .value_kind:     by_value
      - .offset:         144
        .size:           4
        .value_kind:     hidden_block_count_x
      - .offset:         148
        .size:           4
        .value_kind:     hidden_block_count_y
      - .offset:         152
        .size:           4
        .value_kind:     hidden_block_count_z
      - .offset:         156
        .size:           2
        .value_kind:     hidden_group_size_x
      - .offset:         158
        .size:           2
        .value_kind:     hidden_group_size_y
      - .offset:         160
        .size:           2
        .value_kind:     hidden_group_size_z
      - .offset:         162
        .size:           2
        .value_kind:     hidden_remainder_x
      - .offset:         164
        .size:           2
        .value_kind:     hidden_remainder_y
      - .offset:         166
        .size:           2
        .value_kind:     hidden_remainder_z
      - .offset:         184
        .size:           8
        .value_kind:     hidden_global_offset_x
      - .offset:         192
        .size:           8
        .value_kind:     hidden_global_offset_y
      - .offset:         200
        .size:           8
        .value_kind:     hidden_global_offset_z
      - .offset:         208
        .size:           2
        .value_kind:     hidden_grid_dims
    .group_segment_fixed_size: 4096
    .kernarg_segment_align: 8
    .kernarg_segment_size: 400
    .language:       OpenCL C
    .language_version:
      - 2
      - 0
    .max_flat_workgroup_size: 256
    .name:           _ZL20rocblas_gemvn_kernelILi64ELi4Ei16rocblas_bfloat16fS0_EviiT3_lPKT2_lT1_lS4_lS5_lS1_lPT4_lS5_li
    .private_segment_fixed_size: 0
    .sgpr_count:     30
    .sgpr_spill_count: 0
    .symbol:         _ZL20rocblas_gemvn_kernelILi64ELi4Ei16rocblas_bfloat16fS0_EviiT3_lPKT2_lT1_lS4_lS5_lS1_lPT4_lS5_li.kd
    .uniform_work_group_size: 1
    .uses_dynamic_stack: false
    .vgpr_count:     41
    .vgpr_spill_count: 0
    .wavefront_size: 32
    .workgroup_processor_mode: 1
  - .args:
      - .offset:         0
        .size:           4
        .value_kind:     by_value
      - .offset:         4
        .size:           4
        .value_kind:     by_value
      - .offset:         8
        .size:           4
        .value_kind:     by_value
      - .offset:         16
        .size:           8
        .value_kind:     by_value
      - .address_space:  global
        .offset:         24
        .size:           8
        .value_kind:     global_buffer
      - .offset:         32
        .size:           8
        .value_kind:     by_value
      - .offset:         40
        .size:           8
        .value_kind:     by_value
      - .offset:         48
        .size:           8
        .value_kind:     by_value
      - .address_space:  global
        .offset:         56
        .size:           8
        .value_kind:     global_buffer
      - .offset:         64
        .size:           8
        .value_kind:     by_value
      - .offset:         72
        .size:           8
        .value_kind:     by_value
      - .offset:         80
        .size:           8
        .value_kind:     by_value
      - .offset:         88
        .size:           4
        .value_kind:     by_value
      - .offset:         96
        .size:           8
        .value_kind:     by_value
      - .address_space:  global
        .offset:         104
        .size:           8
        .value_kind:     global_buffer
      - .offset:         112
        .size:           8
        .value_kind:     by_value
      - .offset:         120
        .size:           8
        .value_kind:     by_value
      - .offset:         128
        .size:           8
        .value_kind:     by_value
      - .offset:         136
        .size:           4
        .value_kind:     by_value
      - .offset:         144
        .size:           4
        .value_kind:     hidden_block_count_x
      - .offset:         148
        .size:           4
        .value_kind:     hidden_block_count_y
      - .offset:         152
        .size:           4
        .value_kind:     hidden_block_count_z
      - .offset:         156
        .size:           2
        .value_kind:     hidden_group_size_x
      - .offset:         158
        .size:           2
        .value_kind:     hidden_group_size_y
      - .offset:         160
        .size:           2
        .value_kind:     hidden_group_size_z
      - .offset:         162
        .size:           2
        .value_kind:     hidden_remainder_x
      - .offset:         164
        .size:           2
        .value_kind:     hidden_remainder_y
      - .offset:         166
        .size:           2
        .value_kind:     hidden_remainder_z
      - .offset:         184
        .size:           8
        .value_kind:     hidden_global_offset_x
      - .offset:         192
        .size:           8
        .value_kind:     hidden_global_offset_y
      - .offset:         200
        .size:           8
        .value_kind:     hidden_global_offset_z
      - .offset:         208
        .size:           2
        .value_kind:     hidden_grid_dims
    .group_segment_fixed_size: 4096
    .kernarg_segment_align: 8
    .kernarg_segment_size: 400
    .language:       OpenCL C
    .language_version:
      - 2
      - 0
    .max_flat_workgroup_size: 256
    .name:           _ZL20rocblas_gemvn_kernelILi64ELi4El16rocblas_bfloat16fS0_EviiT3_lPKT2_lT1_lS4_lS5_lS1_lPT4_lS5_li
    .private_segment_fixed_size: 0
    .sgpr_count:     46
    .sgpr_spill_count: 0
    .symbol:         _ZL20rocblas_gemvn_kernelILi64ELi4El16rocblas_bfloat16fS0_EviiT3_lPKT2_lT1_lS4_lS5_lS1_lPT4_lS5_li.kd
    .uniform_work_group_size: 1
    .uses_dynamic_stack: false
    .vgpr_count:     51
    .vgpr_spill_count: 0
    .wavefront_size: 32
    .workgroup_processor_mode: 1
  - .args:
      - .offset:         0
        .size:           4
        .value_kind:     by_value
      - .offset:         4
        .size:           4
        .value_kind:     by_value
      - .address_space:  global
        .offset:         8
        .size:           8
        .value_kind:     global_buffer
      - .offset:         16
        .size:           8
        .value_kind:     by_value
      - .address_space:  global
        .offset:         24
        .size:           8
        .value_kind:     global_buffer
      - .offset:         32
        .size:           8
        .value_kind:     by_value
      - .offset:         40
        .size:           4
        .value_kind:     by_value
      - .offset:         48
        .size:           8
        .value_kind:     by_value
      - .address_space:  global
        .offset:         56
        .size:           8
        .value_kind:     global_buffer
      - .offset:         64
        .size:           8
        .value_kind:     by_value
      - .offset:         72
        .size:           4
        .value_kind:     by_value
      - .offset:         80
        .size:           8
        .value_kind:     by_value
      - .address_space:  global
        .offset:         88
        .size:           8
        .value_kind:     global_buffer
      - .offset:         96
        .size:           8
        .value_kind:     by_value
      - .address_space:  global
        .offset:         104
        .size:           8
        .value_kind:     global_buffer
      - .offset:         112
        .size:           8
        .value_kind:     by_value
      - .offset:         120
        .size:           4
        .value_kind:     by_value
      - .offset:         128
        .size:           8
        .value_kind:     by_value
      - .offset:         136
        .size:           4
        .value_kind:     by_value
      - .offset:         144
        .size:           4
        .value_kind:     hidden_block_count_x
      - .offset:         148
        .size:           4
        .value_kind:     hidden_block_count_y
      - .offset:         152
        .size:           4
        .value_kind:     hidden_block_count_z
      - .offset:         156
        .size:           2
        .value_kind:     hidden_group_size_x
      - .offset:         158
        .size:           2
        .value_kind:     hidden_group_size_y
      - .offset:         160
        .size:           2
        .value_kind:     hidden_group_size_z
      - .offset:         162
        .size:           2
        .value_kind:     hidden_remainder_x
      - .offset:         164
        .size:           2
        .value_kind:     hidden_remainder_y
      - .offset:         166
        .size:           2
        .value_kind:     hidden_remainder_z
      - .offset:         184
        .size:           8
        .value_kind:     hidden_global_offset_x
      - .offset:         192
        .size:           8
        .value_kind:     hidden_global_offset_y
      - .offset:         200
        .size:           8
        .value_kind:     hidden_global_offset_z
      - .offset:         208
        .size:           2
        .value_kind:     hidden_grid_dims
    .group_segment_fixed_size: 8192
    .kernarg_segment_align: 8
    .kernarg_segment_size: 400
    .language:       OpenCL C
    .language_version:
      - 2
      - 0
    .max_flat_workgroup_size: 512
    .name:           _ZL20rocblas_gemvn_kernelILi32ELi16Ei16rocblas_bfloat16PKfS0_EviiT3_lPKT2_lT1_lS6_lS7_lS3_lPT4_lS7_li
    .private_segment_fixed_size: 0
    .sgpr_count:     30
    .sgpr_spill_count: 0
    .symbol:         _ZL20rocblas_gemvn_kernelILi32ELi16Ei16rocblas_bfloat16PKfS0_EviiT3_lPKT2_lT1_lS6_lS7_lS3_lPT4_lS7_li.kd
    .uniform_work_group_size: 1
    .uses_dynamic_stack: false
    .vgpr_count:     41
    .vgpr_spill_count: 0
    .wavefront_size: 32
    .workgroup_processor_mode: 1
  - .args:
      - .offset:         0
        .size:           4
        .value_kind:     by_value
      - .offset:         4
        .size:           4
        .value_kind:     by_value
      - .address_space:  global
        .offset:         8
        .size:           8
        .value_kind:     global_buffer
      - .offset:         16
        .size:           8
        .value_kind:     by_value
      - .address_space:  global
        .offset:         24
        .size:           8
        .value_kind:     global_buffer
      - .offset:         32
        .size:           8
        .value_kind:     by_value
      - .offset:         40
        .size:           8
        .value_kind:     by_value
      - .offset:         48
        .size:           8
        .value_kind:     by_value
      - .address_space:  global
        .offset:         56
        .size:           8
        .value_kind:     global_buffer
      - .offset:         64
        .size:           8
        .value_kind:     by_value
      - .offset:         72
        .size:           8
        .value_kind:     by_value
      - .offset:         80
        .size:           8
        .value_kind:     by_value
      - .address_space:  global
        .offset:         88
        .size:           8
        .value_kind:     global_buffer
      - .offset:         96
        .size:           8
        .value_kind:     by_value
      - .address_space:  global
        .offset:         104
        .size:           8
        .value_kind:     global_buffer
      - .offset:         112
        .size:           8
        .value_kind:     by_value
      - .offset:         120
        .size:           8
        .value_kind:     by_value
      - .offset:         128
        .size:           8
        .value_kind:     by_value
      - .offset:         136
        .size:           4
        .value_kind:     by_value
      - .offset:         144
        .size:           4
        .value_kind:     hidden_block_count_x
      - .offset:         148
        .size:           4
        .value_kind:     hidden_block_count_y
      - .offset:         152
        .size:           4
        .value_kind:     hidden_block_count_z
      - .offset:         156
        .size:           2
        .value_kind:     hidden_group_size_x
      - .offset:         158
        .size:           2
        .value_kind:     hidden_group_size_y
      - .offset:         160
        .size:           2
        .value_kind:     hidden_group_size_z
      - .offset:         162
        .size:           2
        .value_kind:     hidden_remainder_x
      - .offset:         164
        .size:           2
        .value_kind:     hidden_remainder_y
      - .offset:         166
        .size:           2
        .value_kind:     hidden_remainder_z
      - .offset:         184
        .size:           8
        .value_kind:     hidden_global_offset_x
      - .offset:         192
        .size:           8
        .value_kind:     hidden_global_offset_y
      - .offset:         200
        .size:           8
        .value_kind:     hidden_global_offset_z
      - .offset:         208
        .size:           2
        .value_kind:     hidden_grid_dims
    .group_segment_fixed_size: 8192
    .kernarg_segment_align: 8
    .kernarg_segment_size: 400
    .language:       OpenCL C
    .language_version:
      - 2
      - 0
    .max_flat_workgroup_size: 512
    .name:           _ZL20rocblas_gemvn_kernelILi32ELi16El16rocblas_bfloat16PKfS0_EviiT3_lPKT2_lT1_lS6_lS7_lS3_lPT4_lS7_li
    .private_segment_fixed_size: 0
    .sgpr_count:     54
    .sgpr_spill_count: 0
    .symbol:         _ZL20rocblas_gemvn_kernelILi32ELi16El16rocblas_bfloat16PKfS0_EviiT3_lPKT2_lT1_lS6_lS7_lS3_lPT4_lS7_li.kd
    .uniform_work_group_size: 1
    .uses_dynamic_stack: false
    .vgpr_count:     51
    .vgpr_spill_count: 0
    .wavefront_size: 32
    .workgroup_processor_mode: 1
  - .args:
      - .offset:         0
        .size:           4
        .value_kind:     by_value
      - .offset:         4
        .size:           4
        .value_kind:     by_value
      - .offset:         8
        .size:           4
        .value_kind:     by_value
      - .offset:         16
        .size:           8
        .value_kind:     by_value
      - .address_space:  global
        .offset:         24
        .size:           8
        .value_kind:     global_buffer
      - .offset:         32
        .size:           8
        .value_kind:     by_value
      - .offset:         40
        .size:           4
        .value_kind:     by_value
      - .offset:         48
        .size:           8
        .value_kind:     by_value
      - .address_space:  global
        .offset:         56
        .size:           8
        .value_kind:     global_buffer
      - .offset:         64
        .size:           8
        .value_kind:     by_value
      - .offset:         72
        .size:           4
        .value_kind:     by_value
      - .offset:         80
        .size:           8
        .value_kind:     by_value
      - .offset:         88
        .size:           4
        .value_kind:     by_value
      - .offset:         96
        .size:           8
        .value_kind:     by_value
      - .address_space:  global
        .offset:         104
        .size:           8
        .value_kind:     global_buffer
      - .offset:         112
        .size:           8
        .value_kind:     by_value
      - .offset:         120
        .size:           4
        .value_kind:     by_value
      - .offset:         128
        .size:           8
        .value_kind:     by_value
      - .offset:         136
        .size:           4
        .value_kind:     by_value
      - .offset:         144
        .size:           4
        .value_kind:     hidden_block_count_x
      - .offset:         148
        .size:           4
        .value_kind:     hidden_block_count_y
      - .offset:         152
        .size:           4
        .value_kind:     hidden_block_count_z
      - .offset:         156
        .size:           2
        .value_kind:     hidden_group_size_x
      - .offset:         158
        .size:           2
        .value_kind:     hidden_group_size_y
      - .offset:         160
        .size:           2
        .value_kind:     hidden_group_size_z
      - .offset:         162
        .size:           2
        .value_kind:     hidden_remainder_x
      - .offset:         164
        .size:           2
        .value_kind:     hidden_remainder_y
      - .offset:         166
        .size:           2
        .value_kind:     hidden_remainder_z
      - .offset:         184
        .size:           8
        .value_kind:     hidden_global_offset_x
      - .offset:         192
        .size:           8
        .value_kind:     hidden_global_offset_y
      - .offset:         200
        .size:           8
        .value_kind:     hidden_global_offset_z
      - .offset:         208
        .size:           2
        .value_kind:     hidden_grid_dims
    .group_segment_fixed_size: 8192
    .kernarg_segment_align: 8
    .kernarg_segment_size: 400
    .language:       OpenCL C
    .language_version:
      - 2
      - 0
    .max_flat_workgroup_size: 512
    .name:           _ZL20rocblas_gemvn_kernelILi32ELi16Ei16rocblas_bfloat16fS0_EviiT3_lPKT2_lT1_lS4_lS5_lS1_lPT4_lS5_li
    .private_segment_fixed_size: 0
    .sgpr_count:     30
    .sgpr_spill_count: 0
    .symbol:         _ZL20rocblas_gemvn_kernelILi32ELi16Ei16rocblas_bfloat16fS0_EviiT3_lPKT2_lT1_lS4_lS5_lS1_lPT4_lS5_li.kd
    .uniform_work_group_size: 1
    .uses_dynamic_stack: false
    .vgpr_count:     41
    .vgpr_spill_count: 0
    .wavefront_size: 32
    .workgroup_processor_mode: 1
  - .args:
      - .offset:         0
        .size:           4
        .value_kind:     by_value
      - .offset:         4
        .size:           4
        .value_kind:     by_value
      - .offset:         8
        .size:           4
        .value_kind:     by_value
      - .offset:         16
        .size:           8
        .value_kind:     by_value
      - .address_space:  global
        .offset:         24
        .size:           8
        .value_kind:     global_buffer
      - .offset:         32
        .size:           8
        .value_kind:     by_value
      - .offset:         40
        .size:           8
        .value_kind:     by_value
      - .offset:         48
        .size:           8
        .value_kind:     by_value
      - .address_space:  global
        .offset:         56
        .size:           8
        .value_kind:     global_buffer
      - .offset:         64
        .size:           8
        .value_kind:     by_value
      - .offset:         72
        .size:           8
        .value_kind:     by_value
      - .offset:         80
        .size:           8
        .value_kind:     by_value
      - .offset:         88
        .size:           4
        .value_kind:     by_value
      - .offset:         96
        .size:           8
        .value_kind:     by_value
      - .address_space:  global
        .offset:         104
        .size:           8
        .value_kind:     global_buffer
      - .offset:         112
        .size:           8
        .value_kind:     by_value
      - .offset:         120
        .size:           8
        .value_kind:     by_value
      - .offset:         128
        .size:           8
        .value_kind:     by_value
      - .offset:         136
        .size:           4
        .value_kind:     by_value
      - .offset:         144
        .size:           4
        .value_kind:     hidden_block_count_x
      - .offset:         148
        .size:           4
        .value_kind:     hidden_block_count_y
      - .offset:         152
        .size:           4
        .value_kind:     hidden_block_count_z
      - .offset:         156
        .size:           2
        .value_kind:     hidden_group_size_x
      - .offset:         158
        .size:           2
        .value_kind:     hidden_group_size_y
      - .offset:         160
        .size:           2
        .value_kind:     hidden_group_size_z
      - .offset:         162
        .size:           2
        .value_kind:     hidden_remainder_x
      - .offset:         164
        .size:           2
        .value_kind:     hidden_remainder_y
      - .offset:         166
        .size:           2
        .value_kind:     hidden_remainder_z
      - .offset:         184
        .size:           8
        .value_kind:     hidden_global_offset_x
      - .offset:         192
        .size:           8
        .value_kind:     hidden_global_offset_y
      - .offset:         200
        .size:           8
        .value_kind:     hidden_global_offset_z
      - .offset:         208
        .size:           2
        .value_kind:     hidden_grid_dims
    .group_segment_fixed_size: 8192
    .kernarg_segment_align: 8
    .kernarg_segment_size: 400
    .language:       OpenCL C
    .language_version:
      - 2
      - 0
    .max_flat_workgroup_size: 512
    .name:           _ZL20rocblas_gemvn_kernelILi32ELi16El16rocblas_bfloat16fS0_EviiT3_lPKT2_lT1_lS4_lS5_lS1_lPT4_lS5_li
    .private_segment_fixed_size: 0
    .sgpr_count:     46
    .sgpr_spill_count: 0
    .symbol:         _ZL20rocblas_gemvn_kernelILi32ELi16El16rocblas_bfloat16fS0_EviiT3_lPKT2_lT1_lS4_lS5_lS1_lPT4_lS5_li.kd
    .uniform_work_group_size: 1
    .uses_dynamic_stack: false
    .vgpr_count:     51
    .vgpr_spill_count: 0
    .wavefront_size: 32
    .workgroup_processor_mode: 1
  - .args:
      - .offset:         0
        .size:           4
        .value_kind:     by_value
      - .offset:         4
        .size:           4
        .value_kind:     by_value
      - .address_space:  global
        .offset:         8
        .size:           8
        .value_kind:     global_buffer
      - .offset:         16
        .size:           8
        .value_kind:     by_value
      - .address_space:  global
        .offset:         24
        .size:           8
        .value_kind:     global_buffer
      - .offset:         32
        .size:           8
        .value_kind:     by_value
      - .offset:         40
        .size:           4
        .value_kind:     by_value
      - .offset:         48
        .size:           8
        .value_kind:     by_value
      - .address_space:  global
        .offset:         56
        .size:           8
        .value_kind:     global_buffer
      - .offset:         64
        .size:           8
        .value_kind:     by_value
      - .offset:         72
        .size:           4
        .value_kind:     by_value
      - .offset:         80
        .size:           8
        .value_kind:     by_value
      - .address_space:  global
        .offset:         88
        .size:           8
        .value_kind:     global_buffer
      - .offset:         96
        .size:           8
        .value_kind:     by_value
      - .address_space:  global
        .offset:         104
        .size:           8
        .value_kind:     global_buffer
      - .offset:         112
        .size:           8
        .value_kind:     by_value
      - .offset:         120
        .size:           4
        .value_kind:     by_value
      - .offset:         128
        .size:           8
        .value_kind:     by_value
      - .offset:         136
        .size:           4
        .value_kind:     by_value
      - .offset:         144
        .size:           4
        .value_kind:     hidden_block_count_x
      - .offset:         148
        .size:           4
        .value_kind:     hidden_block_count_y
      - .offset:         152
        .size:           4
        .value_kind:     hidden_block_count_z
      - .offset:         156
        .size:           2
        .value_kind:     hidden_group_size_x
      - .offset:         158
        .size:           2
        .value_kind:     hidden_group_size_y
      - .offset:         160
        .size:           2
        .value_kind:     hidden_group_size_z
      - .offset:         162
        .size:           2
        .value_kind:     hidden_remainder_x
      - .offset:         164
        .size:           2
        .value_kind:     hidden_remainder_y
      - .offset:         166
        .size:           2
        .value_kind:     hidden_remainder_z
      - .offset:         184
        .size:           8
        .value_kind:     hidden_global_offset_x
      - .offset:         192
        .size:           8
        .value_kind:     hidden_global_offset_y
      - .offset:         200
        .size:           8
        .value_kind:     hidden_global_offset_z
      - .offset:         208
        .size:           2
        .value_kind:     hidden_grid_dims
    .group_segment_fixed_size: 16384
    .kernarg_segment_align: 8
    .kernarg_segment_size: 400
    .language:       OpenCL C
    .language_version:
      - 2
      - 0
    .max_flat_workgroup_size: 1024
    .name:           _ZL20rocblas_gemvn_kernelILi64ELi16Ei16rocblas_bfloat16PKfS0_EviiT3_lPKT2_lT1_lS6_lS7_lS3_lPT4_lS7_li
    .private_segment_fixed_size: 0
    .sgpr_count:     30
    .sgpr_spill_count: 0
    .symbol:         _ZL20rocblas_gemvn_kernelILi64ELi16Ei16rocblas_bfloat16PKfS0_EviiT3_lPKT2_lT1_lS6_lS7_lS3_lPT4_lS7_li.kd
    .uniform_work_group_size: 1
    .uses_dynamic_stack: false
    .vgpr_count:     41
    .vgpr_spill_count: 0
    .wavefront_size: 32
    .workgroup_processor_mode: 1
  - .args:
      - .offset:         0
        .size:           4
        .value_kind:     by_value
      - .offset:         4
        .size:           4
        .value_kind:     by_value
      - .address_space:  global
        .offset:         8
        .size:           8
        .value_kind:     global_buffer
      - .offset:         16
        .size:           8
        .value_kind:     by_value
      - .address_space:  global
        .offset:         24
        .size:           8
        .value_kind:     global_buffer
      - .offset:         32
        .size:           8
        .value_kind:     by_value
      - .offset:         40
        .size:           8
        .value_kind:     by_value
      - .offset:         48
        .size:           8
        .value_kind:     by_value
      - .address_space:  global
        .offset:         56
        .size:           8
        .value_kind:     global_buffer
      - .offset:         64
        .size:           8
        .value_kind:     by_value
      - .offset:         72
        .size:           8
        .value_kind:     by_value
      - .offset:         80
        .size:           8
        .value_kind:     by_value
      - .address_space:  global
        .offset:         88
        .size:           8
        .value_kind:     global_buffer
      - .offset:         96
        .size:           8
        .value_kind:     by_value
      - .address_space:  global
        .offset:         104
        .size:           8
        .value_kind:     global_buffer
      - .offset:         112
        .size:           8
        .value_kind:     by_value
      - .offset:         120
        .size:           8
        .value_kind:     by_value
      - .offset:         128
        .size:           8
        .value_kind:     by_value
      - .offset:         136
        .size:           4
        .value_kind:     by_value
      - .offset:         144
        .size:           4
        .value_kind:     hidden_block_count_x
      - .offset:         148
        .size:           4
        .value_kind:     hidden_block_count_y
      - .offset:         152
        .size:           4
        .value_kind:     hidden_block_count_z
      - .offset:         156
        .size:           2
        .value_kind:     hidden_group_size_x
      - .offset:         158
        .size:           2
        .value_kind:     hidden_group_size_y
      - .offset:         160
        .size:           2
        .value_kind:     hidden_group_size_z
      - .offset:         162
        .size:           2
        .value_kind:     hidden_remainder_x
      - .offset:         164
        .size:           2
        .value_kind:     hidden_remainder_y
      - .offset:         166
        .size:           2
        .value_kind:     hidden_remainder_z
      - .offset:         184
        .size:           8
        .value_kind:     hidden_global_offset_x
      - .offset:         192
        .size:           8
        .value_kind:     hidden_global_offset_y
      - .offset:         200
        .size:           8
        .value_kind:     hidden_global_offset_z
      - .offset:         208
        .size:           2
        .value_kind:     hidden_grid_dims
    .group_segment_fixed_size: 16384
    .kernarg_segment_align: 8
    .kernarg_segment_size: 400
    .language:       OpenCL C
    .language_version:
      - 2
      - 0
    .max_flat_workgroup_size: 1024
    .name:           _ZL20rocblas_gemvn_kernelILi64ELi16El16rocblas_bfloat16PKfS0_EviiT3_lPKT2_lT1_lS6_lS7_lS3_lPT4_lS7_li
    .private_segment_fixed_size: 0
    .sgpr_count:     54
    .sgpr_spill_count: 0
    .symbol:         _ZL20rocblas_gemvn_kernelILi64ELi16El16rocblas_bfloat16PKfS0_EviiT3_lPKT2_lT1_lS6_lS7_lS3_lPT4_lS7_li.kd
    .uniform_work_group_size: 1
    .uses_dynamic_stack: false
    .vgpr_count:     51
    .vgpr_spill_count: 0
    .wavefront_size: 32
    .workgroup_processor_mode: 1
  - .args:
      - .offset:         0
        .size:           4
        .value_kind:     by_value
      - .offset:         4
        .size:           4
        .value_kind:     by_value
      - .offset:         8
        .size:           4
        .value_kind:     by_value
      - .offset:         16
        .size:           8
        .value_kind:     by_value
      - .address_space:  global
        .offset:         24
        .size:           8
        .value_kind:     global_buffer
      - .offset:         32
        .size:           8
        .value_kind:     by_value
      - .offset:         40
        .size:           4
        .value_kind:     by_value
      - .offset:         48
        .size:           8
        .value_kind:     by_value
      - .address_space:  global
        .offset:         56
        .size:           8
        .value_kind:     global_buffer
      - .offset:         64
        .size:           8
        .value_kind:     by_value
      - .offset:         72
        .size:           4
        .value_kind:     by_value
      - .offset:         80
        .size:           8
        .value_kind:     by_value
      - .offset:         88
        .size:           4
        .value_kind:     by_value
      - .offset:         96
        .size:           8
        .value_kind:     by_value
      - .address_space:  global
        .offset:         104
        .size:           8
        .value_kind:     global_buffer
      - .offset:         112
        .size:           8
        .value_kind:     by_value
      - .offset:         120
        .size:           4
        .value_kind:     by_value
      - .offset:         128
        .size:           8
        .value_kind:     by_value
      - .offset:         136
        .size:           4
        .value_kind:     by_value
      - .offset:         144
        .size:           4
        .value_kind:     hidden_block_count_x
      - .offset:         148
        .size:           4
        .value_kind:     hidden_block_count_y
      - .offset:         152
        .size:           4
        .value_kind:     hidden_block_count_z
      - .offset:         156
        .size:           2
        .value_kind:     hidden_group_size_x
      - .offset:         158
        .size:           2
        .value_kind:     hidden_group_size_y
      - .offset:         160
        .size:           2
        .value_kind:     hidden_group_size_z
      - .offset:         162
        .size:           2
        .value_kind:     hidden_remainder_x
      - .offset:         164
        .size:           2
        .value_kind:     hidden_remainder_y
      - .offset:         166
        .size:           2
        .value_kind:     hidden_remainder_z
      - .offset:         184
        .size:           8
        .value_kind:     hidden_global_offset_x
      - .offset:         192
        .size:           8
        .value_kind:     hidden_global_offset_y
      - .offset:         200
        .size:           8
        .value_kind:     hidden_global_offset_z
      - .offset:         208
        .size:           2
        .value_kind:     hidden_grid_dims
    .group_segment_fixed_size: 16384
    .kernarg_segment_align: 8
    .kernarg_segment_size: 400
    .language:       OpenCL C
    .language_version:
      - 2
      - 0
    .max_flat_workgroup_size: 1024
    .name:           _ZL20rocblas_gemvn_kernelILi64ELi16Ei16rocblas_bfloat16fS0_EviiT3_lPKT2_lT1_lS4_lS5_lS1_lPT4_lS5_li
    .private_segment_fixed_size: 0
    .sgpr_count:     30
    .sgpr_spill_count: 0
    .symbol:         _ZL20rocblas_gemvn_kernelILi64ELi16Ei16rocblas_bfloat16fS0_EviiT3_lPKT2_lT1_lS4_lS5_lS1_lPT4_lS5_li.kd
    .uniform_work_group_size: 1
    .uses_dynamic_stack: false
    .vgpr_count:     41
    .vgpr_spill_count: 0
    .wavefront_size: 32
    .workgroup_processor_mode: 1
  - .args:
      - .offset:         0
        .size:           4
        .value_kind:     by_value
      - .offset:         4
        .size:           4
        .value_kind:     by_value
      - .offset:         8
        .size:           4
        .value_kind:     by_value
      - .offset:         16
        .size:           8
        .value_kind:     by_value
      - .address_space:  global
        .offset:         24
        .size:           8
        .value_kind:     global_buffer
      - .offset:         32
        .size:           8
        .value_kind:     by_value
      - .offset:         40
        .size:           8
        .value_kind:     by_value
      - .offset:         48
        .size:           8
        .value_kind:     by_value
      - .address_space:  global
        .offset:         56
        .size:           8
        .value_kind:     global_buffer
      - .offset:         64
        .size:           8
        .value_kind:     by_value
      - .offset:         72
        .size:           8
        .value_kind:     by_value
      - .offset:         80
        .size:           8
        .value_kind:     by_value
      - .offset:         88
        .size:           4
        .value_kind:     by_value
      - .offset:         96
        .size:           8
        .value_kind:     by_value
      - .address_space:  global
        .offset:         104
        .size:           8
        .value_kind:     global_buffer
      - .offset:         112
        .size:           8
        .value_kind:     by_value
      - .offset:         120
        .size:           8
        .value_kind:     by_value
      - .offset:         128
        .size:           8
        .value_kind:     by_value
      - .offset:         136
        .size:           4
        .value_kind:     by_value
      - .offset:         144
        .size:           4
        .value_kind:     hidden_block_count_x
      - .offset:         148
        .size:           4
        .value_kind:     hidden_block_count_y
      - .offset:         152
        .size:           4
        .value_kind:     hidden_block_count_z
      - .offset:         156
        .size:           2
        .value_kind:     hidden_group_size_x
      - .offset:         158
        .size:           2
        .value_kind:     hidden_group_size_y
      - .offset:         160
        .size:           2
        .value_kind:     hidden_group_size_z
      - .offset:         162
        .size:           2
        .value_kind:     hidden_remainder_x
      - .offset:         164
        .size:           2
        .value_kind:     hidden_remainder_y
      - .offset:         166
        .size:           2
        .value_kind:     hidden_remainder_z
      - .offset:         184
        .size:           8
        .value_kind:     hidden_global_offset_x
      - .offset:         192
        .size:           8
        .value_kind:     hidden_global_offset_y
      - .offset:         200
        .size:           8
        .value_kind:     hidden_global_offset_z
      - .offset:         208
        .size:           2
        .value_kind:     hidden_grid_dims
    .group_segment_fixed_size: 16384
    .kernarg_segment_align: 8
    .kernarg_segment_size: 400
    .language:       OpenCL C
    .language_version:
      - 2
      - 0
    .max_flat_workgroup_size: 1024
    .name:           _ZL20rocblas_gemvn_kernelILi64ELi16El16rocblas_bfloat16fS0_EviiT3_lPKT2_lT1_lS4_lS5_lS1_lPT4_lS5_li
    .private_segment_fixed_size: 0
    .sgpr_count:     46
    .sgpr_spill_count: 0
    .symbol:         _ZL20rocblas_gemvn_kernelILi64ELi16El16rocblas_bfloat16fS0_EviiT3_lPKT2_lT1_lS4_lS5_lS1_lPT4_lS5_li.kd
    .uniform_work_group_size: 1
    .uses_dynamic_stack: false
    .vgpr_count:     51
    .vgpr_spill_count: 0
    .wavefront_size: 32
    .workgroup_processor_mode: 1
  - .args:
      - .offset:         0
        .size:           4
        .value_kind:     by_value
      - .offset:         4
        .size:           4
        .value_kind:     by_value
      - .address_space:  global
        .offset:         8
        .size:           8
        .value_kind:     global_buffer
      - .offset:         16
        .size:           8
        .value_kind:     by_value
      - .address_space:  global
        .offset:         24
        .size:           8
        .value_kind:     global_buffer
      - .offset:         32
        .size:           8
        .value_kind:     by_value
      - .offset:         40
        .size:           4
        .value_kind:     by_value
      - .offset:         48
        .size:           8
        .value_kind:     by_value
      - .address_space:  global
        .offset:         56
        .size:           8
        .value_kind:     global_buffer
      - .offset:         64
        .size:           8
        .value_kind:     by_value
      - .offset:         72
        .size:           4
        .value_kind:     by_value
      - .offset:         80
        .size:           8
        .value_kind:     by_value
      - .address_space:  global
        .offset:         88
        .size:           8
        .value_kind:     global_buffer
      - .offset:         96
        .size:           8
        .value_kind:     by_value
      - .address_space:  global
        .offset:         104
        .size:           8
        .value_kind:     global_buffer
      - .offset:         112
        .size:           8
        .value_kind:     by_value
      - .offset:         120
        .size:           4
        .value_kind:     by_value
      - .offset:         128
        .size:           8
        .value_kind:     by_value
    .group_segment_fixed_size: 256
    .kernarg_segment_align: 8
    .kernarg_segment_size: 136
    .language:       OpenCL C
    .language_version:
      - 2
      - 0
    .max_flat_workgroup_size: 256
    .name:           _ZL22rocblas_gemvtsm_kernelILb0ELi256E16rocblas_bfloat16PKfS0_EviiT2_lPKT1_lilS6_lilS3_lPT3_lil
    .private_segment_fixed_size: 0
    .sgpr_count:     31
    .sgpr_spill_count: 0
    .symbol:         _ZL22rocblas_gemvtsm_kernelILb0ELi256E16rocblas_bfloat16PKfS0_EviiT2_lPKT1_lilS6_lilS3_lPT3_lil.kd
    .uniform_work_group_size: 1
    .uses_dynamic_stack: false
    .vgpr_count:     16
    .vgpr_spill_count: 0
    .wavefront_size: 32
    .workgroup_processor_mode: 1
  - .args:
      - .offset:         0
        .size:           4
        .value_kind:     by_value
      - .offset:         4
        .size:           4
        .value_kind:     by_value
      - .offset:         8
        .size:           4
        .value_kind:     by_value
      - .offset:         16
        .size:           8
        .value_kind:     by_value
      - .address_space:  global
        .offset:         24
        .size:           8
        .value_kind:     global_buffer
      - .offset:         32
        .size:           8
        .value_kind:     by_value
      - .offset:         40
        .size:           4
        .value_kind:     by_value
      - .offset:         48
        .size:           8
        .value_kind:     by_value
      - .address_space:  global
        .offset:         56
        .size:           8
        .value_kind:     global_buffer
      - .offset:         64
        .size:           8
        .value_kind:     by_value
      - .offset:         72
        .size:           4
        .value_kind:     by_value
      - .offset:         80
        .size:           8
        .value_kind:     by_value
      - .offset:         88
        .size:           4
        .value_kind:     by_value
      - .offset:         96
        .size:           8
        .value_kind:     by_value
      - .address_space:  global
        .offset:         104
        .size:           8
        .value_kind:     global_buffer
      - .offset:         112
        .size:           8
        .value_kind:     by_value
      - .offset:         120
        .size:           4
        .value_kind:     by_value
      - .offset:         128
        .size:           8
        .value_kind:     by_value
    .group_segment_fixed_size: 256
    .kernarg_segment_align: 8
    .kernarg_segment_size: 136
    .language:       OpenCL C
    .language_version:
      - 2
      - 0
    .max_flat_workgroup_size: 256
    .name:           _ZL22rocblas_gemvtsm_kernelILb0ELi256E16rocblas_bfloat16fS0_EviiT2_lPKT1_lilS4_lilS1_lPT3_lil
    .private_segment_fixed_size: 0
    .sgpr_count:     27
    .sgpr_spill_count: 0
    .symbol:         _ZL22rocblas_gemvtsm_kernelILb0ELi256E16rocblas_bfloat16fS0_EviiT2_lPKT1_lilS4_lilS1_lPT3_lil.kd
    .uniform_work_group_size: 1
    .uses_dynamic_stack: false
    .vgpr_count:     16
    .vgpr_spill_count: 0
    .wavefront_size: 32
    .workgroup_processor_mode: 1
  - .args:
      - .offset:         0
        .size:           4
        .value_kind:     by_value
      - .offset:         4
        .size:           4
        .value_kind:     by_value
      - .address_space:  global
        .offset:         8
        .size:           8
        .value_kind:     global_buffer
      - .offset:         16
        .size:           8
        .value_kind:     by_value
      - .address_space:  global
        .offset:         24
        .size:           8
        .value_kind:     global_buffer
      - .offset:         32
        .size:           8
        .value_kind:     by_value
      - .offset:         40
        .size:           4
        .value_kind:     by_value
      - .offset:         48
        .size:           8
        .value_kind:     by_value
      - .address_space:  global
        .offset:         56
        .size:           8
        .value_kind:     global_buffer
      - .offset:         64
        .size:           8
        .value_kind:     by_value
      - .offset:         72
        .size:           4
        .value_kind:     by_value
      - .offset:         80
        .size:           8
        .value_kind:     by_value
      - .address_space:  global
        .offset:         88
        .size:           8
        .value_kind:     global_buffer
      - .offset:         96
        .size:           4
        .value_kind:     by_value
      - .offset:         104
        .size:           4
        .value_kind:     hidden_block_count_x
      - .offset:         108
        .size:           4
        .value_kind:     hidden_block_count_y
      - .offset:         112
        .size:           4
        .value_kind:     hidden_block_count_z
      - .offset:         116
        .size:           2
        .value_kind:     hidden_group_size_x
      - .offset:         118
        .size:           2
        .value_kind:     hidden_group_size_y
      - .offset:         120
        .size:           2
        .value_kind:     hidden_group_size_z
      - .offset:         122
        .size:           2
        .value_kind:     hidden_remainder_x
      - .offset:         124
        .size:           2
        .value_kind:     hidden_remainder_y
      - .offset:         126
        .size:           2
        .value_kind:     hidden_remainder_z
      - .offset:         144
        .size:           8
        .value_kind:     hidden_global_offset_x
      - .offset:         152
        .size:           8
        .value_kind:     hidden_global_offset_y
      - .offset:         160
        .size:           8
        .value_kind:     hidden_global_offset_z
      - .offset:         168
        .size:           2
        .value_kind:     hidden_grid_dims
    .group_segment_fixed_size: 128
    .kernarg_segment_align: 8
    .kernarg_segment_size: 360
    .language:       OpenCL C
    .language_version:
      - 2
      - 0
    .max_flat_workgroup_size: 256
    .name:           _ZL23rocblas_gemvt_sn_kernelILb0ELi256ELi4Ei16rocblas_bfloat16PKffEviiT4_lPKT3_lilS6_lilPT5_i
    .private_segment_fixed_size: 0
    .sgpr_count:     50
    .sgpr_spill_count: 0
    .symbol:         _ZL23rocblas_gemvt_sn_kernelILb0ELi256ELi4Ei16rocblas_bfloat16PKffEviiT4_lPKT3_lilS6_lilPT5_i.kd
    .uniform_work_group_size: 1
    .uses_dynamic_stack: false
    .vgpr_count:     51
    .vgpr_spill_count: 0
    .wavefront_size: 32
    .workgroup_processor_mode: 1
  - .args:
      - .offset:         0
        .size:           4
        .value_kind:     by_value
      - .offset:         4
        .size:           4
        .value_kind:     by_value
      - .address_space:  global
        .offset:         8
        .size:           8
        .value_kind:     global_buffer
      - .offset:         16
        .size:           8
        .value_kind:     by_value
      - .address_space:  global
        .offset:         24
        .size:           8
        .value_kind:     global_buffer
      - .offset:         32
        .size:           8
        .value_kind:     by_value
      - .offset:         40
        .size:           4
        .value_kind:     by_value
      - .offset:         48
        .size:           8
        .value_kind:     by_value
      - .address_space:  global
        .offset:         56
        .size:           8
        .value_kind:     global_buffer
      - .offset:         64
        .size:           8
        .value_kind:     by_value
      - .offset:         72
        .size:           4
        .value_kind:     by_value
      - .offset:         80
        .size:           8
        .value_kind:     by_value
      - .address_space:  global
        .offset:         88
        .size:           8
        .value_kind:     global_buffer
      - .offset:         96
        .size:           4
        .value_kind:     by_value
      - .offset:         104
        .size:           4
        .value_kind:     hidden_block_count_x
      - .offset:         108
        .size:           4
        .value_kind:     hidden_block_count_y
      - .offset:         112
        .size:           4
        .value_kind:     hidden_block_count_z
      - .offset:         116
        .size:           2
        .value_kind:     hidden_group_size_x
      - .offset:         118
        .size:           2
        .value_kind:     hidden_group_size_y
      - .offset:         120
        .size:           2
        .value_kind:     hidden_group_size_z
      - .offset:         122
        .size:           2
        .value_kind:     hidden_remainder_x
      - .offset:         124
        .size:           2
        .value_kind:     hidden_remainder_y
      - .offset:         126
        .size:           2
        .value_kind:     hidden_remainder_z
      - .offset:         144
        .size:           8
        .value_kind:     hidden_global_offset_x
      - .offset:         152
        .size:           8
        .value_kind:     hidden_global_offset_y
      - .offset:         160
        .size:           8
        .value_kind:     hidden_global_offset_z
      - .offset:         168
        .size:           2
        .value_kind:     hidden_grid_dims
    .group_segment_fixed_size: 128
    .kernarg_segment_align: 8
    .kernarg_segment_size: 360
    .language:       OpenCL C
    .language_version:
      - 2
      - 0
    .max_flat_workgroup_size: 256
    .name:           _ZL23rocblas_gemvt_sn_kernelILb0ELi256ELi4El16rocblas_bfloat16PKffEviiT4_lPKT3_lilS6_lilPT5_i
    .private_segment_fixed_size: 0
    .sgpr_count:     58
    .sgpr_spill_count: 0
    .symbol:         _ZL23rocblas_gemvt_sn_kernelILb0ELi256ELi4El16rocblas_bfloat16PKffEviiT4_lPKT3_lilS6_lilPT5_i.kd
    .uniform_work_group_size: 1
    .uses_dynamic_stack: false
    .vgpr_count:     56
    .vgpr_spill_count: 0
    .wavefront_size: 32
    .workgroup_processor_mode: 1
  - .args:
      - .offset:         0
        .size:           4
        .value_kind:     by_value
      - .address_space:  global
        .offset:         8
        .size:           8
        .value_kind:     global_buffer
      - .offset:         16
        .size:           8
        .value_kind:     by_value
      - .address_space:  global
        .offset:         24
        .size:           8
        .value_kind:     global_buffer
      - .offset:         32
        .size:           8
        .value_kind:     by_value
      - .offset:         40
        .size:           4
        .value_kind:     by_value
      - .offset:         48
        .size:           8
        .value_kind:     by_value
      - .actual_access:  read_only
        .address_space:  global
        .offset:         56
        .size:           8
        .value_kind:     global_buffer
      - .offset:         64
        .size:           4
        .value_kind:     by_value
      - .offset:         72
        .size:           4
        .value_kind:     hidden_block_count_x
      - .offset:         76
        .size:           4
        .value_kind:     hidden_block_count_y
      - .offset:         80
        .size:           4
        .value_kind:     hidden_block_count_z
      - .offset:         84
        .size:           2
        .value_kind:     hidden_group_size_x
      - .offset:         86
        .size:           2
        .value_kind:     hidden_group_size_y
      - .offset:         88
        .size:           2
        .value_kind:     hidden_group_size_z
      - .offset:         90
        .size:           2
        .value_kind:     hidden_remainder_x
      - .offset:         92
        .size:           2
        .value_kind:     hidden_remainder_y
      - .offset:         94
        .size:           2
        .value_kind:     hidden_remainder_z
      - .offset:         112
        .size:           8
        .value_kind:     hidden_global_offset_x
      - .offset:         120
        .size:           8
        .value_kind:     hidden_global_offset_y
      - .offset:         128
        .size:           8
        .value_kind:     hidden_global_offset_z
      - .offset:         136
        .size:           2
        .value_kind:     hidden_grid_dims
    .group_segment_fixed_size: 128
    .kernarg_segment_align: 8
    .kernarg_segment_size: 328
    .language:       OpenCL C
    .language_version:
      - 2
      - 0
    .max_flat_workgroup_size: 256
    .name:           _ZL23rocblas_gemvt_sn_reduceILi256ELi8EfPKf16rocblas_bfloat16EviT2_lPT3_lilPT1_i
    .private_segment_fixed_size: 0
    .sgpr_count:     24
    .sgpr_spill_count: 0
    .symbol:         _ZL23rocblas_gemvt_sn_reduceILi256ELi8EfPKf16rocblas_bfloat16EviT2_lPT3_lilPT1_i.kd
    .uniform_work_group_size: 1
    .uses_dynamic_stack: false
    .vgpr_count:     13
    .vgpr_spill_count: 0
    .wavefront_size: 32
    .workgroup_processor_mode: 1
  - .args:
      - .offset:         0
        .size:           4
        .value_kind:     by_value
      - .offset:         4
        .size:           4
        .value_kind:     by_value
      - .offset:         8
        .size:           4
        .value_kind:     by_value
      - .offset:         16
        .size:           8
        .value_kind:     by_value
      - .address_space:  global
        .offset:         24
        .size:           8
        .value_kind:     global_buffer
      - .offset:         32
        .size:           8
        .value_kind:     by_value
      - .offset:         40
        .size:           4
        .value_kind:     by_value
      - .offset:         48
        .size:           8
        .value_kind:     by_value
      - .address_space:  global
        .offset:         56
        .size:           8
        .value_kind:     global_buffer
      - .offset:         64
        .size:           8
        .value_kind:     by_value
      - .offset:         72
        .size:           4
        .value_kind:     by_value
      - .offset:         80
        .size:           8
        .value_kind:     by_value
      - .address_space:  global
        .offset:         88
        .size:           8
        .value_kind:     global_buffer
      - .offset:         96
        .size:           4
        .value_kind:     by_value
      - .offset:         104
        .size:           4
        .value_kind:     hidden_block_count_x
      - .offset:         108
        .size:           4
        .value_kind:     hidden_block_count_y
      - .offset:         112
        .size:           4
        .value_kind:     hidden_block_count_z
      - .offset:         116
        .size:           2
        .value_kind:     hidden_group_size_x
      - .offset:         118
        .size:           2
        .value_kind:     hidden_group_size_y
      - .offset:         120
        .size:           2
        .value_kind:     hidden_group_size_z
      - .offset:         122
        .size:           2
        .value_kind:     hidden_remainder_x
      - .offset:         124
        .size:           2
        .value_kind:     hidden_remainder_y
      - .offset:         126
        .size:           2
        .value_kind:     hidden_remainder_z
      - .offset:         144
        .size:           8
        .value_kind:     hidden_global_offset_x
      - .offset:         152
        .size:           8
        .value_kind:     hidden_global_offset_y
      - .offset:         160
        .size:           8
        .value_kind:     hidden_global_offset_z
      - .offset:         168
        .size:           2
        .value_kind:     hidden_grid_dims
    .group_segment_fixed_size: 128
    .kernarg_segment_align: 8
    .kernarg_segment_size: 360
    .language:       OpenCL C
    .language_version:
      - 2
      - 0
    .max_flat_workgroup_size: 256
    .name:           _ZL23rocblas_gemvt_sn_kernelILb0ELi256ELi4Ei16rocblas_bfloat16ffEviiT4_lPKT3_lilS4_lilPT5_i
    .private_segment_fixed_size: 0
    .sgpr_count:     50
    .sgpr_spill_count: 0
    .symbol:         _ZL23rocblas_gemvt_sn_kernelILb0ELi256ELi4Ei16rocblas_bfloat16ffEviiT4_lPKT3_lilS4_lilPT5_i.kd
    .uniform_work_group_size: 1
    .uses_dynamic_stack: false
    .vgpr_count:     51
    .vgpr_spill_count: 0
    .wavefront_size: 32
    .workgroup_processor_mode: 1
  - .args:
      - .offset:         0
        .size:           4
        .value_kind:     by_value
      - .offset:         4
        .size:           4
        .value_kind:     by_value
      - .offset:         8
        .size:           4
        .value_kind:     by_value
      - .offset:         16
        .size:           8
        .value_kind:     by_value
      - .address_space:  global
        .offset:         24
        .size:           8
        .value_kind:     global_buffer
      - .offset:         32
        .size:           8
        .value_kind:     by_value
      - .offset:         40
        .size:           4
        .value_kind:     by_value
      - .offset:         48
        .size:           8
        .value_kind:     by_value
      - .address_space:  global
        .offset:         56
        .size:           8
        .value_kind:     global_buffer
      - .offset:         64
        .size:           8
        .value_kind:     by_value
      - .offset:         72
        .size:           4
        .value_kind:     by_value
      - .offset:         80
        .size:           8
        .value_kind:     by_value
      - .address_space:  global
        .offset:         88
        .size:           8
        .value_kind:     global_buffer
      - .offset:         96
        .size:           4
        .value_kind:     by_value
      - .offset:         104
        .size:           4
        .value_kind:     hidden_block_count_x
      - .offset:         108
        .size:           4
        .value_kind:     hidden_block_count_y
      - .offset:         112
        .size:           4
        .value_kind:     hidden_block_count_z
      - .offset:         116
        .size:           2
        .value_kind:     hidden_group_size_x
      - .offset:         118
        .size:           2
        .value_kind:     hidden_group_size_y
      - .offset:         120
        .size:           2
        .value_kind:     hidden_group_size_z
      - .offset:         122
        .size:           2
        .value_kind:     hidden_remainder_x
      - .offset:         124
        .size:           2
        .value_kind:     hidden_remainder_y
      - .offset:         126
        .size:           2
        .value_kind:     hidden_remainder_z
      - .offset:         144
        .size:           8
        .value_kind:     hidden_global_offset_x
      - .offset:         152
        .size:           8
        .value_kind:     hidden_global_offset_y
      - .offset:         160
        .size:           8
        .value_kind:     hidden_global_offset_z
      - .offset:         168
        .size:           2
        .value_kind:     hidden_grid_dims
    .group_segment_fixed_size: 128
    .kernarg_segment_align: 8
    .kernarg_segment_size: 360
    .language:       OpenCL C
    .language_version:
      - 2
      - 0
    .max_flat_workgroup_size: 256
    .name:           _ZL23rocblas_gemvt_sn_kernelILb0ELi256ELi4El16rocblas_bfloat16ffEviiT4_lPKT3_lilS4_lilPT5_i
    .private_segment_fixed_size: 0
    .sgpr_count:     58
    .sgpr_spill_count: 0
    .symbol:         _ZL23rocblas_gemvt_sn_kernelILb0ELi256ELi4El16rocblas_bfloat16ffEviiT4_lPKT3_lilS4_lilPT5_i.kd
    .uniform_work_group_size: 1
    .uses_dynamic_stack: false
    .vgpr_count:     56
    .vgpr_spill_count: 0
    .wavefront_size: 32
    .workgroup_processor_mode: 1
  - .args:
      - .offset:         0
        .size:           4
        .value_kind:     by_value
      - .offset:         4
        .size:           4
        .value_kind:     by_value
      - .offset:         8
        .size:           8
        .value_kind:     by_value
      - .address_space:  global
        .offset:         16
        .size:           8
        .value_kind:     global_buffer
      - .offset:         24
        .size:           8
        .value_kind:     by_value
      - .offset:         32
        .size:           4
        .value_kind:     by_value
      - .offset:         40
        .size:           8
        .value_kind:     by_value
      - .actual_access:  read_only
        .address_space:  global
        .offset:         48
        .size:           8
        .value_kind:     global_buffer
      - .offset:         56
        .size:           4
        .value_kind:     by_value
      - .offset:         64
        .size:           4
        .value_kind:     hidden_block_count_x
      - .offset:         68
        .size:           4
        .value_kind:     hidden_block_count_y
      - .offset:         72
        .size:           4
        .value_kind:     hidden_block_count_z
      - .offset:         76
        .size:           2
        .value_kind:     hidden_group_size_x
      - .offset:         78
        .size:           2
        .value_kind:     hidden_group_size_y
      - .offset:         80
        .size:           2
        .value_kind:     hidden_group_size_z
      - .offset:         82
        .size:           2
        .value_kind:     hidden_remainder_x
      - .offset:         84
        .size:           2
        .value_kind:     hidden_remainder_y
      - .offset:         86
        .size:           2
        .value_kind:     hidden_remainder_z
      - .offset:         104
        .size:           8
        .value_kind:     hidden_global_offset_x
      - .offset:         112
        .size:           8
        .value_kind:     hidden_global_offset_y
      - .offset:         120
        .size:           8
        .value_kind:     hidden_global_offset_z
      - .offset:         128
        .size:           2
        .value_kind:     hidden_grid_dims
    .group_segment_fixed_size: 128
    .kernarg_segment_align: 8
    .kernarg_segment_size: 320
    .language:       OpenCL C
    .language_version:
      - 2
      - 0
    .max_flat_workgroup_size: 256
    .name:           _ZL23rocblas_gemvt_sn_reduceILi256ELi8Eff16rocblas_bfloat16EviT2_lPT3_lilPT1_i
    .private_segment_fixed_size: 0
    .sgpr_count:     18
    .sgpr_spill_count: 0
    .symbol:         _ZL23rocblas_gemvt_sn_reduceILi256ELi8Eff16rocblas_bfloat16EviT2_lPT3_lilPT1_i.kd
    .uniform_work_group_size: 1
    .uses_dynamic_stack: false
    .vgpr_count:     13
    .vgpr_spill_count: 0
    .wavefront_size: 32
    .workgroup_processor_mode: 1
  - .args:
      - .offset:         0
        .size:           4
        .value_kind:     by_value
      - .offset:         4
        .size:           4
        .value_kind:     by_value
      - .address_space:  global
        .offset:         8
        .size:           8
        .value_kind:     global_buffer
      - .offset:         16
        .size:           8
        .value_kind:     by_value
      - .address_space:  global
        .offset:         24
        .size:           8
        .value_kind:     global_buffer
      - .offset:         32
        .size:           8
        .value_kind:     by_value
      - .offset:         40
        .size:           4
        .value_kind:     by_value
      - .offset:         48
        .size:           8
        .value_kind:     by_value
      - .address_space:  global
        .offset:         56
        .size:           8
        .value_kind:     global_buffer
      - .offset:         64
        .size:           8
        .value_kind:     by_value
      - .offset:         72
        .size:           4
        .value_kind:     by_value
      - .offset:         80
        .size:           8
        .value_kind:     by_value
      - .address_space:  global
        .offset:         88
        .size:           8
        .value_kind:     global_buffer
      - .offset:         96
        .size:           8
        .value_kind:     by_value
      - .address_space:  global
        .offset:         104
        .size:           8
        .value_kind:     global_buffer
      - .offset:         112
        .size:           8
        .value_kind:     by_value
      - .offset:         120
        .size:           4
        .value_kind:     by_value
      - .offset:         128
        .size:           8
        .value_kind:     by_value
      - .offset:         136
        .size:           4
        .value_kind:     by_value
    .group_segment_fixed_size: 128
    .kernarg_segment_align: 8
    .kernarg_segment_size: 140
    .language:       OpenCL C
    .language_version:
      - 2
      - 0
    .max_flat_workgroup_size: 256
    .name:           _ZL32rocblas_gemvt_warp_reduce_kernelILb0ELi256Ei16rocblas_bfloat16PKfS0_EviiT3_lPKT2_lT1_lS6_lS7_lS3_lPT4_lS7_li
    .private_segment_fixed_size: 0
    .sgpr_count:     27
    .sgpr_spill_count: 0
    .symbol:         _ZL32rocblas_gemvt_warp_reduce_kernelILb0ELi256Ei16rocblas_bfloat16PKfS0_EviiT3_lPKT2_lT1_lS6_lS7_lS3_lPT4_lS7_li.kd
    .uniform_work_group_size: 1
    .uses_dynamic_stack: false
    .vgpr_count:     11
    .vgpr_spill_count: 0
    .wavefront_size: 32
    .workgroup_processor_mode: 1
  - .args:
      - .offset:         0
        .size:           4
        .value_kind:     by_value
      - .offset:         4
        .size:           4
        .value_kind:     by_value
      - .address_space:  global
        .offset:         8
        .size:           8
        .value_kind:     global_buffer
      - .offset:         16
        .size:           8
        .value_kind:     by_value
      - .address_space:  global
        .offset:         24
        .size:           8
        .value_kind:     global_buffer
      - .offset:         32
        .size:           8
        .value_kind:     by_value
      - .offset:         40
        .size:           8
        .value_kind:     by_value
      - .offset:         48
        .size:           8
        .value_kind:     by_value
      - .address_space:  global
        .offset:         56
        .size:           8
        .value_kind:     global_buffer
      - .offset:         64
        .size:           8
        .value_kind:     by_value
      - .offset:         72
        .size:           8
        .value_kind:     by_value
      - .offset:         80
        .size:           8
        .value_kind:     by_value
      - .address_space:  global
        .offset:         88
        .size:           8
        .value_kind:     global_buffer
      - .offset:         96
        .size:           8
        .value_kind:     by_value
      - .address_space:  global
        .offset:         104
        .size:           8
        .value_kind:     global_buffer
      - .offset:         112
        .size:           8
        .value_kind:     by_value
      - .offset:         120
        .size:           8
        .value_kind:     by_value
      - .offset:         128
        .size:           8
        .value_kind:     by_value
      - .offset:         136
        .size:           4
        .value_kind:     by_value
    .group_segment_fixed_size: 128
    .kernarg_segment_align: 8
    .kernarg_segment_size: 140
    .language:       OpenCL C
    .language_version:
      - 2
      - 0
    .max_flat_workgroup_size: 256
    .name:           _ZL32rocblas_gemvt_warp_reduce_kernelILb0ELi256El16rocblas_bfloat16PKfS0_EviiT3_lPKT2_lT1_lS6_lS7_lS3_lPT4_lS7_li
    .private_segment_fixed_size: 0
    .sgpr_count:     54
    .sgpr_spill_count: 0
    .symbol:         _ZL32rocblas_gemvt_warp_reduce_kernelILb0ELi256El16rocblas_bfloat16PKfS0_EviiT3_lPKT2_lT1_lS6_lS7_lS3_lPT4_lS7_li.kd
    .uniform_work_group_size: 1
    .uses_dynamic_stack: false
    .vgpr_count:     12
    .vgpr_spill_count: 0
    .wavefront_size: 32
    .workgroup_processor_mode: 1
  - .args:
      - .offset:         0
        .size:           4
        .value_kind:     by_value
      - .offset:         4
        .size:           4
        .value_kind:     by_value
      - .offset:         8
        .size:           4
        .value_kind:     by_value
      - .offset:         16
        .size:           8
        .value_kind:     by_value
      - .address_space:  global
        .offset:         24
        .size:           8
        .value_kind:     global_buffer
      - .offset:         32
        .size:           8
        .value_kind:     by_value
      - .offset:         40
        .size:           4
        .value_kind:     by_value
      - .offset:         48
        .size:           8
        .value_kind:     by_value
      - .address_space:  global
        .offset:         56
        .size:           8
        .value_kind:     global_buffer
      - .offset:         64
        .size:           8
        .value_kind:     by_value
      - .offset:         72
        .size:           4
        .value_kind:     by_value
      - .offset:         80
        .size:           8
        .value_kind:     by_value
      - .offset:         88
        .size:           4
        .value_kind:     by_value
      - .offset:         96
        .size:           8
        .value_kind:     by_value
      - .address_space:  global
        .offset:         104
        .size:           8
        .value_kind:     global_buffer
      - .offset:         112
        .size:           8
        .value_kind:     by_value
      - .offset:         120
        .size:           4
        .value_kind:     by_value
      - .offset:         128
        .size:           8
        .value_kind:     by_value
      - .offset:         136
        .size:           4
        .value_kind:     by_value
    .group_segment_fixed_size: 128
    .kernarg_segment_align: 8
    .kernarg_segment_size: 140
    .language:       OpenCL C
    .language_version:
      - 2
      - 0
    .max_flat_workgroup_size: 256
    .name:           _ZL32rocblas_gemvt_warp_reduce_kernelILb0ELi256Ei16rocblas_bfloat16fS0_EviiT3_lPKT2_lT1_lS4_lS5_lS1_lPT4_lS5_li
    .private_segment_fixed_size: 0
    .sgpr_count:     26
    .sgpr_spill_count: 0
    .symbol:         _ZL32rocblas_gemvt_warp_reduce_kernelILb0ELi256Ei16rocblas_bfloat16fS0_EviiT3_lPKT2_lT1_lS4_lS5_lS1_lPT4_lS5_li.kd
    .uniform_work_group_size: 1
    .uses_dynamic_stack: false
    .vgpr_count:     11
    .vgpr_spill_count: 0
    .wavefront_size: 32
    .workgroup_processor_mode: 1
  - .args:
      - .offset:         0
        .size:           4
        .value_kind:     by_value
      - .offset:         4
        .size:           4
        .value_kind:     by_value
      - .offset:         8
        .size:           4
        .value_kind:     by_value
      - .offset:         16
        .size:           8
        .value_kind:     by_value
      - .address_space:  global
        .offset:         24
        .size:           8
        .value_kind:     global_buffer
      - .offset:         32
        .size:           8
        .value_kind:     by_value
      - .offset:         40
        .size:           8
        .value_kind:     by_value
      - .offset:         48
        .size:           8
        .value_kind:     by_value
      - .address_space:  global
        .offset:         56
        .size:           8
        .value_kind:     global_buffer
      - .offset:         64
        .size:           8
        .value_kind:     by_value
      - .offset:         72
        .size:           8
        .value_kind:     by_value
      - .offset:         80
        .size:           8
        .value_kind:     by_value
      - .offset:         88
        .size:           4
        .value_kind:     by_value
      - .offset:         96
        .size:           8
        .value_kind:     by_value
      - .address_space:  global
        .offset:         104
        .size:           8
        .value_kind:     global_buffer
      - .offset:         112
        .size:           8
        .value_kind:     by_value
      - .offset:         120
        .size:           8
        .value_kind:     by_value
      - .offset:         128
        .size:           8
        .value_kind:     by_value
      - .offset:         136
        .size:           4
        .value_kind:     by_value
    .group_segment_fixed_size: 128
    .kernarg_segment_align: 8
    .kernarg_segment_size: 140
    .language:       OpenCL C
    .language_version:
      - 2
      - 0
    .max_flat_workgroup_size: 256
    .name:           _ZL32rocblas_gemvt_warp_reduce_kernelILb0ELi256El16rocblas_bfloat16fS0_EviiT3_lPKT2_lT1_lS4_lS5_lS1_lPT4_lS5_li
    .private_segment_fixed_size: 0
    .sgpr_count:     36
    .sgpr_spill_count: 0
    .symbol:         _ZL32rocblas_gemvt_warp_reduce_kernelILb0ELi256El16rocblas_bfloat16fS0_EviiT3_lPKT2_lT1_lS4_lS5_lS1_lPT4_lS5_li.kd
    .uniform_work_group_size: 1
    .uses_dynamic_stack: false
    .vgpr_count:     12
    .vgpr_spill_count: 0
    .wavefront_size: 32
    .workgroup_processor_mode: 1
  - .args:
      - .offset:         0
        .size:           4
        .value_kind:     by_value
      - .offset:         4
        .size:           4
        .value_kind:     by_value
      - .address_space:  global
        .offset:         8
        .size:           8
        .value_kind:     global_buffer
      - .offset:         16
        .size:           8
        .value_kind:     by_value
      - .address_space:  global
        .offset:         24
        .size:           8
        .value_kind:     global_buffer
      - .offset:         32
        .size:           8
        .value_kind:     by_value
      - .offset:         40
        .size:           4
        .value_kind:     by_value
      - .offset:         48
        .size:           8
        .value_kind:     by_value
      - .address_space:  global
        .offset:         56
        .size:           8
        .value_kind:     global_buffer
      - .offset:         64
        .size:           8
        .value_kind:     by_value
      - .offset:         72
        .size:           4
        .value_kind:     by_value
      - .offset:         80
        .size:           8
        .value_kind:     by_value
      - .address_space:  global
        .offset:         88
        .size:           8
        .value_kind:     global_buffer
      - .offset:         96
        .size:           8
        .value_kind:     by_value
      - .address_space:  global
        .offset:         104
        .size:           8
        .value_kind:     global_buffer
      - .offset:         112
        .size:           8
        .value_kind:     by_value
      - .offset:         120
        .size:           4
        .value_kind:     by_value
      - .offset:         128
        .size:           8
        .value_kind:     by_value
      - .offset:         136
        .size:           4
        .value_kind:     by_value
    .group_segment_fixed_size: 1024
    .kernarg_segment_align: 8
    .kernarg_segment_size: 140
    .language:       OpenCL C
    .language_version:
      - 2
      - 0
    .max_flat_workgroup_size: 256
    .name:           _ZL20rocblas_gemvt_kernelILb0ELi256E16rocblas_bfloat16PKfS0_EviiT2_lPKT1_lilS6_lilS3_lPT3_lili
    .private_segment_fixed_size: 0
    .sgpr_count:     30
    .sgpr_spill_count: 0
    .symbol:         _ZL20rocblas_gemvt_kernelILb0ELi256E16rocblas_bfloat16PKfS0_EviiT2_lPKT1_lilS6_lilS3_lPT3_lili.kd
    .uniform_work_group_size: 1
    .uses_dynamic_stack: false
    .vgpr_count:     11
    .vgpr_spill_count: 0
    .wavefront_size: 32
    .workgroup_processor_mode: 1
  - .args:
      - .offset:         0
        .size:           4
        .value_kind:     by_value
      - .offset:         4
        .size:           4
        .value_kind:     by_value
      - .offset:         8
        .size:           4
        .value_kind:     by_value
      - .offset:         16
        .size:           8
        .value_kind:     by_value
      - .address_space:  global
        .offset:         24
        .size:           8
        .value_kind:     global_buffer
      - .offset:         32
        .size:           8
        .value_kind:     by_value
      - .offset:         40
        .size:           4
        .value_kind:     by_value
      - .offset:         48
        .size:           8
        .value_kind:     by_value
      - .address_space:  global
        .offset:         56
        .size:           8
        .value_kind:     global_buffer
      - .offset:         64
        .size:           8
        .value_kind:     by_value
      - .offset:         72
        .size:           4
        .value_kind:     by_value
      - .offset:         80
        .size:           8
        .value_kind:     by_value
      - .offset:         88
        .size:           4
        .value_kind:     by_value
      - .offset:         96
        .size:           8
        .value_kind:     by_value
      - .address_space:  global
        .offset:         104
        .size:           8
        .value_kind:     global_buffer
      - .offset:         112
        .size:           8
        .value_kind:     by_value
      - .offset:         120
        .size:           4
        .value_kind:     by_value
      - .offset:         128
        .size:           8
        .value_kind:     by_value
      - .offset:         136
        .size:           4
        .value_kind:     by_value
    .group_segment_fixed_size: 1024
    .kernarg_segment_align: 8
    .kernarg_segment_size: 140
    .language:       OpenCL C
    .language_version:
      - 2
      - 0
    .max_flat_workgroup_size: 256
    .name:           _ZL20rocblas_gemvt_kernelILb0ELi256E16rocblas_bfloat16fS0_EviiT2_lPKT1_lilS4_lilS1_lPT3_lili
    .private_segment_fixed_size: 0
    .sgpr_count:     30
    .sgpr_spill_count: 0
    .symbol:         _ZL20rocblas_gemvt_kernelILb0ELi256E16rocblas_bfloat16fS0_EviiT2_lPKT1_lilS4_lilS1_lPT3_lili.kd
    .uniform_work_group_size: 1
    .uses_dynamic_stack: false
    .vgpr_count:     11
    .vgpr_spill_count: 0
    .wavefront_size: 32
    .workgroup_processor_mode: 1
  - .args:
      - .offset:         0
        .size:           4
        .value_kind:     by_value
      - .offset:         4
        .size:           4
        .value_kind:     by_value
      - .address_space:  global
        .offset:         8
        .size:           8
        .value_kind:     global_buffer
      - .offset:         16
        .size:           8
        .value_kind:     by_value
      - .address_space:  global
        .offset:         24
        .size:           8
        .value_kind:     global_buffer
      - .offset:         32
        .size:           8
        .value_kind:     by_value
      - .offset:         40
        .size:           4
        .value_kind:     by_value
      - .offset:         48
        .size:           8
        .value_kind:     by_value
      - .address_space:  global
        .offset:         56
        .size:           8
        .value_kind:     global_buffer
      - .offset:         64
        .size:           8
        .value_kind:     by_value
      - .offset:         72
        .size:           4
        .value_kind:     by_value
      - .offset:         80
        .size:           8
        .value_kind:     by_value
      - .address_space:  global
        .offset:         88
        .size:           8
        .value_kind:     global_buffer
      - .offset:         96
        .size:           8
        .value_kind:     by_value
      - .address_space:  global
        .offset:         104
        .size:           8
        .value_kind:     global_buffer
      - .offset:         112
        .size:           8
        .value_kind:     by_value
      - .offset:         120
        .size:           4
        .value_kind:     by_value
      - .offset:         128
        .size:           8
        .value_kind:     by_value
      - .offset:         136
        .size:           4
        .value_kind:     by_value
    .group_segment_fixed_size: 128
    .kernarg_segment_align: 8
    .kernarg_segment_size: 140
    .language:       OpenCL C
    .language_version:
      - 2
      - 0
    .max_flat_workgroup_size: 1024
    .name:           _ZL32rocblas_gemvt_warp_reduce_kernelILb0ELi1024Ei16rocblas_bfloat16PKfS0_EviiT3_lPKT2_lT1_lS6_lS7_lS3_lPT4_lS7_li
    .private_segment_fixed_size: 0
    .sgpr_count:     27
    .sgpr_spill_count: 0
    .symbol:         _ZL32rocblas_gemvt_warp_reduce_kernelILb0ELi1024Ei16rocblas_bfloat16PKfS0_EviiT3_lPKT2_lT1_lS6_lS7_lS3_lPT4_lS7_li.kd
    .uniform_work_group_size: 1
    .uses_dynamic_stack: false
    .vgpr_count:     11
    .vgpr_spill_count: 0
    .wavefront_size: 32
    .workgroup_processor_mode: 1
  - .args:
      - .offset:         0
        .size:           4
        .value_kind:     by_value
      - .offset:         4
        .size:           4
        .value_kind:     by_value
      - .address_space:  global
        .offset:         8
        .size:           8
        .value_kind:     global_buffer
      - .offset:         16
        .size:           8
        .value_kind:     by_value
      - .address_space:  global
        .offset:         24
        .size:           8
        .value_kind:     global_buffer
      - .offset:         32
        .size:           8
        .value_kind:     by_value
      - .offset:         40
        .size:           8
        .value_kind:     by_value
      - .offset:         48
        .size:           8
        .value_kind:     by_value
      - .address_space:  global
        .offset:         56
        .size:           8
        .value_kind:     global_buffer
      - .offset:         64
        .size:           8
        .value_kind:     by_value
      - .offset:         72
        .size:           8
        .value_kind:     by_value
      - .offset:         80
        .size:           8
        .value_kind:     by_value
      - .address_space:  global
        .offset:         88
        .size:           8
        .value_kind:     global_buffer
      - .offset:         96
        .size:           8
        .value_kind:     by_value
      - .address_space:  global
        .offset:         104
        .size:           8
        .value_kind:     global_buffer
      - .offset:         112
        .size:           8
        .value_kind:     by_value
      - .offset:         120
        .size:           8
        .value_kind:     by_value
      - .offset:         128
        .size:           8
        .value_kind:     by_value
      - .offset:         136
        .size:           4
        .value_kind:     by_value
    .group_segment_fixed_size: 128
    .kernarg_segment_align: 8
    .kernarg_segment_size: 140
    .language:       OpenCL C
    .language_version:
      - 2
      - 0
    .max_flat_workgroup_size: 1024
    .name:           _ZL32rocblas_gemvt_warp_reduce_kernelILb0ELi1024El16rocblas_bfloat16PKfS0_EviiT3_lPKT2_lT1_lS6_lS7_lS3_lPT4_lS7_li
    .private_segment_fixed_size: 0
    .sgpr_count:     54
    .sgpr_spill_count: 0
    .symbol:         _ZL32rocblas_gemvt_warp_reduce_kernelILb0ELi1024El16rocblas_bfloat16PKfS0_EviiT3_lPKT2_lT1_lS6_lS7_lS3_lPT4_lS7_li.kd
    .uniform_work_group_size: 1
    .uses_dynamic_stack: false
    .vgpr_count:     12
    .vgpr_spill_count: 0
    .wavefront_size: 32
    .workgroup_processor_mode: 1
  - .args:
      - .offset:         0
        .size:           4
        .value_kind:     by_value
      - .offset:         4
        .size:           4
        .value_kind:     by_value
      - .offset:         8
        .size:           4
        .value_kind:     by_value
      - .offset:         16
        .size:           8
        .value_kind:     by_value
      - .address_space:  global
        .offset:         24
        .size:           8
        .value_kind:     global_buffer
      - .offset:         32
        .size:           8
        .value_kind:     by_value
      - .offset:         40
        .size:           4
        .value_kind:     by_value
      - .offset:         48
        .size:           8
        .value_kind:     by_value
      - .address_space:  global
        .offset:         56
        .size:           8
        .value_kind:     global_buffer
      - .offset:         64
        .size:           8
        .value_kind:     by_value
      - .offset:         72
        .size:           4
        .value_kind:     by_value
      - .offset:         80
        .size:           8
        .value_kind:     by_value
      - .offset:         88
        .size:           4
        .value_kind:     by_value
      - .offset:         96
        .size:           8
        .value_kind:     by_value
      - .address_space:  global
        .offset:         104
        .size:           8
        .value_kind:     global_buffer
      - .offset:         112
        .size:           8
        .value_kind:     by_value
      - .offset:         120
        .size:           4
        .value_kind:     by_value
      - .offset:         128
        .size:           8
        .value_kind:     by_value
      - .offset:         136
        .size:           4
        .value_kind:     by_value
    .group_segment_fixed_size: 128
    .kernarg_segment_align: 8
    .kernarg_segment_size: 140
    .language:       OpenCL C
    .language_version:
      - 2
      - 0
    .max_flat_workgroup_size: 1024
    .name:           _ZL32rocblas_gemvt_warp_reduce_kernelILb0ELi1024Ei16rocblas_bfloat16fS0_EviiT3_lPKT2_lT1_lS4_lS5_lS1_lPT4_lS5_li
    .private_segment_fixed_size: 0
    .sgpr_count:     26
    .sgpr_spill_count: 0
    .symbol:         _ZL32rocblas_gemvt_warp_reduce_kernelILb0ELi1024Ei16rocblas_bfloat16fS0_EviiT3_lPKT2_lT1_lS4_lS5_lS1_lPT4_lS5_li.kd
    .uniform_work_group_size: 1
    .uses_dynamic_stack: false
    .vgpr_count:     11
    .vgpr_spill_count: 0
    .wavefront_size: 32
    .workgroup_processor_mode: 1
  - .args:
      - .offset:         0
        .size:           4
        .value_kind:     by_value
      - .offset:         4
        .size:           4
        .value_kind:     by_value
      - .offset:         8
        .size:           4
        .value_kind:     by_value
      - .offset:         16
        .size:           8
        .value_kind:     by_value
      - .address_space:  global
        .offset:         24
        .size:           8
        .value_kind:     global_buffer
      - .offset:         32
        .size:           8
        .value_kind:     by_value
      - .offset:         40
        .size:           8
        .value_kind:     by_value
      - .offset:         48
        .size:           8
        .value_kind:     by_value
      - .address_space:  global
        .offset:         56
        .size:           8
        .value_kind:     global_buffer
      - .offset:         64
        .size:           8
        .value_kind:     by_value
      - .offset:         72
        .size:           8
        .value_kind:     by_value
      - .offset:         80
        .size:           8
        .value_kind:     by_value
      - .offset:         88
        .size:           4
        .value_kind:     by_value
      - .offset:         96
        .size:           8
        .value_kind:     by_value
      - .address_space:  global
        .offset:         104
        .size:           8
        .value_kind:     global_buffer
      - .offset:         112
        .size:           8
        .value_kind:     by_value
      - .offset:         120
        .size:           8
        .value_kind:     by_value
      - .offset:         128
        .size:           8
        .value_kind:     by_value
      - .offset:         136
        .size:           4
        .value_kind:     by_value
    .group_segment_fixed_size: 128
    .kernarg_segment_align: 8
    .kernarg_segment_size: 140
    .language:       OpenCL C
    .language_version:
      - 2
      - 0
    .max_flat_workgroup_size: 1024
    .name:           _ZL32rocblas_gemvt_warp_reduce_kernelILb0ELi1024El16rocblas_bfloat16fS0_EviiT3_lPKT2_lT1_lS4_lS5_lS1_lPT4_lS5_li
    .private_segment_fixed_size: 0
    .sgpr_count:     36
    .sgpr_spill_count: 0
    .symbol:         _ZL32rocblas_gemvt_warp_reduce_kernelILb0ELi1024El16rocblas_bfloat16fS0_EviiT3_lPKT2_lT1_lS4_lS5_lS1_lPT4_lS5_li.kd
    .uniform_work_group_size: 1
    .uses_dynamic_stack: false
    .vgpr_count:     12
    .vgpr_spill_count: 0
    .wavefront_size: 32
    .workgroup_processor_mode: 1
  - .args:
      - .offset:         0
        .size:           4
        .value_kind:     by_value
      - .offset:         4
        .size:           4
        .value_kind:     by_value
      - .address_space:  global
        .offset:         8
        .size:           8
        .value_kind:     global_buffer
      - .offset:         16
        .size:           8
        .value_kind:     by_value
      - .address_space:  global
        .offset:         24
        .size:           8
        .value_kind:     global_buffer
      - .offset:         32
        .size:           8
        .value_kind:     by_value
      - .offset:         40
        .size:           4
        .value_kind:     by_value
      - .offset:         48
        .size:           8
        .value_kind:     by_value
      - .address_space:  global
        .offset:         56
        .size:           8
        .value_kind:     global_buffer
      - .offset:         64
        .size:           8
        .value_kind:     by_value
      - .offset:         72
        .size:           4
        .value_kind:     by_value
      - .offset:         80
        .size:           8
        .value_kind:     by_value
      - .address_space:  global
        .offset:         88
        .size:           8
        .value_kind:     global_buffer
      - .offset:         96
        .size:           8
        .value_kind:     by_value
      - .address_space:  global
        .offset:         104
        .size:           8
        .value_kind:     global_buffer
      - .offset:         112
        .size:           8
        .value_kind:     by_value
      - .offset:         120
        .size:           4
        .value_kind:     by_value
      - .offset:         128
        .size:           8
        .value_kind:     by_value
    .group_segment_fixed_size: 256
    .kernarg_segment_align: 8
    .kernarg_segment_size: 136
    .language:       OpenCL C
    .language_version:
      - 2
      - 0
    .max_flat_workgroup_size: 256
    .name:           _ZL22rocblas_gemvtsm_kernelILb1ELi256E16rocblas_bfloat16PKfS0_EviiT2_lPKT1_lilS6_lilS3_lPT3_lil
    .private_segment_fixed_size: 0
    .sgpr_count:     31
    .sgpr_spill_count: 0
    .symbol:         _ZL22rocblas_gemvtsm_kernelILb1ELi256E16rocblas_bfloat16PKfS0_EviiT2_lPKT1_lilS6_lilS3_lPT3_lil.kd
    .uniform_work_group_size: 1
    .uses_dynamic_stack: false
    .vgpr_count:     16
    .vgpr_spill_count: 0
    .wavefront_size: 32
    .workgroup_processor_mode: 1
  - .args:
      - .offset:         0
        .size:           4
        .value_kind:     by_value
      - .offset:         4
        .size:           4
        .value_kind:     by_value
      - .offset:         8
        .size:           4
        .value_kind:     by_value
      - .offset:         16
        .size:           8
        .value_kind:     by_value
      - .address_space:  global
        .offset:         24
        .size:           8
        .value_kind:     global_buffer
      - .offset:         32
        .size:           8
        .value_kind:     by_value
      - .offset:         40
        .size:           4
        .value_kind:     by_value
      - .offset:         48
        .size:           8
        .value_kind:     by_value
      - .address_space:  global
        .offset:         56
        .size:           8
        .value_kind:     global_buffer
      - .offset:         64
        .size:           8
        .value_kind:     by_value
      - .offset:         72
        .size:           4
        .value_kind:     by_value
      - .offset:         80
        .size:           8
        .value_kind:     by_value
      - .offset:         88
        .size:           4
        .value_kind:     by_value
      - .offset:         96
        .size:           8
        .value_kind:     by_value
      - .address_space:  global
        .offset:         104
        .size:           8
        .value_kind:     global_buffer
      - .offset:         112
        .size:           8
        .value_kind:     by_value
      - .offset:         120
        .size:           4
        .value_kind:     by_value
      - .offset:         128
        .size:           8
        .value_kind:     by_value
    .group_segment_fixed_size: 256
    .kernarg_segment_align: 8
    .kernarg_segment_size: 136
    .language:       OpenCL C
    .language_version:
      - 2
      - 0
    .max_flat_workgroup_size: 256
    .name:           _ZL22rocblas_gemvtsm_kernelILb1ELi256E16rocblas_bfloat16fS0_EviiT2_lPKT1_lilS4_lilS1_lPT3_lil
    .private_segment_fixed_size: 0
    .sgpr_count:     27
    .sgpr_spill_count: 0
    .symbol:         _ZL22rocblas_gemvtsm_kernelILb1ELi256E16rocblas_bfloat16fS0_EviiT2_lPKT1_lilS4_lilS1_lPT3_lil.kd
    .uniform_work_group_size: 1
    .uses_dynamic_stack: false
    .vgpr_count:     16
    .vgpr_spill_count: 0
    .wavefront_size: 32
    .workgroup_processor_mode: 1
  - .args:
      - .offset:         0
        .size:           4
        .value_kind:     by_value
      - .offset:         4
        .size:           4
        .value_kind:     by_value
      - .address_space:  global
        .offset:         8
        .size:           8
        .value_kind:     global_buffer
      - .offset:         16
        .size:           8
        .value_kind:     by_value
      - .address_space:  global
        .offset:         24
        .size:           8
        .value_kind:     global_buffer
      - .offset:         32
        .size:           8
        .value_kind:     by_value
      - .offset:         40
        .size:           4
        .value_kind:     by_value
      - .offset:         48
        .size:           8
        .value_kind:     by_value
      - .address_space:  global
        .offset:         56
        .size:           8
        .value_kind:     global_buffer
      - .offset:         64
        .size:           8
        .value_kind:     by_value
      - .offset:         72
        .size:           4
        .value_kind:     by_value
      - .offset:         80
        .size:           8
        .value_kind:     by_value
      - .address_space:  global
        .offset:         88
        .size:           8
        .value_kind:     global_buffer
      - .offset:         96
        .size:           4
        .value_kind:     by_value
      - .offset:         104
        .size:           4
        .value_kind:     hidden_block_count_x
      - .offset:         108
        .size:           4
        .value_kind:     hidden_block_count_y
      - .offset:         112
        .size:           4
        .value_kind:     hidden_block_count_z
      - .offset:         116
        .size:           2
        .value_kind:     hidden_group_size_x
      - .offset:         118
        .size:           2
        .value_kind:     hidden_group_size_y
      - .offset:         120
        .size:           2
        .value_kind:     hidden_group_size_z
      - .offset:         122
        .size:           2
        .value_kind:     hidden_remainder_x
      - .offset:         124
        .size:           2
        .value_kind:     hidden_remainder_y
      - .offset:         126
        .size:           2
        .value_kind:     hidden_remainder_z
      - .offset:         144
        .size:           8
        .value_kind:     hidden_global_offset_x
      - .offset:         152
        .size:           8
        .value_kind:     hidden_global_offset_y
      - .offset:         160
        .size:           8
        .value_kind:     hidden_global_offset_z
      - .offset:         168
        .size:           2
        .value_kind:     hidden_grid_dims
    .group_segment_fixed_size: 128
    .kernarg_segment_align: 8
    .kernarg_segment_size: 360
    .language:       OpenCL C
    .language_version:
      - 2
      - 0
    .max_flat_workgroup_size: 256
    .name:           _ZL23rocblas_gemvt_sn_kernelILb1ELi256ELi4Ei16rocblas_bfloat16PKffEviiT4_lPKT3_lilS6_lilPT5_i
    .private_segment_fixed_size: 0
    .sgpr_count:     50
    .sgpr_spill_count: 0
    .symbol:         _ZL23rocblas_gemvt_sn_kernelILb1ELi256ELi4Ei16rocblas_bfloat16PKffEviiT4_lPKT3_lilS6_lilPT5_i.kd
    .uniform_work_group_size: 1
    .uses_dynamic_stack: false
    .vgpr_count:     51
    .vgpr_spill_count: 0
    .wavefront_size: 32
    .workgroup_processor_mode: 1
  - .args:
      - .offset:         0
        .size:           4
        .value_kind:     by_value
      - .offset:         4
        .size:           4
        .value_kind:     by_value
      - .address_space:  global
        .offset:         8
        .size:           8
        .value_kind:     global_buffer
      - .offset:         16
        .size:           8
        .value_kind:     by_value
      - .address_space:  global
        .offset:         24
        .size:           8
        .value_kind:     global_buffer
      - .offset:         32
        .size:           8
        .value_kind:     by_value
      - .offset:         40
        .size:           4
        .value_kind:     by_value
      - .offset:         48
        .size:           8
        .value_kind:     by_value
      - .address_space:  global
        .offset:         56
        .size:           8
        .value_kind:     global_buffer
      - .offset:         64
        .size:           8
        .value_kind:     by_value
      - .offset:         72
        .size:           4
        .value_kind:     by_value
      - .offset:         80
        .size:           8
        .value_kind:     by_value
      - .address_space:  global
        .offset:         88
        .size:           8
        .value_kind:     global_buffer
      - .offset:         96
        .size:           4
        .value_kind:     by_value
      - .offset:         104
        .size:           4
        .value_kind:     hidden_block_count_x
      - .offset:         108
        .size:           4
        .value_kind:     hidden_block_count_y
      - .offset:         112
        .size:           4
        .value_kind:     hidden_block_count_z
      - .offset:         116
        .size:           2
        .value_kind:     hidden_group_size_x
      - .offset:         118
        .size:           2
        .value_kind:     hidden_group_size_y
      - .offset:         120
        .size:           2
        .value_kind:     hidden_group_size_z
      - .offset:         122
        .size:           2
        .value_kind:     hidden_remainder_x
      - .offset:         124
        .size:           2
        .value_kind:     hidden_remainder_y
      - .offset:         126
        .size:           2
        .value_kind:     hidden_remainder_z
      - .offset:         144
        .size:           8
        .value_kind:     hidden_global_offset_x
      - .offset:         152
        .size:           8
        .value_kind:     hidden_global_offset_y
      - .offset:         160
        .size:           8
        .value_kind:     hidden_global_offset_z
      - .offset:         168
        .size:           2
        .value_kind:     hidden_grid_dims
    .group_segment_fixed_size: 128
    .kernarg_segment_align: 8
    .kernarg_segment_size: 360
    .language:       OpenCL C
    .language_version:
      - 2
      - 0
    .max_flat_workgroup_size: 256
    .name:           _ZL23rocblas_gemvt_sn_kernelILb1ELi256ELi4El16rocblas_bfloat16PKffEviiT4_lPKT3_lilS6_lilPT5_i
    .private_segment_fixed_size: 0
    .sgpr_count:     58
    .sgpr_spill_count: 0
    .symbol:         _ZL23rocblas_gemvt_sn_kernelILb1ELi256ELi4El16rocblas_bfloat16PKffEviiT4_lPKT3_lilS6_lilPT5_i.kd
    .uniform_work_group_size: 1
    .uses_dynamic_stack: false
    .vgpr_count:     56
    .vgpr_spill_count: 0
    .wavefront_size: 32
    .workgroup_processor_mode: 1
  - .args:
      - .offset:         0
        .size:           4
        .value_kind:     by_value
      - .offset:         4
        .size:           4
        .value_kind:     by_value
      - .offset:         8
        .size:           4
        .value_kind:     by_value
      - .offset:         16
        .size:           8
        .value_kind:     by_value
      - .address_space:  global
        .offset:         24
        .size:           8
        .value_kind:     global_buffer
      - .offset:         32
        .size:           8
        .value_kind:     by_value
      - .offset:         40
        .size:           4
        .value_kind:     by_value
      - .offset:         48
        .size:           8
        .value_kind:     by_value
      - .address_space:  global
        .offset:         56
        .size:           8
        .value_kind:     global_buffer
      - .offset:         64
        .size:           8
        .value_kind:     by_value
      - .offset:         72
        .size:           4
        .value_kind:     by_value
      - .offset:         80
        .size:           8
        .value_kind:     by_value
      - .address_space:  global
        .offset:         88
        .size:           8
        .value_kind:     global_buffer
      - .offset:         96
        .size:           4
        .value_kind:     by_value
      - .offset:         104
        .size:           4
        .value_kind:     hidden_block_count_x
      - .offset:         108
        .size:           4
        .value_kind:     hidden_block_count_y
      - .offset:         112
        .size:           4
        .value_kind:     hidden_block_count_z
      - .offset:         116
        .size:           2
        .value_kind:     hidden_group_size_x
      - .offset:         118
        .size:           2
        .value_kind:     hidden_group_size_y
      - .offset:         120
        .size:           2
        .value_kind:     hidden_group_size_z
      - .offset:         122
        .size:           2
        .value_kind:     hidden_remainder_x
      - .offset:         124
        .size:           2
        .value_kind:     hidden_remainder_y
      - .offset:         126
        .size:           2
        .value_kind:     hidden_remainder_z
      - .offset:         144
        .size:           8
        .value_kind:     hidden_global_offset_x
      - .offset:         152
        .size:           8
        .value_kind:     hidden_global_offset_y
      - .offset:         160
        .size:           8
        .value_kind:     hidden_global_offset_z
      - .offset:         168
        .size:           2
        .value_kind:     hidden_grid_dims
    .group_segment_fixed_size: 128
    .kernarg_segment_align: 8
    .kernarg_segment_size: 360
    .language:       OpenCL C
    .language_version:
      - 2
      - 0
    .max_flat_workgroup_size: 256
    .name:           _ZL23rocblas_gemvt_sn_kernelILb1ELi256ELi4Ei16rocblas_bfloat16ffEviiT4_lPKT3_lilS4_lilPT5_i
    .private_segment_fixed_size: 0
    .sgpr_count:     50
    .sgpr_spill_count: 0
    .symbol:         _ZL23rocblas_gemvt_sn_kernelILb1ELi256ELi4Ei16rocblas_bfloat16ffEviiT4_lPKT3_lilS4_lilPT5_i.kd
    .uniform_work_group_size: 1
    .uses_dynamic_stack: false
    .vgpr_count:     51
    .vgpr_spill_count: 0
    .wavefront_size: 32
    .workgroup_processor_mode: 1
  - .args:
      - .offset:         0
        .size:           4
        .value_kind:     by_value
      - .offset:         4
        .size:           4
        .value_kind:     by_value
      - .offset:         8
        .size:           4
        .value_kind:     by_value
      - .offset:         16
        .size:           8
        .value_kind:     by_value
      - .address_space:  global
        .offset:         24
        .size:           8
        .value_kind:     global_buffer
      - .offset:         32
        .size:           8
        .value_kind:     by_value
      - .offset:         40
        .size:           4
        .value_kind:     by_value
      - .offset:         48
        .size:           8
        .value_kind:     by_value
      - .address_space:  global
        .offset:         56
        .size:           8
        .value_kind:     global_buffer
      - .offset:         64
        .size:           8
        .value_kind:     by_value
      - .offset:         72
        .size:           4
        .value_kind:     by_value
      - .offset:         80
        .size:           8
        .value_kind:     by_value
      - .address_space:  global
        .offset:         88
        .size:           8
        .value_kind:     global_buffer
      - .offset:         96
        .size:           4
        .value_kind:     by_value
      - .offset:         104
        .size:           4
        .value_kind:     hidden_block_count_x
      - .offset:         108
        .size:           4
        .value_kind:     hidden_block_count_y
      - .offset:         112
        .size:           4
        .value_kind:     hidden_block_count_z
      - .offset:         116
        .size:           2
        .value_kind:     hidden_group_size_x
      - .offset:         118
        .size:           2
        .value_kind:     hidden_group_size_y
      - .offset:         120
        .size:           2
        .value_kind:     hidden_group_size_z
      - .offset:         122
        .size:           2
        .value_kind:     hidden_remainder_x
      - .offset:         124
        .size:           2
        .value_kind:     hidden_remainder_y
      - .offset:         126
        .size:           2
        .value_kind:     hidden_remainder_z
      - .offset:         144
        .size:           8
        .value_kind:     hidden_global_offset_x
      - .offset:         152
        .size:           8
        .value_kind:     hidden_global_offset_y
      - .offset:         160
        .size:           8
        .value_kind:     hidden_global_offset_z
      - .offset:         168
        .size:           2
        .value_kind:     hidden_grid_dims
    .group_segment_fixed_size: 128
    .kernarg_segment_align: 8
    .kernarg_segment_size: 360
    .language:       OpenCL C
    .language_version:
      - 2
      - 0
    .max_flat_workgroup_size: 256
    .name:           _ZL23rocblas_gemvt_sn_kernelILb1ELi256ELi4El16rocblas_bfloat16ffEviiT4_lPKT3_lilS4_lilPT5_i
    .private_segment_fixed_size: 0
    .sgpr_count:     58
    .sgpr_spill_count: 0
    .symbol:         _ZL23rocblas_gemvt_sn_kernelILb1ELi256ELi4El16rocblas_bfloat16ffEviiT4_lPKT3_lilS4_lilPT5_i.kd
    .uniform_work_group_size: 1
    .uses_dynamic_stack: false
    .vgpr_count:     56
    .vgpr_spill_count: 0
    .wavefront_size: 32
    .workgroup_processor_mode: 1
  - .args:
      - .offset:         0
        .size:           4
        .value_kind:     by_value
      - .offset:         4
        .size:           4
        .value_kind:     by_value
      - .address_space:  global
        .offset:         8
        .size:           8
        .value_kind:     global_buffer
      - .offset:         16
        .size:           8
        .value_kind:     by_value
      - .address_space:  global
        .offset:         24
        .size:           8
        .value_kind:     global_buffer
      - .offset:         32
        .size:           8
        .value_kind:     by_value
      - .offset:         40
        .size:           4
        .value_kind:     by_value
      - .offset:         48
        .size:           8
        .value_kind:     by_value
      - .address_space:  global
        .offset:         56
        .size:           8
        .value_kind:     global_buffer
      - .offset:         64
        .size:           8
        .value_kind:     by_value
      - .offset:         72
        .size:           4
        .value_kind:     by_value
      - .offset:         80
        .size:           8
        .value_kind:     by_value
      - .address_space:  global
        .offset:         88
        .size:           8
        .value_kind:     global_buffer
      - .offset:         96
        .size:           8
        .value_kind:     by_value
      - .address_space:  global
        .offset:         104
        .size:           8
        .value_kind:     global_buffer
      - .offset:         112
        .size:           8
        .value_kind:     by_value
      - .offset:         120
        .size:           4
        .value_kind:     by_value
      - .offset:         128
        .size:           8
        .value_kind:     by_value
      - .offset:         136
        .size:           4
        .value_kind:     by_value
    .group_segment_fixed_size: 1024
    .kernarg_segment_align: 8
    .kernarg_segment_size: 140
    .language:       OpenCL C
    .language_version:
      - 2
      - 0
    .max_flat_workgroup_size: 256
    .name:           _ZL20rocblas_gemvt_kernelILb1ELi256E16rocblas_bfloat16PKfS0_EviiT2_lPKT1_lilS6_lilS3_lPT3_lili
    .private_segment_fixed_size: 0
    .sgpr_count:     30
    .sgpr_spill_count: 0
    .symbol:         _ZL20rocblas_gemvt_kernelILb1ELi256E16rocblas_bfloat16PKfS0_EviiT2_lPKT1_lilS6_lilS3_lPT3_lili.kd
    .uniform_work_group_size: 1
    .uses_dynamic_stack: false
    .vgpr_count:     11
    .vgpr_spill_count: 0
    .wavefront_size: 32
    .workgroup_processor_mode: 1
  - .args:
      - .offset:         0
        .size:           4
        .value_kind:     by_value
      - .offset:         4
        .size:           4
        .value_kind:     by_value
      - .offset:         8
        .size:           4
        .value_kind:     by_value
      - .offset:         16
        .size:           8
        .value_kind:     by_value
      - .address_space:  global
        .offset:         24
        .size:           8
        .value_kind:     global_buffer
      - .offset:         32
        .size:           8
        .value_kind:     by_value
      - .offset:         40
        .size:           4
        .value_kind:     by_value
      - .offset:         48
        .size:           8
        .value_kind:     by_value
      - .address_space:  global
        .offset:         56
        .size:           8
        .value_kind:     global_buffer
      - .offset:         64
        .size:           8
        .value_kind:     by_value
      - .offset:         72
        .size:           4
        .value_kind:     by_value
      - .offset:         80
        .size:           8
        .value_kind:     by_value
      - .offset:         88
        .size:           4
        .value_kind:     by_value
      - .offset:         96
        .size:           8
        .value_kind:     by_value
      - .address_space:  global
        .offset:         104
        .size:           8
        .value_kind:     global_buffer
      - .offset:         112
        .size:           8
        .value_kind:     by_value
      - .offset:         120
        .size:           4
        .value_kind:     by_value
      - .offset:         128
        .size:           8
        .value_kind:     by_value
      - .offset:         136
        .size:           4
        .value_kind:     by_value
    .group_segment_fixed_size: 1024
    .kernarg_segment_align: 8
    .kernarg_segment_size: 140
    .language:       OpenCL C
    .language_version:
      - 2
      - 0
    .max_flat_workgroup_size: 256
    .name:           _ZL20rocblas_gemvt_kernelILb1ELi256E16rocblas_bfloat16fS0_EviiT2_lPKT1_lilS4_lilS1_lPT3_lili
    .private_segment_fixed_size: 0
    .sgpr_count:     30
    .sgpr_spill_count: 0
    .symbol:         _ZL20rocblas_gemvt_kernelILb1ELi256E16rocblas_bfloat16fS0_EviiT2_lPKT1_lilS4_lilS1_lPT3_lili.kd
    .uniform_work_group_size: 1
    .uses_dynamic_stack: false
    .vgpr_count:     11
    .vgpr_spill_count: 0
    .wavefront_size: 32
    .workgroup_processor_mode: 1
  - .args:
      - .offset:         0
        .size:           4
        .value_kind:     by_value
      - .offset:         4
        .size:           4
        .value_kind:     by_value
      - .address_space:  global
        .offset:         8
        .size:           8
        .value_kind:     global_buffer
      - .offset:         16
        .size:           8
        .value_kind:     by_value
      - .address_space:  global
        .offset:         24
        .size:           8
        .value_kind:     global_buffer
      - .offset:         32
        .size:           8
        .value_kind:     by_value
      - .offset:         40
        .size:           4
        .value_kind:     by_value
      - .offset:         48
        .size:           8
        .value_kind:     by_value
      - .address_space:  global
        .offset:         56
        .size:           8
        .value_kind:     global_buffer
      - .offset:         64
        .size:           8
        .value_kind:     by_value
      - .offset:         72
        .size:           4
        .value_kind:     by_value
      - .offset:         80
        .size:           8
        .value_kind:     by_value
      - .address_space:  global
        .offset:         88
        .size:           8
        .value_kind:     global_buffer
      - .offset:         96
        .size:           8
        .value_kind:     by_value
      - .address_space:  global
        .offset:         104
        .size:           8
        .value_kind:     global_buffer
      - .offset:         112
        .size:           8
        .value_kind:     by_value
      - .offset:         120
        .size:           4
        .value_kind:     by_value
      - .offset:         128
        .size:           8
        .value_kind:     by_value
      - .offset:         136
        .size:           4
        .value_kind:     by_value
    .group_segment_fixed_size: 128
    .kernarg_segment_align: 8
    .kernarg_segment_size: 140
    .language:       OpenCL C
    .language_version:
      - 2
      - 0
    .max_flat_workgroup_size: 1024
    .name:           _ZL32rocblas_gemvt_warp_reduce_kernelILb1ELi1024Ei16rocblas_bfloat16PKfS0_EviiT3_lPKT2_lT1_lS6_lS7_lS3_lPT4_lS7_li
    .private_segment_fixed_size: 0
    .sgpr_count:     27
    .sgpr_spill_count: 0
    .symbol:         _ZL32rocblas_gemvt_warp_reduce_kernelILb1ELi1024Ei16rocblas_bfloat16PKfS0_EviiT3_lPKT2_lT1_lS6_lS7_lS3_lPT4_lS7_li.kd
    .uniform_work_group_size: 1
    .uses_dynamic_stack: false
    .vgpr_count:     11
    .vgpr_spill_count: 0
    .wavefront_size: 32
    .workgroup_processor_mode: 1
  - .args:
      - .offset:         0
        .size:           4
        .value_kind:     by_value
      - .offset:         4
        .size:           4
        .value_kind:     by_value
      - .address_space:  global
        .offset:         8
        .size:           8
        .value_kind:     global_buffer
      - .offset:         16
        .size:           8
        .value_kind:     by_value
      - .address_space:  global
        .offset:         24
        .size:           8
        .value_kind:     global_buffer
      - .offset:         32
        .size:           8
        .value_kind:     by_value
      - .offset:         40
        .size:           8
        .value_kind:     by_value
      - .offset:         48
        .size:           8
        .value_kind:     by_value
      - .address_space:  global
        .offset:         56
        .size:           8
        .value_kind:     global_buffer
      - .offset:         64
        .size:           8
        .value_kind:     by_value
      - .offset:         72
        .size:           8
        .value_kind:     by_value
      - .offset:         80
        .size:           8
        .value_kind:     by_value
      - .address_space:  global
        .offset:         88
        .size:           8
        .value_kind:     global_buffer
      - .offset:         96
        .size:           8
        .value_kind:     by_value
      - .address_space:  global
        .offset:         104
        .size:           8
        .value_kind:     global_buffer
      - .offset:         112
        .size:           8
        .value_kind:     by_value
      - .offset:         120
        .size:           8
        .value_kind:     by_value
      - .offset:         128
        .size:           8
        .value_kind:     by_value
      - .offset:         136
        .size:           4
        .value_kind:     by_value
    .group_segment_fixed_size: 128
    .kernarg_segment_align: 8
    .kernarg_segment_size: 140
    .language:       OpenCL C
    .language_version:
      - 2
      - 0
    .max_flat_workgroup_size: 1024
    .name:           _ZL32rocblas_gemvt_warp_reduce_kernelILb1ELi1024El16rocblas_bfloat16PKfS0_EviiT3_lPKT2_lT1_lS6_lS7_lS3_lPT4_lS7_li
    .private_segment_fixed_size: 0
    .sgpr_count:     54
    .sgpr_spill_count: 0
    .symbol:         _ZL32rocblas_gemvt_warp_reduce_kernelILb1ELi1024El16rocblas_bfloat16PKfS0_EviiT3_lPKT2_lT1_lS6_lS7_lS3_lPT4_lS7_li.kd
    .uniform_work_group_size: 1
    .uses_dynamic_stack: false
    .vgpr_count:     12
    .vgpr_spill_count: 0
    .wavefront_size: 32
    .workgroup_processor_mode: 1
  - .args:
      - .offset:         0
        .size:           4
        .value_kind:     by_value
      - .offset:         4
        .size:           4
        .value_kind:     by_value
      - .offset:         8
        .size:           4
        .value_kind:     by_value
      - .offset:         16
        .size:           8
        .value_kind:     by_value
      - .address_space:  global
        .offset:         24
        .size:           8
        .value_kind:     global_buffer
      - .offset:         32
        .size:           8
        .value_kind:     by_value
      - .offset:         40
        .size:           4
        .value_kind:     by_value
      - .offset:         48
        .size:           8
        .value_kind:     by_value
      - .address_space:  global
        .offset:         56
        .size:           8
        .value_kind:     global_buffer
      - .offset:         64
        .size:           8
        .value_kind:     by_value
      - .offset:         72
        .size:           4
        .value_kind:     by_value
      - .offset:         80
        .size:           8
        .value_kind:     by_value
      - .offset:         88
        .size:           4
        .value_kind:     by_value
      - .offset:         96
        .size:           8
        .value_kind:     by_value
      - .address_space:  global
        .offset:         104
        .size:           8
        .value_kind:     global_buffer
      - .offset:         112
        .size:           8
        .value_kind:     by_value
      - .offset:         120
        .size:           4
        .value_kind:     by_value
      - .offset:         128
        .size:           8
        .value_kind:     by_value
      - .offset:         136
        .size:           4
        .value_kind:     by_value
    .group_segment_fixed_size: 128
    .kernarg_segment_align: 8
    .kernarg_segment_size: 140
    .language:       OpenCL C
    .language_version:
      - 2
      - 0
    .max_flat_workgroup_size: 1024
    .name:           _ZL32rocblas_gemvt_warp_reduce_kernelILb1ELi1024Ei16rocblas_bfloat16fS0_EviiT3_lPKT2_lT1_lS4_lS5_lS1_lPT4_lS5_li
    .private_segment_fixed_size: 0
    .sgpr_count:     26
    .sgpr_spill_count: 0
    .symbol:         _ZL32rocblas_gemvt_warp_reduce_kernelILb1ELi1024Ei16rocblas_bfloat16fS0_EviiT3_lPKT2_lT1_lS4_lS5_lS1_lPT4_lS5_li.kd
    .uniform_work_group_size: 1
    .uses_dynamic_stack: false
    .vgpr_count:     11
    .vgpr_spill_count: 0
    .wavefront_size: 32
    .workgroup_processor_mode: 1
  - .args:
      - .offset:         0
        .size:           4
        .value_kind:     by_value
      - .offset:         4
        .size:           4
        .value_kind:     by_value
      - .offset:         8
        .size:           4
        .value_kind:     by_value
      - .offset:         16
        .size:           8
        .value_kind:     by_value
      - .address_space:  global
        .offset:         24
        .size:           8
        .value_kind:     global_buffer
      - .offset:         32
        .size:           8
        .value_kind:     by_value
      - .offset:         40
        .size:           8
        .value_kind:     by_value
      - .offset:         48
        .size:           8
        .value_kind:     by_value
      - .address_space:  global
        .offset:         56
        .size:           8
        .value_kind:     global_buffer
      - .offset:         64
        .size:           8
        .value_kind:     by_value
      - .offset:         72
        .size:           8
        .value_kind:     by_value
      - .offset:         80
        .size:           8
        .value_kind:     by_value
      - .offset:         88
        .size:           4
        .value_kind:     by_value
      - .offset:         96
        .size:           8
        .value_kind:     by_value
      - .address_space:  global
        .offset:         104
        .size:           8
        .value_kind:     global_buffer
      - .offset:         112
        .size:           8
        .value_kind:     by_value
      - .offset:         120
        .size:           8
        .value_kind:     by_value
      - .offset:         128
        .size:           8
        .value_kind:     by_value
      - .offset:         136
        .size:           4
        .value_kind:     by_value
    .group_segment_fixed_size: 128
    .kernarg_segment_align: 8
    .kernarg_segment_size: 140
    .language:       OpenCL C
    .language_version:
      - 2
      - 0
    .max_flat_workgroup_size: 1024
    .name:           _ZL32rocblas_gemvt_warp_reduce_kernelILb1ELi1024El16rocblas_bfloat16fS0_EviiT3_lPKT2_lT1_lS4_lS5_lS1_lPT4_lS5_li
    .private_segment_fixed_size: 0
    .sgpr_count:     36
    .sgpr_spill_count: 0
    .symbol:         _ZL32rocblas_gemvt_warp_reduce_kernelILb1ELi1024El16rocblas_bfloat16fS0_EviiT3_lPKT2_lT1_lS4_lS5_lS1_lPT4_lS5_li.kd
    .uniform_work_group_size: 1
    .uses_dynamic_stack: false
    .vgpr_count:     12
    .vgpr_spill_count: 0
    .wavefront_size: 32
    .workgroup_processor_mode: 1
  - .args:
      - .offset:         0
        .size:           4
        .value_kind:     by_value
      - .offset:         4
        .size:           4
        .value_kind:     by_value
      - .address_space:  global
        .offset:         8
        .size:           8
        .value_kind:     global_buffer
      - .offset:         16
        .size:           8
        .value_kind:     by_value
      - .address_space:  global
        .offset:         24
        .size:           8
        .value_kind:     global_buffer
      - .offset:         32
        .size:           8
        .value_kind:     by_value
      - .offset:         40
        .size:           4
        .value_kind:     by_value
      - .offset:         48
        .size:           8
        .value_kind:     by_value
      - .address_space:  global
        .offset:         56
        .size:           8
        .value_kind:     global_buffer
      - .offset:         64
        .size:           8
        .value_kind:     by_value
      - .offset:         72
        .size:           4
        .value_kind:     by_value
      - .offset:         80
        .size:           8
        .value_kind:     by_value
      - .address_space:  global
        .offset:         88
        .size:           8
        .value_kind:     global_buffer
      - .offset:         96
        .size:           8
        .value_kind:     by_value
      - .address_space:  global
        .offset:         104
        .size:           8
        .value_kind:     global_buffer
      - .offset:         112
        .size:           8
        .value_kind:     by_value
      - .offset:         120
        .size:           4
        .value_kind:     by_value
      - .offset:         128
        .size:           8
        .value_kind:     by_value
      - .offset:         136
        .size:           4
        .value_kind:     by_value
    .group_segment_fixed_size: 0
    .kernarg_segment_align: 8
    .kernarg_segment_size: 140
    .language:       OpenCL C
    .language_version:
      - 2
      - 0
    .max_flat_workgroup_size: 768
    .name:           _ZL34rocblas_gemvn_sm_mn_batched_kernelILi32ELi24EPK16rocblas_bfloat16PKfKPS0_EviiT2_lPKT1_lilSA_lilS7_lPT3_lili
    .private_segment_fixed_size: 0
    .sgpr_count:     0
    .sgpr_spill_count: 0
    .symbol:         _ZL34rocblas_gemvn_sm_mn_batched_kernelILi32ELi24EPK16rocblas_bfloat16PKfKPS0_EviiT2_lPKT1_lilSA_lilS7_lPT3_lili.kd
    .uniform_work_group_size: 1
    .uses_dynamic_stack: false
    .vgpr_count:     0
    .vgpr_spill_count: 0
    .wavefront_size: 32
    .workgroup_processor_mode: 1
  - .args:
      - .offset:         0
        .size:           4
        .value_kind:     by_value
      - .offset:         4
        .size:           4
        .value_kind:     by_value
      - .offset:         8
        .size:           4
        .value_kind:     by_value
      - .offset:         16
        .size:           8
        .value_kind:     by_value
      - .address_space:  global
        .offset:         24
        .size:           8
        .value_kind:     global_buffer
      - .offset:         32
        .size:           8
        .value_kind:     by_value
      - .offset:         40
        .size:           4
        .value_kind:     by_value
      - .offset:         48
        .size:           8
        .value_kind:     by_value
      - .address_space:  global
        .offset:         56
        .size:           8
        .value_kind:     global_buffer
      - .offset:         64
        .size:           8
        .value_kind:     by_value
      - .offset:         72
        .size:           4
        .value_kind:     by_value
      - .offset:         80
        .size:           8
        .value_kind:     by_value
      - .offset:         88
        .size:           4
        .value_kind:     by_value
      - .offset:         96
        .size:           8
        .value_kind:     by_value
      - .address_space:  global
        .offset:         104
        .size:           8
        .value_kind:     global_buffer
      - .offset:         112
        .size:           8
        .value_kind:     by_value
      - .offset:         120
        .size:           4
        .value_kind:     by_value
      - .offset:         128
        .size:           8
        .value_kind:     by_value
      - .offset:         136
        .size:           4
        .value_kind:     by_value
    .group_segment_fixed_size: 0
    .kernarg_segment_align: 8
    .kernarg_segment_size: 140
    .language:       OpenCL C
    .language_version:
      - 2
      - 0
    .max_flat_workgroup_size: 768
    .name:           _ZL34rocblas_gemvn_sm_mn_batched_kernelILi32ELi24EPK16rocblas_bfloat16fKPS0_EviiT2_lPKT1_lilS8_lilS5_lPT3_lili
    .private_segment_fixed_size: 0
    .sgpr_count:     0
    .sgpr_spill_count: 0
    .symbol:         _ZL34rocblas_gemvn_sm_mn_batched_kernelILi32ELi24EPK16rocblas_bfloat16fKPS0_EviiT2_lPKT1_lilS8_lilS5_lPT3_lili.kd
    .uniform_work_group_size: 1
    .uses_dynamic_stack: false
    .vgpr_count:     0
    .vgpr_spill_count: 0
    .wavefront_size: 32
    .workgroup_processor_mode: 1
  - .args:
      - .offset:         0
        .size:           4
        .value_kind:     by_value
      - .offset:         4
        .size:           4
        .value_kind:     by_value
      - .address_space:  global
        .offset:         8
        .size:           8
        .value_kind:     global_buffer
      - .offset:         16
        .size:           8
        .value_kind:     by_value
      - .address_space:  global
        .offset:         24
        .size:           8
        .value_kind:     global_buffer
      - .offset:         32
        .size:           8
        .value_kind:     by_value
      - .offset:         40
        .size:           4
        .value_kind:     by_value
      - .offset:         48
        .size:           8
        .value_kind:     by_value
      - .address_space:  global
        .offset:         56
        .size:           8
        .value_kind:     global_buffer
      - .offset:         64
        .size:           8
        .value_kind:     by_value
      - .offset:         72
        .size:           4
        .value_kind:     by_value
      - .offset:         80
        .size:           8
        .value_kind:     by_value
      - .address_space:  global
        .offset:         88
        .size:           8
        .value_kind:     global_buffer
      - .offset:         96
        .size:           8
        .value_kind:     by_value
      - .address_space:  global
        .offset:         104
        .size:           8
        .value_kind:     global_buffer
      - .offset:         112
        .size:           8
        .value_kind:     by_value
      - .offset:         120
        .size:           4
        .value_kind:     by_value
      - .offset:         128
        .size:           8
        .value_kind:     by_value
      - .offset:         136
        .size:           4
        .value_kind:     by_value
      - .offset:         144
        .size:           4
        .value_kind:     hidden_block_count_x
      - .offset:         148
        .size:           4
        .value_kind:     hidden_block_count_y
      - .offset:         152
        .size:           4
        .value_kind:     hidden_block_count_z
      - .offset:         156
        .size:           2
        .value_kind:     hidden_group_size_x
      - .offset:         158
        .size:           2
        .value_kind:     hidden_group_size_y
      - .offset:         160
        .size:           2
        .value_kind:     hidden_group_size_z
      - .offset:         162
        .size:           2
        .value_kind:     hidden_remainder_x
      - .offset:         164
        .size:           2
        .value_kind:     hidden_remainder_y
      - .offset:         166
        .size:           2
        .value_kind:     hidden_remainder_z
      - .offset:         184
        .size:           8
        .value_kind:     hidden_global_offset_x
      - .offset:         192
        .size:           8
        .value_kind:     hidden_global_offset_y
      - .offset:         200
        .size:           8
        .value_kind:     hidden_global_offset_z
      - .offset:         208
        .size:           2
        .value_kind:     hidden_grid_dims
    .group_segment_fixed_size: 4096
    .kernarg_segment_align: 8
    .kernarg_segment_size: 400
    .language:       OpenCL C
    .language_version:
      - 2
      - 0
    .max_flat_workgroup_size: 256
    .name:           _ZL20rocblas_gemvn_kernelILi64ELi4EiPK16rocblas_bfloat16PKfKPS0_EviiT3_lPKT2_lT1_lSA_lSB_lS7_lPT4_lSB_li
    .private_segment_fixed_size: 0
    .sgpr_count:     30
    .sgpr_spill_count: 0
    .symbol:         _ZL20rocblas_gemvn_kernelILi64ELi4EiPK16rocblas_bfloat16PKfKPS0_EviiT3_lPKT2_lT1_lSA_lSB_lS7_lPT4_lSB_li.kd
    .uniform_work_group_size: 1
    .uses_dynamic_stack: false
    .vgpr_count:     41
    .vgpr_spill_count: 0
    .wavefront_size: 32
    .workgroup_processor_mode: 1
  - .args:
      - .offset:         0
        .size:           4
        .value_kind:     by_value
      - .offset:         4
        .size:           4
        .value_kind:     by_value
      - .address_space:  global
        .offset:         8
        .size:           8
        .value_kind:     global_buffer
      - .offset:         16
        .size:           8
        .value_kind:     by_value
      - .address_space:  global
        .offset:         24
        .size:           8
        .value_kind:     global_buffer
      - .offset:         32
        .size:           8
        .value_kind:     by_value
      - .offset:         40
        .size:           8
        .value_kind:     by_value
      - .offset:         48
        .size:           8
        .value_kind:     by_value
      - .address_space:  global
        .offset:         56
        .size:           8
        .value_kind:     global_buffer
      - .offset:         64
        .size:           8
        .value_kind:     by_value
      - .offset:         72
        .size:           8
        .value_kind:     by_value
      - .offset:         80
        .size:           8
        .value_kind:     by_value
      - .address_space:  global
        .offset:         88
        .size:           8
        .value_kind:     global_buffer
      - .offset:         96
        .size:           8
        .value_kind:     by_value
      - .address_space:  global
        .offset:         104
        .size:           8
        .value_kind:     global_buffer
      - .offset:         112
        .size:           8
        .value_kind:     by_value
      - .offset:         120
        .size:           8
        .value_kind:     by_value
      - .offset:         128
        .size:           8
        .value_kind:     by_value
      - .offset:         136
        .size:           4
        .value_kind:     by_value
      - .offset:         144
        .size:           4
        .value_kind:     hidden_block_count_x
      - .offset:         148
        .size:           4
        .value_kind:     hidden_block_count_y
      - .offset:         152
        .size:           4
        .value_kind:     hidden_block_count_z
      - .offset:         156
        .size:           2
        .value_kind:     hidden_group_size_x
      - .offset:         158
        .size:           2
        .value_kind:     hidden_group_size_y
      - .offset:         160
        .size:           2
        .value_kind:     hidden_group_size_z
      - .offset:         162
        .size:           2
        .value_kind:     hidden_remainder_x
      - .offset:         164
        .size:           2
        .value_kind:     hidden_remainder_y
      - .offset:         166
        .size:           2
        .value_kind:     hidden_remainder_z
      - .offset:         184
        .size:           8
        .value_kind:     hidden_global_offset_x
      - .offset:         192
        .size:           8
        .value_kind:     hidden_global_offset_y
      - .offset:         200
        .size:           8
        .value_kind:     hidden_global_offset_z
      - .offset:         208
        .size:           2
        .value_kind:     hidden_grid_dims
    .group_segment_fixed_size: 4096
    .kernarg_segment_align: 8
    .kernarg_segment_size: 400
    .language:       OpenCL C
    .language_version:
      - 2
      - 0
    .max_flat_workgroup_size: 256
    .name:           _ZL20rocblas_gemvn_kernelILi64ELi4ElPK16rocblas_bfloat16PKfKPS0_EviiT3_lPKT2_lT1_lSA_lSB_lS7_lPT4_lSB_li
    .private_segment_fixed_size: 0
    .sgpr_count:     37
    .sgpr_spill_count: 0
    .symbol:         _ZL20rocblas_gemvn_kernelILi64ELi4ElPK16rocblas_bfloat16PKfKPS0_EviiT3_lPKT2_lT1_lSA_lSB_lS7_lPT4_lSB_li.kd
    .uniform_work_group_size: 1
    .uses_dynamic_stack: false
    .vgpr_count:     51
    .vgpr_spill_count: 0
    .wavefront_size: 32
    .workgroup_processor_mode: 1
  - .args:
      - .offset:         0
        .size:           4
        .value_kind:     by_value
      - .offset:         4
        .size:           4
        .value_kind:     by_value
      - .offset:         8
        .size:           4
        .value_kind:     by_value
      - .offset:         16
        .size:           8
        .value_kind:     by_value
      - .address_space:  global
        .offset:         24
        .size:           8
        .value_kind:     global_buffer
      - .offset:         32
        .size:           8
        .value_kind:     by_value
      - .offset:         40
        .size:           4
        .value_kind:     by_value
      - .offset:         48
        .size:           8
        .value_kind:     by_value
      - .address_space:  global
        .offset:         56
        .size:           8
        .value_kind:     global_buffer
      - .offset:         64
        .size:           8
        .value_kind:     by_value
      - .offset:         72
        .size:           4
        .value_kind:     by_value
      - .offset:         80
        .size:           8
        .value_kind:     by_value
      - .offset:         88
        .size:           4
        .value_kind:     by_value
      - .offset:         96
        .size:           8
        .value_kind:     by_value
      - .address_space:  global
        .offset:         104
        .size:           8
        .value_kind:     global_buffer
      - .offset:         112
        .size:           8
        .value_kind:     by_value
      - .offset:         120
        .size:           4
        .value_kind:     by_value
      - .offset:         128
        .size:           8
        .value_kind:     by_value
      - .offset:         136
        .size:           4
        .value_kind:     by_value
      - .offset:         144
        .size:           4
        .value_kind:     hidden_block_count_x
      - .offset:         148
        .size:           4
        .value_kind:     hidden_block_count_y
      - .offset:         152
        .size:           4
        .value_kind:     hidden_block_count_z
      - .offset:         156
        .size:           2
        .value_kind:     hidden_group_size_x
      - .offset:         158
        .size:           2
        .value_kind:     hidden_group_size_y
      - .offset:         160
        .size:           2
        .value_kind:     hidden_group_size_z
      - .offset:         162
        .size:           2
        .value_kind:     hidden_remainder_x
      - .offset:         164
        .size:           2
        .value_kind:     hidden_remainder_y
      - .offset:         166
        .size:           2
        .value_kind:     hidden_remainder_z
      - .offset:         184
        .size:           8
        .value_kind:     hidden_global_offset_x
      - .offset:         192
        .size:           8
        .value_kind:     hidden_global_offset_y
      - .offset:         200
        .size:           8
        .value_kind:     hidden_global_offset_z
      - .offset:         208
        .size:           2
        .value_kind:     hidden_grid_dims
    .group_segment_fixed_size: 4096
    .kernarg_segment_align: 8
    .kernarg_segment_size: 400
    .language:       OpenCL C
    .language_version:
      - 2
      - 0
    .max_flat_workgroup_size: 256
    .name:           _ZL20rocblas_gemvn_kernelILi64ELi4EiPK16rocblas_bfloat16fKPS0_EviiT3_lPKT2_lT1_lS8_lS9_lS5_lPT4_lS9_li
    .private_segment_fixed_size: 0
    .sgpr_count:     30
    .sgpr_spill_count: 0
    .symbol:         _ZL20rocblas_gemvn_kernelILi64ELi4EiPK16rocblas_bfloat16fKPS0_EviiT3_lPKT2_lT1_lS8_lS9_lS5_lPT4_lS9_li.kd
    .uniform_work_group_size: 1
    .uses_dynamic_stack: false
    .vgpr_count:     41
    .vgpr_spill_count: 0
    .wavefront_size: 32
    .workgroup_processor_mode: 1
  - .args:
      - .offset:         0
        .size:           4
        .value_kind:     by_value
      - .offset:         4
        .size:           4
        .value_kind:     by_value
      - .offset:         8
        .size:           4
        .value_kind:     by_value
      - .offset:         16
        .size:           8
        .value_kind:     by_value
      - .address_space:  global
        .offset:         24
        .size:           8
        .value_kind:     global_buffer
      - .offset:         32
        .size:           8
        .value_kind:     by_value
      - .offset:         40
        .size:           8
        .value_kind:     by_value
      - .offset:         48
        .size:           8
        .value_kind:     by_value
      - .address_space:  global
        .offset:         56
        .size:           8
        .value_kind:     global_buffer
      - .offset:         64
        .size:           8
        .value_kind:     by_value
      - .offset:         72
        .size:           8
        .value_kind:     by_value
      - .offset:         80
        .size:           8
        .value_kind:     by_value
      - .offset:         88
        .size:           4
        .value_kind:     by_value
      - .offset:         96
        .size:           8
        .value_kind:     by_value
      - .address_space:  global
        .offset:         104
        .size:           8
        .value_kind:     global_buffer
      - .offset:         112
        .size:           8
        .value_kind:     by_value
      - .offset:         120
        .size:           8
        .value_kind:     by_value
      - .offset:         128
        .size:           8
        .value_kind:     by_value
      - .offset:         136
        .size:           4
        .value_kind:     by_value
      - .offset:         144
        .size:           4
        .value_kind:     hidden_block_count_x
      - .offset:         148
        .size:           4
        .value_kind:     hidden_block_count_y
      - .offset:         152
        .size:           4
        .value_kind:     hidden_block_count_z
      - .offset:         156
        .size:           2
        .value_kind:     hidden_group_size_x
      - .offset:         158
        .size:           2
        .value_kind:     hidden_group_size_y
      - .offset:         160
        .size:           2
        .value_kind:     hidden_group_size_z
      - .offset:         162
        .size:           2
        .value_kind:     hidden_remainder_x
      - .offset:         164
        .size:           2
        .value_kind:     hidden_remainder_y
      - .offset:         166
        .size:           2
        .value_kind:     hidden_remainder_z
      - .offset:         184
        .size:           8
        .value_kind:     hidden_global_offset_x
      - .offset:         192
        .size:           8
        .value_kind:     hidden_global_offset_y
      - .offset:         200
        .size:           8
        .value_kind:     hidden_global_offset_z
      - .offset:         208
        .size:           2
        .value_kind:     hidden_grid_dims
    .group_segment_fixed_size: 4096
    .kernarg_segment_align: 8
    .kernarg_segment_size: 400
    .language:       OpenCL C
    .language_version:
      - 2
      - 0
    .max_flat_workgroup_size: 256
    .name:           _ZL20rocblas_gemvn_kernelILi64ELi4ElPK16rocblas_bfloat16fKPS0_EviiT3_lPKT2_lT1_lS8_lS9_lS5_lPT4_lS9_li
    .private_segment_fixed_size: 0
    .sgpr_count:     37
    .sgpr_spill_count: 0
    .symbol:         _ZL20rocblas_gemvn_kernelILi64ELi4ElPK16rocblas_bfloat16fKPS0_EviiT3_lPKT2_lT1_lS8_lS9_lS5_lPT4_lS9_li.kd
    .uniform_work_group_size: 1
    .uses_dynamic_stack: false
    .vgpr_count:     51
    .vgpr_spill_count: 0
    .wavefront_size: 32
    .workgroup_processor_mode: 1
  - .args:
      - .offset:         0
        .size:           4
        .value_kind:     by_value
      - .offset:         4
        .size:           4
        .value_kind:     by_value
      - .address_space:  global
        .offset:         8
        .size:           8
        .value_kind:     global_buffer
      - .offset:         16
        .size:           8
        .value_kind:     by_value
      - .address_space:  global
        .offset:         24
        .size:           8
        .value_kind:     global_buffer
      - .offset:         32
        .size:           8
        .value_kind:     by_value
      - .offset:         40
        .size:           4
        .value_kind:     by_value
      - .offset:         48
        .size:           8
        .value_kind:     by_value
      - .address_space:  global
        .offset:         56
        .size:           8
        .value_kind:     global_buffer
      - .offset:         64
        .size:           8
        .value_kind:     by_value
      - .offset:         72
        .size:           4
        .value_kind:     by_value
      - .offset:         80
        .size:           8
        .value_kind:     by_value
      - .address_space:  global
        .offset:         88
        .size:           8
        .value_kind:     global_buffer
      - .offset:         96
        .size:           8
        .value_kind:     by_value
      - .address_space:  global
        .offset:         104
        .size:           8
        .value_kind:     global_buffer
      - .offset:         112
        .size:           8
        .value_kind:     by_value
      - .offset:         120
        .size:           4
        .value_kind:     by_value
      - .offset:         128
        .size:           8
        .value_kind:     by_value
      - .offset:         136
        .size:           4
        .value_kind:     by_value
      - .offset:         144
        .size:           4
        .value_kind:     hidden_block_count_x
      - .offset:         148
        .size:           4
        .value_kind:     hidden_block_count_y
      - .offset:         152
        .size:           4
        .value_kind:     hidden_block_count_z
      - .offset:         156
        .size:           2
        .value_kind:     hidden_group_size_x
      - .offset:         158
        .size:           2
        .value_kind:     hidden_group_size_y
      - .offset:         160
        .size:           2
        .value_kind:     hidden_group_size_z
      - .offset:         162
        .size:           2
        .value_kind:     hidden_remainder_x
      - .offset:         164
        .size:           2
        .value_kind:     hidden_remainder_y
      - .offset:         166
        .size:           2
        .value_kind:     hidden_remainder_z
      - .offset:         184
        .size:           8
        .value_kind:     hidden_global_offset_x
      - .offset:         192
        .size:           8
        .value_kind:     hidden_global_offset_y
      - .offset:         200
        .size:           8
        .value_kind:     hidden_global_offset_z
      - .offset:         208
        .size:           2
        .value_kind:     hidden_grid_dims
    .group_segment_fixed_size: 8192
    .kernarg_segment_align: 8
    .kernarg_segment_size: 400
    .language:       OpenCL C
    .language_version:
      - 2
      - 0
    .max_flat_workgroup_size: 512
    .name:           _ZL20rocblas_gemvn_kernelILi32ELi16EiPK16rocblas_bfloat16PKfKPS0_EviiT3_lPKT2_lT1_lSA_lSB_lS7_lPT4_lSB_li
    .private_segment_fixed_size: 0
    .sgpr_count:     30
    .sgpr_spill_count: 0
    .symbol:         _ZL20rocblas_gemvn_kernelILi32ELi16EiPK16rocblas_bfloat16PKfKPS0_EviiT3_lPKT2_lT1_lSA_lSB_lS7_lPT4_lSB_li.kd
    .uniform_work_group_size: 1
    .uses_dynamic_stack: false
    .vgpr_count:     41
    .vgpr_spill_count: 0
    .wavefront_size: 32
    .workgroup_processor_mode: 1
  - .args:
      - .offset:         0
        .size:           4
        .value_kind:     by_value
      - .offset:         4
        .size:           4
        .value_kind:     by_value
      - .address_space:  global
        .offset:         8
        .size:           8
        .value_kind:     global_buffer
      - .offset:         16
        .size:           8
        .value_kind:     by_value
      - .address_space:  global
        .offset:         24
        .size:           8
        .value_kind:     global_buffer
      - .offset:         32
        .size:           8
        .value_kind:     by_value
      - .offset:         40
        .size:           8
        .value_kind:     by_value
      - .offset:         48
        .size:           8
        .value_kind:     by_value
      - .address_space:  global
        .offset:         56
        .size:           8
        .value_kind:     global_buffer
      - .offset:         64
        .size:           8
        .value_kind:     by_value
      - .offset:         72
        .size:           8
        .value_kind:     by_value
      - .offset:         80
        .size:           8
        .value_kind:     by_value
      - .address_space:  global
        .offset:         88
        .size:           8
        .value_kind:     global_buffer
      - .offset:         96
        .size:           8
        .value_kind:     by_value
      - .address_space:  global
        .offset:         104
        .size:           8
        .value_kind:     global_buffer
      - .offset:         112
        .size:           8
        .value_kind:     by_value
      - .offset:         120
        .size:           8
        .value_kind:     by_value
      - .offset:         128
        .size:           8
        .value_kind:     by_value
      - .offset:         136
        .size:           4
        .value_kind:     by_value
      - .offset:         144
        .size:           4
        .value_kind:     hidden_block_count_x
      - .offset:         148
        .size:           4
        .value_kind:     hidden_block_count_y
      - .offset:         152
        .size:           4
        .value_kind:     hidden_block_count_z
      - .offset:         156
        .size:           2
        .value_kind:     hidden_group_size_x
      - .offset:         158
        .size:           2
        .value_kind:     hidden_group_size_y
      - .offset:         160
        .size:           2
        .value_kind:     hidden_group_size_z
      - .offset:         162
        .size:           2
        .value_kind:     hidden_remainder_x
      - .offset:         164
        .size:           2
        .value_kind:     hidden_remainder_y
      - .offset:         166
        .size:           2
        .value_kind:     hidden_remainder_z
      - .offset:         184
        .size:           8
        .value_kind:     hidden_global_offset_x
      - .offset:         192
        .size:           8
        .value_kind:     hidden_global_offset_y
      - .offset:         200
        .size:           8
        .value_kind:     hidden_global_offset_z
      - .offset:         208
        .size:           2
        .value_kind:     hidden_grid_dims
    .group_segment_fixed_size: 8192
    .kernarg_segment_align: 8
    .kernarg_segment_size: 400
    .language:       OpenCL C
    .language_version:
      - 2
      - 0
    .max_flat_workgroup_size: 512
    .name:           _ZL20rocblas_gemvn_kernelILi32ELi16ElPK16rocblas_bfloat16PKfKPS0_EviiT3_lPKT2_lT1_lSA_lSB_lS7_lPT4_lSB_li
    .private_segment_fixed_size: 0
    .sgpr_count:     37
    .sgpr_spill_count: 0
    .symbol:         _ZL20rocblas_gemvn_kernelILi32ELi16ElPK16rocblas_bfloat16PKfKPS0_EviiT3_lPKT2_lT1_lSA_lSB_lS7_lPT4_lSB_li.kd
    .uniform_work_group_size: 1
    .uses_dynamic_stack: false
    .vgpr_count:     51
    .vgpr_spill_count: 0
    .wavefront_size: 32
    .workgroup_processor_mode: 1
  - .args:
      - .offset:         0
        .size:           4
        .value_kind:     by_value
      - .offset:         4
        .size:           4
        .value_kind:     by_value
      - .offset:         8
        .size:           4
        .value_kind:     by_value
      - .offset:         16
        .size:           8
        .value_kind:     by_value
      - .address_space:  global
        .offset:         24
        .size:           8
        .value_kind:     global_buffer
      - .offset:         32
        .size:           8
        .value_kind:     by_value
      - .offset:         40
        .size:           4
        .value_kind:     by_value
      - .offset:         48
        .size:           8
        .value_kind:     by_value
      - .address_space:  global
        .offset:         56
        .size:           8
        .value_kind:     global_buffer
      - .offset:         64
        .size:           8
        .value_kind:     by_value
      - .offset:         72
        .size:           4
        .value_kind:     by_value
      - .offset:         80
        .size:           8
        .value_kind:     by_value
      - .offset:         88
        .size:           4
        .value_kind:     by_value
      - .offset:         96
        .size:           8
        .value_kind:     by_value
      - .address_space:  global
        .offset:         104
        .size:           8
        .value_kind:     global_buffer
      - .offset:         112
        .size:           8
        .value_kind:     by_value
      - .offset:         120
        .size:           4
        .value_kind:     by_value
      - .offset:         128
        .size:           8
        .value_kind:     by_value
      - .offset:         136
        .size:           4
        .value_kind:     by_value
      - .offset:         144
        .size:           4
        .value_kind:     hidden_block_count_x
      - .offset:         148
        .size:           4
        .value_kind:     hidden_block_count_y
      - .offset:         152
        .size:           4
        .value_kind:     hidden_block_count_z
      - .offset:         156
        .size:           2
        .value_kind:     hidden_group_size_x
      - .offset:         158
        .size:           2
        .value_kind:     hidden_group_size_y
      - .offset:         160
        .size:           2
        .value_kind:     hidden_group_size_z
      - .offset:         162
        .size:           2
        .value_kind:     hidden_remainder_x
      - .offset:         164
        .size:           2
        .value_kind:     hidden_remainder_y
      - .offset:         166
        .size:           2
        .value_kind:     hidden_remainder_z
      - .offset:         184
        .size:           8
        .value_kind:     hidden_global_offset_x
      - .offset:         192
        .size:           8
        .value_kind:     hidden_global_offset_y
      - .offset:         200
        .size:           8
        .value_kind:     hidden_global_offset_z
      - .offset:         208
        .size:           2
        .value_kind:     hidden_grid_dims
    .group_segment_fixed_size: 8192
    .kernarg_segment_align: 8
    .kernarg_segment_size: 400
    .language:       OpenCL C
    .language_version:
      - 2
      - 0
    .max_flat_workgroup_size: 512
    .name:           _ZL20rocblas_gemvn_kernelILi32ELi16EiPK16rocblas_bfloat16fKPS0_EviiT3_lPKT2_lT1_lS8_lS9_lS5_lPT4_lS9_li
    .private_segment_fixed_size: 0
    .sgpr_count:     30
    .sgpr_spill_count: 0
    .symbol:         _ZL20rocblas_gemvn_kernelILi32ELi16EiPK16rocblas_bfloat16fKPS0_EviiT3_lPKT2_lT1_lS8_lS9_lS5_lPT4_lS9_li.kd
    .uniform_work_group_size: 1
    .uses_dynamic_stack: false
    .vgpr_count:     41
    .vgpr_spill_count: 0
    .wavefront_size: 32
    .workgroup_processor_mode: 1
  - .args:
      - .offset:         0
        .size:           4
        .value_kind:     by_value
      - .offset:         4
        .size:           4
        .value_kind:     by_value
      - .offset:         8
        .size:           4
        .value_kind:     by_value
      - .offset:         16
        .size:           8
        .value_kind:     by_value
      - .address_space:  global
        .offset:         24
        .size:           8
        .value_kind:     global_buffer
      - .offset:         32
        .size:           8
        .value_kind:     by_value
      - .offset:         40
        .size:           8
        .value_kind:     by_value
      - .offset:         48
        .size:           8
        .value_kind:     by_value
      - .address_space:  global
        .offset:         56
        .size:           8
        .value_kind:     global_buffer
      - .offset:         64
        .size:           8
        .value_kind:     by_value
      - .offset:         72
        .size:           8
        .value_kind:     by_value
      - .offset:         80
        .size:           8
        .value_kind:     by_value
      - .offset:         88
        .size:           4
        .value_kind:     by_value
      - .offset:         96
        .size:           8
        .value_kind:     by_value
      - .address_space:  global
        .offset:         104
        .size:           8
        .value_kind:     global_buffer
      - .offset:         112
        .size:           8
        .value_kind:     by_value
      - .offset:         120
        .size:           8
        .value_kind:     by_value
      - .offset:         128
        .size:           8
        .value_kind:     by_value
      - .offset:         136
        .size:           4
        .value_kind:     by_value
      - .offset:         144
        .size:           4
        .value_kind:     hidden_block_count_x
      - .offset:         148
        .size:           4
        .value_kind:     hidden_block_count_y
      - .offset:         152
        .size:           4
        .value_kind:     hidden_block_count_z
      - .offset:         156
        .size:           2
        .value_kind:     hidden_group_size_x
      - .offset:         158
        .size:           2
        .value_kind:     hidden_group_size_y
      - .offset:         160
        .size:           2
        .value_kind:     hidden_group_size_z
      - .offset:         162
        .size:           2
        .value_kind:     hidden_remainder_x
      - .offset:         164
        .size:           2
        .value_kind:     hidden_remainder_y
      - .offset:         166
        .size:           2
        .value_kind:     hidden_remainder_z
      - .offset:         184
        .size:           8
        .value_kind:     hidden_global_offset_x
      - .offset:         192
        .size:           8
        .value_kind:     hidden_global_offset_y
      - .offset:         200
        .size:           8
        .value_kind:     hidden_global_offset_z
      - .offset:         208
        .size:           2
        .value_kind:     hidden_grid_dims
    .group_segment_fixed_size: 8192
    .kernarg_segment_align: 8
    .kernarg_segment_size: 400
    .language:       OpenCL C
    .language_version:
      - 2
      - 0
    .max_flat_workgroup_size: 512
    .name:           _ZL20rocblas_gemvn_kernelILi32ELi16ElPK16rocblas_bfloat16fKPS0_EviiT3_lPKT2_lT1_lS8_lS9_lS5_lPT4_lS9_li
    .private_segment_fixed_size: 0
    .sgpr_count:     37
    .sgpr_spill_count: 0
    .symbol:         _ZL20rocblas_gemvn_kernelILi32ELi16ElPK16rocblas_bfloat16fKPS0_EviiT3_lPKT2_lT1_lS8_lS9_lS5_lPT4_lS9_li.kd
    .uniform_work_group_size: 1
    .uses_dynamic_stack: false
    .vgpr_count:     51
    .vgpr_spill_count: 0
    .wavefront_size: 32
    .workgroup_processor_mode: 1
  - .args:
      - .offset:         0
        .size:           4
        .value_kind:     by_value
      - .offset:         4
        .size:           4
        .value_kind:     by_value
      - .address_space:  global
        .offset:         8
        .size:           8
        .value_kind:     global_buffer
      - .offset:         16
        .size:           8
        .value_kind:     by_value
      - .address_space:  global
        .offset:         24
        .size:           8
        .value_kind:     global_buffer
      - .offset:         32
        .size:           8
        .value_kind:     by_value
      - .offset:         40
        .size:           4
        .value_kind:     by_value
      - .offset:         48
        .size:           8
        .value_kind:     by_value
      - .address_space:  global
        .offset:         56
        .size:           8
        .value_kind:     global_buffer
      - .offset:         64
        .size:           8
        .value_kind:     by_value
      - .offset:         72
        .size:           4
        .value_kind:     by_value
      - .offset:         80
        .size:           8
        .value_kind:     by_value
      - .address_space:  global
        .offset:         88
        .size:           8
        .value_kind:     global_buffer
      - .offset:         96
        .size:           8
        .value_kind:     by_value
      - .address_space:  global
        .offset:         104
        .size:           8
        .value_kind:     global_buffer
      - .offset:         112
        .size:           8
        .value_kind:     by_value
      - .offset:         120
        .size:           4
        .value_kind:     by_value
      - .offset:         128
        .size:           8
        .value_kind:     by_value
      - .offset:         136
        .size:           4
        .value_kind:     by_value
      - .offset:         144
        .size:           4
        .value_kind:     hidden_block_count_x
      - .offset:         148
        .size:           4
        .value_kind:     hidden_block_count_y
      - .offset:         152
        .size:           4
        .value_kind:     hidden_block_count_z
      - .offset:         156
        .size:           2
        .value_kind:     hidden_group_size_x
      - .offset:         158
        .size:           2
        .value_kind:     hidden_group_size_y
      - .offset:         160
        .size:           2
        .value_kind:     hidden_group_size_z
      - .offset:         162
        .size:           2
        .value_kind:     hidden_remainder_x
      - .offset:         164
        .size:           2
        .value_kind:     hidden_remainder_y
      - .offset:         166
        .size:           2
        .value_kind:     hidden_remainder_z
      - .offset:         184
        .size:           8
        .value_kind:     hidden_global_offset_x
      - .offset:         192
        .size:           8
        .value_kind:     hidden_global_offset_y
      - .offset:         200
        .size:           8
        .value_kind:     hidden_global_offset_z
      - .offset:         208
        .size:           2
        .value_kind:     hidden_grid_dims
    .group_segment_fixed_size: 16384
    .kernarg_segment_align: 8
    .kernarg_segment_size: 400
    .language:       OpenCL C
    .language_version:
      - 2
      - 0
    .max_flat_workgroup_size: 1024
    .name:           _ZL20rocblas_gemvn_kernelILi64ELi16EiPK16rocblas_bfloat16PKfKPS0_EviiT3_lPKT2_lT1_lSA_lSB_lS7_lPT4_lSB_li
    .private_segment_fixed_size: 0
    .sgpr_count:     30
    .sgpr_spill_count: 0
    .symbol:         _ZL20rocblas_gemvn_kernelILi64ELi16EiPK16rocblas_bfloat16PKfKPS0_EviiT3_lPKT2_lT1_lSA_lSB_lS7_lPT4_lSB_li.kd
    .uniform_work_group_size: 1
    .uses_dynamic_stack: false
    .vgpr_count:     41
    .vgpr_spill_count: 0
    .wavefront_size: 32
    .workgroup_processor_mode: 1
  - .args:
      - .offset:         0
        .size:           4
        .value_kind:     by_value
      - .offset:         4
        .size:           4
        .value_kind:     by_value
      - .address_space:  global
        .offset:         8
        .size:           8
        .value_kind:     global_buffer
      - .offset:         16
        .size:           8
        .value_kind:     by_value
      - .address_space:  global
        .offset:         24
        .size:           8
        .value_kind:     global_buffer
      - .offset:         32
        .size:           8
        .value_kind:     by_value
      - .offset:         40
        .size:           8
        .value_kind:     by_value
      - .offset:         48
        .size:           8
        .value_kind:     by_value
      - .address_space:  global
        .offset:         56
        .size:           8
        .value_kind:     global_buffer
      - .offset:         64
        .size:           8
        .value_kind:     by_value
      - .offset:         72
        .size:           8
        .value_kind:     by_value
      - .offset:         80
        .size:           8
        .value_kind:     by_value
      - .address_space:  global
        .offset:         88
        .size:           8
        .value_kind:     global_buffer
      - .offset:         96
        .size:           8
        .value_kind:     by_value
      - .address_space:  global
        .offset:         104
        .size:           8
        .value_kind:     global_buffer
      - .offset:         112
        .size:           8
        .value_kind:     by_value
      - .offset:         120
        .size:           8
        .value_kind:     by_value
      - .offset:         128
        .size:           8
        .value_kind:     by_value
      - .offset:         136
        .size:           4
        .value_kind:     by_value
      - .offset:         144
        .size:           4
        .value_kind:     hidden_block_count_x
      - .offset:         148
        .size:           4
        .value_kind:     hidden_block_count_y
      - .offset:         152
        .size:           4
        .value_kind:     hidden_block_count_z
      - .offset:         156
        .size:           2
        .value_kind:     hidden_group_size_x
      - .offset:         158
        .size:           2
        .value_kind:     hidden_group_size_y
      - .offset:         160
        .size:           2
        .value_kind:     hidden_group_size_z
      - .offset:         162
        .size:           2
        .value_kind:     hidden_remainder_x
      - .offset:         164
        .size:           2
        .value_kind:     hidden_remainder_y
      - .offset:         166
        .size:           2
        .value_kind:     hidden_remainder_z
      - .offset:         184
        .size:           8
        .value_kind:     hidden_global_offset_x
      - .offset:         192
        .size:           8
        .value_kind:     hidden_global_offset_y
      - .offset:         200
        .size:           8
        .value_kind:     hidden_global_offset_z
      - .offset:         208
        .size:           2
        .value_kind:     hidden_grid_dims
    .group_segment_fixed_size: 16384
    .kernarg_segment_align: 8
    .kernarg_segment_size: 400
    .language:       OpenCL C
    .language_version:
      - 2
      - 0
    .max_flat_workgroup_size: 1024
    .name:           _ZL20rocblas_gemvn_kernelILi64ELi16ElPK16rocblas_bfloat16PKfKPS0_EviiT3_lPKT2_lT1_lSA_lSB_lS7_lPT4_lSB_li
    .private_segment_fixed_size: 0
    .sgpr_count:     37
    .sgpr_spill_count: 0
    .symbol:         _ZL20rocblas_gemvn_kernelILi64ELi16ElPK16rocblas_bfloat16PKfKPS0_EviiT3_lPKT2_lT1_lSA_lSB_lS7_lPT4_lSB_li.kd
    .uniform_work_group_size: 1
    .uses_dynamic_stack: false
    .vgpr_count:     51
    .vgpr_spill_count: 0
    .wavefront_size: 32
    .workgroup_processor_mode: 1
  - .args:
      - .offset:         0
        .size:           4
        .value_kind:     by_value
      - .offset:         4
        .size:           4
        .value_kind:     by_value
      - .offset:         8
        .size:           4
        .value_kind:     by_value
      - .offset:         16
        .size:           8
        .value_kind:     by_value
      - .address_space:  global
        .offset:         24
        .size:           8
        .value_kind:     global_buffer
      - .offset:         32
        .size:           8
        .value_kind:     by_value
      - .offset:         40
        .size:           4
        .value_kind:     by_value
      - .offset:         48
        .size:           8
        .value_kind:     by_value
      - .address_space:  global
        .offset:         56
        .size:           8
        .value_kind:     global_buffer
      - .offset:         64
        .size:           8
        .value_kind:     by_value
      - .offset:         72
        .size:           4
        .value_kind:     by_value
      - .offset:         80
        .size:           8
        .value_kind:     by_value
      - .offset:         88
        .size:           4
        .value_kind:     by_value
      - .offset:         96
        .size:           8
        .value_kind:     by_value
      - .address_space:  global
        .offset:         104
        .size:           8
        .value_kind:     global_buffer
      - .offset:         112
        .size:           8
        .value_kind:     by_value
      - .offset:         120
        .size:           4
        .value_kind:     by_value
      - .offset:         128
        .size:           8
        .value_kind:     by_value
      - .offset:         136
        .size:           4
        .value_kind:     by_value
      - .offset:         144
        .size:           4
        .value_kind:     hidden_block_count_x
      - .offset:         148
        .size:           4
        .value_kind:     hidden_block_count_y
      - .offset:         152
        .size:           4
        .value_kind:     hidden_block_count_z
      - .offset:         156
        .size:           2
        .value_kind:     hidden_group_size_x
      - .offset:         158
        .size:           2
        .value_kind:     hidden_group_size_y
      - .offset:         160
        .size:           2
        .value_kind:     hidden_group_size_z
      - .offset:         162
        .size:           2
        .value_kind:     hidden_remainder_x
      - .offset:         164
        .size:           2
        .value_kind:     hidden_remainder_y
      - .offset:         166
        .size:           2
        .value_kind:     hidden_remainder_z
      - .offset:         184
        .size:           8
        .value_kind:     hidden_global_offset_x
      - .offset:         192
        .size:           8
        .value_kind:     hidden_global_offset_y
      - .offset:         200
        .size:           8
        .value_kind:     hidden_global_offset_z
      - .offset:         208
        .size:           2
        .value_kind:     hidden_grid_dims
    .group_segment_fixed_size: 16384
    .kernarg_segment_align: 8
    .kernarg_segment_size: 400
    .language:       OpenCL C
    .language_version:
      - 2
      - 0
    .max_flat_workgroup_size: 1024
    .name:           _ZL20rocblas_gemvn_kernelILi64ELi16EiPK16rocblas_bfloat16fKPS0_EviiT3_lPKT2_lT1_lS8_lS9_lS5_lPT4_lS9_li
    .private_segment_fixed_size: 0
    .sgpr_count:     30
    .sgpr_spill_count: 0
    .symbol:         _ZL20rocblas_gemvn_kernelILi64ELi16EiPK16rocblas_bfloat16fKPS0_EviiT3_lPKT2_lT1_lS8_lS9_lS5_lPT4_lS9_li.kd
    .uniform_work_group_size: 1
    .uses_dynamic_stack: false
    .vgpr_count:     41
    .vgpr_spill_count: 0
    .wavefront_size: 32
    .workgroup_processor_mode: 1
  - .args:
      - .offset:         0
        .size:           4
        .value_kind:     by_value
      - .offset:         4
        .size:           4
        .value_kind:     by_value
      - .offset:         8
        .size:           4
        .value_kind:     by_value
      - .offset:         16
        .size:           8
        .value_kind:     by_value
      - .address_space:  global
        .offset:         24
        .size:           8
        .value_kind:     global_buffer
      - .offset:         32
        .size:           8
        .value_kind:     by_value
      - .offset:         40
        .size:           8
        .value_kind:     by_value
      - .offset:         48
        .size:           8
        .value_kind:     by_value
      - .address_space:  global
        .offset:         56
        .size:           8
        .value_kind:     global_buffer
      - .offset:         64
        .size:           8
        .value_kind:     by_value
      - .offset:         72
        .size:           8
        .value_kind:     by_value
      - .offset:         80
        .size:           8
        .value_kind:     by_value
      - .offset:         88
        .size:           4
        .value_kind:     by_value
      - .offset:         96
        .size:           8
        .value_kind:     by_value
      - .address_space:  global
        .offset:         104
        .size:           8
        .value_kind:     global_buffer
      - .offset:         112
        .size:           8
        .value_kind:     by_value
      - .offset:         120
        .size:           8
        .value_kind:     by_value
      - .offset:         128
        .size:           8
        .value_kind:     by_value
      - .offset:         136
        .size:           4
        .value_kind:     by_value
      - .offset:         144
        .size:           4
        .value_kind:     hidden_block_count_x
      - .offset:         148
        .size:           4
        .value_kind:     hidden_block_count_y
      - .offset:         152
        .size:           4
        .value_kind:     hidden_block_count_z
      - .offset:         156
        .size:           2
        .value_kind:     hidden_group_size_x
      - .offset:         158
        .size:           2
        .value_kind:     hidden_group_size_y
      - .offset:         160
        .size:           2
        .value_kind:     hidden_group_size_z
      - .offset:         162
        .size:           2
        .value_kind:     hidden_remainder_x
      - .offset:         164
        .size:           2
        .value_kind:     hidden_remainder_y
      - .offset:         166
        .size:           2
        .value_kind:     hidden_remainder_z
      - .offset:         184
        .size:           8
        .value_kind:     hidden_global_offset_x
      - .offset:         192
        .size:           8
        .value_kind:     hidden_global_offset_y
      - .offset:         200
        .size:           8
        .value_kind:     hidden_global_offset_z
      - .offset:         208
        .size:           2
        .value_kind:     hidden_grid_dims
    .group_segment_fixed_size: 16384
    .kernarg_segment_align: 8
    .kernarg_segment_size: 400
    .language:       OpenCL C
    .language_version:
      - 2
      - 0
    .max_flat_workgroup_size: 1024
    .name:           _ZL20rocblas_gemvn_kernelILi64ELi16ElPK16rocblas_bfloat16fKPS0_EviiT3_lPKT2_lT1_lS8_lS9_lS5_lPT4_lS9_li
    .private_segment_fixed_size: 0
    .sgpr_count:     37
    .sgpr_spill_count: 0
    .symbol:         _ZL20rocblas_gemvn_kernelILi64ELi16ElPK16rocblas_bfloat16fKPS0_EviiT3_lPKT2_lT1_lS8_lS9_lS5_lPT4_lS9_li.kd
    .uniform_work_group_size: 1
    .uses_dynamic_stack: false
    .vgpr_count:     51
    .vgpr_spill_count: 0
    .wavefront_size: 32
    .workgroup_processor_mode: 1
  - .args:
      - .offset:         0
        .size:           4
        .value_kind:     by_value
      - .offset:         4
        .size:           4
        .value_kind:     by_value
      - .address_space:  global
        .offset:         8
        .size:           8
        .value_kind:     global_buffer
      - .offset:         16
        .size:           8
        .value_kind:     by_value
      - .address_space:  global
        .offset:         24
        .size:           8
        .value_kind:     global_buffer
      - .offset:         32
        .size:           8
        .value_kind:     by_value
      - .offset:         40
        .size:           4
        .value_kind:     by_value
      - .offset:         48
        .size:           8
        .value_kind:     by_value
      - .address_space:  global
        .offset:         56
        .size:           8
        .value_kind:     global_buffer
      - .offset:         64
        .size:           8
        .value_kind:     by_value
      - .offset:         72
        .size:           4
        .value_kind:     by_value
      - .offset:         80
        .size:           8
        .value_kind:     by_value
      - .address_space:  global
        .offset:         88
        .size:           8
        .value_kind:     global_buffer
      - .offset:         96
        .size:           8
        .value_kind:     by_value
      - .address_space:  global
        .offset:         104
        .size:           8
        .value_kind:     global_buffer
      - .offset:         112
        .size:           8
        .value_kind:     by_value
      - .offset:         120
        .size:           4
        .value_kind:     by_value
      - .offset:         128
        .size:           8
        .value_kind:     by_value
    .group_segment_fixed_size: 256
    .kernarg_segment_align: 8
    .kernarg_segment_size: 136
    .language:       OpenCL C
    .language_version:
      - 2
      - 0
    .max_flat_workgroup_size: 256
    .name:           _ZL22rocblas_gemvtsm_kernelILb0ELi256EPK16rocblas_bfloat16PKfKPS0_EviiT2_lPKT1_lilSA_lilS7_lPT3_lil
    .private_segment_fixed_size: 0
    .sgpr_count:     24
    .sgpr_spill_count: 0
    .symbol:         _ZL22rocblas_gemvtsm_kernelILb0ELi256EPK16rocblas_bfloat16PKfKPS0_EviiT2_lPKT1_lilSA_lilS7_lPT3_lil.kd
    .uniform_work_group_size: 1
    .uses_dynamic_stack: false
    .vgpr_count:     14
    .vgpr_spill_count: 0
    .wavefront_size: 32
    .workgroup_processor_mode: 1
  - .args:
      - .offset:         0
        .size:           4
        .value_kind:     by_value
      - .offset:         4
        .size:           4
        .value_kind:     by_value
      - .offset:         8
        .size:           4
        .value_kind:     by_value
      - .offset:         16
        .size:           8
        .value_kind:     by_value
      - .address_space:  global
        .offset:         24
        .size:           8
        .value_kind:     global_buffer
      - .offset:         32
        .size:           8
        .value_kind:     by_value
      - .offset:         40
        .size:           4
        .value_kind:     by_value
      - .offset:         48
        .size:           8
        .value_kind:     by_value
      - .address_space:  global
        .offset:         56
        .size:           8
        .value_kind:     global_buffer
      - .offset:         64
        .size:           8
        .value_kind:     by_value
      - .offset:         72
        .size:           4
        .value_kind:     by_value
      - .offset:         80
        .size:           8
        .value_kind:     by_value
      - .offset:         88
        .size:           4
        .value_kind:     by_value
      - .offset:         96
        .size:           8
        .value_kind:     by_value
      - .address_space:  global
        .offset:         104
        .size:           8
        .value_kind:     global_buffer
      - .offset:         112
        .size:           8
        .value_kind:     by_value
      - .offset:         120
        .size:           4
        .value_kind:     by_value
      - .offset:         128
        .size:           8
        .value_kind:     by_value
    .group_segment_fixed_size: 256
    .kernarg_segment_align: 8
    .kernarg_segment_size: 136
    .language:       OpenCL C
    .language_version:
      - 2
      - 0
    .max_flat_workgroup_size: 256
    .name:           _ZL22rocblas_gemvtsm_kernelILb0ELi256EPK16rocblas_bfloat16fKPS0_EviiT2_lPKT1_lilS8_lilS5_lPT3_lil
    .private_segment_fixed_size: 0
    .sgpr_count:     22
    .sgpr_spill_count: 0
    .symbol:         _ZL22rocblas_gemvtsm_kernelILb0ELi256EPK16rocblas_bfloat16fKPS0_EviiT2_lPKT1_lilS8_lilS5_lPT3_lil.kd
    .uniform_work_group_size: 1
    .uses_dynamic_stack: false
    .vgpr_count:     14
    .vgpr_spill_count: 0
    .wavefront_size: 32
    .workgroup_processor_mode: 1
  - .args:
      - .offset:         0
        .size:           4
        .value_kind:     by_value
      - .offset:         4
        .size:           4
        .value_kind:     by_value
      - .address_space:  global
        .offset:         8
        .size:           8
        .value_kind:     global_buffer
      - .offset:         16
        .size:           8
        .value_kind:     by_value
      - .address_space:  global
        .offset:         24
        .size:           8
        .value_kind:     global_buffer
      - .offset:         32
        .size:           8
        .value_kind:     by_value
      - .offset:         40
        .size:           4
        .value_kind:     by_value
      - .offset:         48
        .size:           8
        .value_kind:     by_value
      - .address_space:  global
        .offset:         56
        .size:           8
        .value_kind:     global_buffer
      - .offset:         64
        .size:           8
        .value_kind:     by_value
      - .offset:         72
        .size:           4
        .value_kind:     by_value
      - .offset:         80
        .size:           8
        .value_kind:     by_value
      - .address_space:  global
        .offset:         88
        .size:           8
        .value_kind:     global_buffer
      - .offset:         96
        .size:           4
        .value_kind:     by_value
      - .offset:         104
        .size:           4
        .value_kind:     hidden_block_count_x
      - .offset:         108
        .size:           4
        .value_kind:     hidden_block_count_y
      - .offset:         112
        .size:           4
        .value_kind:     hidden_block_count_z
      - .offset:         116
        .size:           2
        .value_kind:     hidden_group_size_x
      - .offset:         118
        .size:           2
        .value_kind:     hidden_group_size_y
      - .offset:         120
        .size:           2
        .value_kind:     hidden_group_size_z
      - .offset:         122
        .size:           2
        .value_kind:     hidden_remainder_x
      - .offset:         124
        .size:           2
        .value_kind:     hidden_remainder_y
      - .offset:         126
        .size:           2
        .value_kind:     hidden_remainder_z
      - .offset:         144
        .size:           8
        .value_kind:     hidden_global_offset_x
      - .offset:         152
        .size:           8
        .value_kind:     hidden_global_offset_y
      - .offset:         160
        .size:           8
        .value_kind:     hidden_global_offset_z
      - .offset:         168
        .size:           2
        .value_kind:     hidden_grid_dims
    .group_segment_fixed_size: 128
    .kernarg_segment_align: 8
    .kernarg_segment_size: 360
    .language:       OpenCL C
    .language_version:
      - 2
      - 0
    .max_flat_workgroup_size: 256
    .name:           _ZL23rocblas_gemvt_sn_kernelILb0ELi256ELi4EiPK16rocblas_bfloat16PKffEviiT4_lPKT3_lilS8_lilPT5_i
    .private_segment_fixed_size: 0
    .sgpr_count:     44
    .sgpr_spill_count: 0
    .symbol:         _ZL23rocblas_gemvt_sn_kernelILb0ELi256ELi4EiPK16rocblas_bfloat16PKffEviiT4_lPKT3_lilS8_lilPT5_i.kd
    .uniform_work_group_size: 1
    .uses_dynamic_stack: false
    .vgpr_count:     47
    .vgpr_spill_count: 0
    .wavefront_size: 32
    .workgroup_processor_mode: 1
  - .args:
      - .offset:         0
        .size:           4
        .value_kind:     by_value
      - .offset:         4
        .size:           4
        .value_kind:     by_value
      - .address_space:  global
        .offset:         8
        .size:           8
        .value_kind:     global_buffer
      - .offset:         16
        .size:           8
        .value_kind:     by_value
      - .address_space:  global
        .offset:         24
        .size:           8
        .value_kind:     global_buffer
      - .offset:         32
        .size:           8
        .value_kind:     by_value
      - .offset:         40
        .size:           4
        .value_kind:     by_value
      - .offset:         48
        .size:           8
        .value_kind:     by_value
      - .address_space:  global
        .offset:         56
        .size:           8
        .value_kind:     global_buffer
      - .offset:         64
        .size:           8
        .value_kind:     by_value
      - .offset:         72
        .size:           4
        .value_kind:     by_value
      - .offset:         80
        .size:           8
        .value_kind:     by_value
      - .address_space:  global
        .offset:         88
        .size:           8
        .value_kind:     global_buffer
      - .offset:         96
        .size:           4
        .value_kind:     by_value
      - .offset:         104
        .size:           4
        .value_kind:     hidden_block_count_x
      - .offset:         108
        .size:           4
        .value_kind:     hidden_block_count_y
      - .offset:         112
        .size:           4
        .value_kind:     hidden_block_count_z
      - .offset:         116
        .size:           2
        .value_kind:     hidden_group_size_x
      - .offset:         118
        .size:           2
        .value_kind:     hidden_group_size_y
      - .offset:         120
        .size:           2
        .value_kind:     hidden_group_size_z
      - .offset:         122
        .size:           2
        .value_kind:     hidden_remainder_x
      - .offset:         124
        .size:           2
        .value_kind:     hidden_remainder_y
      - .offset:         126
        .size:           2
        .value_kind:     hidden_remainder_z
      - .offset:         144
        .size:           8
        .value_kind:     hidden_global_offset_x
      - .offset:         152
        .size:           8
        .value_kind:     hidden_global_offset_y
      - .offset:         160
        .size:           8
        .value_kind:     hidden_global_offset_z
      - .offset:         168
        .size:           2
        .value_kind:     hidden_grid_dims
    .group_segment_fixed_size: 128
    .kernarg_segment_align: 8
    .kernarg_segment_size: 360
    .language:       OpenCL C
    .language_version:
      - 2
      - 0
    .max_flat_workgroup_size: 256
    .name:           _ZL23rocblas_gemvt_sn_kernelILb0ELi256ELi4ElPK16rocblas_bfloat16PKffEviiT4_lPKT3_lilS8_lilPT5_i
    .private_segment_fixed_size: 0
    .sgpr_count:     48
    .sgpr_spill_count: 0
    .symbol:         _ZL23rocblas_gemvt_sn_kernelILb0ELi256ELi4ElPK16rocblas_bfloat16PKffEviiT4_lPKT3_lilS8_lilPT5_i.kd
    .uniform_work_group_size: 1
    .uses_dynamic_stack: false
    .vgpr_count:     54
    .vgpr_spill_count: 0
    .wavefront_size: 32
    .workgroup_processor_mode: 1
  - .args:
      - .offset:         0
        .size:           4
        .value_kind:     by_value
      - .address_space:  global
        .offset:         8
        .size:           8
        .value_kind:     global_buffer
      - .offset:         16
        .size:           8
        .value_kind:     by_value
      - .address_space:  global
        .offset:         24
        .size:           8
        .value_kind:     global_buffer
      - .offset:         32
        .size:           8
        .value_kind:     by_value
      - .offset:         40
        .size:           4
        .value_kind:     by_value
      - .offset:         48
        .size:           8
        .value_kind:     by_value
      - .actual_access:  read_only
        .address_space:  global
        .offset:         56
        .size:           8
        .value_kind:     global_buffer
      - .offset:         64
        .size:           4
        .value_kind:     by_value
      - .offset:         72
        .size:           4
        .value_kind:     hidden_block_count_x
      - .offset:         76
        .size:           4
        .value_kind:     hidden_block_count_y
      - .offset:         80
        .size:           4
        .value_kind:     hidden_block_count_z
      - .offset:         84
        .size:           2
        .value_kind:     hidden_group_size_x
      - .offset:         86
        .size:           2
        .value_kind:     hidden_group_size_y
      - .offset:         88
        .size:           2
        .value_kind:     hidden_group_size_z
      - .offset:         90
        .size:           2
        .value_kind:     hidden_remainder_x
      - .offset:         92
        .size:           2
        .value_kind:     hidden_remainder_y
      - .offset:         94
        .size:           2
        .value_kind:     hidden_remainder_z
      - .offset:         112
        .size:           8
        .value_kind:     hidden_global_offset_x
      - .offset:         120
        .size:           8
        .value_kind:     hidden_global_offset_y
      - .offset:         128
        .size:           8
        .value_kind:     hidden_global_offset_z
      - .offset:         136
        .size:           2
        .value_kind:     hidden_grid_dims
    .group_segment_fixed_size: 128
    .kernarg_segment_align: 8
    .kernarg_segment_size: 328
    .language:       OpenCL C
    .language_version:
      - 2
      - 0
    .max_flat_workgroup_size: 256
    .name:           _ZL23rocblas_gemvt_sn_reduceILi256ELi8EfPKfKP16rocblas_bfloat16EviT2_lPT3_lilPT1_i
    .private_segment_fixed_size: 0
    .sgpr_count:     24
    .sgpr_spill_count: 0
    .symbol:         _ZL23rocblas_gemvt_sn_reduceILi256ELi8EfPKfKP16rocblas_bfloat16EviT2_lPT3_lilPT1_i.kd
    .uniform_work_group_size: 1
    .uses_dynamic_stack: false
    .vgpr_count:     13
    .vgpr_spill_count: 0
    .wavefront_size: 32
    .workgroup_processor_mode: 1
  - .args:
      - .offset:         0
        .size:           4
        .value_kind:     by_value
      - .offset:         4
        .size:           4
        .value_kind:     by_value
      - .offset:         8
        .size:           4
        .value_kind:     by_value
      - .offset:         16
        .size:           8
        .value_kind:     by_value
      - .address_space:  global
        .offset:         24
        .size:           8
        .value_kind:     global_buffer
      - .offset:         32
        .size:           8
        .value_kind:     by_value
      - .offset:         40
        .size:           4
        .value_kind:     by_value
      - .offset:         48
        .size:           8
        .value_kind:     by_value
      - .address_space:  global
        .offset:         56
        .size:           8
        .value_kind:     global_buffer
      - .offset:         64
        .size:           8
        .value_kind:     by_value
      - .offset:         72
        .size:           4
        .value_kind:     by_value
      - .offset:         80
        .size:           8
        .value_kind:     by_value
      - .address_space:  global
        .offset:         88
        .size:           8
        .value_kind:     global_buffer
      - .offset:         96
        .size:           4
        .value_kind:     by_value
      - .offset:         104
        .size:           4
        .value_kind:     hidden_block_count_x
      - .offset:         108
        .size:           4
        .value_kind:     hidden_block_count_y
      - .offset:         112
        .size:           4
        .value_kind:     hidden_block_count_z
      - .offset:         116
        .size:           2
        .value_kind:     hidden_group_size_x
      - .offset:         118
        .size:           2
        .value_kind:     hidden_group_size_y
      - .offset:         120
        .size:           2
        .value_kind:     hidden_group_size_z
      - .offset:         122
        .size:           2
        .value_kind:     hidden_remainder_x
      - .offset:         124
        .size:           2
        .value_kind:     hidden_remainder_y
      - .offset:         126
        .size:           2
        .value_kind:     hidden_remainder_z
      - .offset:         144
        .size:           8
        .value_kind:     hidden_global_offset_x
      - .offset:         152
        .size:           8
        .value_kind:     hidden_global_offset_y
      - .offset:         160
        .size:           8
        .value_kind:     hidden_global_offset_z
      - .offset:         168
        .size:           2
        .value_kind:     hidden_grid_dims
    .group_segment_fixed_size: 128
    .kernarg_segment_align: 8
    .kernarg_segment_size: 360
    .language:       OpenCL C
    .language_version:
      - 2
      - 0
    .max_flat_workgroup_size: 256
    .name:           _ZL23rocblas_gemvt_sn_kernelILb0ELi256ELi4EiPK16rocblas_bfloat16ffEviiT4_lPKT3_lilS6_lilPT5_i
    .private_segment_fixed_size: 0
    .sgpr_count:     44
    .sgpr_spill_count: 0
    .symbol:         _ZL23rocblas_gemvt_sn_kernelILb0ELi256ELi4EiPK16rocblas_bfloat16ffEviiT4_lPKT3_lilS6_lilPT5_i.kd
    .uniform_work_group_size: 1
    .uses_dynamic_stack: false
    .vgpr_count:     47
    .vgpr_spill_count: 0
    .wavefront_size: 32
    .workgroup_processor_mode: 1
  - .args:
      - .offset:         0
        .size:           4
        .value_kind:     by_value
      - .offset:         4
        .size:           4
        .value_kind:     by_value
      - .offset:         8
        .size:           4
        .value_kind:     by_value
      - .offset:         16
        .size:           8
        .value_kind:     by_value
      - .address_space:  global
        .offset:         24
        .size:           8
        .value_kind:     global_buffer
      - .offset:         32
        .size:           8
        .value_kind:     by_value
      - .offset:         40
        .size:           4
        .value_kind:     by_value
      - .offset:         48
        .size:           8
        .value_kind:     by_value
      - .address_space:  global
        .offset:         56
        .size:           8
        .value_kind:     global_buffer
      - .offset:         64
        .size:           8
        .value_kind:     by_value
      - .offset:         72
        .size:           4
        .value_kind:     by_value
      - .offset:         80
        .size:           8
        .value_kind:     by_value
      - .address_space:  global
        .offset:         88
        .size:           8
        .value_kind:     global_buffer
      - .offset:         96
        .size:           4
        .value_kind:     by_value
      - .offset:         104
        .size:           4
        .value_kind:     hidden_block_count_x
      - .offset:         108
        .size:           4
        .value_kind:     hidden_block_count_y
      - .offset:         112
        .size:           4
        .value_kind:     hidden_block_count_z
      - .offset:         116
        .size:           2
        .value_kind:     hidden_group_size_x
      - .offset:         118
        .size:           2
        .value_kind:     hidden_group_size_y
      - .offset:         120
        .size:           2
        .value_kind:     hidden_group_size_z
      - .offset:         122
        .size:           2
        .value_kind:     hidden_remainder_x
      - .offset:         124
        .size:           2
        .value_kind:     hidden_remainder_y
      - .offset:         126
        .size:           2
        .value_kind:     hidden_remainder_z
      - .offset:         144
        .size:           8
        .value_kind:     hidden_global_offset_x
      - .offset:         152
        .size:           8
        .value_kind:     hidden_global_offset_y
      - .offset:         160
        .size:           8
        .value_kind:     hidden_global_offset_z
      - .offset:         168
        .size:           2
        .value_kind:     hidden_grid_dims
    .group_segment_fixed_size: 128
    .kernarg_segment_align: 8
    .kernarg_segment_size: 360
    .language:       OpenCL C
    .language_version:
      - 2
      - 0
    .max_flat_workgroup_size: 256
    .name:           _ZL23rocblas_gemvt_sn_kernelILb0ELi256ELi4ElPK16rocblas_bfloat16ffEviiT4_lPKT3_lilS6_lilPT5_i
    .private_segment_fixed_size: 0
    .sgpr_count:     48
    .sgpr_spill_count: 0
    .symbol:         _ZL23rocblas_gemvt_sn_kernelILb0ELi256ELi4ElPK16rocblas_bfloat16ffEviiT4_lPKT3_lilS6_lilPT5_i.kd
    .uniform_work_group_size: 1
    .uses_dynamic_stack: false
    .vgpr_count:     54
    .vgpr_spill_count: 0
    .wavefront_size: 32
    .workgroup_processor_mode: 1
  - .args:
      - .offset:         0
        .size:           4
        .value_kind:     by_value
      - .offset:         4
        .size:           4
        .value_kind:     by_value
      - .offset:         8
        .size:           8
        .value_kind:     by_value
      - .address_space:  global
        .offset:         16
        .size:           8
        .value_kind:     global_buffer
      - .offset:         24
        .size:           8
        .value_kind:     by_value
      - .offset:         32
        .size:           4
        .value_kind:     by_value
      - .offset:         40
        .size:           8
        .value_kind:     by_value
      - .actual_access:  read_only
        .address_space:  global
        .offset:         48
        .size:           8
        .value_kind:     global_buffer
      - .offset:         56
        .size:           4
        .value_kind:     by_value
      - .offset:         64
        .size:           4
        .value_kind:     hidden_block_count_x
      - .offset:         68
        .size:           4
        .value_kind:     hidden_block_count_y
      - .offset:         72
        .size:           4
        .value_kind:     hidden_block_count_z
      - .offset:         76
        .size:           2
        .value_kind:     hidden_group_size_x
      - .offset:         78
        .size:           2
        .value_kind:     hidden_group_size_y
      - .offset:         80
        .size:           2
        .value_kind:     hidden_group_size_z
      - .offset:         82
        .size:           2
        .value_kind:     hidden_remainder_x
      - .offset:         84
        .size:           2
        .value_kind:     hidden_remainder_y
      - .offset:         86
        .size:           2
        .value_kind:     hidden_remainder_z
      - .offset:         104
        .size:           8
        .value_kind:     hidden_global_offset_x
      - .offset:         112
        .size:           8
        .value_kind:     hidden_global_offset_y
      - .offset:         120
        .size:           8
        .value_kind:     hidden_global_offset_z
      - .offset:         128
        .size:           2
        .value_kind:     hidden_grid_dims
    .group_segment_fixed_size: 128
    .kernarg_segment_align: 8
    .kernarg_segment_size: 320
    .language:       OpenCL C
    .language_version:
      - 2
      - 0
    .max_flat_workgroup_size: 256
    .name:           _ZL23rocblas_gemvt_sn_reduceILi256ELi8EffKP16rocblas_bfloat16EviT2_lPT3_lilPT1_i
    .private_segment_fixed_size: 0
    .sgpr_count:     24
    .sgpr_spill_count: 0
    .symbol:         _ZL23rocblas_gemvt_sn_reduceILi256ELi8EffKP16rocblas_bfloat16EviT2_lPT3_lilPT1_i.kd
    .uniform_work_group_size: 1
    .uses_dynamic_stack: false
    .vgpr_count:     13
    .vgpr_spill_count: 0
    .wavefront_size: 32
    .workgroup_processor_mode: 1
  - .args:
      - .offset:         0
        .size:           4
        .value_kind:     by_value
      - .offset:         4
        .size:           4
        .value_kind:     by_value
      - .address_space:  global
        .offset:         8
        .size:           8
        .value_kind:     global_buffer
      - .offset:         16
        .size:           8
        .value_kind:     by_value
      - .address_space:  global
        .offset:         24
        .size:           8
        .value_kind:     global_buffer
      - .offset:         32
        .size:           8
        .value_kind:     by_value
      - .offset:         40
        .size:           4
        .value_kind:     by_value
      - .offset:         48
        .size:           8
        .value_kind:     by_value
      - .address_space:  global
        .offset:         56
        .size:           8
        .value_kind:     global_buffer
      - .offset:         64
        .size:           8
        .value_kind:     by_value
      - .offset:         72
        .size:           4
        .value_kind:     by_value
      - .offset:         80
        .size:           8
        .value_kind:     by_value
      - .address_space:  global
        .offset:         88
        .size:           8
        .value_kind:     global_buffer
      - .offset:         96
        .size:           8
        .value_kind:     by_value
      - .address_space:  global
        .offset:         104
        .size:           8
        .value_kind:     global_buffer
      - .offset:         112
        .size:           8
        .value_kind:     by_value
      - .offset:         120
        .size:           4
        .value_kind:     by_value
      - .offset:         128
        .size:           8
        .value_kind:     by_value
      - .offset:         136
        .size:           4
        .value_kind:     by_value
    .group_segment_fixed_size: 128
    .kernarg_segment_align: 8
    .kernarg_segment_size: 140
    .language:       OpenCL C
    .language_version:
      - 2
      - 0
    .max_flat_workgroup_size: 256
    .name:           _ZL32rocblas_gemvt_warp_reduce_kernelILb0ELi256EiPK16rocblas_bfloat16PKfKPS0_EviiT3_lPKT2_lT1_lSA_lSB_lS7_lPT4_lSB_li
    .private_segment_fixed_size: 0
    .sgpr_count:     26
    .sgpr_spill_count: 0
    .symbol:         _ZL32rocblas_gemvt_warp_reduce_kernelILb0ELi256EiPK16rocblas_bfloat16PKfKPS0_EviiT3_lPKT2_lT1_lSA_lSB_lS7_lPT4_lSB_li.kd
    .uniform_work_group_size: 1
    .uses_dynamic_stack: false
    .vgpr_count:     11
    .vgpr_spill_count: 0
    .wavefront_size: 32
    .workgroup_processor_mode: 1
  - .args:
      - .offset:         0
        .size:           4
        .value_kind:     by_value
      - .offset:         4
        .size:           4
        .value_kind:     by_value
      - .address_space:  global
        .offset:         8
        .size:           8
        .value_kind:     global_buffer
      - .offset:         16
        .size:           8
        .value_kind:     by_value
      - .address_space:  global
        .offset:         24
        .size:           8
        .value_kind:     global_buffer
      - .offset:         32
        .size:           8
        .value_kind:     by_value
      - .offset:         40
        .size:           8
        .value_kind:     by_value
      - .offset:         48
        .size:           8
        .value_kind:     by_value
      - .address_space:  global
        .offset:         56
        .size:           8
        .value_kind:     global_buffer
      - .offset:         64
        .size:           8
        .value_kind:     by_value
      - .offset:         72
        .size:           8
        .value_kind:     by_value
      - .offset:         80
        .size:           8
        .value_kind:     by_value
      - .address_space:  global
        .offset:         88
        .size:           8
        .value_kind:     global_buffer
      - .offset:         96
        .size:           8
        .value_kind:     by_value
      - .address_space:  global
        .offset:         104
        .size:           8
        .value_kind:     global_buffer
      - .offset:         112
        .size:           8
        .value_kind:     by_value
      - .offset:         120
        .size:           8
        .value_kind:     by_value
      - .offset:         128
        .size:           8
        .value_kind:     by_value
      - .offset:         136
        .size:           4
        .value_kind:     by_value
    .group_segment_fixed_size: 128
    .kernarg_segment_align: 8
    .kernarg_segment_size: 140
    .language:       OpenCL C
    .language_version:
      - 2
      - 0
    .max_flat_workgroup_size: 256
    .name:           _ZL32rocblas_gemvt_warp_reduce_kernelILb0ELi256ElPK16rocblas_bfloat16PKfKPS0_EviiT3_lPKT2_lT1_lSA_lSB_lS7_lPT4_lSB_li
    .private_segment_fixed_size: 0
    .sgpr_count:     33
    .sgpr_spill_count: 0
    .symbol:         _ZL32rocblas_gemvt_warp_reduce_kernelILb0ELi256ElPK16rocblas_bfloat16PKfKPS0_EviiT3_lPKT2_lT1_lSA_lSB_lS7_lPT4_lSB_li.kd
    .uniform_work_group_size: 1
    .uses_dynamic_stack: false
    .vgpr_count:     12
    .vgpr_spill_count: 0
    .wavefront_size: 32
    .workgroup_processor_mode: 1
  - .args:
      - .offset:         0
        .size:           4
        .value_kind:     by_value
      - .offset:         4
        .size:           4
        .value_kind:     by_value
      - .offset:         8
        .size:           4
        .value_kind:     by_value
      - .offset:         16
        .size:           8
        .value_kind:     by_value
      - .address_space:  global
        .offset:         24
        .size:           8
        .value_kind:     global_buffer
      - .offset:         32
        .size:           8
        .value_kind:     by_value
      - .offset:         40
        .size:           4
        .value_kind:     by_value
      - .offset:         48
        .size:           8
        .value_kind:     by_value
      - .address_space:  global
        .offset:         56
        .size:           8
        .value_kind:     global_buffer
      - .offset:         64
        .size:           8
        .value_kind:     by_value
      - .offset:         72
        .size:           4
        .value_kind:     by_value
      - .offset:         80
        .size:           8
        .value_kind:     by_value
      - .offset:         88
        .size:           4
        .value_kind:     by_value
      - .offset:         96
        .size:           8
        .value_kind:     by_value
      - .address_space:  global
        .offset:         104
        .size:           8
        .value_kind:     global_buffer
      - .offset:         112
        .size:           8
        .value_kind:     by_value
      - .offset:         120
        .size:           4
        .value_kind:     by_value
      - .offset:         128
        .size:           8
        .value_kind:     by_value
      - .offset:         136
        .size:           4
        .value_kind:     by_value
    .group_segment_fixed_size: 128
    .kernarg_segment_align: 8
    .kernarg_segment_size: 140
    .language:       OpenCL C
    .language_version:
      - 2
      - 0
    .max_flat_workgroup_size: 256
    .name:           _ZL32rocblas_gemvt_warp_reduce_kernelILb0ELi256EiPK16rocblas_bfloat16fKPS0_EviiT3_lPKT2_lT1_lS8_lS9_lS5_lPT4_lS9_li
    .private_segment_fixed_size: 0
    .sgpr_count:     26
    .sgpr_spill_count: 0
    .symbol:         _ZL32rocblas_gemvt_warp_reduce_kernelILb0ELi256EiPK16rocblas_bfloat16fKPS0_EviiT3_lPKT2_lT1_lS8_lS9_lS5_lPT4_lS9_li.kd
    .uniform_work_group_size: 1
    .uses_dynamic_stack: false
    .vgpr_count:     11
    .vgpr_spill_count: 0
    .wavefront_size: 32
    .workgroup_processor_mode: 1
  - .args:
      - .offset:         0
        .size:           4
        .value_kind:     by_value
      - .offset:         4
        .size:           4
        .value_kind:     by_value
      - .offset:         8
        .size:           4
        .value_kind:     by_value
      - .offset:         16
        .size:           8
        .value_kind:     by_value
      - .address_space:  global
        .offset:         24
        .size:           8
        .value_kind:     global_buffer
      - .offset:         32
        .size:           8
        .value_kind:     by_value
      - .offset:         40
        .size:           8
        .value_kind:     by_value
      - .offset:         48
        .size:           8
        .value_kind:     by_value
      - .address_space:  global
        .offset:         56
        .size:           8
        .value_kind:     global_buffer
      - .offset:         64
        .size:           8
        .value_kind:     by_value
      - .offset:         72
        .size:           8
        .value_kind:     by_value
      - .offset:         80
        .size:           8
        .value_kind:     by_value
      - .offset:         88
        .size:           4
        .value_kind:     by_value
      - .offset:         96
        .size:           8
        .value_kind:     by_value
      - .address_space:  global
        .offset:         104
        .size:           8
        .value_kind:     global_buffer
      - .offset:         112
        .size:           8
        .value_kind:     by_value
      - .offset:         120
        .size:           8
        .value_kind:     by_value
      - .offset:         128
        .size:           8
        .value_kind:     by_value
      - .offset:         136
        .size:           4
        .value_kind:     by_value
    .group_segment_fixed_size: 128
    .kernarg_segment_align: 8
    .kernarg_segment_size: 140
    .language:       OpenCL C
    .language_version:
      - 2
      - 0
    .max_flat_workgroup_size: 256
    .name:           _ZL32rocblas_gemvt_warp_reduce_kernelILb0ELi256ElPK16rocblas_bfloat16fKPS0_EviiT3_lPKT2_lT1_lS8_lS9_lS5_lPT4_lS9_li
    .private_segment_fixed_size: 0
    .sgpr_count:     30
    .sgpr_spill_count: 0
    .symbol:         _ZL32rocblas_gemvt_warp_reduce_kernelILb0ELi256ElPK16rocblas_bfloat16fKPS0_EviiT3_lPKT2_lT1_lS8_lS9_lS5_lPT4_lS9_li.kd
    .uniform_work_group_size: 1
    .uses_dynamic_stack: false
    .vgpr_count:     12
    .vgpr_spill_count: 0
    .wavefront_size: 32
    .workgroup_processor_mode: 1
  - .args:
      - .offset:         0
        .size:           4
        .value_kind:     by_value
      - .offset:         4
        .size:           4
        .value_kind:     by_value
      - .address_space:  global
        .offset:         8
        .size:           8
        .value_kind:     global_buffer
      - .offset:         16
        .size:           8
        .value_kind:     by_value
      - .address_space:  global
        .offset:         24
        .size:           8
        .value_kind:     global_buffer
      - .offset:         32
        .size:           8
        .value_kind:     by_value
      - .offset:         40
        .size:           4
        .value_kind:     by_value
      - .offset:         48
        .size:           8
        .value_kind:     by_value
      - .address_space:  global
        .offset:         56
        .size:           8
        .value_kind:     global_buffer
      - .offset:         64
        .size:           8
        .value_kind:     by_value
      - .offset:         72
        .size:           4
        .value_kind:     by_value
      - .offset:         80
        .size:           8
        .value_kind:     by_value
      - .address_space:  global
        .offset:         88
        .size:           8
        .value_kind:     global_buffer
      - .offset:         96
        .size:           8
        .value_kind:     by_value
      - .address_space:  global
        .offset:         104
        .size:           8
        .value_kind:     global_buffer
      - .offset:         112
        .size:           8
        .value_kind:     by_value
      - .offset:         120
        .size:           4
        .value_kind:     by_value
      - .offset:         128
        .size:           8
        .value_kind:     by_value
      - .offset:         136
        .size:           4
        .value_kind:     by_value
    .group_segment_fixed_size: 1024
    .kernarg_segment_align: 8
    .kernarg_segment_size: 140
    .language:       OpenCL C
    .language_version:
      - 2
      - 0
    .max_flat_workgroup_size: 256
    .name:           _ZL20rocblas_gemvt_kernelILb0ELi256EPK16rocblas_bfloat16PKfKPS0_EviiT2_lPKT1_lilSA_lilS7_lPT3_lili
    .private_segment_fixed_size: 0
    .sgpr_count:     26
    .sgpr_spill_count: 0
    .symbol:         _ZL20rocblas_gemvt_kernelILb0ELi256EPK16rocblas_bfloat16PKfKPS0_EviiT2_lPKT1_lilSA_lilS7_lPT3_lili.kd
    .uniform_work_group_size: 1
    .uses_dynamic_stack: false
    .vgpr_count:     11
    .vgpr_spill_count: 0
    .wavefront_size: 32
    .workgroup_processor_mode: 1
  - .args:
      - .offset:         0
        .size:           4
        .value_kind:     by_value
      - .offset:         4
        .size:           4
        .value_kind:     by_value
      - .offset:         8
        .size:           4
        .value_kind:     by_value
      - .offset:         16
        .size:           8
        .value_kind:     by_value
      - .address_space:  global
        .offset:         24
        .size:           8
        .value_kind:     global_buffer
      - .offset:         32
        .size:           8
        .value_kind:     by_value
      - .offset:         40
        .size:           4
        .value_kind:     by_value
      - .offset:         48
        .size:           8
        .value_kind:     by_value
      - .address_space:  global
        .offset:         56
        .size:           8
        .value_kind:     global_buffer
      - .offset:         64
        .size:           8
        .value_kind:     by_value
      - .offset:         72
        .size:           4
        .value_kind:     by_value
      - .offset:         80
        .size:           8
        .value_kind:     by_value
      - .offset:         88
        .size:           4
        .value_kind:     by_value
      - .offset:         96
        .size:           8
        .value_kind:     by_value
      - .address_space:  global
        .offset:         104
        .size:           8
        .value_kind:     global_buffer
      - .offset:         112
        .size:           8
        .value_kind:     by_value
      - .offset:         120
        .size:           4
        .value_kind:     by_value
      - .offset:         128
        .size:           8
        .value_kind:     by_value
      - .offset:         136
        .size:           4
        .value_kind:     by_value
    .group_segment_fixed_size: 1024
    .kernarg_segment_align: 8
    .kernarg_segment_size: 140
    .language:       OpenCL C
    .language_version:
      - 2
      - 0
    .max_flat_workgroup_size: 256
    .name:           _ZL20rocblas_gemvt_kernelILb0ELi256EPK16rocblas_bfloat16fKPS0_EviiT2_lPKT1_lilS8_lilS5_lPT3_lili
    .private_segment_fixed_size: 0
    .sgpr_count:     26
    .sgpr_spill_count: 0
    .symbol:         _ZL20rocblas_gemvt_kernelILb0ELi256EPK16rocblas_bfloat16fKPS0_EviiT2_lPKT1_lilS8_lilS5_lPT3_lili.kd
    .uniform_work_group_size: 1
    .uses_dynamic_stack: false
    .vgpr_count:     11
    .vgpr_spill_count: 0
    .wavefront_size: 32
    .workgroup_processor_mode: 1
  - .args:
      - .offset:         0
        .size:           4
        .value_kind:     by_value
      - .offset:         4
        .size:           4
        .value_kind:     by_value
      - .address_space:  global
        .offset:         8
        .size:           8
        .value_kind:     global_buffer
      - .offset:         16
        .size:           8
        .value_kind:     by_value
      - .address_space:  global
        .offset:         24
        .size:           8
        .value_kind:     global_buffer
      - .offset:         32
        .size:           8
        .value_kind:     by_value
      - .offset:         40
        .size:           4
        .value_kind:     by_value
      - .offset:         48
        .size:           8
        .value_kind:     by_value
      - .address_space:  global
        .offset:         56
        .size:           8
        .value_kind:     global_buffer
      - .offset:         64
        .size:           8
        .value_kind:     by_value
      - .offset:         72
        .size:           4
        .value_kind:     by_value
      - .offset:         80
        .size:           8
        .value_kind:     by_value
      - .address_space:  global
        .offset:         88
        .size:           8
        .value_kind:     global_buffer
      - .offset:         96
        .size:           8
        .value_kind:     by_value
      - .address_space:  global
        .offset:         104
        .size:           8
        .value_kind:     global_buffer
      - .offset:         112
        .size:           8
        .value_kind:     by_value
      - .offset:         120
        .size:           4
        .value_kind:     by_value
      - .offset:         128
        .size:           8
        .value_kind:     by_value
      - .offset:         136
        .size:           4
        .value_kind:     by_value
    .group_segment_fixed_size: 128
    .kernarg_segment_align: 8
    .kernarg_segment_size: 140
    .language:       OpenCL C
    .language_version:
      - 2
      - 0
    .max_flat_workgroup_size: 1024
    .name:           _ZL32rocblas_gemvt_warp_reduce_kernelILb0ELi1024EiPK16rocblas_bfloat16PKfKPS0_EviiT3_lPKT2_lT1_lSA_lSB_lS7_lPT4_lSB_li
    .private_segment_fixed_size: 0
    .sgpr_count:     26
    .sgpr_spill_count: 0
    .symbol:         _ZL32rocblas_gemvt_warp_reduce_kernelILb0ELi1024EiPK16rocblas_bfloat16PKfKPS0_EviiT3_lPKT2_lT1_lSA_lSB_lS7_lPT4_lSB_li.kd
    .uniform_work_group_size: 1
    .uses_dynamic_stack: false
    .vgpr_count:     11
    .vgpr_spill_count: 0
    .wavefront_size: 32
    .workgroup_processor_mode: 1
  - .args:
      - .offset:         0
        .size:           4
        .value_kind:     by_value
      - .offset:         4
        .size:           4
        .value_kind:     by_value
      - .address_space:  global
        .offset:         8
        .size:           8
        .value_kind:     global_buffer
      - .offset:         16
        .size:           8
        .value_kind:     by_value
      - .address_space:  global
        .offset:         24
        .size:           8
        .value_kind:     global_buffer
      - .offset:         32
        .size:           8
        .value_kind:     by_value
      - .offset:         40
        .size:           8
        .value_kind:     by_value
      - .offset:         48
        .size:           8
        .value_kind:     by_value
      - .address_space:  global
        .offset:         56
        .size:           8
        .value_kind:     global_buffer
      - .offset:         64
        .size:           8
        .value_kind:     by_value
      - .offset:         72
        .size:           8
        .value_kind:     by_value
      - .offset:         80
        .size:           8
        .value_kind:     by_value
      - .address_space:  global
        .offset:         88
        .size:           8
        .value_kind:     global_buffer
      - .offset:         96
        .size:           8
        .value_kind:     by_value
      - .address_space:  global
        .offset:         104
        .size:           8
        .value_kind:     global_buffer
      - .offset:         112
        .size:           8
        .value_kind:     by_value
      - .offset:         120
        .size:           8
        .value_kind:     by_value
      - .offset:         128
        .size:           8
        .value_kind:     by_value
      - .offset:         136
        .size:           4
        .value_kind:     by_value
    .group_segment_fixed_size: 128
    .kernarg_segment_align: 8
    .kernarg_segment_size: 140
    .language:       OpenCL C
    .language_version:
      - 2
      - 0
    .max_flat_workgroup_size: 1024
    .name:           _ZL32rocblas_gemvt_warp_reduce_kernelILb0ELi1024ElPK16rocblas_bfloat16PKfKPS0_EviiT3_lPKT2_lT1_lSA_lSB_lS7_lPT4_lSB_li
    .private_segment_fixed_size: 0
    .sgpr_count:     33
    .sgpr_spill_count: 0
    .symbol:         _ZL32rocblas_gemvt_warp_reduce_kernelILb0ELi1024ElPK16rocblas_bfloat16PKfKPS0_EviiT3_lPKT2_lT1_lSA_lSB_lS7_lPT4_lSB_li.kd
    .uniform_work_group_size: 1
    .uses_dynamic_stack: false
    .vgpr_count:     12
    .vgpr_spill_count: 0
    .wavefront_size: 32
    .workgroup_processor_mode: 1
  - .args:
      - .offset:         0
        .size:           4
        .value_kind:     by_value
      - .offset:         4
        .size:           4
        .value_kind:     by_value
      - .offset:         8
        .size:           4
        .value_kind:     by_value
      - .offset:         16
        .size:           8
        .value_kind:     by_value
      - .address_space:  global
        .offset:         24
        .size:           8
        .value_kind:     global_buffer
      - .offset:         32
        .size:           8
        .value_kind:     by_value
      - .offset:         40
        .size:           4
        .value_kind:     by_value
      - .offset:         48
        .size:           8
        .value_kind:     by_value
      - .address_space:  global
        .offset:         56
        .size:           8
        .value_kind:     global_buffer
      - .offset:         64
        .size:           8
        .value_kind:     by_value
      - .offset:         72
        .size:           4
        .value_kind:     by_value
      - .offset:         80
        .size:           8
        .value_kind:     by_value
      - .offset:         88
        .size:           4
        .value_kind:     by_value
      - .offset:         96
        .size:           8
        .value_kind:     by_value
      - .address_space:  global
        .offset:         104
        .size:           8
        .value_kind:     global_buffer
      - .offset:         112
        .size:           8
        .value_kind:     by_value
      - .offset:         120
        .size:           4
        .value_kind:     by_value
      - .offset:         128
        .size:           8
        .value_kind:     by_value
      - .offset:         136
        .size:           4
        .value_kind:     by_value
    .group_segment_fixed_size: 128
    .kernarg_segment_align: 8
    .kernarg_segment_size: 140
    .language:       OpenCL C
    .language_version:
      - 2
      - 0
    .max_flat_workgroup_size: 1024
    .name:           _ZL32rocblas_gemvt_warp_reduce_kernelILb0ELi1024EiPK16rocblas_bfloat16fKPS0_EviiT3_lPKT2_lT1_lS8_lS9_lS5_lPT4_lS9_li
    .private_segment_fixed_size: 0
    .sgpr_count:     26
    .sgpr_spill_count: 0
    .symbol:         _ZL32rocblas_gemvt_warp_reduce_kernelILb0ELi1024EiPK16rocblas_bfloat16fKPS0_EviiT3_lPKT2_lT1_lS8_lS9_lS5_lPT4_lS9_li.kd
    .uniform_work_group_size: 1
    .uses_dynamic_stack: false
    .vgpr_count:     11
    .vgpr_spill_count: 0
    .wavefront_size: 32
    .workgroup_processor_mode: 1
  - .args:
      - .offset:         0
        .size:           4
        .value_kind:     by_value
      - .offset:         4
        .size:           4
        .value_kind:     by_value
      - .offset:         8
        .size:           4
        .value_kind:     by_value
      - .offset:         16
        .size:           8
        .value_kind:     by_value
      - .address_space:  global
        .offset:         24
        .size:           8
        .value_kind:     global_buffer
      - .offset:         32
        .size:           8
        .value_kind:     by_value
      - .offset:         40
        .size:           8
        .value_kind:     by_value
      - .offset:         48
        .size:           8
        .value_kind:     by_value
      - .address_space:  global
        .offset:         56
        .size:           8
        .value_kind:     global_buffer
      - .offset:         64
        .size:           8
        .value_kind:     by_value
      - .offset:         72
        .size:           8
        .value_kind:     by_value
      - .offset:         80
        .size:           8
        .value_kind:     by_value
      - .offset:         88
        .size:           4
        .value_kind:     by_value
      - .offset:         96
        .size:           8
        .value_kind:     by_value
      - .address_space:  global
        .offset:         104
        .size:           8
        .value_kind:     global_buffer
      - .offset:         112
        .size:           8
        .value_kind:     by_value
      - .offset:         120
        .size:           8
        .value_kind:     by_value
      - .offset:         128
        .size:           8
        .value_kind:     by_value
      - .offset:         136
        .size:           4
        .value_kind:     by_value
    .group_segment_fixed_size: 128
    .kernarg_segment_align: 8
    .kernarg_segment_size: 140
    .language:       OpenCL C
    .language_version:
      - 2
      - 0
    .max_flat_workgroup_size: 1024
    .name:           _ZL32rocblas_gemvt_warp_reduce_kernelILb0ELi1024ElPK16rocblas_bfloat16fKPS0_EviiT3_lPKT2_lT1_lS8_lS9_lS5_lPT4_lS9_li
    .private_segment_fixed_size: 0
    .sgpr_count:     30
    .sgpr_spill_count: 0
    .symbol:         _ZL32rocblas_gemvt_warp_reduce_kernelILb0ELi1024ElPK16rocblas_bfloat16fKPS0_EviiT3_lPKT2_lT1_lS8_lS9_lS5_lPT4_lS9_li.kd
    .uniform_work_group_size: 1
    .uses_dynamic_stack: false
    .vgpr_count:     12
    .vgpr_spill_count: 0
    .wavefront_size: 32
    .workgroup_processor_mode: 1
  - .args:
      - .offset:         0
        .size:           4
        .value_kind:     by_value
      - .offset:         4
        .size:           4
        .value_kind:     by_value
      - .address_space:  global
        .offset:         8
        .size:           8
        .value_kind:     global_buffer
      - .offset:         16
        .size:           8
        .value_kind:     by_value
      - .address_space:  global
        .offset:         24
        .size:           8
        .value_kind:     global_buffer
      - .offset:         32
        .size:           8
        .value_kind:     by_value
      - .offset:         40
        .size:           4
        .value_kind:     by_value
      - .offset:         48
        .size:           8
        .value_kind:     by_value
      - .address_space:  global
        .offset:         56
        .size:           8
        .value_kind:     global_buffer
      - .offset:         64
        .size:           8
        .value_kind:     by_value
      - .offset:         72
        .size:           4
        .value_kind:     by_value
      - .offset:         80
        .size:           8
        .value_kind:     by_value
      - .address_space:  global
        .offset:         88
        .size:           8
        .value_kind:     global_buffer
      - .offset:         96
        .size:           8
        .value_kind:     by_value
      - .address_space:  global
        .offset:         104
        .size:           8
        .value_kind:     global_buffer
      - .offset:         112
        .size:           8
        .value_kind:     by_value
      - .offset:         120
        .size:           4
        .value_kind:     by_value
      - .offset:         128
        .size:           8
        .value_kind:     by_value
    .group_segment_fixed_size: 256
    .kernarg_segment_align: 8
    .kernarg_segment_size: 136
    .language:       OpenCL C
    .language_version:
      - 2
      - 0
    .max_flat_workgroup_size: 256
    .name:           _ZL22rocblas_gemvtsm_kernelILb1ELi256EPK16rocblas_bfloat16PKfKPS0_EviiT2_lPKT1_lilSA_lilS7_lPT3_lil
    .private_segment_fixed_size: 0
    .sgpr_count:     24
    .sgpr_spill_count: 0
    .symbol:         _ZL22rocblas_gemvtsm_kernelILb1ELi256EPK16rocblas_bfloat16PKfKPS0_EviiT2_lPKT1_lilSA_lilS7_lPT3_lil.kd
    .uniform_work_group_size: 1
    .uses_dynamic_stack: false
    .vgpr_count:     14
    .vgpr_spill_count: 0
    .wavefront_size: 32
    .workgroup_processor_mode: 1
  - .args:
      - .offset:         0
        .size:           4
        .value_kind:     by_value
      - .offset:         4
        .size:           4
        .value_kind:     by_value
      - .offset:         8
        .size:           4
        .value_kind:     by_value
      - .offset:         16
        .size:           8
        .value_kind:     by_value
      - .address_space:  global
        .offset:         24
        .size:           8
        .value_kind:     global_buffer
      - .offset:         32
        .size:           8
        .value_kind:     by_value
      - .offset:         40
        .size:           4
        .value_kind:     by_value
      - .offset:         48
        .size:           8
        .value_kind:     by_value
      - .address_space:  global
        .offset:         56
        .size:           8
        .value_kind:     global_buffer
      - .offset:         64
        .size:           8
        .value_kind:     by_value
      - .offset:         72
        .size:           4
        .value_kind:     by_value
      - .offset:         80
        .size:           8
        .value_kind:     by_value
      - .offset:         88
        .size:           4
        .value_kind:     by_value
      - .offset:         96
        .size:           8
        .value_kind:     by_value
      - .address_space:  global
        .offset:         104
        .size:           8
        .value_kind:     global_buffer
      - .offset:         112
        .size:           8
        .value_kind:     by_value
      - .offset:         120
        .size:           4
        .value_kind:     by_value
      - .offset:         128
        .size:           8
        .value_kind:     by_value
    .group_segment_fixed_size: 256
    .kernarg_segment_align: 8
    .kernarg_segment_size: 136
    .language:       OpenCL C
    .language_version:
      - 2
      - 0
    .max_flat_workgroup_size: 256
    .name:           _ZL22rocblas_gemvtsm_kernelILb1ELi256EPK16rocblas_bfloat16fKPS0_EviiT2_lPKT1_lilS8_lilS5_lPT3_lil
    .private_segment_fixed_size: 0
    .sgpr_count:     22
    .sgpr_spill_count: 0
    .symbol:         _ZL22rocblas_gemvtsm_kernelILb1ELi256EPK16rocblas_bfloat16fKPS0_EviiT2_lPKT1_lilS8_lilS5_lPT3_lil.kd
    .uniform_work_group_size: 1
    .uses_dynamic_stack: false
    .vgpr_count:     14
    .vgpr_spill_count: 0
    .wavefront_size: 32
    .workgroup_processor_mode: 1
  - .args:
      - .offset:         0
        .size:           4
        .value_kind:     by_value
      - .offset:         4
        .size:           4
        .value_kind:     by_value
      - .address_space:  global
        .offset:         8
        .size:           8
        .value_kind:     global_buffer
      - .offset:         16
        .size:           8
        .value_kind:     by_value
      - .address_space:  global
        .offset:         24
        .size:           8
        .value_kind:     global_buffer
      - .offset:         32
        .size:           8
        .value_kind:     by_value
      - .offset:         40
        .size:           4
        .value_kind:     by_value
      - .offset:         48
        .size:           8
        .value_kind:     by_value
      - .address_space:  global
        .offset:         56
        .size:           8
        .value_kind:     global_buffer
      - .offset:         64
        .size:           8
        .value_kind:     by_value
      - .offset:         72
        .size:           4
        .value_kind:     by_value
      - .offset:         80
        .size:           8
        .value_kind:     by_value
      - .address_space:  global
        .offset:         88
        .size:           8
        .value_kind:     global_buffer
      - .offset:         96
        .size:           4
        .value_kind:     by_value
      - .offset:         104
        .size:           4
        .value_kind:     hidden_block_count_x
      - .offset:         108
        .size:           4
        .value_kind:     hidden_block_count_y
      - .offset:         112
        .size:           4
        .value_kind:     hidden_block_count_z
      - .offset:         116
        .size:           2
        .value_kind:     hidden_group_size_x
      - .offset:         118
        .size:           2
        .value_kind:     hidden_group_size_y
      - .offset:         120
        .size:           2
        .value_kind:     hidden_group_size_z
      - .offset:         122
        .size:           2
        .value_kind:     hidden_remainder_x
      - .offset:         124
        .size:           2
        .value_kind:     hidden_remainder_y
      - .offset:         126
        .size:           2
        .value_kind:     hidden_remainder_z
      - .offset:         144
        .size:           8
        .value_kind:     hidden_global_offset_x
      - .offset:         152
        .size:           8
        .value_kind:     hidden_global_offset_y
      - .offset:         160
        .size:           8
        .value_kind:     hidden_global_offset_z
      - .offset:         168
        .size:           2
        .value_kind:     hidden_grid_dims
    .group_segment_fixed_size: 128
    .kernarg_segment_align: 8
    .kernarg_segment_size: 360
    .language:       OpenCL C
    .language_version:
      - 2
      - 0
    .max_flat_workgroup_size: 256
    .name:           _ZL23rocblas_gemvt_sn_kernelILb1ELi256ELi4EiPK16rocblas_bfloat16PKffEviiT4_lPKT3_lilS8_lilPT5_i
    .private_segment_fixed_size: 0
    .sgpr_count:     44
    .sgpr_spill_count: 0
    .symbol:         _ZL23rocblas_gemvt_sn_kernelILb1ELi256ELi4EiPK16rocblas_bfloat16PKffEviiT4_lPKT3_lilS8_lilPT5_i.kd
    .uniform_work_group_size: 1
    .uses_dynamic_stack: false
    .vgpr_count:     47
    .vgpr_spill_count: 0
    .wavefront_size: 32
    .workgroup_processor_mode: 1
  - .args:
      - .offset:         0
        .size:           4
        .value_kind:     by_value
      - .offset:         4
        .size:           4
        .value_kind:     by_value
      - .address_space:  global
        .offset:         8
        .size:           8
        .value_kind:     global_buffer
      - .offset:         16
        .size:           8
        .value_kind:     by_value
      - .address_space:  global
        .offset:         24
        .size:           8
        .value_kind:     global_buffer
      - .offset:         32
        .size:           8
        .value_kind:     by_value
      - .offset:         40
        .size:           4
        .value_kind:     by_value
      - .offset:         48
        .size:           8
        .value_kind:     by_value
      - .address_space:  global
        .offset:         56
        .size:           8
        .value_kind:     global_buffer
      - .offset:         64
        .size:           8
        .value_kind:     by_value
      - .offset:         72
        .size:           4
        .value_kind:     by_value
      - .offset:         80
        .size:           8
        .value_kind:     by_value
      - .address_space:  global
        .offset:         88
        .size:           8
        .value_kind:     global_buffer
      - .offset:         96
        .size:           4
        .value_kind:     by_value
      - .offset:         104
        .size:           4
        .value_kind:     hidden_block_count_x
      - .offset:         108
        .size:           4
        .value_kind:     hidden_block_count_y
      - .offset:         112
        .size:           4
        .value_kind:     hidden_block_count_z
      - .offset:         116
        .size:           2
        .value_kind:     hidden_group_size_x
      - .offset:         118
        .size:           2
        .value_kind:     hidden_group_size_y
      - .offset:         120
        .size:           2
        .value_kind:     hidden_group_size_z
      - .offset:         122
        .size:           2
        .value_kind:     hidden_remainder_x
      - .offset:         124
        .size:           2
        .value_kind:     hidden_remainder_y
      - .offset:         126
        .size:           2
        .value_kind:     hidden_remainder_z
      - .offset:         144
        .size:           8
        .value_kind:     hidden_global_offset_x
      - .offset:         152
        .size:           8
        .value_kind:     hidden_global_offset_y
      - .offset:         160
        .size:           8
        .value_kind:     hidden_global_offset_z
      - .offset:         168
        .size:           2
        .value_kind:     hidden_grid_dims
    .group_segment_fixed_size: 128
    .kernarg_segment_align: 8
    .kernarg_segment_size: 360
    .language:       OpenCL C
    .language_version:
      - 2
      - 0
    .max_flat_workgroup_size: 256
    .name:           _ZL23rocblas_gemvt_sn_kernelILb1ELi256ELi4ElPK16rocblas_bfloat16PKffEviiT4_lPKT3_lilS8_lilPT5_i
    .private_segment_fixed_size: 0
    .sgpr_count:     48
    .sgpr_spill_count: 0
    .symbol:         _ZL23rocblas_gemvt_sn_kernelILb1ELi256ELi4ElPK16rocblas_bfloat16PKffEviiT4_lPKT3_lilS8_lilPT5_i.kd
    .uniform_work_group_size: 1
    .uses_dynamic_stack: false
    .vgpr_count:     54
    .vgpr_spill_count: 0
    .wavefront_size: 32
    .workgroup_processor_mode: 1
  - .args:
      - .offset:         0
        .size:           4
        .value_kind:     by_value
      - .offset:         4
        .size:           4
        .value_kind:     by_value
      - .offset:         8
        .size:           4
        .value_kind:     by_value
      - .offset:         16
        .size:           8
        .value_kind:     by_value
      - .address_space:  global
        .offset:         24
        .size:           8
        .value_kind:     global_buffer
      - .offset:         32
        .size:           8
        .value_kind:     by_value
      - .offset:         40
        .size:           4
        .value_kind:     by_value
      - .offset:         48
        .size:           8
        .value_kind:     by_value
      - .address_space:  global
        .offset:         56
        .size:           8
        .value_kind:     global_buffer
      - .offset:         64
        .size:           8
        .value_kind:     by_value
      - .offset:         72
        .size:           4
        .value_kind:     by_value
      - .offset:         80
        .size:           8
        .value_kind:     by_value
      - .address_space:  global
        .offset:         88
        .size:           8
        .value_kind:     global_buffer
      - .offset:         96
        .size:           4
        .value_kind:     by_value
      - .offset:         104
        .size:           4
        .value_kind:     hidden_block_count_x
      - .offset:         108
        .size:           4
        .value_kind:     hidden_block_count_y
      - .offset:         112
        .size:           4
        .value_kind:     hidden_block_count_z
      - .offset:         116
        .size:           2
        .value_kind:     hidden_group_size_x
      - .offset:         118
        .size:           2
        .value_kind:     hidden_group_size_y
      - .offset:         120
        .size:           2
        .value_kind:     hidden_group_size_z
      - .offset:         122
        .size:           2
        .value_kind:     hidden_remainder_x
      - .offset:         124
        .size:           2
        .value_kind:     hidden_remainder_y
      - .offset:         126
        .size:           2
        .value_kind:     hidden_remainder_z
      - .offset:         144
        .size:           8
        .value_kind:     hidden_global_offset_x
      - .offset:         152
        .size:           8
        .value_kind:     hidden_global_offset_y
      - .offset:         160
        .size:           8
        .value_kind:     hidden_global_offset_z
      - .offset:         168
        .size:           2
        .value_kind:     hidden_grid_dims
    .group_segment_fixed_size: 128
    .kernarg_segment_align: 8
    .kernarg_segment_size: 360
    .language:       OpenCL C
    .language_version:
      - 2
      - 0
    .max_flat_workgroup_size: 256
    .name:           _ZL23rocblas_gemvt_sn_kernelILb1ELi256ELi4EiPK16rocblas_bfloat16ffEviiT4_lPKT3_lilS6_lilPT5_i
    .private_segment_fixed_size: 0
    .sgpr_count:     44
    .sgpr_spill_count: 0
    .symbol:         _ZL23rocblas_gemvt_sn_kernelILb1ELi256ELi4EiPK16rocblas_bfloat16ffEviiT4_lPKT3_lilS6_lilPT5_i.kd
    .uniform_work_group_size: 1
    .uses_dynamic_stack: false
    .vgpr_count:     47
    .vgpr_spill_count: 0
    .wavefront_size: 32
    .workgroup_processor_mode: 1
  - .args:
      - .offset:         0
        .size:           4
        .value_kind:     by_value
      - .offset:         4
        .size:           4
        .value_kind:     by_value
      - .offset:         8
        .size:           4
        .value_kind:     by_value
      - .offset:         16
        .size:           8
        .value_kind:     by_value
      - .address_space:  global
        .offset:         24
        .size:           8
        .value_kind:     global_buffer
      - .offset:         32
        .size:           8
        .value_kind:     by_value
      - .offset:         40
        .size:           4
        .value_kind:     by_value
      - .offset:         48
        .size:           8
        .value_kind:     by_value
      - .address_space:  global
        .offset:         56
        .size:           8
        .value_kind:     global_buffer
      - .offset:         64
        .size:           8
        .value_kind:     by_value
      - .offset:         72
        .size:           4
        .value_kind:     by_value
      - .offset:         80
        .size:           8
        .value_kind:     by_value
      - .address_space:  global
        .offset:         88
        .size:           8
        .value_kind:     global_buffer
      - .offset:         96
        .size:           4
        .value_kind:     by_value
      - .offset:         104
        .size:           4
        .value_kind:     hidden_block_count_x
      - .offset:         108
        .size:           4
        .value_kind:     hidden_block_count_y
      - .offset:         112
        .size:           4
        .value_kind:     hidden_block_count_z
      - .offset:         116
        .size:           2
        .value_kind:     hidden_group_size_x
      - .offset:         118
        .size:           2
        .value_kind:     hidden_group_size_y
      - .offset:         120
        .size:           2
        .value_kind:     hidden_group_size_z
      - .offset:         122
        .size:           2
        .value_kind:     hidden_remainder_x
      - .offset:         124
        .size:           2
        .value_kind:     hidden_remainder_y
      - .offset:         126
        .size:           2
        .value_kind:     hidden_remainder_z
      - .offset:         144
        .size:           8
        .value_kind:     hidden_global_offset_x
      - .offset:         152
        .size:           8
        .value_kind:     hidden_global_offset_y
      - .offset:         160
        .size:           8
        .value_kind:     hidden_global_offset_z
      - .offset:         168
        .size:           2
        .value_kind:     hidden_grid_dims
    .group_segment_fixed_size: 128
    .kernarg_segment_align: 8
    .kernarg_segment_size: 360
    .language:       OpenCL C
    .language_version:
      - 2
      - 0
    .max_flat_workgroup_size: 256
    .name:           _ZL23rocblas_gemvt_sn_kernelILb1ELi256ELi4ElPK16rocblas_bfloat16ffEviiT4_lPKT3_lilS6_lilPT5_i
    .private_segment_fixed_size: 0
    .sgpr_count:     48
    .sgpr_spill_count: 0
    .symbol:         _ZL23rocblas_gemvt_sn_kernelILb1ELi256ELi4ElPK16rocblas_bfloat16ffEviiT4_lPKT3_lilS6_lilPT5_i.kd
    .uniform_work_group_size: 1
    .uses_dynamic_stack: false
    .vgpr_count:     54
    .vgpr_spill_count: 0
    .wavefront_size: 32
    .workgroup_processor_mode: 1
  - .args:
      - .offset:         0
        .size:           4
        .value_kind:     by_value
      - .offset:         4
        .size:           4
        .value_kind:     by_value
      - .address_space:  global
        .offset:         8
        .size:           8
        .value_kind:     global_buffer
      - .offset:         16
        .size:           8
        .value_kind:     by_value
      - .address_space:  global
        .offset:         24
        .size:           8
        .value_kind:     global_buffer
      - .offset:         32
        .size:           8
        .value_kind:     by_value
      - .offset:         40
        .size:           4
        .value_kind:     by_value
      - .offset:         48
        .size:           8
        .value_kind:     by_value
      - .address_space:  global
        .offset:         56
        .size:           8
        .value_kind:     global_buffer
      - .offset:         64
        .size:           8
        .value_kind:     by_value
      - .offset:         72
        .size:           4
        .value_kind:     by_value
      - .offset:         80
        .size:           8
        .value_kind:     by_value
      - .address_space:  global
        .offset:         88
        .size:           8
        .value_kind:     global_buffer
      - .offset:         96
        .size:           8
        .value_kind:     by_value
      - .address_space:  global
        .offset:         104
        .size:           8
        .value_kind:     global_buffer
      - .offset:         112
        .size:           8
        .value_kind:     by_value
      - .offset:         120
        .size:           4
        .value_kind:     by_value
      - .offset:         128
        .size:           8
        .value_kind:     by_value
      - .offset:         136
        .size:           4
        .value_kind:     by_value
    .group_segment_fixed_size: 1024
    .kernarg_segment_align: 8
    .kernarg_segment_size: 140
    .language:       OpenCL C
    .language_version:
      - 2
      - 0
    .max_flat_workgroup_size: 256
    .name:           _ZL20rocblas_gemvt_kernelILb1ELi256EPK16rocblas_bfloat16PKfKPS0_EviiT2_lPKT1_lilSA_lilS7_lPT3_lili
    .private_segment_fixed_size: 0
    .sgpr_count:     26
    .sgpr_spill_count: 0
    .symbol:         _ZL20rocblas_gemvt_kernelILb1ELi256EPK16rocblas_bfloat16PKfKPS0_EviiT2_lPKT1_lilSA_lilS7_lPT3_lili.kd
    .uniform_work_group_size: 1
    .uses_dynamic_stack: false
    .vgpr_count:     11
    .vgpr_spill_count: 0
    .wavefront_size: 32
    .workgroup_processor_mode: 1
  - .args:
      - .offset:         0
        .size:           4
        .value_kind:     by_value
      - .offset:         4
        .size:           4
        .value_kind:     by_value
      - .offset:         8
        .size:           4
        .value_kind:     by_value
      - .offset:         16
        .size:           8
        .value_kind:     by_value
      - .address_space:  global
        .offset:         24
        .size:           8
        .value_kind:     global_buffer
      - .offset:         32
        .size:           8
        .value_kind:     by_value
      - .offset:         40
        .size:           4
        .value_kind:     by_value
      - .offset:         48
        .size:           8
        .value_kind:     by_value
      - .address_space:  global
        .offset:         56
        .size:           8
        .value_kind:     global_buffer
      - .offset:         64
        .size:           8
        .value_kind:     by_value
      - .offset:         72
        .size:           4
        .value_kind:     by_value
      - .offset:         80
        .size:           8
        .value_kind:     by_value
      - .offset:         88
        .size:           4
        .value_kind:     by_value
      - .offset:         96
        .size:           8
        .value_kind:     by_value
      - .address_space:  global
        .offset:         104
        .size:           8
        .value_kind:     global_buffer
      - .offset:         112
        .size:           8
        .value_kind:     by_value
      - .offset:         120
        .size:           4
        .value_kind:     by_value
      - .offset:         128
        .size:           8
        .value_kind:     by_value
      - .offset:         136
        .size:           4
        .value_kind:     by_value
    .group_segment_fixed_size: 1024
    .kernarg_segment_align: 8
    .kernarg_segment_size: 140
    .language:       OpenCL C
    .language_version:
      - 2
      - 0
    .max_flat_workgroup_size: 256
    .name:           _ZL20rocblas_gemvt_kernelILb1ELi256EPK16rocblas_bfloat16fKPS0_EviiT2_lPKT1_lilS8_lilS5_lPT3_lili
    .private_segment_fixed_size: 0
    .sgpr_count:     26
    .sgpr_spill_count: 0
    .symbol:         _ZL20rocblas_gemvt_kernelILb1ELi256EPK16rocblas_bfloat16fKPS0_EviiT2_lPKT1_lilS8_lilS5_lPT3_lili.kd
    .uniform_work_group_size: 1
    .uses_dynamic_stack: false
    .vgpr_count:     11
    .vgpr_spill_count: 0
    .wavefront_size: 32
    .workgroup_processor_mode: 1
  - .args:
      - .offset:         0
        .size:           4
        .value_kind:     by_value
      - .offset:         4
        .size:           4
        .value_kind:     by_value
      - .address_space:  global
        .offset:         8
        .size:           8
        .value_kind:     global_buffer
      - .offset:         16
        .size:           8
        .value_kind:     by_value
      - .address_space:  global
        .offset:         24
        .size:           8
        .value_kind:     global_buffer
      - .offset:         32
        .size:           8
        .value_kind:     by_value
      - .offset:         40
        .size:           4
        .value_kind:     by_value
      - .offset:         48
        .size:           8
        .value_kind:     by_value
      - .address_space:  global
        .offset:         56
        .size:           8
        .value_kind:     global_buffer
      - .offset:         64
        .size:           8
        .value_kind:     by_value
      - .offset:         72
        .size:           4
        .value_kind:     by_value
      - .offset:         80
        .size:           8
        .value_kind:     by_value
      - .address_space:  global
        .offset:         88
        .size:           8
        .value_kind:     global_buffer
      - .offset:         96
        .size:           8
        .value_kind:     by_value
      - .address_space:  global
        .offset:         104
        .size:           8
        .value_kind:     global_buffer
      - .offset:         112
        .size:           8
        .value_kind:     by_value
      - .offset:         120
        .size:           4
        .value_kind:     by_value
      - .offset:         128
        .size:           8
        .value_kind:     by_value
      - .offset:         136
        .size:           4
        .value_kind:     by_value
    .group_segment_fixed_size: 128
    .kernarg_segment_align: 8
    .kernarg_segment_size: 140
    .language:       OpenCL C
    .language_version:
      - 2
      - 0
    .max_flat_workgroup_size: 1024
    .name:           _ZL32rocblas_gemvt_warp_reduce_kernelILb1ELi1024EiPK16rocblas_bfloat16PKfKPS0_EviiT3_lPKT2_lT1_lSA_lSB_lS7_lPT4_lSB_li
    .private_segment_fixed_size: 0
    .sgpr_count:     26
    .sgpr_spill_count: 0
    .symbol:         _ZL32rocblas_gemvt_warp_reduce_kernelILb1ELi1024EiPK16rocblas_bfloat16PKfKPS0_EviiT3_lPKT2_lT1_lSA_lSB_lS7_lPT4_lSB_li.kd
    .uniform_work_group_size: 1
    .uses_dynamic_stack: false
    .vgpr_count:     11
    .vgpr_spill_count: 0
    .wavefront_size: 32
    .workgroup_processor_mode: 1
  - .args:
      - .offset:         0
        .size:           4
        .value_kind:     by_value
      - .offset:         4
        .size:           4
        .value_kind:     by_value
      - .address_space:  global
        .offset:         8
        .size:           8
        .value_kind:     global_buffer
      - .offset:         16
        .size:           8
        .value_kind:     by_value
      - .address_space:  global
        .offset:         24
        .size:           8
        .value_kind:     global_buffer
      - .offset:         32
        .size:           8
        .value_kind:     by_value
      - .offset:         40
        .size:           8
        .value_kind:     by_value
      - .offset:         48
        .size:           8
        .value_kind:     by_value
      - .address_space:  global
        .offset:         56
        .size:           8
        .value_kind:     global_buffer
      - .offset:         64
        .size:           8
        .value_kind:     by_value
      - .offset:         72
        .size:           8
        .value_kind:     by_value
      - .offset:         80
        .size:           8
        .value_kind:     by_value
      - .address_space:  global
        .offset:         88
        .size:           8
        .value_kind:     global_buffer
      - .offset:         96
        .size:           8
        .value_kind:     by_value
      - .address_space:  global
        .offset:         104
        .size:           8
        .value_kind:     global_buffer
      - .offset:         112
        .size:           8
        .value_kind:     by_value
      - .offset:         120
        .size:           8
        .value_kind:     by_value
      - .offset:         128
        .size:           8
        .value_kind:     by_value
      - .offset:         136
        .size:           4
        .value_kind:     by_value
    .group_segment_fixed_size: 128
    .kernarg_segment_align: 8
    .kernarg_segment_size: 140
    .language:       OpenCL C
    .language_version:
      - 2
      - 0
    .max_flat_workgroup_size: 1024
    .name:           _ZL32rocblas_gemvt_warp_reduce_kernelILb1ELi1024ElPK16rocblas_bfloat16PKfKPS0_EviiT3_lPKT2_lT1_lSA_lSB_lS7_lPT4_lSB_li
    .private_segment_fixed_size: 0
    .sgpr_count:     33
    .sgpr_spill_count: 0
    .symbol:         _ZL32rocblas_gemvt_warp_reduce_kernelILb1ELi1024ElPK16rocblas_bfloat16PKfKPS0_EviiT3_lPKT2_lT1_lSA_lSB_lS7_lPT4_lSB_li.kd
    .uniform_work_group_size: 1
    .uses_dynamic_stack: false
    .vgpr_count:     12
    .vgpr_spill_count: 0
    .wavefront_size: 32
    .workgroup_processor_mode: 1
  - .args:
      - .offset:         0
        .size:           4
        .value_kind:     by_value
      - .offset:         4
        .size:           4
        .value_kind:     by_value
      - .offset:         8
        .size:           4
        .value_kind:     by_value
      - .offset:         16
        .size:           8
        .value_kind:     by_value
      - .address_space:  global
        .offset:         24
        .size:           8
        .value_kind:     global_buffer
      - .offset:         32
        .size:           8
        .value_kind:     by_value
      - .offset:         40
        .size:           4
        .value_kind:     by_value
      - .offset:         48
        .size:           8
        .value_kind:     by_value
      - .address_space:  global
        .offset:         56
        .size:           8
        .value_kind:     global_buffer
      - .offset:         64
        .size:           8
        .value_kind:     by_value
      - .offset:         72
        .size:           4
        .value_kind:     by_value
      - .offset:         80
        .size:           8
        .value_kind:     by_value
      - .offset:         88
        .size:           4
        .value_kind:     by_value
      - .offset:         96
        .size:           8
        .value_kind:     by_value
      - .address_space:  global
        .offset:         104
        .size:           8
        .value_kind:     global_buffer
      - .offset:         112
        .size:           8
        .value_kind:     by_value
      - .offset:         120
        .size:           4
        .value_kind:     by_value
      - .offset:         128
        .size:           8
        .value_kind:     by_value
      - .offset:         136
        .size:           4
        .value_kind:     by_value
    .group_segment_fixed_size: 128
    .kernarg_segment_align: 8
    .kernarg_segment_size: 140
    .language:       OpenCL C
    .language_version:
      - 2
      - 0
    .max_flat_workgroup_size: 1024
    .name:           _ZL32rocblas_gemvt_warp_reduce_kernelILb1ELi1024EiPK16rocblas_bfloat16fKPS0_EviiT3_lPKT2_lT1_lS8_lS9_lS5_lPT4_lS9_li
    .private_segment_fixed_size: 0
    .sgpr_count:     26
    .sgpr_spill_count: 0
    .symbol:         _ZL32rocblas_gemvt_warp_reduce_kernelILb1ELi1024EiPK16rocblas_bfloat16fKPS0_EviiT3_lPKT2_lT1_lS8_lS9_lS5_lPT4_lS9_li.kd
    .uniform_work_group_size: 1
    .uses_dynamic_stack: false
    .vgpr_count:     11
    .vgpr_spill_count: 0
    .wavefront_size: 32
    .workgroup_processor_mode: 1
  - .args:
      - .offset:         0
        .size:           4
        .value_kind:     by_value
      - .offset:         4
        .size:           4
        .value_kind:     by_value
      - .offset:         8
        .size:           4
        .value_kind:     by_value
      - .offset:         16
        .size:           8
        .value_kind:     by_value
      - .address_space:  global
        .offset:         24
        .size:           8
        .value_kind:     global_buffer
      - .offset:         32
        .size:           8
        .value_kind:     by_value
      - .offset:         40
        .size:           8
        .value_kind:     by_value
      - .offset:         48
        .size:           8
        .value_kind:     by_value
      - .address_space:  global
        .offset:         56
        .size:           8
        .value_kind:     global_buffer
      - .offset:         64
        .size:           8
        .value_kind:     by_value
      - .offset:         72
        .size:           8
        .value_kind:     by_value
      - .offset:         80
        .size:           8
        .value_kind:     by_value
      - .offset:         88
        .size:           4
        .value_kind:     by_value
      - .offset:         96
        .size:           8
        .value_kind:     by_value
      - .address_space:  global
        .offset:         104
        .size:           8
        .value_kind:     global_buffer
      - .offset:         112
        .size:           8
        .value_kind:     by_value
      - .offset:         120
        .size:           8
        .value_kind:     by_value
      - .offset:         128
        .size:           8
        .value_kind:     by_value
      - .offset:         136
        .size:           4
        .value_kind:     by_value
    .group_segment_fixed_size: 128
    .kernarg_segment_align: 8
    .kernarg_segment_size: 140
    .language:       OpenCL C
    .language_version:
      - 2
      - 0
    .max_flat_workgroup_size: 1024
    .name:           _ZL32rocblas_gemvt_warp_reduce_kernelILb1ELi1024ElPK16rocblas_bfloat16fKPS0_EviiT3_lPKT2_lT1_lS8_lS9_lS5_lPT4_lS9_li
    .private_segment_fixed_size: 0
    .sgpr_count:     30
    .sgpr_spill_count: 0
    .symbol:         _ZL32rocblas_gemvt_warp_reduce_kernelILb1ELi1024ElPK16rocblas_bfloat16fKPS0_EviiT3_lPKT2_lT1_lS8_lS9_lS5_lPT4_lS9_li.kd
    .uniform_work_group_size: 1
    .uses_dynamic_stack: false
    .vgpr_count:     12
    .vgpr_spill_count: 0
    .wavefront_size: 32
    .workgroup_processor_mode: 1
  - .args:
      - .offset:         0
        .size:           4
        .value_kind:     by_value
      - .offset:         4
        .size:           4
        .value_kind:     by_value
      - .address_space:  global
        .offset:         8
        .size:           8
        .value_kind:     global_buffer
      - .offset:         16
        .size:           8
        .value_kind:     by_value
      - .address_space:  global
        .offset:         24
        .size:           8
        .value_kind:     global_buffer
      - .offset:         32
        .size:           8
        .value_kind:     by_value
      - .offset:         40
        .size:           4
        .value_kind:     by_value
      - .offset:         48
        .size:           8
        .value_kind:     by_value
      - .address_space:  global
        .offset:         56
        .size:           8
        .value_kind:     global_buffer
      - .offset:         64
        .size:           8
        .value_kind:     by_value
      - .offset:         72
        .size:           4
        .value_kind:     by_value
      - .offset:         80
        .size:           8
        .value_kind:     by_value
      - .address_space:  global
        .offset:         88
        .size:           8
        .value_kind:     global_buffer
      - .offset:         96
        .size:           8
        .value_kind:     by_value
      - .address_space:  global
        .offset:         104
        .size:           8
        .value_kind:     global_buffer
      - .offset:         112
        .size:           8
        .value_kind:     by_value
      - .offset:         120
        .size:           4
        .value_kind:     by_value
      - .offset:         128
        .size:           8
        .value_kind:     by_value
      - .offset:         136
        .size:           4
        .value_kind:     by_value
    .group_segment_fixed_size: 0
    .kernarg_segment_align: 8
    .kernarg_segment_size: 140
    .language:       OpenCL C
    .language_version:
      - 2
      - 0
    .max_flat_workgroup_size: 768
    .name:           _ZL34rocblas_gemvn_sm_mn_batched_kernelILi32ELi24E16rocblas_bfloat16PKffEviiT2_lPKT1_lilS6_lilS3_lPT3_lili
    .private_segment_fixed_size: 0
    .sgpr_count:     0
    .sgpr_spill_count: 0
    .symbol:         _ZL34rocblas_gemvn_sm_mn_batched_kernelILi32ELi24E16rocblas_bfloat16PKffEviiT2_lPKT1_lilS6_lilS3_lPT3_lili.kd
    .uniform_work_group_size: 1
    .uses_dynamic_stack: false
    .vgpr_count:     0
    .vgpr_spill_count: 0
    .wavefront_size: 32
    .workgroup_processor_mode: 1
  - .args:
      - .offset:         0
        .size:           4
        .value_kind:     by_value
      - .offset:         4
        .size:           4
        .value_kind:     by_value
      - .offset:         8
        .size:           4
        .value_kind:     by_value
      - .offset:         16
        .size:           8
        .value_kind:     by_value
      - .address_space:  global
        .offset:         24
        .size:           8
        .value_kind:     global_buffer
      - .offset:         32
        .size:           8
        .value_kind:     by_value
      - .offset:         40
        .size:           4
        .value_kind:     by_value
      - .offset:         48
        .size:           8
        .value_kind:     by_value
      - .address_space:  global
        .offset:         56
        .size:           8
        .value_kind:     global_buffer
      - .offset:         64
        .size:           8
        .value_kind:     by_value
      - .offset:         72
        .size:           4
        .value_kind:     by_value
      - .offset:         80
        .size:           8
        .value_kind:     by_value
      - .offset:         88
        .size:           4
        .value_kind:     by_value
      - .offset:         96
        .size:           8
        .value_kind:     by_value
      - .address_space:  global
        .offset:         104
        .size:           8
        .value_kind:     global_buffer
      - .offset:         112
        .size:           8
        .value_kind:     by_value
      - .offset:         120
        .size:           4
        .value_kind:     by_value
      - .offset:         128
        .size:           8
        .value_kind:     by_value
      - .offset:         136
        .size:           4
        .value_kind:     by_value
    .group_segment_fixed_size: 0
    .kernarg_segment_align: 8
    .kernarg_segment_size: 140
    .language:       OpenCL C
    .language_version:
      - 2
      - 0
    .max_flat_workgroup_size: 768
    .name:           _ZL34rocblas_gemvn_sm_mn_batched_kernelILi32ELi24E16rocblas_bfloat16ffEviiT2_lPKT1_lilS4_lilS1_lPT3_lili
    .private_segment_fixed_size: 0
    .sgpr_count:     0
    .sgpr_spill_count: 0
    .symbol:         _ZL34rocblas_gemvn_sm_mn_batched_kernelILi32ELi24E16rocblas_bfloat16ffEviiT2_lPKT1_lilS4_lilS1_lPT3_lili.kd
    .uniform_work_group_size: 1
    .uses_dynamic_stack: false
    .vgpr_count:     0
    .vgpr_spill_count: 0
    .wavefront_size: 32
    .workgroup_processor_mode: 1
  - .args:
      - .offset:         0
        .size:           4
        .value_kind:     by_value
      - .offset:         4
        .size:           4
        .value_kind:     by_value
      - .address_space:  global
        .offset:         8
        .size:           8
        .value_kind:     global_buffer
      - .offset:         16
        .size:           8
        .value_kind:     by_value
      - .address_space:  global
        .offset:         24
        .size:           8
        .value_kind:     global_buffer
      - .offset:         32
        .size:           8
        .value_kind:     by_value
      - .offset:         40
        .size:           4
        .value_kind:     by_value
      - .offset:         48
        .size:           8
        .value_kind:     by_value
      - .address_space:  global
        .offset:         56
        .size:           8
        .value_kind:     global_buffer
      - .offset:         64
        .size:           8
        .value_kind:     by_value
      - .offset:         72
        .size:           4
        .value_kind:     by_value
      - .offset:         80
        .size:           8
        .value_kind:     by_value
      - .address_space:  global
        .offset:         88
        .size:           8
        .value_kind:     global_buffer
      - .offset:         96
        .size:           8
        .value_kind:     by_value
      - .address_space:  global
        .offset:         104
        .size:           8
        .value_kind:     global_buffer
      - .offset:         112
        .size:           8
        .value_kind:     by_value
      - .offset:         120
        .size:           4
        .value_kind:     by_value
      - .offset:         128
        .size:           8
        .value_kind:     by_value
      - .offset:         136
        .size:           4
        .value_kind:     by_value
      - .offset:         144
        .size:           4
        .value_kind:     hidden_block_count_x
      - .offset:         148
        .size:           4
        .value_kind:     hidden_block_count_y
      - .offset:         152
        .size:           4
        .value_kind:     hidden_block_count_z
      - .offset:         156
        .size:           2
        .value_kind:     hidden_group_size_x
      - .offset:         158
        .size:           2
        .value_kind:     hidden_group_size_y
      - .offset:         160
        .size:           2
        .value_kind:     hidden_group_size_z
      - .offset:         162
        .size:           2
        .value_kind:     hidden_remainder_x
      - .offset:         164
        .size:           2
        .value_kind:     hidden_remainder_y
      - .offset:         166
        .size:           2
        .value_kind:     hidden_remainder_z
      - .offset:         184
        .size:           8
        .value_kind:     hidden_global_offset_x
      - .offset:         192
        .size:           8
        .value_kind:     hidden_global_offset_y
      - .offset:         200
        .size:           8
        .value_kind:     hidden_global_offset_z
      - .offset:         208
        .size:           2
        .value_kind:     hidden_grid_dims
    .group_segment_fixed_size: 4096
    .kernarg_segment_align: 8
    .kernarg_segment_size: 400
    .language:       OpenCL C
    .language_version:
      - 2
      - 0
    .max_flat_workgroup_size: 256
    .name:           _ZL20rocblas_gemvn_kernelILi64ELi4Ei16rocblas_bfloat16PKffEviiT3_lPKT2_lT1_lS6_lS7_lS3_lPT4_lS7_li
    .private_segment_fixed_size: 0
    .sgpr_count:     30
    .sgpr_spill_count: 0
    .symbol:         _ZL20rocblas_gemvn_kernelILi64ELi4Ei16rocblas_bfloat16PKffEviiT3_lPKT2_lT1_lS6_lS7_lS3_lPT4_lS7_li.kd
    .uniform_work_group_size: 1
    .uses_dynamic_stack: false
    .vgpr_count:     41
    .vgpr_spill_count: 0
    .wavefront_size: 32
    .workgroup_processor_mode: 1
  - .args:
      - .offset:         0
        .size:           4
        .value_kind:     by_value
      - .offset:         4
        .size:           4
        .value_kind:     by_value
      - .address_space:  global
        .offset:         8
        .size:           8
        .value_kind:     global_buffer
      - .offset:         16
        .size:           8
        .value_kind:     by_value
      - .address_space:  global
        .offset:         24
        .size:           8
        .value_kind:     global_buffer
      - .offset:         32
        .size:           8
        .value_kind:     by_value
      - .offset:         40
        .size:           8
        .value_kind:     by_value
      - .offset:         48
        .size:           8
        .value_kind:     by_value
      - .address_space:  global
        .offset:         56
        .size:           8
        .value_kind:     global_buffer
      - .offset:         64
        .size:           8
        .value_kind:     by_value
      - .offset:         72
        .size:           8
        .value_kind:     by_value
      - .offset:         80
        .size:           8
        .value_kind:     by_value
      - .address_space:  global
        .offset:         88
        .size:           8
        .value_kind:     global_buffer
      - .offset:         96
        .size:           8
        .value_kind:     by_value
      - .address_space:  global
        .offset:         104
        .size:           8
        .value_kind:     global_buffer
      - .offset:         112
        .size:           8
        .value_kind:     by_value
      - .offset:         120
        .size:           8
        .value_kind:     by_value
      - .offset:         128
        .size:           8
        .value_kind:     by_value
      - .offset:         136
        .size:           4
        .value_kind:     by_value
      - .offset:         144
        .size:           4
        .value_kind:     hidden_block_count_x
      - .offset:         148
        .size:           4
        .value_kind:     hidden_block_count_y
      - .offset:         152
        .size:           4
        .value_kind:     hidden_block_count_z
      - .offset:         156
        .size:           2
        .value_kind:     hidden_group_size_x
      - .offset:         158
        .size:           2
        .value_kind:     hidden_group_size_y
      - .offset:         160
        .size:           2
        .value_kind:     hidden_group_size_z
      - .offset:         162
        .size:           2
        .value_kind:     hidden_remainder_x
      - .offset:         164
        .size:           2
        .value_kind:     hidden_remainder_y
      - .offset:         166
        .size:           2
        .value_kind:     hidden_remainder_z
      - .offset:         184
        .size:           8
        .value_kind:     hidden_global_offset_x
      - .offset:         192
        .size:           8
        .value_kind:     hidden_global_offset_y
      - .offset:         200
        .size:           8
        .value_kind:     hidden_global_offset_z
      - .offset:         208
        .size:           2
        .value_kind:     hidden_grid_dims
    .group_segment_fixed_size: 4096
    .kernarg_segment_align: 8
    .kernarg_segment_size: 400
    .language:       OpenCL C
    .language_version:
      - 2
      - 0
    .max_flat_workgroup_size: 256
    .name:           _ZL20rocblas_gemvn_kernelILi64ELi4El16rocblas_bfloat16PKffEviiT3_lPKT2_lT1_lS6_lS7_lS3_lPT4_lS7_li
    .private_segment_fixed_size: 0
    .sgpr_count:     54
    .sgpr_spill_count: 0
    .symbol:         _ZL20rocblas_gemvn_kernelILi64ELi4El16rocblas_bfloat16PKffEviiT3_lPKT2_lT1_lS6_lS7_lS3_lPT4_lS7_li.kd
    .uniform_work_group_size: 1
    .uses_dynamic_stack: false
    .vgpr_count:     51
    .vgpr_spill_count: 0
    .wavefront_size: 32
    .workgroup_processor_mode: 1
  - .args:
      - .offset:         0
        .size:           4
        .value_kind:     by_value
      - .offset:         4
        .size:           4
        .value_kind:     by_value
      - .offset:         8
        .size:           4
        .value_kind:     by_value
      - .offset:         16
        .size:           8
        .value_kind:     by_value
      - .address_space:  global
        .offset:         24
        .size:           8
        .value_kind:     global_buffer
      - .offset:         32
        .size:           8
        .value_kind:     by_value
      - .offset:         40
        .size:           4
        .value_kind:     by_value
      - .offset:         48
        .size:           8
        .value_kind:     by_value
      - .address_space:  global
        .offset:         56
        .size:           8
        .value_kind:     global_buffer
      - .offset:         64
        .size:           8
        .value_kind:     by_value
      - .offset:         72
        .size:           4
        .value_kind:     by_value
      - .offset:         80
        .size:           8
        .value_kind:     by_value
      - .offset:         88
        .size:           4
        .value_kind:     by_value
      - .offset:         96
        .size:           8
        .value_kind:     by_value
      - .address_space:  global
        .offset:         104
        .size:           8
        .value_kind:     global_buffer
      - .offset:         112
        .size:           8
        .value_kind:     by_value
      - .offset:         120
        .size:           4
        .value_kind:     by_value
      - .offset:         128
        .size:           8
        .value_kind:     by_value
      - .offset:         136
        .size:           4
        .value_kind:     by_value
      - .offset:         144
        .size:           4
        .value_kind:     hidden_block_count_x
      - .offset:         148
        .size:           4
        .value_kind:     hidden_block_count_y
      - .offset:         152
        .size:           4
        .value_kind:     hidden_block_count_z
      - .offset:         156
        .size:           2
        .value_kind:     hidden_group_size_x
      - .offset:         158
        .size:           2
        .value_kind:     hidden_group_size_y
      - .offset:         160
        .size:           2
        .value_kind:     hidden_group_size_z
      - .offset:         162
        .size:           2
        .value_kind:     hidden_remainder_x
      - .offset:         164
        .size:           2
        .value_kind:     hidden_remainder_y
      - .offset:         166
        .size:           2
        .value_kind:     hidden_remainder_z
      - .offset:         184
        .size:           8
        .value_kind:     hidden_global_offset_x
      - .offset:         192
        .size:           8
        .value_kind:     hidden_global_offset_y
      - .offset:         200
        .size:           8
        .value_kind:     hidden_global_offset_z
      - .offset:         208
        .size:           2
        .value_kind:     hidden_grid_dims
    .group_segment_fixed_size: 4096
    .kernarg_segment_align: 8
    .kernarg_segment_size: 400
    .language:       OpenCL C
    .language_version:
      - 2
      - 0
    .max_flat_workgroup_size: 256
    .name:           _ZL20rocblas_gemvn_kernelILi64ELi4Ei16rocblas_bfloat16ffEviiT3_lPKT2_lT1_lS4_lS5_lS1_lPT4_lS5_li
    .private_segment_fixed_size: 0
    .sgpr_count:     30
    .sgpr_spill_count: 0
    .symbol:         _ZL20rocblas_gemvn_kernelILi64ELi4Ei16rocblas_bfloat16ffEviiT3_lPKT2_lT1_lS4_lS5_lS1_lPT4_lS5_li.kd
    .uniform_work_group_size: 1
    .uses_dynamic_stack: false
    .vgpr_count:     41
    .vgpr_spill_count: 0
    .wavefront_size: 32
    .workgroup_processor_mode: 1
  - .args:
      - .offset:         0
        .size:           4
        .value_kind:     by_value
      - .offset:         4
        .size:           4
        .value_kind:     by_value
      - .offset:         8
        .size:           4
        .value_kind:     by_value
      - .offset:         16
        .size:           8
        .value_kind:     by_value
      - .address_space:  global
        .offset:         24
        .size:           8
        .value_kind:     global_buffer
      - .offset:         32
        .size:           8
        .value_kind:     by_value
      - .offset:         40
        .size:           8
        .value_kind:     by_value
      - .offset:         48
        .size:           8
        .value_kind:     by_value
      - .address_space:  global
        .offset:         56
        .size:           8
        .value_kind:     global_buffer
      - .offset:         64
        .size:           8
        .value_kind:     by_value
      - .offset:         72
        .size:           8
        .value_kind:     by_value
      - .offset:         80
        .size:           8
        .value_kind:     by_value
      - .offset:         88
        .size:           4
        .value_kind:     by_value
      - .offset:         96
        .size:           8
        .value_kind:     by_value
      - .address_space:  global
        .offset:         104
        .size:           8
        .value_kind:     global_buffer
      - .offset:         112
        .size:           8
        .value_kind:     by_value
      - .offset:         120
        .size:           8
        .value_kind:     by_value
      - .offset:         128
        .size:           8
        .value_kind:     by_value
      - .offset:         136
        .size:           4
        .value_kind:     by_value
      - .offset:         144
        .size:           4
        .value_kind:     hidden_block_count_x
      - .offset:         148
        .size:           4
        .value_kind:     hidden_block_count_y
      - .offset:         152
        .size:           4
        .value_kind:     hidden_block_count_z
      - .offset:         156
        .size:           2
        .value_kind:     hidden_group_size_x
      - .offset:         158
        .size:           2
        .value_kind:     hidden_group_size_y
      - .offset:         160
        .size:           2
        .value_kind:     hidden_group_size_z
      - .offset:         162
        .size:           2
        .value_kind:     hidden_remainder_x
      - .offset:         164
        .size:           2
        .value_kind:     hidden_remainder_y
      - .offset:         166
        .size:           2
        .value_kind:     hidden_remainder_z
      - .offset:         184
        .size:           8
        .value_kind:     hidden_global_offset_x
      - .offset:         192
        .size:           8
        .value_kind:     hidden_global_offset_y
      - .offset:         200
        .size:           8
        .value_kind:     hidden_global_offset_z
      - .offset:         208
        .size:           2
        .value_kind:     hidden_grid_dims
    .group_segment_fixed_size: 4096
    .kernarg_segment_align: 8
    .kernarg_segment_size: 400
    .language:       OpenCL C
    .language_version:
      - 2
      - 0
    .max_flat_workgroup_size: 256
    .name:           _ZL20rocblas_gemvn_kernelILi64ELi4El16rocblas_bfloat16ffEviiT3_lPKT2_lT1_lS4_lS5_lS1_lPT4_lS5_li
    .private_segment_fixed_size: 0
    .sgpr_count:     46
    .sgpr_spill_count: 0
    .symbol:         _ZL20rocblas_gemvn_kernelILi64ELi4El16rocblas_bfloat16ffEviiT3_lPKT2_lT1_lS4_lS5_lS1_lPT4_lS5_li.kd
    .uniform_work_group_size: 1
    .uses_dynamic_stack: false
    .vgpr_count:     51
    .vgpr_spill_count: 0
    .wavefront_size: 32
    .workgroup_processor_mode: 1
  - .args:
      - .offset:         0
        .size:           4
        .value_kind:     by_value
      - .offset:         4
        .size:           4
        .value_kind:     by_value
      - .address_space:  global
        .offset:         8
        .size:           8
        .value_kind:     global_buffer
      - .offset:         16
        .size:           8
        .value_kind:     by_value
      - .address_space:  global
        .offset:         24
        .size:           8
        .value_kind:     global_buffer
      - .offset:         32
        .size:           8
        .value_kind:     by_value
      - .offset:         40
        .size:           4
        .value_kind:     by_value
      - .offset:         48
        .size:           8
        .value_kind:     by_value
      - .address_space:  global
        .offset:         56
        .size:           8
        .value_kind:     global_buffer
      - .offset:         64
        .size:           8
        .value_kind:     by_value
      - .offset:         72
        .size:           4
        .value_kind:     by_value
      - .offset:         80
        .size:           8
        .value_kind:     by_value
      - .address_space:  global
        .offset:         88
        .size:           8
        .value_kind:     global_buffer
      - .offset:         96
        .size:           8
        .value_kind:     by_value
      - .address_space:  global
        .offset:         104
        .size:           8
        .value_kind:     global_buffer
      - .offset:         112
        .size:           8
        .value_kind:     by_value
      - .offset:         120
        .size:           4
        .value_kind:     by_value
      - .offset:         128
        .size:           8
        .value_kind:     by_value
      - .offset:         136
        .size:           4
        .value_kind:     by_value
      - .offset:         144
        .size:           4
        .value_kind:     hidden_block_count_x
      - .offset:         148
        .size:           4
        .value_kind:     hidden_block_count_y
      - .offset:         152
        .size:           4
        .value_kind:     hidden_block_count_z
      - .offset:         156
        .size:           2
        .value_kind:     hidden_group_size_x
      - .offset:         158
        .size:           2
        .value_kind:     hidden_group_size_y
      - .offset:         160
        .size:           2
        .value_kind:     hidden_group_size_z
      - .offset:         162
        .size:           2
        .value_kind:     hidden_remainder_x
      - .offset:         164
        .size:           2
        .value_kind:     hidden_remainder_y
      - .offset:         166
        .size:           2
        .value_kind:     hidden_remainder_z
      - .offset:         184
        .size:           8
        .value_kind:     hidden_global_offset_x
      - .offset:         192
        .size:           8
        .value_kind:     hidden_global_offset_y
      - .offset:         200
        .size:           8
        .value_kind:     hidden_global_offset_z
      - .offset:         208
        .size:           2
        .value_kind:     hidden_grid_dims
    .group_segment_fixed_size: 8192
    .kernarg_segment_align: 8
    .kernarg_segment_size: 400
    .language:       OpenCL C
    .language_version:
      - 2
      - 0
    .max_flat_workgroup_size: 512
    .name:           _ZL20rocblas_gemvn_kernelILi32ELi16Ei16rocblas_bfloat16PKffEviiT3_lPKT2_lT1_lS6_lS7_lS3_lPT4_lS7_li
    .private_segment_fixed_size: 0
    .sgpr_count:     30
    .sgpr_spill_count: 0
    .symbol:         _ZL20rocblas_gemvn_kernelILi32ELi16Ei16rocblas_bfloat16PKffEviiT3_lPKT2_lT1_lS6_lS7_lS3_lPT4_lS7_li.kd
    .uniform_work_group_size: 1
    .uses_dynamic_stack: false
    .vgpr_count:     41
    .vgpr_spill_count: 0
    .wavefront_size: 32
    .workgroup_processor_mode: 1
  - .args:
      - .offset:         0
        .size:           4
        .value_kind:     by_value
      - .offset:         4
        .size:           4
        .value_kind:     by_value
      - .address_space:  global
        .offset:         8
        .size:           8
        .value_kind:     global_buffer
      - .offset:         16
        .size:           8
        .value_kind:     by_value
      - .address_space:  global
        .offset:         24
        .size:           8
        .value_kind:     global_buffer
      - .offset:         32
        .size:           8
        .value_kind:     by_value
      - .offset:         40
        .size:           8
        .value_kind:     by_value
      - .offset:         48
        .size:           8
        .value_kind:     by_value
      - .address_space:  global
        .offset:         56
        .size:           8
        .value_kind:     global_buffer
      - .offset:         64
        .size:           8
        .value_kind:     by_value
      - .offset:         72
        .size:           8
        .value_kind:     by_value
      - .offset:         80
        .size:           8
        .value_kind:     by_value
      - .address_space:  global
        .offset:         88
        .size:           8
        .value_kind:     global_buffer
      - .offset:         96
        .size:           8
        .value_kind:     by_value
      - .address_space:  global
        .offset:         104
        .size:           8
        .value_kind:     global_buffer
      - .offset:         112
        .size:           8
        .value_kind:     by_value
      - .offset:         120
        .size:           8
        .value_kind:     by_value
      - .offset:         128
        .size:           8
        .value_kind:     by_value
      - .offset:         136
        .size:           4
        .value_kind:     by_value
      - .offset:         144
        .size:           4
        .value_kind:     hidden_block_count_x
      - .offset:         148
        .size:           4
        .value_kind:     hidden_block_count_y
      - .offset:         152
        .size:           4
        .value_kind:     hidden_block_count_z
      - .offset:         156
        .size:           2
        .value_kind:     hidden_group_size_x
      - .offset:         158
        .size:           2
        .value_kind:     hidden_group_size_y
      - .offset:         160
        .size:           2
        .value_kind:     hidden_group_size_z
      - .offset:         162
        .size:           2
        .value_kind:     hidden_remainder_x
      - .offset:         164
        .size:           2
        .value_kind:     hidden_remainder_y
      - .offset:         166
        .size:           2
        .value_kind:     hidden_remainder_z
      - .offset:         184
        .size:           8
        .value_kind:     hidden_global_offset_x
      - .offset:         192
        .size:           8
        .value_kind:     hidden_global_offset_y
      - .offset:         200
        .size:           8
        .value_kind:     hidden_global_offset_z
      - .offset:         208
        .size:           2
        .value_kind:     hidden_grid_dims
    .group_segment_fixed_size: 8192
    .kernarg_segment_align: 8
    .kernarg_segment_size: 400
    .language:       OpenCL C
    .language_version:
      - 2
      - 0
    .max_flat_workgroup_size: 512
    .name:           _ZL20rocblas_gemvn_kernelILi32ELi16El16rocblas_bfloat16PKffEviiT3_lPKT2_lT1_lS6_lS7_lS3_lPT4_lS7_li
    .private_segment_fixed_size: 0
    .sgpr_count:     54
    .sgpr_spill_count: 0
    .symbol:         _ZL20rocblas_gemvn_kernelILi32ELi16El16rocblas_bfloat16PKffEviiT3_lPKT2_lT1_lS6_lS7_lS3_lPT4_lS7_li.kd
    .uniform_work_group_size: 1
    .uses_dynamic_stack: false
    .vgpr_count:     51
    .vgpr_spill_count: 0
    .wavefront_size: 32
    .workgroup_processor_mode: 1
  - .args:
      - .offset:         0
        .size:           4
        .value_kind:     by_value
      - .offset:         4
        .size:           4
        .value_kind:     by_value
      - .offset:         8
        .size:           4
        .value_kind:     by_value
      - .offset:         16
        .size:           8
        .value_kind:     by_value
      - .address_space:  global
        .offset:         24
        .size:           8
        .value_kind:     global_buffer
      - .offset:         32
        .size:           8
        .value_kind:     by_value
      - .offset:         40
        .size:           4
        .value_kind:     by_value
      - .offset:         48
        .size:           8
        .value_kind:     by_value
      - .address_space:  global
        .offset:         56
        .size:           8
        .value_kind:     global_buffer
      - .offset:         64
        .size:           8
        .value_kind:     by_value
      - .offset:         72
        .size:           4
        .value_kind:     by_value
      - .offset:         80
        .size:           8
        .value_kind:     by_value
      - .offset:         88
        .size:           4
        .value_kind:     by_value
      - .offset:         96
        .size:           8
        .value_kind:     by_value
      - .address_space:  global
        .offset:         104
        .size:           8
        .value_kind:     global_buffer
      - .offset:         112
        .size:           8
        .value_kind:     by_value
      - .offset:         120
        .size:           4
        .value_kind:     by_value
      - .offset:         128
        .size:           8
        .value_kind:     by_value
      - .offset:         136
        .size:           4
        .value_kind:     by_value
      - .offset:         144
        .size:           4
        .value_kind:     hidden_block_count_x
      - .offset:         148
        .size:           4
        .value_kind:     hidden_block_count_y
      - .offset:         152
        .size:           4
        .value_kind:     hidden_block_count_z
      - .offset:         156
        .size:           2
        .value_kind:     hidden_group_size_x
      - .offset:         158
        .size:           2
        .value_kind:     hidden_group_size_y
      - .offset:         160
        .size:           2
        .value_kind:     hidden_group_size_z
      - .offset:         162
        .size:           2
        .value_kind:     hidden_remainder_x
      - .offset:         164
        .size:           2
        .value_kind:     hidden_remainder_y
      - .offset:         166
        .size:           2
        .value_kind:     hidden_remainder_z
      - .offset:         184
        .size:           8
        .value_kind:     hidden_global_offset_x
      - .offset:         192
        .size:           8
        .value_kind:     hidden_global_offset_y
      - .offset:         200
        .size:           8
        .value_kind:     hidden_global_offset_z
      - .offset:         208
        .size:           2
        .value_kind:     hidden_grid_dims
    .group_segment_fixed_size: 8192
    .kernarg_segment_align: 8
    .kernarg_segment_size: 400
    .language:       OpenCL C
    .language_version:
      - 2
      - 0
    .max_flat_workgroup_size: 512
    .name:           _ZL20rocblas_gemvn_kernelILi32ELi16Ei16rocblas_bfloat16ffEviiT3_lPKT2_lT1_lS4_lS5_lS1_lPT4_lS5_li
    .private_segment_fixed_size: 0
    .sgpr_count:     30
    .sgpr_spill_count: 0
    .symbol:         _ZL20rocblas_gemvn_kernelILi32ELi16Ei16rocblas_bfloat16ffEviiT3_lPKT2_lT1_lS4_lS5_lS1_lPT4_lS5_li.kd
    .uniform_work_group_size: 1
    .uses_dynamic_stack: false
    .vgpr_count:     41
    .vgpr_spill_count: 0
    .wavefront_size: 32
    .workgroup_processor_mode: 1
  - .args:
      - .offset:         0
        .size:           4
        .value_kind:     by_value
      - .offset:         4
        .size:           4
        .value_kind:     by_value
      - .offset:         8
        .size:           4
        .value_kind:     by_value
      - .offset:         16
        .size:           8
        .value_kind:     by_value
      - .address_space:  global
        .offset:         24
        .size:           8
        .value_kind:     global_buffer
      - .offset:         32
        .size:           8
        .value_kind:     by_value
      - .offset:         40
        .size:           8
        .value_kind:     by_value
      - .offset:         48
        .size:           8
        .value_kind:     by_value
      - .address_space:  global
        .offset:         56
        .size:           8
        .value_kind:     global_buffer
      - .offset:         64
        .size:           8
        .value_kind:     by_value
      - .offset:         72
        .size:           8
        .value_kind:     by_value
      - .offset:         80
        .size:           8
        .value_kind:     by_value
      - .offset:         88
        .size:           4
        .value_kind:     by_value
      - .offset:         96
        .size:           8
        .value_kind:     by_value
      - .address_space:  global
        .offset:         104
        .size:           8
        .value_kind:     global_buffer
      - .offset:         112
        .size:           8
        .value_kind:     by_value
      - .offset:         120
        .size:           8
        .value_kind:     by_value
      - .offset:         128
        .size:           8
        .value_kind:     by_value
      - .offset:         136
        .size:           4
        .value_kind:     by_value
      - .offset:         144
        .size:           4
        .value_kind:     hidden_block_count_x
      - .offset:         148
        .size:           4
        .value_kind:     hidden_block_count_y
      - .offset:         152
        .size:           4
        .value_kind:     hidden_block_count_z
      - .offset:         156
        .size:           2
        .value_kind:     hidden_group_size_x
      - .offset:         158
        .size:           2
        .value_kind:     hidden_group_size_y
      - .offset:         160
        .size:           2
        .value_kind:     hidden_group_size_z
      - .offset:         162
        .size:           2
        .value_kind:     hidden_remainder_x
      - .offset:         164
        .size:           2
        .value_kind:     hidden_remainder_y
      - .offset:         166
        .size:           2
        .value_kind:     hidden_remainder_z
      - .offset:         184
        .size:           8
        .value_kind:     hidden_global_offset_x
      - .offset:         192
        .size:           8
        .value_kind:     hidden_global_offset_y
      - .offset:         200
        .size:           8
        .value_kind:     hidden_global_offset_z
      - .offset:         208
        .size:           2
        .value_kind:     hidden_grid_dims
    .group_segment_fixed_size: 8192
    .kernarg_segment_align: 8
    .kernarg_segment_size: 400
    .language:       OpenCL C
    .language_version:
      - 2
      - 0
    .max_flat_workgroup_size: 512
    .name:           _ZL20rocblas_gemvn_kernelILi32ELi16El16rocblas_bfloat16ffEviiT3_lPKT2_lT1_lS4_lS5_lS1_lPT4_lS5_li
    .private_segment_fixed_size: 0
    .sgpr_count:     46
    .sgpr_spill_count: 0
    .symbol:         _ZL20rocblas_gemvn_kernelILi32ELi16El16rocblas_bfloat16ffEviiT3_lPKT2_lT1_lS4_lS5_lS1_lPT4_lS5_li.kd
    .uniform_work_group_size: 1
    .uses_dynamic_stack: false
    .vgpr_count:     51
    .vgpr_spill_count: 0
    .wavefront_size: 32
    .workgroup_processor_mode: 1
  - .args:
      - .offset:         0
        .size:           4
        .value_kind:     by_value
      - .offset:         4
        .size:           4
        .value_kind:     by_value
      - .address_space:  global
        .offset:         8
        .size:           8
        .value_kind:     global_buffer
      - .offset:         16
        .size:           8
        .value_kind:     by_value
      - .address_space:  global
        .offset:         24
        .size:           8
        .value_kind:     global_buffer
      - .offset:         32
        .size:           8
        .value_kind:     by_value
      - .offset:         40
        .size:           4
        .value_kind:     by_value
      - .offset:         48
        .size:           8
        .value_kind:     by_value
      - .address_space:  global
        .offset:         56
        .size:           8
        .value_kind:     global_buffer
      - .offset:         64
        .size:           8
        .value_kind:     by_value
      - .offset:         72
        .size:           4
        .value_kind:     by_value
      - .offset:         80
        .size:           8
        .value_kind:     by_value
      - .address_space:  global
        .offset:         88
        .size:           8
        .value_kind:     global_buffer
      - .offset:         96
        .size:           8
        .value_kind:     by_value
      - .address_space:  global
        .offset:         104
        .size:           8
        .value_kind:     global_buffer
      - .offset:         112
        .size:           8
        .value_kind:     by_value
      - .offset:         120
        .size:           4
        .value_kind:     by_value
      - .offset:         128
        .size:           8
        .value_kind:     by_value
      - .offset:         136
        .size:           4
        .value_kind:     by_value
      - .offset:         144
        .size:           4
        .value_kind:     hidden_block_count_x
      - .offset:         148
        .size:           4
        .value_kind:     hidden_block_count_y
      - .offset:         152
        .size:           4
        .value_kind:     hidden_block_count_z
      - .offset:         156
        .size:           2
        .value_kind:     hidden_group_size_x
      - .offset:         158
        .size:           2
        .value_kind:     hidden_group_size_y
      - .offset:         160
        .size:           2
        .value_kind:     hidden_group_size_z
      - .offset:         162
        .size:           2
        .value_kind:     hidden_remainder_x
      - .offset:         164
        .size:           2
        .value_kind:     hidden_remainder_y
      - .offset:         166
        .size:           2
        .value_kind:     hidden_remainder_z
      - .offset:         184
        .size:           8
        .value_kind:     hidden_global_offset_x
      - .offset:         192
        .size:           8
        .value_kind:     hidden_global_offset_y
      - .offset:         200
        .size:           8
        .value_kind:     hidden_global_offset_z
      - .offset:         208
        .size:           2
        .value_kind:     hidden_grid_dims
    .group_segment_fixed_size: 16384
    .kernarg_segment_align: 8
    .kernarg_segment_size: 400
    .language:       OpenCL C
    .language_version:
      - 2
      - 0
    .max_flat_workgroup_size: 1024
    .name:           _ZL20rocblas_gemvn_kernelILi64ELi16Ei16rocblas_bfloat16PKffEviiT3_lPKT2_lT1_lS6_lS7_lS3_lPT4_lS7_li
    .private_segment_fixed_size: 0
    .sgpr_count:     30
    .sgpr_spill_count: 0
    .symbol:         _ZL20rocblas_gemvn_kernelILi64ELi16Ei16rocblas_bfloat16PKffEviiT3_lPKT2_lT1_lS6_lS7_lS3_lPT4_lS7_li.kd
    .uniform_work_group_size: 1
    .uses_dynamic_stack: false
    .vgpr_count:     41
    .vgpr_spill_count: 0
    .wavefront_size: 32
    .workgroup_processor_mode: 1
  - .args:
      - .offset:         0
        .size:           4
        .value_kind:     by_value
      - .offset:         4
        .size:           4
        .value_kind:     by_value
      - .address_space:  global
        .offset:         8
        .size:           8
        .value_kind:     global_buffer
      - .offset:         16
        .size:           8
        .value_kind:     by_value
      - .address_space:  global
        .offset:         24
        .size:           8
        .value_kind:     global_buffer
      - .offset:         32
        .size:           8
        .value_kind:     by_value
      - .offset:         40
        .size:           8
        .value_kind:     by_value
      - .offset:         48
        .size:           8
        .value_kind:     by_value
      - .address_space:  global
        .offset:         56
        .size:           8
        .value_kind:     global_buffer
      - .offset:         64
        .size:           8
        .value_kind:     by_value
      - .offset:         72
        .size:           8
        .value_kind:     by_value
      - .offset:         80
        .size:           8
        .value_kind:     by_value
      - .address_space:  global
        .offset:         88
        .size:           8
        .value_kind:     global_buffer
      - .offset:         96
        .size:           8
        .value_kind:     by_value
      - .address_space:  global
        .offset:         104
        .size:           8
        .value_kind:     global_buffer
      - .offset:         112
        .size:           8
        .value_kind:     by_value
      - .offset:         120
        .size:           8
        .value_kind:     by_value
      - .offset:         128
        .size:           8
        .value_kind:     by_value
      - .offset:         136
        .size:           4
        .value_kind:     by_value
      - .offset:         144
        .size:           4
        .value_kind:     hidden_block_count_x
      - .offset:         148
        .size:           4
        .value_kind:     hidden_block_count_y
      - .offset:         152
        .size:           4
        .value_kind:     hidden_block_count_z
      - .offset:         156
        .size:           2
        .value_kind:     hidden_group_size_x
      - .offset:         158
        .size:           2
        .value_kind:     hidden_group_size_y
      - .offset:         160
        .size:           2
        .value_kind:     hidden_group_size_z
      - .offset:         162
        .size:           2
        .value_kind:     hidden_remainder_x
      - .offset:         164
        .size:           2
        .value_kind:     hidden_remainder_y
      - .offset:         166
        .size:           2
        .value_kind:     hidden_remainder_z
      - .offset:         184
        .size:           8
        .value_kind:     hidden_global_offset_x
      - .offset:         192
        .size:           8
        .value_kind:     hidden_global_offset_y
      - .offset:         200
        .size:           8
        .value_kind:     hidden_global_offset_z
      - .offset:         208
        .size:           2
        .value_kind:     hidden_grid_dims
    .group_segment_fixed_size: 16384
    .kernarg_segment_align: 8
    .kernarg_segment_size: 400
    .language:       OpenCL C
    .language_version:
      - 2
      - 0
    .max_flat_workgroup_size: 1024
    .name:           _ZL20rocblas_gemvn_kernelILi64ELi16El16rocblas_bfloat16PKffEviiT3_lPKT2_lT1_lS6_lS7_lS3_lPT4_lS7_li
    .private_segment_fixed_size: 0
    .sgpr_count:     54
    .sgpr_spill_count: 0
    .symbol:         _ZL20rocblas_gemvn_kernelILi64ELi16El16rocblas_bfloat16PKffEviiT3_lPKT2_lT1_lS6_lS7_lS3_lPT4_lS7_li.kd
    .uniform_work_group_size: 1
    .uses_dynamic_stack: false
    .vgpr_count:     51
    .vgpr_spill_count: 0
    .wavefront_size: 32
    .workgroup_processor_mode: 1
  - .args:
      - .offset:         0
        .size:           4
        .value_kind:     by_value
      - .offset:         4
        .size:           4
        .value_kind:     by_value
      - .offset:         8
        .size:           4
        .value_kind:     by_value
      - .offset:         16
        .size:           8
        .value_kind:     by_value
      - .address_space:  global
        .offset:         24
        .size:           8
        .value_kind:     global_buffer
      - .offset:         32
        .size:           8
        .value_kind:     by_value
      - .offset:         40
        .size:           4
        .value_kind:     by_value
      - .offset:         48
        .size:           8
        .value_kind:     by_value
      - .address_space:  global
        .offset:         56
        .size:           8
        .value_kind:     global_buffer
      - .offset:         64
        .size:           8
        .value_kind:     by_value
      - .offset:         72
        .size:           4
        .value_kind:     by_value
      - .offset:         80
        .size:           8
        .value_kind:     by_value
      - .offset:         88
        .size:           4
        .value_kind:     by_value
      - .offset:         96
        .size:           8
        .value_kind:     by_value
      - .address_space:  global
        .offset:         104
        .size:           8
        .value_kind:     global_buffer
      - .offset:         112
        .size:           8
        .value_kind:     by_value
      - .offset:         120
        .size:           4
        .value_kind:     by_value
      - .offset:         128
        .size:           8
        .value_kind:     by_value
      - .offset:         136
        .size:           4
        .value_kind:     by_value
      - .offset:         144
        .size:           4
        .value_kind:     hidden_block_count_x
      - .offset:         148
        .size:           4
        .value_kind:     hidden_block_count_y
      - .offset:         152
        .size:           4
        .value_kind:     hidden_block_count_z
      - .offset:         156
        .size:           2
        .value_kind:     hidden_group_size_x
      - .offset:         158
        .size:           2
        .value_kind:     hidden_group_size_y
      - .offset:         160
        .size:           2
        .value_kind:     hidden_group_size_z
      - .offset:         162
        .size:           2
        .value_kind:     hidden_remainder_x
      - .offset:         164
        .size:           2
        .value_kind:     hidden_remainder_y
      - .offset:         166
        .size:           2
        .value_kind:     hidden_remainder_z
      - .offset:         184
        .size:           8
        .value_kind:     hidden_global_offset_x
      - .offset:         192
        .size:           8
        .value_kind:     hidden_global_offset_y
      - .offset:         200
        .size:           8
        .value_kind:     hidden_global_offset_z
      - .offset:         208
        .size:           2
        .value_kind:     hidden_grid_dims
    .group_segment_fixed_size: 16384
    .kernarg_segment_align: 8
    .kernarg_segment_size: 400
    .language:       OpenCL C
    .language_version:
      - 2
      - 0
    .max_flat_workgroup_size: 1024
    .name:           _ZL20rocblas_gemvn_kernelILi64ELi16Ei16rocblas_bfloat16ffEviiT3_lPKT2_lT1_lS4_lS5_lS1_lPT4_lS5_li
    .private_segment_fixed_size: 0
    .sgpr_count:     30
    .sgpr_spill_count: 0
    .symbol:         _ZL20rocblas_gemvn_kernelILi64ELi16Ei16rocblas_bfloat16ffEviiT3_lPKT2_lT1_lS4_lS5_lS1_lPT4_lS5_li.kd
    .uniform_work_group_size: 1
    .uses_dynamic_stack: false
    .vgpr_count:     41
    .vgpr_spill_count: 0
    .wavefront_size: 32
    .workgroup_processor_mode: 1
  - .args:
      - .offset:         0
        .size:           4
        .value_kind:     by_value
      - .offset:         4
        .size:           4
        .value_kind:     by_value
      - .offset:         8
        .size:           4
        .value_kind:     by_value
      - .offset:         16
        .size:           8
        .value_kind:     by_value
      - .address_space:  global
        .offset:         24
        .size:           8
        .value_kind:     global_buffer
      - .offset:         32
        .size:           8
        .value_kind:     by_value
      - .offset:         40
        .size:           8
        .value_kind:     by_value
      - .offset:         48
        .size:           8
        .value_kind:     by_value
      - .address_space:  global
        .offset:         56
        .size:           8
        .value_kind:     global_buffer
      - .offset:         64
        .size:           8
        .value_kind:     by_value
      - .offset:         72
        .size:           8
        .value_kind:     by_value
      - .offset:         80
        .size:           8
        .value_kind:     by_value
      - .offset:         88
        .size:           4
        .value_kind:     by_value
      - .offset:         96
        .size:           8
        .value_kind:     by_value
      - .address_space:  global
        .offset:         104
        .size:           8
        .value_kind:     global_buffer
      - .offset:         112
        .size:           8
        .value_kind:     by_value
      - .offset:         120
        .size:           8
        .value_kind:     by_value
      - .offset:         128
        .size:           8
        .value_kind:     by_value
      - .offset:         136
        .size:           4
        .value_kind:     by_value
      - .offset:         144
        .size:           4
        .value_kind:     hidden_block_count_x
      - .offset:         148
        .size:           4
        .value_kind:     hidden_block_count_y
      - .offset:         152
        .size:           4
        .value_kind:     hidden_block_count_z
      - .offset:         156
        .size:           2
        .value_kind:     hidden_group_size_x
      - .offset:         158
        .size:           2
        .value_kind:     hidden_group_size_y
      - .offset:         160
        .size:           2
        .value_kind:     hidden_group_size_z
      - .offset:         162
        .size:           2
        .value_kind:     hidden_remainder_x
      - .offset:         164
        .size:           2
        .value_kind:     hidden_remainder_y
      - .offset:         166
        .size:           2
        .value_kind:     hidden_remainder_z
      - .offset:         184
        .size:           8
        .value_kind:     hidden_global_offset_x
      - .offset:         192
        .size:           8
        .value_kind:     hidden_global_offset_y
      - .offset:         200
        .size:           8
        .value_kind:     hidden_global_offset_z
      - .offset:         208
        .size:           2
        .value_kind:     hidden_grid_dims
    .group_segment_fixed_size: 16384
    .kernarg_segment_align: 8
    .kernarg_segment_size: 400
    .language:       OpenCL C
    .language_version:
      - 2
      - 0
    .max_flat_workgroup_size: 1024
    .name:           _ZL20rocblas_gemvn_kernelILi64ELi16El16rocblas_bfloat16ffEviiT3_lPKT2_lT1_lS4_lS5_lS1_lPT4_lS5_li
    .private_segment_fixed_size: 0
    .sgpr_count:     46
    .sgpr_spill_count: 0
    .symbol:         _ZL20rocblas_gemvn_kernelILi64ELi16El16rocblas_bfloat16ffEviiT3_lPKT2_lT1_lS4_lS5_lS1_lPT4_lS5_li.kd
    .uniform_work_group_size: 1
    .uses_dynamic_stack: false
    .vgpr_count:     51
    .vgpr_spill_count: 0
    .wavefront_size: 32
    .workgroup_processor_mode: 1
  - .args:
      - .offset:         0
        .size:           4
        .value_kind:     by_value
      - .offset:         4
        .size:           4
        .value_kind:     by_value
      - .address_space:  global
        .offset:         8
        .size:           8
        .value_kind:     global_buffer
      - .offset:         16
        .size:           8
        .value_kind:     by_value
      - .address_space:  global
        .offset:         24
        .size:           8
        .value_kind:     global_buffer
      - .offset:         32
        .size:           8
        .value_kind:     by_value
      - .offset:         40
        .size:           4
        .value_kind:     by_value
      - .offset:         48
        .size:           8
        .value_kind:     by_value
      - .address_space:  global
        .offset:         56
        .size:           8
        .value_kind:     global_buffer
      - .offset:         64
        .size:           8
        .value_kind:     by_value
      - .offset:         72
        .size:           4
        .value_kind:     by_value
      - .offset:         80
        .size:           8
        .value_kind:     by_value
      - .address_space:  global
        .offset:         88
        .size:           8
        .value_kind:     global_buffer
      - .offset:         96
        .size:           8
        .value_kind:     by_value
      - .address_space:  global
        .offset:         104
        .size:           8
        .value_kind:     global_buffer
      - .offset:         112
        .size:           8
        .value_kind:     by_value
      - .offset:         120
        .size:           4
        .value_kind:     by_value
      - .offset:         128
        .size:           8
        .value_kind:     by_value
    .group_segment_fixed_size: 256
    .kernarg_segment_align: 8
    .kernarg_segment_size: 136
    .language:       OpenCL C
    .language_version:
      - 2
      - 0
    .max_flat_workgroup_size: 256
    .name:           _ZL22rocblas_gemvtsm_kernelILb0ELi256E16rocblas_bfloat16PKffEviiT2_lPKT1_lilS6_lilS3_lPT3_lil
    .private_segment_fixed_size: 0
    .sgpr_count:     31
    .sgpr_spill_count: 0
    .symbol:         _ZL22rocblas_gemvtsm_kernelILb0ELi256E16rocblas_bfloat16PKffEviiT2_lPKT1_lilS6_lilS3_lPT3_lil.kd
    .uniform_work_group_size: 1
    .uses_dynamic_stack: false
    .vgpr_count:     16
    .vgpr_spill_count: 0
    .wavefront_size: 32
    .workgroup_processor_mode: 1
  - .args:
      - .offset:         0
        .size:           4
        .value_kind:     by_value
      - .offset:         4
        .size:           4
        .value_kind:     by_value
      - .offset:         8
        .size:           4
        .value_kind:     by_value
      - .offset:         16
        .size:           8
        .value_kind:     by_value
      - .address_space:  global
        .offset:         24
        .size:           8
        .value_kind:     global_buffer
      - .offset:         32
        .size:           8
        .value_kind:     by_value
      - .offset:         40
        .size:           4
        .value_kind:     by_value
      - .offset:         48
        .size:           8
        .value_kind:     by_value
      - .address_space:  global
        .offset:         56
        .size:           8
        .value_kind:     global_buffer
      - .offset:         64
        .size:           8
        .value_kind:     by_value
      - .offset:         72
        .size:           4
        .value_kind:     by_value
      - .offset:         80
        .size:           8
        .value_kind:     by_value
      - .offset:         88
        .size:           4
        .value_kind:     by_value
      - .offset:         96
        .size:           8
        .value_kind:     by_value
      - .address_space:  global
        .offset:         104
        .size:           8
        .value_kind:     global_buffer
      - .offset:         112
        .size:           8
        .value_kind:     by_value
      - .offset:         120
        .size:           4
        .value_kind:     by_value
      - .offset:         128
        .size:           8
        .value_kind:     by_value
    .group_segment_fixed_size: 256
    .kernarg_segment_align: 8
    .kernarg_segment_size: 136
    .language:       OpenCL C
    .language_version:
      - 2
      - 0
    .max_flat_workgroup_size: 256
    .name:           _ZL22rocblas_gemvtsm_kernelILb0ELi256E16rocblas_bfloat16ffEviiT2_lPKT1_lilS4_lilS1_lPT3_lil
    .private_segment_fixed_size: 0
    .sgpr_count:     27
    .sgpr_spill_count: 0
    .symbol:         _ZL22rocblas_gemvtsm_kernelILb0ELi256E16rocblas_bfloat16ffEviiT2_lPKT1_lilS4_lilS1_lPT3_lil.kd
    .uniform_work_group_size: 1
    .uses_dynamic_stack: false
    .vgpr_count:     16
    .vgpr_spill_count: 0
    .wavefront_size: 32
    .workgroup_processor_mode: 1
  - .args:
      - .offset:         0
        .size:           4
        .value_kind:     by_value
      - .offset:         4
        .size:           4
        .value_kind:     by_value
      - .address_space:  global
        .offset:         8
        .size:           8
        .value_kind:     global_buffer
      - .offset:         16
        .size:           8
        .value_kind:     by_value
      - .address_space:  global
        .offset:         24
        .size:           8
        .value_kind:     global_buffer
      - .offset:         32
        .size:           8
        .value_kind:     by_value
      - .offset:         40
        .size:           4
        .value_kind:     by_value
      - .offset:         48
        .size:           8
        .value_kind:     by_value
      - .address_space:  global
        .offset:         56
        .size:           8
        .value_kind:     global_buffer
      - .offset:         64
        .size:           8
        .value_kind:     by_value
      - .offset:         72
        .size:           4
        .value_kind:     by_value
      - .offset:         80
        .size:           8
        .value_kind:     by_value
      - .address_space:  global
        .offset:         88
        .size:           8
        .value_kind:     global_buffer
      - .offset:         96
        .size:           8
        .value_kind:     by_value
      - .address_space:  global
        .offset:         104
        .size:           8
        .value_kind:     global_buffer
      - .offset:         112
        .size:           8
        .value_kind:     by_value
      - .offset:         120
        .size:           4
        .value_kind:     by_value
      - .offset:         128
        .size:           8
        .value_kind:     by_value
      - .offset:         136
        .size:           4
        .value_kind:     by_value
    .group_segment_fixed_size: 128
    .kernarg_segment_align: 8
    .kernarg_segment_size: 140
    .language:       OpenCL C
    .language_version:
      - 2
      - 0
    .max_flat_workgroup_size: 256
    .name:           _ZL32rocblas_gemvt_warp_reduce_kernelILb0ELi256Ei16rocblas_bfloat16PKffEviiT3_lPKT2_lT1_lS6_lS7_lS3_lPT4_lS7_li
    .private_segment_fixed_size: 0
    .sgpr_count:     27
    .sgpr_spill_count: 0
    .symbol:         _ZL32rocblas_gemvt_warp_reduce_kernelILb0ELi256Ei16rocblas_bfloat16PKffEviiT3_lPKT2_lT1_lS6_lS7_lS3_lPT4_lS7_li.kd
    .uniform_work_group_size: 1
    .uses_dynamic_stack: false
    .vgpr_count:     11
    .vgpr_spill_count: 0
    .wavefront_size: 32
    .workgroup_processor_mode: 1
  - .args:
      - .offset:         0
        .size:           4
        .value_kind:     by_value
      - .offset:         4
        .size:           4
        .value_kind:     by_value
      - .address_space:  global
        .offset:         8
        .size:           8
        .value_kind:     global_buffer
      - .offset:         16
        .size:           8
        .value_kind:     by_value
      - .address_space:  global
        .offset:         24
        .size:           8
        .value_kind:     global_buffer
      - .offset:         32
        .size:           8
        .value_kind:     by_value
      - .offset:         40
        .size:           8
        .value_kind:     by_value
      - .offset:         48
        .size:           8
        .value_kind:     by_value
      - .address_space:  global
        .offset:         56
        .size:           8
        .value_kind:     global_buffer
      - .offset:         64
        .size:           8
        .value_kind:     by_value
      - .offset:         72
        .size:           8
        .value_kind:     by_value
      - .offset:         80
        .size:           8
        .value_kind:     by_value
      - .address_space:  global
        .offset:         88
        .size:           8
        .value_kind:     global_buffer
      - .offset:         96
        .size:           8
        .value_kind:     by_value
      - .address_space:  global
        .offset:         104
        .size:           8
        .value_kind:     global_buffer
      - .offset:         112
        .size:           8
        .value_kind:     by_value
      - .offset:         120
        .size:           8
        .value_kind:     by_value
      - .offset:         128
        .size:           8
        .value_kind:     by_value
      - .offset:         136
        .size:           4
        .value_kind:     by_value
    .group_segment_fixed_size: 128
    .kernarg_segment_align: 8
    .kernarg_segment_size: 140
    .language:       OpenCL C
    .language_version:
      - 2
      - 0
    .max_flat_workgroup_size: 256
    .name:           _ZL32rocblas_gemvt_warp_reduce_kernelILb0ELi256El16rocblas_bfloat16PKffEviiT3_lPKT2_lT1_lS6_lS7_lS3_lPT4_lS7_li
    .private_segment_fixed_size: 0
    .sgpr_count:     54
    .sgpr_spill_count: 0
    .symbol:         _ZL32rocblas_gemvt_warp_reduce_kernelILb0ELi256El16rocblas_bfloat16PKffEviiT3_lPKT2_lT1_lS6_lS7_lS3_lPT4_lS7_li.kd
    .uniform_work_group_size: 1
    .uses_dynamic_stack: false
    .vgpr_count:     12
    .vgpr_spill_count: 0
    .wavefront_size: 32
    .workgroup_processor_mode: 1
  - .args:
      - .offset:         0
        .size:           4
        .value_kind:     by_value
      - .offset:         4
        .size:           4
        .value_kind:     by_value
      - .offset:         8
        .size:           4
        .value_kind:     by_value
      - .offset:         16
        .size:           8
        .value_kind:     by_value
      - .address_space:  global
        .offset:         24
        .size:           8
        .value_kind:     global_buffer
      - .offset:         32
        .size:           8
        .value_kind:     by_value
      - .offset:         40
        .size:           4
        .value_kind:     by_value
      - .offset:         48
        .size:           8
        .value_kind:     by_value
      - .address_space:  global
        .offset:         56
        .size:           8
        .value_kind:     global_buffer
      - .offset:         64
        .size:           8
        .value_kind:     by_value
      - .offset:         72
        .size:           4
        .value_kind:     by_value
      - .offset:         80
        .size:           8
        .value_kind:     by_value
      - .offset:         88
        .size:           4
        .value_kind:     by_value
      - .offset:         96
        .size:           8
        .value_kind:     by_value
      - .address_space:  global
        .offset:         104
        .size:           8
        .value_kind:     global_buffer
      - .offset:         112
        .size:           8
        .value_kind:     by_value
      - .offset:         120
        .size:           4
        .value_kind:     by_value
      - .offset:         128
        .size:           8
        .value_kind:     by_value
      - .offset:         136
        .size:           4
        .value_kind:     by_value
    .group_segment_fixed_size: 128
    .kernarg_segment_align: 8
    .kernarg_segment_size: 140
    .language:       OpenCL C
    .language_version:
      - 2
      - 0
    .max_flat_workgroup_size: 256
    .name:           _ZL32rocblas_gemvt_warp_reduce_kernelILb0ELi256Ei16rocblas_bfloat16ffEviiT3_lPKT2_lT1_lS4_lS5_lS1_lPT4_lS5_li
    .private_segment_fixed_size: 0
    .sgpr_count:     26
    .sgpr_spill_count: 0
    .symbol:         _ZL32rocblas_gemvt_warp_reduce_kernelILb0ELi256Ei16rocblas_bfloat16ffEviiT3_lPKT2_lT1_lS4_lS5_lS1_lPT4_lS5_li.kd
    .uniform_work_group_size: 1
    .uses_dynamic_stack: false
    .vgpr_count:     11
    .vgpr_spill_count: 0
    .wavefront_size: 32
    .workgroup_processor_mode: 1
  - .args:
      - .offset:         0
        .size:           4
        .value_kind:     by_value
      - .offset:         4
        .size:           4
        .value_kind:     by_value
      - .offset:         8
        .size:           4
        .value_kind:     by_value
      - .offset:         16
        .size:           8
        .value_kind:     by_value
      - .address_space:  global
        .offset:         24
        .size:           8
        .value_kind:     global_buffer
      - .offset:         32
        .size:           8
        .value_kind:     by_value
      - .offset:         40
        .size:           8
        .value_kind:     by_value
      - .offset:         48
        .size:           8
        .value_kind:     by_value
      - .address_space:  global
        .offset:         56
        .size:           8
        .value_kind:     global_buffer
      - .offset:         64
        .size:           8
        .value_kind:     by_value
      - .offset:         72
        .size:           8
        .value_kind:     by_value
      - .offset:         80
        .size:           8
        .value_kind:     by_value
      - .offset:         88
        .size:           4
        .value_kind:     by_value
      - .offset:         96
        .size:           8
        .value_kind:     by_value
      - .address_space:  global
        .offset:         104
        .size:           8
        .value_kind:     global_buffer
      - .offset:         112
        .size:           8
        .value_kind:     by_value
      - .offset:         120
        .size:           8
        .value_kind:     by_value
      - .offset:         128
        .size:           8
        .value_kind:     by_value
      - .offset:         136
        .size:           4
        .value_kind:     by_value
    .group_segment_fixed_size: 128
    .kernarg_segment_align: 8
    .kernarg_segment_size: 140
    .language:       OpenCL C
    .language_version:
      - 2
      - 0
    .max_flat_workgroup_size: 256
    .name:           _ZL32rocblas_gemvt_warp_reduce_kernelILb0ELi256El16rocblas_bfloat16ffEviiT3_lPKT2_lT1_lS4_lS5_lS1_lPT4_lS5_li
    .private_segment_fixed_size: 0
    .sgpr_count:     36
    .sgpr_spill_count: 0
    .symbol:         _ZL32rocblas_gemvt_warp_reduce_kernelILb0ELi256El16rocblas_bfloat16ffEviiT3_lPKT2_lT1_lS4_lS5_lS1_lPT4_lS5_li.kd
    .uniform_work_group_size: 1
    .uses_dynamic_stack: false
    .vgpr_count:     12
    .vgpr_spill_count: 0
    .wavefront_size: 32
    .workgroup_processor_mode: 1
  - .args:
      - .offset:         0
        .size:           4
        .value_kind:     by_value
      - .offset:         4
        .size:           4
        .value_kind:     by_value
      - .address_space:  global
        .offset:         8
        .size:           8
        .value_kind:     global_buffer
      - .offset:         16
        .size:           8
        .value_kind:     by_value
      - .address_space:  global
        .offset:         24
        .size:           8
        .value_kind:     global_buffer
      - .offset:         32
        .size:           8
        .value_kind:     by_value
      - .offset:         40
        .size:           4
        .value_kind:     by_value
      - .offset:         48
        .size:           8
        .value_kind:     by_value
      - .address_space:  global
        .offset:         56
        .size:           8
        .value_kind:     global_buffer
      - .offset:         64
        .size:           8
        .value_kind:     by_value
      - .offset:         72
        .size:           4
        .value_kind:     by_value
      - .offset:         80
        .size:           8
        .value_kind:     by_value
      - .address_space:  global
        .offset:         88
        .size:           8
        .value_kind:     global_buffer
      - .offset:         96
        .size:           8
        .value_kind:     by_value
      - .address_space:  global
        .offset:         104
        .size:           8
        .value_kind:     global_buffer
      - .offset:         112
        .size:           8
        .value_kind:     by_value
      - .offset:         120
        .size:           4
        .value_kind:     by_value
      - .offset:         128
        .size:           8
        .value_kind:     by_value
      - .offset:         136
        .size:           4
        .value_kind:     by_value
    .group_segment_fixed_size: 1024
    .kernarg_segment_align: 8
    .kernarg_segment_size: 140
    .language:       OpenCL C
    .language_version:
      - 2
      - 0
    .max_flat_workgroup_size: 256
    .name:           _ZL20rocblas_gemvt_kernelILb0ELi256E16rocblas_bfloat16PKffEviiT2_lPKT1_lilS6_lilS3_lPT3_lili
    .private_segment_fixed_size: 0
    .sgpr_count:     30
    .sgpr_spill_count: 0
    .symbol:         _ZL20rocblas_gemvt_kernelILb0ELi256E16rocblas_bfloat16PKffEviiT2_lPKT1_lilS6_lilS3_lPT3_lili.kd
    .uniform_work_group_size: 1
    .uses_dynamic_stack: false
    .vgpr_count:     11
    .vgpr_spill_count: 0
    .wavefront_size: 32
    .workgroup_processor_mode: 1
  - .args:
      - .offset:         0
        .size:           4
        .value_kind:     by_value
      - .offset:         4
        .size:           4
        .value_kind:     by_value
      - .offset:         8
        .size:           4
        .value_kind:     by_value
      - .offset:         16
        .size:           8
        .value_kind:     by_value
      - .address_space:  global
        .offset:         24
        .size:           8
        .value_kind:     global_buffer
      - .offset:         32
        .size:           8
        .value_kind:     by_value
      - .offset:         40
        .size:           4
        .value_kind:     by_value
      - .offset:         48
        .size:           8
        .value_kind:     by_value
      - .address_space:  global
        .offset:         56
        .size:           8
        .value_kind:     global_buffer
      - .offset:         64
        .size:           8
        .value_kind:     by_value
      - .offset:         72
        .size:           4
        .value_kind:     by_value
      - .offset:         80
        .size:           8
        .value_kind:     by_value
      - .offset:         88
        .size:           4
        .value_kind:     by_value
      - .offset:         96
        .size:           8
        .value_kind:     by_value
      - .address_space:  global
        .offset:         104
        .size:           8
        .value_kind:     global_buffer
      - .offset:         112
        .size:           8
        .value_kind:     by_value
      - .offset:         120
        .size:           4
        .value_kind:     by_value
      - .offset:         128
        .size:           8
        .value_kind:     by_value
      - .offset:         136
        .size:           4
        .value_kind:     by_value
    .group_segment_fixed_size: 1024
    .kernarg_segment_align: 8
    .kernarg_segment_size: 140
    .language:       OpenCL C
    .language_version:
      - 2
      - 0
    .max_flat_workgroup_size: 256
    .name:           _ZL20rocblas_gemvt_kernelILb0ELi256E16rocblas_bfloat16ffEviiT2_lPKT1_lilS4_lilS1_lPT3_lili
    .private_segment_fixed_size: 0
    .sgpr_count:     30
    .sgpr_spill_count: 0
    .symbol:         _ZL20rocblas_gemvt_kernelILb0ELi256E16rocblas_bfloat16ffEviiT2_lPKT1_lilS4_lilS1_lPT3_lili.kd
    .uniform_work_group_size: 1
    .uses_dynamic_stack: false
    .vgpr_count:     11
    .vgpr_spill_count: 0
    .wavefront_size: 32
    .workgroup_processor_mode: 1
  - .args:
      - .offset:         0
        .size:           4
        .value_kind:     by_value
      - .offset:         4
        .size:           4
        .value_kind:     by_value
      - .address_space:  global
        .offset:         8
        .size:           8
        .value_kind:     global_buffer
      - .offset:         16
        .size:           8
        .value_kind:     by_value
      - .address_space:  global
        .offset:         24
        .size:           8
        .value_kind:     global_buffer
      - .offset:         32
        .size:           8
        .value_kind:     by_value
      - .offset:         40
        .size:           4
        .value_kind:     by_value
      - .offset:         48
        .size:           8
        .value_kind:     by_value
      - .address_space:  global
        .offset:         56
        .size:           8
        .value_kind:     global_buffer
      - .offset:         64
        .size:           8
        .value_kind:     by_value
      - .offset:         72
        .size:           4
        .value_kind:     by_value
      - .offset:         80
        .size:           8
        .value_kind:     by_value
      - .address_space:  global
        .offset:         88
        .size:           8
        .value_kind:     global_buffer
      - .offset:         96
        .size:           8
        .value_kind:     by_value
      - .address_space:  global
        .offset:         104
        .size:           8
        .value_kind:     global_buffer
      - .offset:         112
        .size:           8
        .value_kind:     by_value
      - .offset:         120
        .size:           4
        .value_kind:     by_value
      - .offset:         128
        .size:           8
        .value_kind:     by_value
      - .offset:         136
        .size:           4
        .value_kind:     by_value
    .group_segment_fixed_size: 128
    .kernarg_segment_align: 8
    .kernarg_segment_size: 140
    .language:       OpenCL C
    .language_version:
      - 2
      - 0
    .max_flat_workgroup_size: 1024
    .name:           _ZL32rocblas_gemvt_warp_reduce_kernelILb0ELi1024Ei16rocblas_bfloat16PKffEviiT3_lPKT2_lT1_lS6_lS7_lS3_lPT4_lS7_li
    .private_segment_fixed_size: 0
    .sgpr_count:     27
    .sgpr_spill_count: 0
    .symbol:         _ZL32rocblas_gemvt_warp_reduce_kernelILb0ELi1024Ei16rocblas_bfloat16PKffEviiT3_lPKT2_lT1_lS6_lS7_lS3_lPT4_lS7_li.kd
    .uniform_work_group_size: 1
    .uses_dynamic_stack: false
    .vgpr_count:     11
    .vgpr_spill_count: 0
    .wavefront_size: 32
    .workgroup_processor_mode: 1
  - .args:
      - .offset:         0
        .size:           4
        .value_kind:     by_value
      - .offset:         4
        .size:           4
        .value_kind:     by_value
      - .address_space:  global
        .offset:         8
        .size:           8
        .value_kind:     global_buffer
      - .offset:         16
        .size:           8
        .value_kind:     by_value
      - .address_space:  global
        .offset:         24
        .size:           8
        .value_kind:     global_buffer
      - .offset:         32
        .size:           8
        .value_kind:     by_value
      - .offset:         40
        .size:           8
        .value_kind:     by_value
      - .offset:         48
        .size:           8
        .value_kind:     by_value
      - .address_space:  global
        .offset:         56
        .size:           8
        .value_kind:     global_buffer
      - .offset:         64
        .size:           8
        .value_kind:     by_value
      - .offset:         72
        .size:           8
        .value_kind:     by_value
      - .offset:         80
        .size:           8
        .value_kind:     by_value
      - .address_space:  global
        .offset:         88
        .size:           8
        .value_kind:     global_buffer
      - .offset:         96
        .size:           8
        .value_kind:     by_value
      - .address_space:  global
        .offset:         104
        .size:           8
        .value_kind:     global_buffer
      - .offset:         112
        .size:           8
        .value_kind:     by_value
      - .offset:         120
        .size:           8
        .value_kind:     by_value
      - .offset:         128
        .size:           8
        .value_kind:     by_value
      - .offset:         136
        .size:           4
        .value_kind:     by_value
    .group_segment_fixed_size: 128
    .kernarg_segment_align: 8
    .kernarg_segment_size: 140
    .language:       OpenCL C
    .language_version:
      - 2
      - 0
    .max_flat_workgroup_size: 1024
    .name:           _ZL32rocblas_gemvt_warp_reduce_kernelILb0ELi1024El16rocblas_bfloat16PKffEviiT3_lPKT2_lT1_lS6_lS7_lS3_lPT4_lS7_li
    .private_segment_fixed_size: 0
    .sgpr_count:     54
    .sgpr_spill_count: 0
    .symbol:         _ZL32rocblas_gemvt_warp_reduce_kernelILb0ELi1024El16rocblas_bfloat16PKffEviiT3_lPKT2_lT1_lS6_lS7_lS3_lPT4_lS7_li.kd
    .uniform_work_group_size: 1
    .uses_dynamic_stack: false
    .vgpr_count:     12
    .vgpr_spill_count: 0
    .wavefront_size: 32
    .workgroup_processor_mode: 1
  - .args:
      - .offset:         0
        .size:           4
        .value_kind:     by_value
      - .offset:         4
        .size:           4
        .value_kind:     by_value
      - .offset:         8
        .size:           4
        .value_kind:     by_value
      - .offset:         16
        .size:           8
        .value_kind:     by_value
      - .address_space:  global
        .offset:         24
        .size:           8
        .value_kind:     global_buffer
      - .offset:         32
        .size:           8
        .value_kind:     by_value
      - .offset:         40
        .size:           4
        .value_kind:     by_value
      - .offset:         48
        .size:           8
        .value_kind:     by_value
      - .address_space:  global
        .offset:         56
        .size:           8
        .value_kind:     global_buffer
      - .offset:         64
        .size:           8
        .value_kind:     by_value
      - .offset:         72
        .size:           4
        .value_kind:     by_value
      - .offset:         80
        .size:           8
        .value_kind:     by_value
      - .offset:         88
        .size:           4
        .value_kind:     by_value
      - .offset:         96
        .size:           8
        .value_kind:     by_value
      - .address_space:  global
        .offset:         104
        .size:           8
        .value_kind:     global_buffer
      - .offset:         112
        .size:           8
        .value_kind:     by_value
      - .offset:         120
        .size:           4
        .value_kind:     by_value
      - .offset:         128
        .size:           8
        .value_kind:     by_value
      - .offset:         136
        .size:           4
        .value_kind:     by_value
    .group_segment_fixed_size: 128
    .kernarg_segment_align: 8
    .kernarg_segment_size: 140
    .language:       OpenCL C
    .language_version:
      - 2
      - 0
    .max_flat_workgroup_size: 1024
    .name:           _ZL32rocblas_gemvt_warp_reduce_kernelILb0ELi1024Ei16rocblas_bfloat16ffEviiT3_lPKT2_lT1_lS4_lS5_lS1_lPT4_lS5_li
    .private_segment_fixed_size: 0
    .sgpr_count:     26
    .sgpr_spill_count: 0
    .symbol:         _ZL32rocblas_gemvt_warp_reduce_kernelILb0ELi1024Ei16rocblas_bfloat16ffEviiT3_lPKT2_lT1_lS4_lS5_lS1_lPT4_lS5_li.kd
    .uniform_work_group_size: 1
    .uses_dynamic_stack: false
    .vgpr_count:     11
    .vgpr_spill_count: 0
    .wavefront_size: 32
    .workgroup_processor_mode: 1
  - .args:
      - .offset:         0
        .size:           4
        .value_kind:     by_value
      - .offset:         4
        .size:           4
        .value_kind:     by_value
      - .offset:         8
        .size:           4
        .value_kind:     by_value
      - .offset:         16
        .size:           8
        .value_kind:     by_value
      - .address_space:  global
        .offset:         24
        .size:           8
        .value_kind:     global_buffer
      - .offset:         32
        .size:           8
        .value_kind:     by_value
      - .offset:         40
        .size:           8
        .value_kind:     by_value
      - .offset:         48
        .size:           8
        .value_kind:     by_value
      - .address_space:  global
        .offset:         56
        .size:           8
        .value_kind:     global_buffer
      - .offset:         64
        .size:           8
        .value_kind:     by_value
      - .offset:         72
        .size:           8
        .value_kind:     by_value
      - .offset:         80
        .size:           8
        .value_kind:     by_value
      - .offset:         88
        .size:           4
        .value_kind:     by_value
      - .offset:         96
        .size:           8
        .value_kind:     by_value
      - .address_space:  global
        .offset:         104
        .size:           8
        .value_kind:     global_buffer
      - .offset:         112
        .size:           8
        .value_kind:     by_value
      - .offset:         120
        .size:           8
        .value_kind:     by_value
      - .offset:         128
        .size:           8
        .value_kind:     by_value
      - .offset:         136
        .size:           4
        .value_kind:     by_value
    .group_segment_fixed_size: 128
    .kernarg_segment_align: 8
    .kernarg_segment_size: 140
    .language:       OpenCL C
    .language_version:
      - 2
      - 0
    .max_flat_workgroup_size: 1024
    .name:           _ZL32rocblas_gemvt_warp_reduce_kernelILb0ELi1024El16rocblas_bfloat16ffEviiT3_lPKT2_lT1_lS4_lS5_lS1_lPT4_lS5_li
    .private_segment_fixed_size: 0
    .sgpr_count:     36
    .sgpr_spill_count: 0
    .symbol:         _ZL32rocblas_gemvt_warp_reduce_kernelILb0ELi1024El16rocblas_bfloat16ffEviiT3_lPKT2_lT1_lS4_lS5_lS1_lPT4_lS5_li.kd
    .uniform_work_group_size: 1
    .uses_dynamic_stack: false
    .vgpr_count:     12
    .vgpr_spill_count: 0
    .wavefront_size: 32
    .workgroup_processor_mode: 1
  - .args:
      - .offset:         0
        .size:           4
        .value_kind:     by_value
      - .offset:         4
        .size:           4
        .value_kind:     by_value
      - .address_space:  global
        .offset:         8
        .size:           8
        .value_kind:     global_buffer
      - .offset:         16
        .size:           8
        .value_kind:     by_value
      - .address_space:  global
        .offset:         24
        .size:           8
        .value_kind:     global_buffer
      - .offset:         32
        .size:           8
        .value_kind:     by_value
      - .offset:         40
        .size:           4
        .value_kind:     by_value
      - .offset:         48
        .size:           8
        .value_kind:     by_value
      - .address_space:  global
        .offset:         56
        .size:           8
        .value_kind:     global_buffer
      - .offset:         64
        .size:           8
        .value_kind:     by_value
      - .offset:         72
        .size:           4
        .value_kind:     by_value
      - .offset:         80
        .size:           8
        .value_kind:     by_value
      - .address_space:  global
        .offset:         88
        .size:           8
        .value_kind:     global_buffer
      - .offset:         96
        .size:           8
        .value_kind:     by_value
      - .address_space:  global
        .offset:         104
        .size:           8
        .value_kind:     global_buffer
      - .offset:         112
        .size:           8
        .value_kind:     by_value
      - .offset:         120
        .size:           4
        .value_kind:     by_value
      - .offset:         128
        .size:           8
        .value_kind:     by_value
    .group_segment_fixed_size: 256
    .kernarg_segment_align: 8
    .kernarg_segment_size: 136
    .language:       OpenCL C
    .language_version:
      - 2
      - 0
    .max_flat_workgroup_size: 256
    .name:           _ZL22rocblas_gemvtsm_kernelILb1ELi256E16rocblas_bfloat16PKffEviiT2_lPKT1_lilS6_lilS3_lPT3_lil
    .private_segment_fixed_size: 0
    .sgpr_count:     31
    .sgpr_spill_count: 0
    .symbol:         _ZL22rocblas_gemvtsm_kernelILb1ELi256E16rocblas_bfloat16PKffEviiT2_lPKT1_lilS6_lilS3_lPT3_lil.kd
    .uniform_work_group_size: 1
    .uses_dynamic_stack: false
    .vgpr_count:     16
    .vgpr_spill_count: 0
    .wavefront_size: 32
    .workgroup_processor_mode: 1
  - .args:
      - .offset:         0
        .size:           4
        .value_kind:     by_value
      - .offset:         4
        .size:           4
        .value_kind:     by_value
      - .offset:         8
        .size:           4
        .value_kind:     by_value
      - .offset:         16
        .size:           8
        .value_kind:     by_value
      - .address_space:  global
        .offset:         24
        .size:           8
        .value_kind:     global_buffer
      - .offset:         32
        .size:           8
        .value_kind:     by_value
      - .offset:         40
        .size:           4
        .value_kind:     by_value
      - .offset:         48
        .size:           8
        .value_kind:     by_value
      - .address_space:  global
        .offset:         56
        .size:           8
        .value_kind:     global_buffer
      - .offset:         64
        .size:           8
        .value_kind:     by_value
      - .offset:         72
        .size:           4
        .value_kind:     by_value
      - .offset:         80
        .size:           8
        .value_kind:     by_value
      - .offset:         88
        .size:           4
        .value_kind:     by_value
      - .offset:         96
        .size:           8
        .value_kind:     by_value
      - .address_space:  global
        .offset:         104
        .size:           8
        .value_kind:     global_buffer
      - .offset:         112
        .size:           8
        .value_kind:     by_value
      - .offset:         120
        .size:           4
        .value_kind:     by_value
      - .offset:         128
        .size:           8
        .value_kind:     by_value
    .group_segment_fixed_size: 256
    .kernarg_segment_align: 8
    .kernarg_segment_size: 136
    .language:       OpenCL C
    .language_version:
      - 2
      - 0
    .max_flat_workgroup_size: 256
    .name:           _ZL22rocblas_gemvtsm_kernelILb1ELi256E16rocblas_bfloat16ffEviiT2_lPKT1_lilS4_lilS1_lPT3_lil
    .private_segment_fixed_size: 0
    .sgpr_count:     27
    .sgpr_spill_count: 0
    .symbol:         _ZL22rocblas_gemvtsm_kernelILb1ELi256E16rocblas_bfloat16ffEviiT2_lPKT1_lilS4_lilS1_lPT3_lil.kd
    .uniform_work_group_size: 1
    .uses_dynamic_stack: false
    .vgpr_count:     16
    .vgpr_spill_count: 0
    .wavefront_size: 32
    .workgroup_processor_mode: 1
  - .args:
      - .offset:         0
        .size:           4
        .value_kind:     by_value
      - .offset:         4
        .size:           4
        .value_kind:     by_value
      - .address_space:  global
        .offset:         8
        .size:           8
        .value_kind:     global_buffer
      - .offset:         16
        .size:           8
        .value_kind:     by_value
      - .address_space:  global
        .offset:         24
        .size:           8
        .value_kind:     global_buffer
      - .offset:         32
        .size:           8
        .value_kind:     by_value
      - .offset:         40
        .size:           4
        .value_kind:     by_value
      - .offset:         48
        .size:           8
        .value_kind:     by_value
      - .address_space:  global
        .offset:         56
        .size:           8
        .value_kind:     global_buffer
      - .offset:         64
        .size:           8
        .value_kind:     by_value
      - .offset:         72
        .size:           4
        .value_kind:     by_value
      - .offset:         80
        .size:           8
        .value_kind:     by_value
      - .address_space:  global
        .offset:         88
        .size:           8
        .value_kind:     global_buffer
      - .offset:         96
        .size:           8
        .value_kind:     by_value
      - .address_space:  global
        .offset:         104
        .size:           8
        .value_kind:     global_buffer
      - .offset:         112
        .size:           8
        .value_kind:     by_value
      - .offset:         120
        .size:           4
        .value_kind:     by_value
      - .offset:         128
        .size:           8
        .value_kind:     by_value
      - .offset:         136
        .size:           4
        .value_kind:     by_value
    .group_segment_fixed_size: 1024
    .kernarg_segment_align: 8
    .kernarg_segment_size: 140
    .language:       OpenCL C
    .language_version:
      - 2
      - 0
    .max_flat_workgroup_size: 256
    .name:           _ZL20rocblas_gemvt_kernelILb1ELi256E16rocblas_bfloat16PKffEviiT2_lPKT1_lilS6_lilS3_lPT3_lili
    .private_segment_fixed_size: 0
    .sgpr_count:     30
    .sgpr_spill_count: 0
    .symbol:         _ZL20rocblas_gemvt_kernelILb1ELi256E16rocblas_bfloat16PKffEviiT2_lPKT1_lilS6_lilS3_lPT3_lili.kd
    .uniform_work_group_size: 1
    .uses_dynamic_stack: false
    .vgpr_count:     11
    .vgpr_spill_count: 0
    .wavefront_size: 32
    .workgroup_processor_mode: 1
  - .args:
      - .offset:         0
        .size:           4
        .value_kind:     by_value
      - .offset:         4
        .size:           4
        .value_kind:     by_value
      - .offset:         8
        .size:           4
        .value_kind:     by_value
      - .offset:         16
        .size:           8
        .value_kind:     by_value
      - .address_space:  global
        .offset:         24
        .size:           8
        .value_kind:     global_buffer
      - .offset:         32
        .size:           8
        .value_kind:     by_value
      - .offset:         40
        .size:           4
        .value_kind:     by_value
      - .offset:         48
        .size:           8
        .value_kind:     by_value
      - .address_space:  global
        .offset:         56
        .size:           8
        .value_kind:     global_buffer
      - .offset:         64
        .size:           8
        .value_kind:     by_value
      - .offset:         72
        .size:           4
        .value_kind:     by_value
      - .offset:         80
        .size:           8
        .value_kind:     by_value
      - .offset:         88
        .size:           4
        .value_kind:     by_value
      - .offset:         96
        .size:           8
        .value_kind:     by_value
      - .address_space:  global
        .offset:         104
        .size:           8
        .value_kind:     global_buffer
      - .offset:         112
        .size:           8
        .value_kind:     by_value
      - .offset:         120
        .size:           4
        .value_kind:     by_value
      - .offset:         128
        .size:           8
        .value_kind:     by_value
      - .offset:         136
        .size:           4
        .value_kind:     by_value
    .group_segment_fixed_size: 1024
    .kernarg_segment_align: 8
    .kernarg_segment_size: 140
    .language:       OpenCL C
    .language_version:
      - 2
      - 0
    .max_flat_workgroup_size: 256
    .name:           _ZL20rocblas_gemvt_kernelILb1ELi256E16rocblas_bfloat16ffEviiT2_lPKT1_lilS4_lilS1_lPT3_lili
    .private_segment_fixed_size: 0
    .sgpr_count:     30
    .sgpr_spill_count: 0
    .symbol:         _ZL20rocblas_gemvt_kernelILb1ELi256E16rocblas_bfloat16ffEviiT2_lPKT1_lilS4_lilS1_lPT3_lili.kd
    .uniform_work_group_size: 1
    .uses_dynamic_stack: false
    .vgpr_count:     11
    .vgpr_spill_count: 0
    .wavefront_size: 32
    .workgroup_processor_mode: 1
  - .args:
      - .offset:         0
        .size:           4
        .value_kind:     by_value
      - .offset:         4
        .size:           4
        .value_kind:     by_value
      - .address_space:  global
        .offset:         8
        .size:           8
        .value_kind:     global_buffer
      - .offset:         16
        .size:           8
        .value_kind:     by_value
      - .address_space:  global
        .offset:         24
        .size:           8
        .value_kind:     global_buffer
      - .offset:         32
        .size:           8
        .value_kind:     by_value
      - .offset:         40
        .size:           4
        .value_kind:     by_value
      - .offset:         48
        .size:           8
        .value_kind:     by_value
      - .address_space:  global
        .offset:         56
        .size:           8
        .value_kind:     global_buffer
      - .offset:         64
        .size:           8
        .value_kind:     by_value
      - .offset:         72
        .size:           4
        .value_kind:     by_value
      - .offset:         80
        .size:           8
        .value_kind:     by_value
      - .address_space:  global
        .offset:         88
        .size:           8
        .value_kind:     global_buffer
      - .offset:         96
        .size:           8
        .value_kind:     by_value
      - .address_space:  global
        .offset:         104
        .size:           8
        .value_kind:     global_buffer
      - .offset:         112
        .size:           8
        .value_kind:     by_value
      - .offset:         120
        .size:           4
        .value_kind:     by_value
      - .offset:         128
        .size:           8
        .value_kind:     by_value
      - .offset:         136
        .size:           4
        .value_kind:     by_value
    .group_segment_fixed_size: 128
    .kernarg_segment_align: 8
    .kernarg_segment_size: 140
    .language:       OpenCL C
    .language_version:
      - 2
      - 0
    .max_flat_workgroup_size: 1024
    .name:           _ZL32rocblas_gemvt_warp_reduce_kernelILb1ELi1024Ei16rocblas_bfloat16PKffEviiT3_lPKT2_lT1_lS6_lS7_lS3_lPT4_lS7_li
    .private_segment_fixed_size: 0
    .sgpr_count:     27
    .sgpr_spill_count: 0
    .symbol:         _ZL32rocblas_gemvt_warp_reduce_kernelILb1ELi1024Ei16rocblas_bfloat16PKffEviiT3_lPKT2_lT1_lS6_lS7_lS3_lPT4_lS7_li.kd
    .uniform_work_group_size: 1
    .uses_dynamic_stack: false
    .vgpr_count:     11
    .vgpr_spill_count: 0
    .wavefront_size: 32
    .workgroup_processor_mode: 1
  - .args:
      - .offset:         0
        .size:           4
        .value_kind:     by_value
      - .offset:         4
        .size:           4
        .value_kind:     by_value
      - .address_space:  global
        .offset:         8
        .size:           8
        .value_kind:     global_buffer
      - .offset:         16
        .size:           8
        .value_kind:     by_value
      - .address_space:  global
        .offset:         24
        .size:           8
        .value_kind:     global_buffer
      - .offset:         32
        .size:           8
        .value_kind:     by_value
      - .offset:         40
        .size:           8
        .value_kind:     by_value
      - .offset:         48
        .size:           8
        .value_kind:     by_value
      - .address_space:  global
        .offset:         56
        .size:           8
        .value_kind:     global_buffer
      - .offset:         64
        .size:           8
        .value_kind:     by_value
      - .offset:         72
        .size:           8
        .value_kind:     by_value
      - .offset:         80
        .size:           8
        .value_kind:     by_value
      - .address_space:  global
        .offset:         88
        .size:           8
        .value_kind:     global_buffer
      - .offset:         96
        .size:           8
        .value_kind:     by_value
      - .address_space:  global
        .offset:         104
        .size:           8
        .value_kind:     global_buffer
      - .offset:         112
        .size:           8
        .value_kind:     by_value
      - .offset:         120
        .size:           8
        .value_kind:     by_value
      - .offset:         128
        .size:           8
        .value_kind:     by_value
      - .offset:         136
        .size:           4
        .value_kind:     by_value
    .group_segment_fixed_size: 128
    .kernarg_segment_align: 8
    .kernarg_segment_size: 140
    .language:       OpenCL C
    .language_version:
      - 2
      - 0
    .max_flat_workgroup_size: 1024
    .name:           _ZL32rocblas_gemvt_warp_reduce_kernelILb1ELi1024El16rocblas_bfloat16PKffEviiT3_lPKT2_lT1_lS6_lS7_lS3_lPT4_lS7_li
    .private_segment_fixed_size: 0
    .sgpr_count:     54
    .sgpr_spill_count: 0
    .symbol:         _ZL32rocblas_gemvt_warp_reduce_kernelILb1ELi1024El16rocblas_bfloat16PKffEviiT3_lPKT2_lT1_lS6_lS7_lS3_lPT4_lS7_li.kd
    .uniform_work_group_size: 1
    .uses_dynamic_stack: false
    .vgpr_count:     12
    .vgpr_spill_count: 0
    .wavefront_size: 32
    .workgroup_processor_mode: 1
  - .args:
      - .offset:         0
        .size:           4
        .value_kind:     by_value
      - .offset:         4
        .size:           4
        .value_kind:     by_value
      - .offset:         8
        .size:           4
        .value_kind:     by_value
      - .offset:         16
        .size:           8
        .value_kind:     by_value
      - .address_space:  global
        .offset:         24
        .size:           8
        .value_kind:     global_buffer
      - .offset:         32
        .size:           8
        .value_kind:     by_value
      - .offset:         40
        .size:           4
        .value_kind:     by_value
      - .offset:         48
        .size:           8
        .value_kind:     by_value
      - .address_space:  global
        .offset:         56
        .size:           8
        .value_kind:     global_buffer
      - .offset:         64
        .size:           8
        .value_kind:     by_value
      - .offset:         72
        .size:           4
        .value_kind:     by_value
      - .offset:         80
        .size:           8
        .value_kind:     by_value
      - .offset:         88
        .size:           4
        .value_kind:     by_value
      - .offset:         96
        .size:           8
        .value_kind:     by_value
      - .address_space:  global
        .offset:         104
        .size:           8
        .value_kind:     global_buffer
      - .offset:         112
        .size:           8
        .value_kind:     by_value
      - .offset:         120
        .size:           4
        .value_kind:     by_value
      - .offset:         128
        .size:           8
        .value_kind:     by_value
      - .offset:         136
        .size:           4
        .value_kind:     by_value
    .group_segment_fixed_size: 128
    .kernarg_segment_align: 8
    .kernarg_segment_size: 140
    .language:       OpenCL C
    .language_version:
      - 2
      - 0
    .max_flat_workgroup_size: 1024
    .name:           _ZL32rocblas_gemvt_warp_reduce_kernelILb1ELi1024Ei16rocblas_bfloat16ffEviiT3_lPKT2_lT1_lS4_lS5_lS1_lPT4_lS5_li
    .private_segment_fixed_size: 0
    .sgpr_count:     26
    .sgpr_spill_count: 0
    .symbol:         _ZL32rocblas_gemvt_warp_reduce_kernelILb1ELi1024Ei16rocblas_bfloat16ffEviiT3_lPKT2_lT1_lS4_lS5_lS1_lPT4_lS5_li.kd
    .uniform_work_group_size: 1
    .uses_dynamic_stack: false
    .vgpr_count:     11
    .vgpr_spill_count: 0
    .wavefront_size: 32
    .workgroup_processor_mode: 1
  - .args:
      - .offset:         0
        .size:           4
        .value_kind:     by_value
      - .offset:         4
        .size:           4
        .value_kind:     by_value
      - .offset:         8
        .size:           4
        .value_kind:     by_value
      - .offset:         16
        .size:           8
        .value_kind:     by_value
      - .address_space:  global
        .offset:         24
        .size:           8
        .value_kind:     global_buffer
      - .offset:         32
        .size:           8
        .value_kind:     by_value
      - .offset:         40
        .size:           8
        .value_kind:     by_value
      - .offset:         48
        .size:           8
        .value_kind:     by_value
      - .address_space:  global
        .offset:         56
        .size:           8
        .value_kind:     global_buffer
      - .offset:         64
        .size:           8
        .value_kind:     by_value
      - .offset:         72
        .size:           8
        .value_kind:     by_value
      - .offset:         80
        .size:           8
        .value_kind:     by_value
      - .offset:         88
        .size:           4
        .value_kind:     by_value
      - .offset:         96
        .size:           8
        .value_kind:     by_value
      - .address_space:  global
        .offset:         104
        .size:           8
        .value_kind:     global_buffer
      - .offset:         112
        .size:           8
        .value_kind:     by_value
      - .offset:         120
        .size:           8
        .value_kind:     by_value
      - .offset:         128
        .size:           8
        .value_kind:     by_value
      - .offset:         136
        .size:           4
        .value_kind:     by_value
    .group_segment_fixed_size: 128
    .kernarg_segment_align: 8
    .kernarg_segment_size: 140
    .language:       OpenCL C
    .language_version:
      - 2
      - 0
    .max_flat_workgroup_size: 1024
    .name:           _ZL32rocblas_gemvt_warp_reduce_kernelILb1ELi1024El16rocblas_bfloat16ffEviiT3_lPKT2_lT1_lS4_lS5_lS1_lPT4_lS5_li
    .private_segment_fixed_size: 0
    .sgpr_count:     36
    .sgpr_spill_count: 0
    .symbol:         _ZL32rocblas_gemvt_warp_reduce_kernelILb1ELi1024El16rocblas_bfloat16ffEviiT3_lPKT2_lT1_lS4_lS5_lS1_lPT4_lS5_li.kd
    .uniform_work_group_size: 1
    .uses_dynamic_stack: false
    .vgpr_count:     12
    .vgpr_spill_count: 0
    .wavefront_size: 32
    .workgroup_processor_mode: 1
  - .args:
      - .offset:         0
        .size:           4
        .value_kind:     by_value
      - .offset:         4
        .size:           4
        .value_kind:     by_value
      - .address_space:  global
        .offset:         8
        .size:           8
        .value_kind:     global_buffer
      - .offset:         16
        .size:           8
        .value_kind:     by_value
      - .address_space:  global
        .offset:         24
        .size:           8
        .value_kind:     global_buffer
      - .offset:         32
        .size:           8
        .value_kind:     by_value
      - .offset:         40
        .size:           4
        .value_kind:     by_value
      - .offset:         48
        .size:           8
        .value_kind:     by_value
      - .address_space:  global
        .offset:         56
        .size:           8
        .value_kind:     global_buffer
      - .offset:         64
        .size:           8
        .value_kind:     by_value
      - .offset:         72
        .size:           4
        .value_kind:     by_value
      - .offset:         80
        .size:           8
        .value_kind:     by_value
      - .address_space:  global
        .offset:         88
        .size:           8
        .value_kind:     global_buffer
      - .offset:         96
        .size:           8
        .value_kind:     by_value
      - .address_space:  global
        .offset:         104
        .size:           8
        .value_kind:     global_buffer
      - .offset:         112
        .size:           8
        .value_kind:     by_value
      - .offset:         120
        .size:           4
        .value_kind:     by_value
      - .offset:         128
        .size:           8
        .value_kind:     by_value
      - .offset:         136
        .size:           4
        .value_kind:     by_value
    .group_segment_fixed_size: 0
    .kernarg_segment_align: 8
    .kernarg_segment_size: 140
    .language:       OpenCL C
    .language_version:
      - 2
      - 0
    .max_flat_workgroup_size: 768
    .name:           _ZL34rocblas_gemvn_sm_mn_batched_kernelILi32ELi24EPK16rocblas_bfloat16PKfKPfEviiT2_lPKT1_lilSA_lilS7_lPT3_lili
    .private_segment_fixed_size: 0
    .sgpr_count:     0
    .sgpr_spill_count: 0
    .symbol:         _ZL34rocblas_gemvn_sm_mn_batched_kernelILi32ELi24EPK16rocblas_bfloat16PKfKPfEviiT2_lPKT1_lilSA_lilS7_lPT3_lili.kd
    .uniform_work_group_size: 1
    .uses_dynamic_stack: false
    .vgpr_count:     0
    .vgpr_spill_count: 0
    .wavefront_size: 32
    .workgroup_processor_mode: 1
  - .args:
      - .offset:         0
        .size:           4
        .value_kind:     by_value
      - .offset:         4
        .size:           4
        .value_kind:     by_value
      - .offset:         8
        .size:           4
        .value_kind:     by_value
      - .offset:         16
        .size:           8
        .value_kind:     by_value
      - .address_space:  global
        .offset:         24
        .size:           8
        .value_kind:     global_buffer
      - .offset:         32
        .size:           8
        .value_kind:     by_value
      - .offset:         40
        .size:           4
        .value_kind:     by_value
      - .offset:         48
        .size:           8
        .value_kind:     by_value
      - .address_space:  global
        .offset:         56
        .size:           8
        .value_kind:     global_buffer
      - .offset:         64
        .size:           8
        .value_kind:     by_value
      - .offset:         72
        .size:           4
        .value_kind:     by_value
      - .offset:         80
        .size:           8
        .value_kind:     by_value
      - .offset:         88
        .size:           4
        .value_kind:     by_value
      - .offset:         96
        .size:           8
        .value_kind:     by_value
      - .address_space:  global
        .offset:         104
        .size:           8
        .value_kind:     global_buffer
      - .offset:         112
        .size:           8
        .value_kind:     by_value
      - .offset:         120
        .size:           4
        .value_kind:     by_value
      - .offset:         128
        .size:           8
        .value_kind:     by_value
      - .offset:         136
        .size:           4
        .value_kind:     by_value
    .group_segment_fixed_size: 0
    .kernarg_segment_align: 8
    .kernarg_segment_size: 140
    .language:       OpenCL C
    .language_version:
      - 2
      - 0
    .max_flat_workgroup_size: 768
    .name:           _ZL34rocblas_gemvn_sm_mn_batched_kernelILi32ELi24EPK16rocblas_bfloat16fKPfEviiT2_lPKT1_lilS8_lilS5_lPT3_lili
    .private_segment_fixed_size: 0
    .sgpr_count:     0
    .sgpr_spill_count: 0
    .symbol:         _ZL34rocblas_gemvn_sm_mn_batched_kernelILi32ELi24EPK16rocblas_bfloat16fKPfEviiT2_lPKT1_lilS8_lilS5_lPT3_lili.kd
    .uniform_work_group_size: 1
    .uses_dynamic_stack: false
    .vgpr_count:     0
    .vgpr_spill_count: 0
    .wavefront_size: 32
    .workgroup_processor_mode: 1
  - .args:
      - .offset:         0
        .size:           4
        .value_kind:     by_value
      - .offset:         4
        .size:           4
        .value_kind:     by_value
      - .address_space:  global
        .offset:         8
        .size:           8
        .value_kind:     global_buffer
      - .offset:         16
        .size:           8
        .value_kind:     by_value
      - .address_space:  global
        .offset:         24
        .size:           8
        .value_kind:     global_buffer
      - .offset:         32
        .size:           8
        .value_kind:     by_value
      - .offset:         40
        .size:           4
        .value_kind:     by_value
      - .offset:         48
        .size:           8
        .value_kind:     by_value
      - .address_space:  global
        .offset:         56
        .size:           8
        .value_kind:     global_buffer
      - .offset:         64
        .size:           8
        .value_kind:     by_value
      - .offset:         72
        .size:           4
        .value_kind:     by_value
      - .offset:         80
        .size:           8
        .value_kind:     by_value
      - .address_space:  global
        .offset:         88
        .size:           8
        .value_kind:     global_buffer
      - .offset:         96
        .size:           8
        .value_kind:     by_value
      - .address_space:  global
        .offset:         104
        .size:           8
        .value_kind:     global_buffer
      - .offset:         112
        .size:           8
        .value_kind:     by_value
      - .offset:         120
        .size:           4
        .value_kind:     by_value
      - .offset:         128
        .size:           8
        .value_kind:     by_value
      - .offset:         136
        .size:           4
        .value_kind:     by_value
      - .offset:         144
        .size:           4
        .value_kind:     hidden_block_count_x
      - .offset:         148
        .size:           4
        .value_kind:     hidden_block_count_y
      - .offset:         152
        .size:           4
        .value_kind:     hidden_block_count_z
      - .offset:         156
        .size:           2
        .value_kind:     hidden_group_size_x
      - .offset:         158
        .size:           2
        .value_kind:     hidden_group_size_y
      - .offset:         160
        .size:           2
        .value_kind:     hidden_group_size_z
      - .offset:         162
        .size:           2
        .value_kind:     hidden_remainder_x
      - .offset:         164
        .size:           2
        .value_kind:     hidden_remainder_y
      - .offset:         166
        .size:           2
        .value_kind:     hidden_remainder_z
      - .offset:         184
        .size:           8
        .value_kind:     hidden_global_offset_x
      - .offset:         192
        .size:           8
        .value_kind:     hidden_global_offset_y
      - .offset:         200
        .size:           8
        .value_kind:     hidden_global_offset_z
      - .offset:         208
        .size:           2
        .value_kind:     hidden_grid_dims
    .group_segment_fixed_size: 4096
    .kernarg_segment_align: 8
    .kernarg_segment_size: 400
    .language:       OpenCL C
    .language_version:
      - 2
      - 0
    .max_flat_workgroup_size: 256
    .name:           _ZL20rocblas_gemvn_kernelILi64ELi4EiPK16rocblas_bfloat16PKfKPfEviiT3_lPKT2_lT1_lSA_lSB_lS7_lPT4_lSB_li
    .private_segment_fixed_size: 0
    .sgpr_count:     30
    .sgpr_spill_count: 0
    .symbol:         _ZL20rocblas_gemvn_kernelILi64ELi4EiPK16rocblas_bfloat16PKfKPfEviiT3_lPKT2_lT1_lSA_lSB_lS7_lPT4_lSB_li.kd
    .uniform_work_group_size: 1
    .uses_dynamic_stack: false
    .vgpr_count:     41
    .vgpr_spill_count: 0
    .wavefront_size: 32
    .workgroup_processor_mode: 1
  - .args:
      - .offset:         0
        .size:           4
        .value_kind:     by_value
      - .offset:         4
        .size:           4
        .value_kind:     by_value
      - .address_space:  global
        .offset:         8
        .size:           8
        .value_kind:     global_buffer
      - .offset:         16
        .size:           8
        .value_kind:     by_value
      - .address_space:  global
        .offset:         24
        .size:           8
        .value_kind:     global_buffer
      - .offset:         32
        .size:           8
        .value_kind:     by_value
      - .offset:         40
        .size:           8
        .value_kind:     by_value
      - .offset:         48
        .size:           8
        .value_kind:     by_value
      - .address_space:  global
        .offset:         56
        .size:           8
        .value_kind:     global_buffer
      - .offset:         64
        .size:           8
        .value_kind:     by_value
      - .offset:         72
        .size:           8
        .value_kind:     by_value
      - .offset:         80
        .size:           8
        .value_kind:     by_value
      - .address_space:  global
        .offset:         88
        .size:           8
        .value_kind:     global_buffer
      - .offset:         96
        .size:           8
        .value_kind:     by_value
      - .address_space:  global
        .offset:         104
        .size:           8
        .value_kind:     global_buffer
      - .offset:         112
        .size:           8
        .value_kind:     by_value
      - .offset:         120
        .size:           8
        .value_kind:     by_value
      - .offset:         128
        .size:           8
        .value_kind:     by_value
      - .offset:         136
        .size:           4
        .value_kind:     by_value
      - .offset:         144
        .size:           4
        .value_kind:     hidden_block_count_x
      - .offset:         148
        .size:           4
        .value_kind:     hidden_block_count_y
      - .offset:         152
        .size:           4
        .value_kind:     hidden_block_count_z
      - .offset:         156
        .size:           2
        .value_kind:     hidden_group_size_x
      - .offset:         158
        .size:           2
        .value_kind:     hidden_group_size_y
      - .offset:         160
        .size:           2
        .value_kind:     hidden_group_size_z
      - .offset:         162
        .size:           2
        .value_kind:     hidden_remainder_x
      - .offset:         164
        .size:           2
        .value_kind:     hidden_remainder_y
      - .offset:         166
        .size:           2
        .value_kind:     hidden_remainder_z
      - .offset:         184
        .size:           8
        .value_kind:     hidden_global_offset_x
      - .offset:         192
        .size:           8
        .value_kind:     hidden_global_offset_y
      - .offset:         200
        .size:           8
        .value_kind:     hidden_global_offset_z
      - .offset:         208
        .size:           2
        .value_kind:     hidden_grid_dims
    .group_segment_fixed_size: 4096
    .kernarg_segment_align: 8
    .kernarg_segment_size: 400
    .language:       OpenCL C
    .language_version:
      - 2
      - 0
    .max_flat_workgroup_size: 256
    .name:           _ZL20rocblas_gemvn_kernelILi64ELi4ElPK16rocblas_bfloat16PKfKPfEviiT3_lPKT2_lT1_lSA_lSB_lS7_lPT4_lSB_li
    .private_segment_fixed_size: 0
    .sgpr_count:     37
    .sgpr_spill_count: 0
    .symbol:         _ZL20rocblas_gemvn_kernelILi64ELi4ElPK16rocblas_bfloat16PKfKPfEviiT3_lPKT2_lT1_lSA_lSB_lS7_lPT4_lSB_li.kd
    .uniform_work_group_size: 1
    .uses_dynamic_stack: false
    .vgpr_count:     51
    .vgpr_spill_count: 0
    .wavefront_size: 32
    .workgroup_processor_mode: 1
  - .args:
      - .offset:         0
        .size:           4
        .value_kind:     by_value
      - .offset:         4
        .size:           4
        .value_kind:     by_value
      - .offset:         8
        .size:           4
        .value_kind:     by_value
      - .offset:         16
        .size:           8
        .value_kind:     by_value
      - .address_space:  global
        .offset:         24
        .size:           8
        .value_kind:     global_buffer
      - .offset:         32
        .size:           8
        .value_kind:     by_value
      - .offset:         40
        .size:           4
        .value_kind:     by_value
      - .offset:         48
        .size:           8
        .value_kind:     by_value
      - .address_space:  global
        .offset:         56
        .size:           8
        .value_kind:     global_buffer
      - .offset:         64
        .size:           8
        .value_kind:     by_value
      - .offset:         72
        .size:           4
        .value_kind:     by_value
      - .offset:         80
        .size:           8
        .value_kind:     by_value
      - .offset:         88
        .size:           4
        .value_kind:     by_value
      - .offset:         96
        .size:           8
        .value_kind:     by_value
      - .address_space:  global
        .offset:         104
        .size:           8
        .value_kind:     global_buffer
      - .offset:         112
        .size:           8
        .value_kind:     by_value
      - .offset:         120
        .size:           4
        .value_kind:     by_value
      - .offset:         128
        .size:           8
        .value_kind:     by_value
      - .offset:         136
        .size:           4
        .value_kind:     by_value
      - .offset:         144
        .size:           4
        .value_kind:     hidden_block_count_x
      - .offset:         148
        .size:           4
        .value_kind:     hidden_block_count_y
      - .offset:         152
        .size:           4
        .value_kind:     hidden_block_count_z
      - .offset:         156
        .size:           2
        .value_kind:     hidden_group_size_x
      - .offset:         158
        .size:           2
        .value_kind:     hidden_group_size_y
      - .offset:         160
        .size:           2
        .value_kind:     hidden_group_size_z
      - .offset:         162
        .size:           2
        .value_kind:     hidden_remainder_x
      - .offset:         164
        .size:           2
        .value_kind:     hidden_remainder_y
      - .offset:         166
        .size:           2
        .value_kind:     hidden_remainder_z
      - .offset:         184
        .size:           8
        .value_kind:     hidden_global_offset_x
      - .offset:         192
        .size:           8
        .value_kind:     hidden_global_offset_y
      - .offset:         200
        .size:           8
        .value_kind:     hidden_global_offset_z
      - .offset:         208
        .size:           2
        .value_kind:     hidden_grid_dims
    .group_segment_fixed_size: 4096
    .kernarg_segment_align: 8
    .kernarg_segment_size: 400
    .language:       OpenCL C
    .language_version:
      - 2
      - 0
    .max_flat_workgroup_size: 256
    .name:           _ZL20rocblas_gemvn_kernelILi64ELi4EiPK16rocblas_bfloat16fKPfEviiT3_lPKT2_lT1_lS8_lS9_lS5_lPT4_lS9_li
    .private_segment_fixed_size: 0
    .sgpr_count:     30
    .sgpr_spill_count: 0
    .symbol:         _ZL20rocblas_gemvn_kernelILi64ELi4EiPK16rocblas_bfloat16fKPfEviiT3_lPKT2_lT1_lS8_lS9_lS5_lPT4_lS9_li.kd
    .uniform_work_group_size: 1
    .uses_dynamic_stack: false
    .vgpr_count:     41
    .vgpr_spill_count: 0
    .wavefront_size: 32
    .workgroup_processor_mode: 1
  - .args:
      - .offset:         0
        .size:           4
        .value_kind:     by_value
      - .offset:         4
        .size:           4
        .value_kind:     by_value
      - .offset:         8
        .size:           4
        .value_kind:     by_value
      - .offset:         16
        .size:           8
        .value_kind:     by_value
      - .address_space:  global
        .offset:         24
        .size:           8
        .value_kind:     global_buffer
      - .offset:         32
        .size:           8
        .value_kind:     by_value
      - .offset:         40
        .size:           8
        .value_kind:     by_value
      - .offset:         48
        .size:           8
        .value_kind:     by_value
      - .address_space:  global
        .offset:         56
        .size:           8
        .value_kind:     global_buffer
      - .offset:         64
        .size:           8
        .value_kind:     by_value
      - .offset:         72
        .size:           8
        .value_kind:     by_value
      - .offset:         80
        .size:           8
        .value_kind:     by_value
      - .offset:         88
        .size:           4
        .value_kind:     by_value
      - .offset:         96
        .size:           8
        .value_kind:     by_value
      - .address_space:  global
        .offset:         104
        .size:           8
        .value_kind:     global_buffer
      - .offset:         112
        .size:           8
        .value_kind:     by_value
      - .offset:         120
        .size:           8
        .value_kind:     by_value
      - .offset:         128
        .size:           8
        .value_kind:     by_value
      - .offset:         136
        .size:           4
        .value_kind:     by_value
      - .offset:         144
        .size:           4
        .value_kind:     hidden_block_count_x
      - .offset:         148
        .size:           4
        .value_kind:     hidden_block_count_y
      - .offset:         152
        .size:           4
        .value_kind:     hidden_block_count_z
      - .offset:         156
        .size:           2
        .value_kind:     hidden_group_size_x
      - .offset:         158
        .size:           2
        .value_kind:     hidden_group_size_y
      - .offset:         160
        .size:           2
        .value_kind:     hidden_group_size_z
      - .offset:         162
        .size:           2
        .value_kind:     hidden_remainder_x
      - .offset:         164
        .size:           2
        .value_kind:     hidden_remainder_y
      - .offset:         166
        .size:           2
        .value_kind:     hidden_remainder_z
      - .offset:         184
        .size:           8
        .value_kind:     hidden_global_offset_x
      - .offset:         192
        .size:           8
        .value_kind:     hidden_global_offset_y
      - .offset:         200
        .size:           8
        .value_kind:     hidden_global_offset_z
      - .offset:         208
        .size:           2
        .value_kind:     hidden_grid_dims
    .group_segment_fixed_size: 4096
    .kernarg_segment_align: 8
    .kernarg_segment_size: 400
    .language:       OpenCL C
    .language_version:
      - 2
      - 0
    .max_flat_workgroup_size: 256
    .name:           _ZL20rocblas_gemvn_kernelILi64ELi4ElPK16rocblas_bfloat16fKPfEviiT3_lPKT2_lT1_lS8_lS9_lS5_lPT4_lS9_li
    .private_segment_fixed_size: 0
    .sgpr_count:     37
    .sgpr_spill_count: 0
    .symbol:         _ZL20rocblas_gemvn_kernelILi64ELi4ElPK16rocblas_bfloat16fKPfEviiT3_lPKT2_lT1_lS8_lS9_lS5_lPT4_lS9_li.kd
    .uniform_work_group_size: 1
    .uses_dynamic_stack: false
    .vgpr_count:     51
    .vgpr_spill_count: 0
    .wavefront_size: 32
    .workgroup_processor_mode: 1
  - .args:
      - .offset:         0
        .size:           4
        .value_kind:     by_value
      - .offset:         4
        .size:           4
        .value_kind:     by_value
      - .address_space:  global
        .offset:         8
        .size:           8
        .value_kind:     global_buffer
      - .offset:         16
        .size:           8
        .value_kind:     by_value
      - .address_space:  global
        .offset:         24
        .size:           8
        .value_kind:     global_buffer
      - .offset:         32
        .size:           8
        .value_kind:     by_value
      - .offset:         40
        .size:           4
        .value_kind:     by_value
      - .offset:         48
        .size:           8
        .value_kind:     by_value
      - .address_space:  global
        .offset:         56
        .size:           8
        .value_kind:     global_buffer
      - .offset:         64
        .size:           8
        .value_kind:     by_value
      - .offset:         72
        .size:           4
        .value_kind:     by_value
      - .offset:         80
        .size:           8
        .value_kind:     by_value
      - .address_space:  global
        .offset:         88
        .size:           8
        .value_kind:     global_buffer
      - .offset:         96
        .size:           8
        .value_kind:     by_value
      - .address_space:  global
        .offset:         104
        .size:           8
        .value_kind:     global_buffer
      - .offset:         112
        .size:           8
        .value_kind:     by_value
      - .offset:         120
        .size:           4
        .value_kind:     by_value
      - .offset:         128
        .size:           8
        .value_kind:     by_value
      - .offset:         136
        .size:           4
        .value_kind:     by_value
      - .offset:         144
        .size:           4
        .value_kind:     hidden_block_count_x
      - .offset:         148
        .size:           4
        .value_kind:     hidden_block_count_y
      - .offset:         152
        .size:           4
        .value_kind:     hidden_block_count_z
      - .offset:         156
        .size:           2
        .value_kind:     hidden_group_size_x
      - .offset:         158
        .size:           2
        .value_kind:     hidden_group_size_y
      - .offset:         160
        .size:           2
        .value_kind:     hidden_group_size_z
      - .offset:         162
        .size:           2
        .value_kind:     hidden_remainder_x
      - .offset:         164
        .size:           2
        .value_kind:     hidden_remainder_y
      - .offset:         166
        .size:           2
        .value_kind:     hidden_remainder_z
      - .offset:         184
        .size:           8
        .value_kind:     hidden_global_offset_x
      - .offset:         192
        .size:           8
        .value_kind:     hidden_global_offset_y
      - .offset:         200
        .size:           8
        .value_kind:     hidden_global_offset_z
      - .offset:         208
        .size:           2
        .value_kind:     hidden_grid_dims
    .group_segment_fixed_size: 8192
    .kernarg_segment_align: 8
    .kernarg_segment_size: 400
    .language:       OpenCL C
    .language_version:
      - 2
      - 0
    .max_flat_workgroup_size: 512
    .name:           _ZL20rocblas_gemvn_kernelILi32ELi16EiPK16rocblas_bfloat16PKfKPfEviiT3_lPKT2_lT1_lSA_lSB_lS7_lPT4_lSB_li
    .private_segment_fixed_size: 0
    .sgpr_count:     30
    .sgpr_spill_count: 0
    .symbol:         _ZL20rocblas_gemvn_kernelILi32ELi16EiPK16rocblas_bfloat16PKfKPfEviiT3_lPKT2_lT1_lSA_lSB_lS7_lPT4_lSB_li.kd
    .uniform_work_group_size: 1
    .uses_dynamic_stack: false
    .vgpr_count:     41
    .vgpr_spill_count: 0
    .wavefront_size: 32
    .workgroup_processor_mode: 1
  - .args:
      - .offset:         0
        .size:           4
        .value_kind:     by_value
      - .offset:         4
        .size:           4
        .value_kind:     by_value
      - .address_space:  global
        .offset:         8
        .size:           8
        .value_kind:     global_buffer
      - .offset:         16
        .size:           8
        .value_kind:     by_value
      - .address_space:  global
        .offset:         24
        .size:           8
        .value_kind:     global_buffer
      - .offset:         32
        .size:           8
        .value_kind:     by_value
      - .offset:         40
        .size:           8
        .value_kind:     by_value
      - .offset:         48
        .size:           8
        .value_kind:     by_value
      - .address_space:  global
        .offset:         56
        .size:           8
        .value_kind:     global_buffer
      - .offset:         64
        .size:           8
        .value_kind:     by_value
      - .offset:         72
        .size:           8
        .value_kind:     by_value
      - .offset:         80
        .size:           8
        .value_kind:     by_value
      - .address_space:  global
        .offset:         88
        .size:           8
        .value_kind:     global_buffer
      - .offset:         96
        .size:           8
        .value_kind:     by_value
      - .address_space:  global
        .offset:         104
        .size:           8
        .value_kind:     global_buffer
      - .offset:         112
        .size:           8
        .value_kind:     by_value
      - .offset:         120
        .size:           8
        .value_kind:     by_value
      - .offset:         128
        .size:           8
        .value_kind:     by_value
      - .offset:         136
        .size:           4
        .value_kind:     by_value
      - .offset:         144
        .size:           4
        .value_kind:     hidden_block_count_x
      - .offset:         148
        .size:           4
        .value_kind:     hidden_block_count_y
      - .offset:         152
        .size:           4
        .value_kind:     hidden_block_count_z
      - .offset:         156
        .size:           2
        .value_kind:     hidden_group_size_x
      - .offset:         158
        .size:           2
        .value_kind:     hidden_group_size_y
      - .offset:         160
        .size:           2
        .value_kind:     hidden_group_size_z
      - .offset:         162
        .size:           2
        .value_kind:     hidden_remainder_x
      - .offset:         164
        .size:           2
        .value_kind:     hidden_remainder_y
      - .offset:         166
        .size:           2
        .value_kind:     hidden_remainder_z
      - .offset:         184
        .size:           8
        .value_kind:     hidden_global_offset_x
      - .offset:         192
        .size:           8
        .value_kind:     hidden_global_offset_y
      - .offset:         200
        .size:           8
        .value_kind:     hidden_global_offset_z
      - .offset:         208
        .size:           2
        .value_kind:     hidden_grid_dims
    .group_segment_fixed_size: 8192
    .kernarg_segment_align: 8
    .kernarg_segment_size: 400
    .language:       OpenCL C
    .language_version:
      - 2
      - 0
    .max_flat_workgroup_size: 512
    .name:           _ZL20rocblas_gemvn_kernelILi32ELi16ElPK16rocblas_bfloat16PKfKPfEviiT3_lPKT2_lT1_lSA_lSB_lS7_lPT4_lSB_li
    .private_segment_fixed_size: 0
    .sgpr_count:     37
    .sgpr_spill_count: 0
    .symbol:         _ZL20rocblas_gemvn_kernelILi32ELi16ElPK16rocblas_bfloat16PKfKPfEviiT3_lPKT2_lT1_lSA_lSB_lS7_lPT4_lSB_li.kd
    .uniform_work_group_size: 1
    .uses_dynamic_stack: false
    .vgpr_count:     51
    .vgpr_spill_count: 0
    .wavefront_size: 32
    .workgroup_processor_mode: 1
  - .args:
      - .offset:         0
        .size:           4
        .value_kind:     by_value
      - .offset:         4
        .size:           4
        .value_kind:     by_value
      - .offset:         8
        .size:           4
        .value_kind:     by_value
      - .offset:         16
        .size:           8
        .value_kind:     by_value
      - .address_space:  global
        .offset:         24
        .size:           8
        .value_kind:     global_buffer
      - .offset:         32
        .size:           8
        .value_kind:     by_value
      - .offset:         40
        .size:           4
        .value_kind:     by_value
      - .offset:         48
        .size:           8
        .value_kind:     by_value
      - .address_space:  global
        .offset:         56
        .size:           8
        .value_kind:     global_buffer
      - .offset:         64
        .size:           8
        .value_kind:     by_value
      - .offset:         72
        .size:           4
        .value_kind:     by_value
      - .offset:         80
        .size:           8
        .value_kind:     by_value
      - .offset:         88
        .size:           4
        .value_kind:     by_value
      - .offset:         96
        .size:           8
        .value_kind:     by_value
      - .address_space:  global
        .offset:         104
        .size:           8
        .value_kind:     global_buffer
      - .offset:         112
        .size:           8
        .value_kind:     by_value
      - .offset:         120
        .size:           4
        .value_kind:     by_value
      - .offset:         128
        .size:           8
        .value_kind:     by_value
      - .offset:         136
        .size:           4
        .value_kind:     by_value
      - .offset:         144
        .size:           4
        .value_kind:     hidden_block_count_x
      - .offset:         148
        .size:           4
        .value_kind:     hidden_block_count_y
      - .offset:         152
        .size:           4
        .value_kind:     hidden_block_count_z
      - .offset:         156
        .size:           2
        .value_kind:     hidden_group_size_x
      - .offset:         158
        .size:           2
        .value_kind:     hidden_group_size_y
      - .offset:         160
        .size:           2
        .value_kind:     hidden_group_size_z
      - .offset:         162
        .size:           2
        .value_kind:     hidden_remainder_x
      - .offset:         164
        .size:           2
        .value_kind:     hidden_remainder_y
      - .offset:         166
        .size:           2
        .value_kind:     hidden_remainder_z
      - .offset:         184
        .size:           8
        .value_kind:     hidden_global_offset_x
      - .offset:         192
        .size:           8
        .value_kind:     hidden_global_offset_y
      - .offset:         200
        .size:           8
        .value_kind:     hidden_global_offset_z
      - .offset:         208
        .size:           2
        .value_kind:     hidden_grid_dims
    .group_segment_fixed_size: 8192
    .kernarg_segment_align: 8
    .kernarg_segment_size: 400
    .language:       OpenCL C
    .language_version:
      - 2
      - 0
    .max_flat_workgroup_size: 512
    .name:           _ZL20rocblas_gemvn_kernelILi32ELi16EiPK16rocblas_bfloat16fKPfEviiT3_lPKT2_lT1_lS8_lS9_lS5_lPT4_lS9_li
    .private_segment_fixed_size: 0
    .sgpr_count:     30
    .sgpr_spill_count: 0
    .symbol:         _ZL20rocblas_gemvn_kernelILi32ELi16EiPK16rocblas_bfloat16fKPfEviiT3_lPKT2_lT1_lS8_lS9_lS5_lPT4_lS9_li.kd
    .uniform_work_group_size: 1
    .uses_dynamic_stack: false
    .vgpr_count:     41
    .vgpr_spill_count: 0
    .wavefront_size: 32
    .workgroup_processor_mode: 1
  - .args:
      - .offset:         0
        .size:           4
        .value_kind:     by_value
      - .offset:         4
        .size:           4
        .value_kind:     by_value
      - .offset:         8
        .size:           4
        .value_kind:     by_value
      - .offset:         16
        .size:           8
        .value_kind:     by_value
      - .address_space:  global
        .offset:         24
        .size:           8
        .value_kind:     global_buffer
      - .offset:         32
        .size:           8
        .value_kind:     by_value
      - .offset:         40
        .size:           8
        .value_kind:     by_value
      - .offset:         48
        .size:           8
        .value_kind:     by_value
      - .address_space:  global
        .offset:         56
        .size:           8
        .value_kind:     global_buffer
      - .offset:         64
        .size:           8
        .value_kind:     by_value
      - .offset:         72
        .size:           8
        .value_kind:     by_value
      - .offset:         80
        .size:           8
        .value_kind:     by_value
      - .offset:         88
        .size:           4
        .value_kind:     by_value
      - .offset:         96
        .size:           8
        .value_kind:     by_value
      - .address_space:  global
        .offset:         104
        .size:           8
        .value_kind:     global_buffer
      - .offset:         112
        .size:           8
        .value_kind:     by_value
      - .offset:         120
        .size:           8
        .value_kind:     by_value
      - .offset:         128
        .size:           8
        .value_kind:     by_value
      - .offset:         136
        .size:           4
        .value_kind:     by_value
      - .offset:         144
        .size:           4
        .value_kind:     hidden_block_count_x
      - .offset:         148
        .size:           4
        .value_kind:     hidden_block_count_y
      - .offset:         152
        .size:           4
        .value_kind:     hidden_block_count_z
      - .offset:         156
        .size:           2
        .value_kind:     hidden_group_size_x
      - .offset:         158
        .size:           2
        .value_kind:     hidden_group_size_y
      - .offset:         160
        .size:           2
        .value_kind:     hidden_group_size_z
      - .offset:         162
        .size:           2
        .value_kind:     hidden_remainder_x
      - .offset:         164
        .size:           2
        .value_kind:     hidden_remainder_y
      - .offset:         166
        .size:           2
        .value_kind:     hidden_remainder_z
      - .offset:         184
        .size:           8
        .value_kind:     hidden_global_offset_x
      - .offset:         192
        .size:           8
        .value_kind:     hidden_global_offset_y
      - .offset:         200
        .size:           8
        .value_kind:     hidden_global_offset_z
      - .offset:         208
        .size:           2
        .value_kind:     hidden_grid_dims
    .group_segment_fixed_size: 8192
    .kernarg_segment_align: 8
    .kernarg_segment_size: 400
    .language:       OpenCL C
    .language_version:
      - 2
      - 0
    .max_flat_workgroup_size: 512
    .name:           _ZL20rocblas_gemvn_kernelILi32ELi16ElPK16rocblas_bfloat16fKPfEviiT3_lPKT2_lT1_lS8_lS9_lS5_lPT4_lS9_li
    .private_segment_fixed_size: 0
    .sgpr_count:     37
    .sgpr_spill_count: 0
    .symbol:         _ZL20rocblas_gemvn_kernelILi32ELi16ElPK16rocblas_bfloat16fKPfEviiT3_lPKT2_lT1_lS8_lS9_lS5_lPT4_lS9_li.kd
    .uniform_work_group_size: 1
    .uses_dynamic_stack: false
    .vgpr_count:     51
    .vgpr_spill_count: 0
    .wavefront_size: 32
    .workgroup_processor_mode: 1
  - .args:
      - .offset:         0
        .size:           4
        .value_kind:     by_value
      - .offset:         4
        .size:           4
        .value_kind:     by_value
      - .address_space:  global
        .offset:         8
        .size:           8
        .value_kind:     global_buffer
      - .offset:         16
        .size:           8
        .value_kind:     by_value
      - .address_space:  global
        .offset:         24
        .size:           8
        .value_kind:     global_buffer
      - .offset:         32
        .size:           8
        .value_kind:     by_value
      - .offset:         40
        .size:           4
        .value_kind:     by_value
      - .offset:         48
        .size:           8
        .value_kind:     by_value
      - .address_space:  global
        .offset:         56
        .size:           8
        .value_kind:     global_buffer
      - .offset:         64
        .size:           8
        .value_kind:     by_value
      - .offset:         72
        .size:           4
        .value_kind:     by_value
      - .offset:         80
        .size:           8
        .value_kind:     by_value
      - .address_space:  global
        .offset:         88
        .size:           8
        .value_kind:     global_buffer
      - .offset:         96
        .size:           8
        .value_kind:     by_value
      - .address_space:  global
        .offset:         104
        .size:           8
        .value_kind:     global_buffer
      - .offset:         112
        .size:           8
        .value_kind:     by_value
      - .offset:         120
        .size:           4
        .value_kind:     by_value
      - .offset:         128
        .size:           8
        .value_kind:     by_value
      - .offset:         136
        .size:           4
        .value_kind:     by_value
      - .offset:         144
        .size:           4
        .value_kind:     hidden_block_count_x
      - .offset:         148
        .size:           4
        .value_kind:     hidden_block_count_y
      - .offset:         152
        .size:           4
        .value_kind:     hidden_block_count_z
      - .offset:         156
        .size:           2
        .value_kind:     hidden_group_size_x
      - .offset:         158
        .size:           2
        .value_kind:     hidden_group_size_y
      - .offset:         160
        .size:           2
        .value_kind:     hidden_group_size_z
      - .offset:         162
        .size:           2
        .value_kind:     hidden_remainder_x
      - .offset:         164
        .size:           2
        .value_kind:     hidden_remainder_y
      - .offset:         166
        .size:           2
        .value_kind:     hidden_remainder_z
      - .offset:         184
        .size:           8
        .value_kind:     hidden_global_offset_x
      - .offset:         192
        .size:           8
        .value_kind:     hidden_global_offset_y
      - .offset:         200
        .size:           8
        .value_kind:     hidden_global_offset_z
      - .offset:         208
        .size:           2
        .value_kind:     hidden_grid_dims
    .group_segment_fixed_size: 16384
    .kernarg_segment_align: 8
    .kernarg_segment_size: 400
    .language:       OpenCL C
    .language_version:
      - 2
      - 0
    .max_flat_workgroup_size: 1024
    .name:           _ZL20rocblas_gemvn_kernelILi64ELi16EiPK16rocblas_bfloat16PKfKPfEviiT3_lPKT2_lT1_lSA_lSB_lS7_lPT4_lSB_li
    .private_segment_fixed_size: 0
    .sgpr_count:     30
    .sgpr_spill_count: 0
    .symbol:         _ZL20rocblas_gemvn_kernelILi64ELi16EiPK16rocblas_bfloat16PKfKPfEviiT3_lPKT2_lT1_lSA_lSB_lS7_lPT4_lSB_li.kd
    .uniform_work_group_size: 1
    .uses_dynamic_stack: false
    .vgpr_count:     41
    .vgpr_spill_count: 0
    .wavefront_size: 32
    .workgroup_processor_mode: 1
  - .args:
      - .offset:         0
        .size:           4
        .value_kind:     by_value
      - .offset:         4
        .size:           4
        .value_kind:     by_value
      - .address_space:  global
        .offset:         8
        .size:           8
        .value_kind:     global_buffer
      - .offset:         16
        .size:           8
        .value_kind:     by_value
      - .address_space:  global
        .offset:         24
        .size:           8
        .value_kind:     global_buffer
      - .offset:         32
        .size:           8
        .value_kind:     by_value
      - .offset:         40
        .size:           8
        .value_kind:     by_value
      - .offset:         48
        .size:           8
        .value_kind:     by_value
      - .address_space:  global
        .offset:         56
        .size:           8
        .value_kind:     global_buffer
      - .offset:         64
        .size:           8
        .value_kind:     by_value
      - .offset:         72
        .size:           8
        .value_kind:     by_value
      - .offset:         80
        .size:           8
        .value_kind:     by_value
      - .address_space:  global
        .offset:         88
        .size:           8
        .value_kind:     global_buffer
      - .offset:         96
        .size:           8
        .value_kind:     by_value
      - .address_space:  global
        .offset:         104
        .size:           8
        .value_kind:     global_buffer
      - .offset:         112
        .size:           8
        .value_kind:     by_value
      - .offset:         120
        .size:           8
        .value_kind:     by_value
      - .offset:         128
        .size:           8
        .value_kind:     by_value
      - .offset:         136
        .size:           4
        .value_kind:     by_value
      - .offset:         144
        .size:           4
        .value_kind:     hidden_block_count_x
      - .offset:         148
        .size:           4
        .value_kind:     hidden_block_count_y
      - .offset:         152
        .size:           4
        .value_kind:     hidden_block_count_z
      - .offset:         156
        .size:           2
        .value_kind:     hidden_group_size_x
      - .offset:         158
        .size:           2
        .value_kind:     hidden_group_size_y
      - .offset:         160
        .size:           2
        .value_kind:     hidden_group_size_z
      - .offset:         162
        .size:           2
        .value_kind:     hidden_remainder_x
      - .offset:         164
        .size:           2
        .value_kind:     hidden_remainder_y
      - .offset:         166
        .size:           2
        .value_kind:     hidden_remainder_z
      - .offset:         184
        .size:           8
        .value_kind:     hidden_global_offset_x
      - .offset:         192
        .size:           8
        .value_kind:     hidden_global_offset_y
      - .offset:         200
        .size:           8
        .value_kind:     hidden_global_offset_z
      - .offset:         208
        .size:           2
        .value_kind:     hidden_grid_dims
    .group_segment_fixed_size: 16384
    .kernarg_segment_align: 8
    .kernarg_segment_size: 400
    .language:       OpenCL C
    .language_version:
      - 2
      - 0
    .max_flat_workgroup_size: 1024
    .name:           _ZL20rocblas_gemvn_kernelILi64ELi16ElPK16rocblas_bfloat16PKfKPfEviiT3_lPKT2_lT1_lSA_lSB_lS7_lPT4_lSB_li
    .private_segment_fixed_size: 0
    .sgpr_count:     37
    .sgpr_spill_count: 0
    .symbol:         _ZL20rocblas_gemvn_kernelILi64ELi16ElPK16rocblas_bfloat16PKfKPfEviiT3_lPKT2_lT1_lSA_lSB_lS7_lPT4_lSB_li.kd
    .uniform_work_group_size: 1
    .uses_dynamic_stack: false
    .vgpr_count:     51
    .vgpr_spill_count: 0
    .wavefront_size: 32
    .workgroup_processor_mode: 1
  - .args:
      - .offset:         0
        .size:           4
        .value_kind:     by_value
      - .offset:         4
        .size:           4
        .value_kind:     by_value
      - .offset:         8
        .size:           4
        .value_kind:     by_value
      - .offset:         16
        .size:           8
        .value_kind:     by_value
      - .address_space:  global
        .offset:         24
        .size:           8
        .value_kind:     global_buffer
      - .offset:         32
        .size:           8
        .value_kind:     by_value
      - .offset:         40
        .size:           4
        .value_kind:     by_value
      - .offset:         48
        .size:           8
        .value_kind:     by_value
      - .address_space:  global
        .offset:         56
        .size:           8
        .value_kind:     global_buffer
      - .offset:         64
        .size:           8
        .value_kind:     by_value
      - .offset:         72
        .size:           4
        .value_kind:     by_value
      - .offset:         80
        .size:           8
        .value_kind:     by_value
      - .offset:         88
        .size:           4
        .value_kind:     by_value
      - .offset:         96
        .size:           8
        .value_kind:     by_value
      - .address_space:  global
        .offset:         104
        .size:           8
        .value_kind:     global_buffer
      - .offset:         112
        .size:           8
        .value_kind:     by_value
      - .offset:         120
        .size:           4
        .value_kind:     by_value
      - .offset:         128
        .size:           8
        .value_kind:     by_value
      - .offset:         136
        .size:           4
        .value_kind:     by_value
      - .offset:         144
        .size:           4
        .value_kind:     hidden_block_count_x
      - .offset:         148
        .size:           4
        .value_kind:     hidden_block_count_y
      - .offset:         152
        .size:           4
        .value_kind:     hidden_block_count_z
      - .offset:         156
        .size:           2
        .value_kind:     hidden_group_size_x
      - .offset:         158
        .size:           2
        .value_kind:     hidden_group_size_y
      - .offset:         160
        .size:           2
        .value_kind:     hidden_group_size_z
      - .offset:         162
        .size:           2
        .value_kind:     hidden_remainder_x
      - .offset:         164
        .size:           2
        .value_kind:     hidden_remainder_y
      - .offset:         166
        .size:           2
        .value_kind:     hidden_remainder_z
      - .offset:         184
        .size:           8
        .value_kind:     hidden_global_offset_x
      - .offset:         192
        .size:           8
        .value_kind:     hidden_global_offset_y
      - .offset:         200
        .size:           8
        .value_kind:     hidden_global_offset_z
      - .offset:         208
        .size:           2
        .value_kind:     hidden_grid_dims
    .group_segment_fixed_size: 16384
    .kernarg_segment_align: 8
    .kernarg_segment_size: 400
    .language:       OpenCL C
    .language_version:
      - 2
      - 0
    .max_flat_workgroup_size: 1024
    .name:           _ZL20rocblas_gemvn_kernelILi64ELi16EiPK16rocblas_bfloat16fKPfEviiT3_lPKT2_lT1_lS8_lS9_lS5_lPT4_lS9_li
    .private_segment_fixed_size: 0
    .sgpr_count:     30
    .sgpr_spill_count: 0
    .symbol:         _ZL20rocblas_gemvn_kernelILi64ELi16EiPK16rocblas_bfloat16fKPfEviiT3_lPKT2_lT1_lS8_lS9_lS5_lPT4_lS9_li.kd
    .uniform_work_group_size: 1
    .uses_dynamic_stack: false
    .vgpr_count:     41
    .vgpr_spill_count: 0
    .wavefront_size: 32
    .workgroup_processor_mode: 1
  - .args:
      - .offset:         0
        .size:           4
        .value_kind:     by_value
      - .offset:         4
        .size:           4
        .value_kind:     by_value
      - .offset:         8
        .size:           4
        .value_kind:     by_value
      - .offset:         16
        .size:           8
        .value_kind:     by_value
      - .address_space:  global
        .offset:         24
        .size:           8
        .value_kind:     global_buffer
      - .offset:         32
        .size:           8
        .value_kind:     by_value
      - .offset:         40
        .size:           8
        .value_kind:     by_value
      - .offset:         48
        .size:           8
        .value_kind:     by_value
      - .address_space:  global
        .offset:         56
        .size:           8
        .value_kind:     global_buffer
      - .offset:         64
        .size:           8
        .value_kind:     by_value
      - .offset:         72
        .size:           8
        .value_kind:     by_value
      - .offset:         80
        .size:           8
        .value_kind:     by_value
      - .offset:         88
        .size:           4
        .value_kind:     by_value
      - .offset:         96
        .size:           8
        .value_kind:     by_value
      - .address_space:  global
        .offset:         104
        .size:           8
        .value_kind:     global_buffer
      - .offset:         112
        .size:           8
        .value_kind:     by_value
      - .offset:         120
        .size:           8
        .value_kind:     by_value
      - .offset:         128
        .size:           8
        .value_kind:     by_value
      - .offset:         136
        .size:           4
        .value_kind:     by_value
      - .offset:         144
        .size:           4
        .value_kind:     hidden_block_count_x
      - .offset:         148
        .size:           4
        .value_kind:     hidden_block_count_y
      - .offset:         152
        .size:           4
        .value_kind:     hidden_block_count_z
      - .offset:         156
        .size:           2
        .value_kind:     hidden_group_size_x
      - .offset:         158
        .size:           2
        .value_kind:     hidden_group_size_y
      - .offset:         160
        .size:           2
        .value_kind:     hidden_group_size_z
      - .offset:         162
        .size:           2
        .value_kind:     hidden_remainder_x
      - .offset:         164
        .size:           2
        .value_kind:     hidden_remainder_y
      - .offset:         166
        .size:           2
        .value_kind:     hidden_remainder_z
      - .offset:         184
        .size:           8
        .value_kind:     hidden_global_offset_x
      - .offset:         192
        .size:           8
        .value_kind:     hidden_global_offset_y
      - .offset:         200
        .size:           8
        .value_kind:     hidden_global_offset_z
      - .offset:         208
        .size:           2
        .value_kind:     hidden_grid_dims
    .group_segment_fixed_size: 16384
    .kernarg_segment_align: 8
    .kernarg_segment_size: 400
    .language:       OpenCL C
    .language_version:
      - 2
      - 0
    .max_flat_workgroup_size: 1024
    .name:           _ZL20rocblas_gemvn_kernelILi64ELi16ElPK16rocblas_bfloat16fKPfEviiT3_lPKT2_lT1_lS8_lS9_lS5_lPT4_lS9_li
    .private_segment_fixed_size: 0
    .sgpr_count:     37
    .sgpr_spill_count: 0
    .symbol:         _ZL20rocblas_gemvn_kernelILi64ELi16ElPK16rocblas_bfloat16fKPfEviiT3_lPKT2_lT1_lS8_lS9_lS5_lPT4_lS9_li.kd
    .uniform_work_group_size: 1
    .uses_dynamic_stack: false
    .vgpr_count:     51
    .vgpr_spill_count: 0
    .wavefront_size: 32
    .workgroup_processor_mode: 1
  - .args:
      - .offset:         0
        .size:           4
        .value_kind:     by_value
      - .offset:         4
        .size:           4
        .value_kind:     by_value
      - .address_space:  global
        .offset:         8
        .size:           8
        .value_kind:     global_buffer
      - .offset:         16
        .size:           8
        .value_kind:     by_value
      - .address_space:  global
        .offset:         24
        .size:           8
        .value_kind:     global_buffer
      - .offset:         32
        .size:           8
        .value_kind:     by_value
      - .offset:         40
        .size:           4
        .value_kind:     by_value
      - .offset:         48
        .size:           8
        .value_kind:     by_value
      - .address_space:  global
        .offset:         56
        .size:           8
        .value_kind:     global_buffer
      - .offset:         64
        .size:           8
        .value_kind:     by_value
      - .offset:         72
        .size:           4
        .value_kind:     by_value
      - .offset:         80
        .size:           8
        .value_kind:     by_value
      - .address_space:  global
        .offset:         88
        .size:           8
        .value_kind:     global_buffer
      - .offset:         96
        .size:           8
        .value_kind:     by_value
      - .address_space:  global
        .offset:         104
        .size:           8
        .value_kind:     global_buffer
      - .offset:         112
        .size:           8
        .value_kind:     by_value
      - .offset:         120
        .size:           4
        .value_kind:     by_value
      - .offset:         128
        .size:           8
        .value_kind:     by_value
    .group_segment_fixed_size: 256
    .kernarg_segment_align: 8
    .kernarg_segment_size: 136
    .language:       OpenCL C
    .language_version:
      - 2
      - 0
    .max_flat_workgroup_size: 256
    .name:           _ZL22rocblas_gemvtsm_kernelILb0ELi256EPK16rocblas_bfloat16PKfKPfEviiT2_lPKT1_lilSA_lilS7_lPT3_lil
    .private_segment_fixed_size: 0
    .sgpr_count:     24
    .sgpr_spill_count: 0
    .symbol:         _ZL22rocblas_gemvtsm_kernelILb0ELi256EPK16rocblas_bfloat16PKfKPfEviiT2_lPKT1_lilSA_lilS7_lPT3_lil.kd
    .uniform_work_group_size: 1
    .uses_dynamic_stack: false
    .vgpr_count:     14
    .vgpr_spill_count: 0
    .wavefront_size: 32
    .workgroup_processor_mode: 1
  - .args:
      - .offset:         0
        .size:           4
        .value_kind:     by_value
      - .offset:         4
        .size:           4
        .value_kind:     by_value
      - .offset:         8
        .size:           4
        .value_kind:     by_value
      - .offset:         16
        .size:           8
        .value_kind:     by_value
      - .address_space:  global
        .offset:         24
        .size:           8
        .value_kind:     global_buffer
      - .offset:         32
        .size:           8
        .value_kind:     by_value
      - .offset:         40
        .size:           4
        .value_kind:     by_value
      - .offset:         48
        .size:           8
        .value_kind:     by_value
      - .address_space:  global
        .offset:         56
        .size:           8
        .value_kind:     global_buffer
      - .offset:         64
        .size:           8
        .value_kind:     by_value
      - .offset:         72
        .size:           4
        .value_kind:     by_value
      - .offset:         80
        .size:           8
        .value_kind:     by_value
      - .offset:         88
        .size:           4
        .value_kind:     by_value
      - .offset:         96
        .size:           8
        .value_kind:     by_value
      - .address_space:  global
        .offset:         104
        .size:           8
        .value_kind:     global_buffer
      - .offset:         112
        .size:           8
        .value_kind:     by_value
      - .offset:         120
        .size:           4
        .value_kind:     by_value
      - .offset:         128
        .size:           8
        .value_kind:     by_value
    .group_segment_fixed_size: 256
    .kernarg_segment_align: 8
    .kernarg_segment_size: 136
    .language:       OpenCL C
    .language_version:
      - 2
      - 0
    .max_flat_workgroup_size: 256
    .name:           _ZL22rocblas_gemvtsm_kernelILb0ELi256EPK16rocblas_bfloat16fKPfEviiT2_lPKT1_lilS8_lilS5_lPT3_lil
    .private_segment_fixed_size: 0
    .sgpr_count:     22
    .sgpr_spill_count: 0
    .symbol:         _ZL22rocblas_gemvtsm_kernelILb0ELi256EPK16rocblas_bfloat16fKPfEviiT2_lPKT1_lilS8_lilS5_lPT3_lil.kd
    .uniform_work_group_size: 1
    .uses_dynamic_stack: false
    .vgpr_count:     14
    .vgpr_spill_count: 0
    .wavefront_size: 32
    .workgroup_processor_mode: 1
  - .args:
      - .offset:         0
        .size:           4
        .value_kind:     by_value
      - .offset:         4
        .size:           4
        .value_kind:     by_value
      - .address_space:  global
        .offset:         8
        .size:           8
        .value_kind:     global_buffer
      - .offset:         16
        .size:           8
        .value_kind:     by_value
      - .address_space:  global
        .offset:         24
        .size:           8
        .value_kind:     global_buffer
      - .offset:         32
        .size:           8
        .value_kind:     by_value
      - .offset:         40
        .size:           4
        .value_kind:     by_value
      - .offset:         48
        .size:           8
        .value_kind:     by_value
      - .address_space:  global
        .offset:         56
        .size:           8
        .value_kind:     global_buffer
      - .offset:         64
        .size:           8
        .value_kind:     by_value
      - .offset:         72
        .size:           4
        .value_kind:     by_value
      - .offset:         80
        .size:           8
        .value_kind:     by_value
      - .address_space:  global
        .offset:         88
        .size:           8
        .value_kind:     global_buffer
      - .offset:         96
        .size:           8
        .value_kind:     by_value
      - .address_space:  global
        .offset:         104
        .size:           8
        .value_kind:     global_buffer
      - .offset:         112
        .size:           8
        .value_kind:     by_value
      - .offset:         120
        .size:           4
        .value_kind:     by_value
      - .offset:         128
        .size:           8
        .value_kind:     by_value
      - .offset:         136
        .size:           4
        .value_kind:     by_value
    .group_segment_fixed_size: 128
    .kernarg_segment_align: 8
    .kernarg_segment_size: 140
    .language:       OpenCL C
    .language_version:
      - 2
      - 0
    .max_flat_workgroup_size: 256
    .name:           _ZL32rocblas_gemvt_warp_reduce_kernelILb0ELi256EiPK16rocblas_bfloat16PKfKPfEviiT3_lPKT2_lT1_lSA_lSB_lS7_lPT4_lSB_li
    .private_segment_fixed_size: 0
    .sgpr_count:     26
    .sgpr_spill_count: 0
    .symbol:         _ZL32rocblas_gemvt_warp_reduce_kernelILb0ELi256EiPK16rocblas_bfloat16PKfKPfEviiT3_lPKT2_lT1_lSA_lSB_lS7_lPT4_lSB_li.kd
    .uniform_work_group_size: 1
    .uses_dynamic_stack: false
    .vgpr_count:     11
    .vgpr_spill_count: 0
    .wavefront_size: 32
    .workgroup_processor_mode: 1
  - .args:
      - .offset:         0
        .size:           4
        .value_kind:     by_value
      - .offset:         4
        .size:           4
        .value_kind:     by_value
      - .address_space:  global
        .offset:         8
        .size:           8
        .value_kind:     global_buffer
      - .offset:         16
        .size:           8
        .value_kind:     by_value
      - .address_space:  global
        .offset:         24
        .size:           8
        .value_kind:     global_buffer
      - .offset:         32
        .size:           8
        .value_kind:     by_value
      - .offset:         40
        .size:           8
        .value_kind:     by_value
      - .offset:         48
        .size:           8
        .value_kind:     by_value
      - .address_space:  global
        .offset:         56
        .size:           8
        .value_kind:     global_buffer
      - .offset:         64
        .size:           8
        .value_kind:     by_value
      - .offset:         72
        .size:           8
        .value_kind:     by_value
      - .offset:         80
        .size:           8
        .value_kind:     by_value
      - .address_space:  global
        .offset:         88
        .size:           8
        .value_kind:     global_buffer
      - .offset:         96
        .size:           8
        .value_kind:     by_value
      - .address_space:  global
        .offset:         104
        .size:           8
        .value_kind:     global_buffer
      - .offset:         112
        .size:           8
        .value_kind:     by_value
      - .offset:         120
        .size:           8
        .value_kind:     by_value
      - .offset:         128
        .size:           8
        .value_kind:     by_value
      - .offset:         136
        .size:           4
        .value_kind:     by_value
    .group_segment_fixed_size: 128
    .kernarg_segment_align: 8
    .kernarg_segment_size: 140
    .language:       OpenCL C
    .language_version:
      - 2
      - 0
    .max_flat_workgroup_size: 256
    .name:           _ZL32rocblas_gemvt_warp_reduce_kernelILb0ELi256ElPK16rocblas_bfloat16PKfKPfEviiT3_lPKT2_lT1_lSA_lSB_lS7_lPT4_lSB_li
    .private_segment_fixed_size: 0
    .sgpr_count:     33
    .sgpr_spill_count: 0
    .symbol:         _ZL32rocblas_gemvt_warp_reduce_kernelILb0ELi256ElPK16rocblas_bfloat16PKfKPfEviiT3_lPKT2_lT1_lSA_lSB_lS7_lPT4_lSB_li.kd
    .uniform_work_group_size: 1
    .uses_dynamic_stack: false
    .vgpr_count:     12
    .vgpr_spill_count: 0
    .wavefront_size: 32
    .workgroup_processor_mode: 1
  - .args:
      - .offset:         0
        .size:           4
        .value_kind:     by_value
      - .offset:         4
        .size:           4
        .value_kind:     by_value
      - .offset:         8
        .size:           4
        .value_kind:     by_value
      - .offset:         16
        .size:           8
        .value_kind:     by_value
      - .address_space:  global
        .offset:         24
        .size:           8
        .value_kind:     global_buffer
      - .offset:         32
        .size:           8
        .value_kind:     by_value
      - .offset:         40
        .size:           4
        .value_kind:     by_value
      - .offset:         48
        .size:           8
        .value_kind:     by_value
      - .address_space:  global
        .offset:         56
        .size:           8
        .value_kind:     global_buffer
      - .offset:         64
        .size:           8
        .value_kind:     by_value
      - .offset:         72
        .size:           4
        .value_kind:     by_value
      - .offset:         80
        .size:           8
        .value_kind:     by_value
      - .offset:         88
        .size:           4
        .value_kind:     by_value
      - .offset:         96
        .size:           8
        .value_kind:     by_value
      - .address_space:  global
        .offset:         104
        .size:           8
        .value_kind:     global_buffer
      - .offset:         112
        .size:           8
        .value_kind:     by_value
      - .offset:         120
        .size:           4
        .value_kind:     by_value
      - .offset:         128
        .size:           8
        .value_kind:     by_value
      - .offset:         136
        .size:           4
        .value_kind:     by_value
    .group_segment_fixed_size: 128
    .kernarg_segment_align: 8
    .kernarg_segment_size: 140
    .language:       OpenCL C
    .language_version:
      - 2
      - 0
    .max_flat_workgroup_size: 256
    .name:           _ZL32rocblas_gemvt_warp_reduce_kernelILb0ELi256EiPK16rocblas_bfloat16fKPfEviiT3_lPKT2_lT1_lS8_lS9_lS5_lPT4_lS9_li
    .private_segment_fixed_size: 0
    .sgpr_count:     22
    .sgpr_spill_count: 0
    .symbol:         _ZL32rocblas_gemvt_warp_reduce_kernelILb0ELi256EiPK16rocblas_bfloat16fKPfEviiT3_lPKT2_lT1_lS8_lS9_lS5_lPT4_lS9_li.kd
    .uniform_work_group_size: 1
    .uses_dynamic_stack: false
    .vgpr_count:     11
    .vgpr_spill_count: 0
    .wavefront_size: 32
    .workgroup_processor_mode: 1
  - .args:
      - .offset:         0
        .size:           4
        .value_kind:     by_value
      - .offset:         4
        .size:           4
        .value_kind:     by_value
      - .offset:         8
        .size:           4
        .value_kind:     by_value
      - .offset:         16
        .size:           8
        .value_kind:     by_value
      - .address_space:  global
        .offset:         24
        .size:           8
        .value_kind:     global_buffer
      - .offset:         32
        .size:           8
        .value_kind:     by_value
      - .offset:         40
        .size:           8
        .value_kind:     by_value
      - .offset:         48
        .size:           8
        .value_kind:     by_value
      - .address_space:  global
        .offset:         56
        .size:           8
        .value_kind:     global_buffer
      - .offset:         64
        .size:           8
        .value_kind:     by_value
      - .offset:         72
        .size:           8
        .value_kind:     by_value
      - .offset:         80
        .size:           8
        .value_kind:     by_value
      - .offset:         88
        .size:           4
        .value_kind:     by_value
      - .offset:         96
        .size:           8
        .value_kind:     by_value
      - .address_space:  global
        .offset:         104
        .size:           8
        .value_kind:     global_buffer
      - .offset:         112
        .size:           8
        .value_kind:     by_value
      - .offset:         120
        .size:           8
        .value_kind:     by_value
      - .offset:         128
        .size:           8
        .value_kind:     by_value
      - .offset:         136
        .size:           4
        .value_kind:     by_value
    .group_segment_fixed_size: 128
    .kernarg_segment_align: 8
    .kernarg_segment_size: 140
    .language:       OpenCL C
    .language_version:
      - 2
      - 0
    .max_flat_workgroup_size: 256
    .name:           _ZL32rocblas_gemvt_warp_reduce_kernelILb0ELi256ElPK16rocblas_bfloat16fKPfEviiT3_lPKT2_lT1_lS8_lS9_lS5_lPT4_lS9_li
    .private_segment_fixed_size: 0
    .sgpr_count:     28
    .sgpr_spill_count: 0
    .symbol:         _ZL32rocblas_gemvt_warp_reduce_kernelILb0ELi256ElPK16rocblas_bfloat16fKPfEviiT3_lPKT2_lT1_lS8_lS9_lS5_lPT4_lS9_li.kd
    .uniform_work_group_size: 1
    .uses_dynamic_stack: false
    .vgpr_count:     12
    .vgpr_spill_count: 0
    .wavefront_size: 32
    .workgroup_processor_mode: 1
  - .args:
      - .offset:         0
        .size:           4
        .value_kind:     by_value
      - .offset:         4
        .size:           4
        .value_kind:     by_value
      - .address_space:  global
        .offset:         8
        .size:           8
        .value_kind:     global_buffer
      - .offset:         16
        .size:           8
        .value_kind:     by_value
      - .address_space:  global
        .offset:         24
        .size:           8
        .value_kind:     global_buffer
      - .offset:         32
        .size:           8
        .value_kind:     by_value
      - .offset:         40
        .size:           4
        .value_kind:     by_value
      - .offset:         48
        .size:           8
        .value_kind:     by_value
      - .address_space:  global
        .offset:         56
        .size:           8
        .value_kind:     global_buffer
      - .offset:         64
        .size:           8
        .value_kind:     by_value
      - .offset:         72
        .size:           4
        .value_kind:     by_value
      - .offset:         80
        .size:           8
        .value_kind:     by_value
      - .address_space:  global
        .offset:         88
        .size:           8
        .value_kind:     global_buffer
      - .offset:         96
        .size:           8
        .value_kind:     by_value
      - .address_space:  global
        .offset:         104
        .size:           8
        .value_kind:     global_buffer
      - .offset:         112
        .size:           8
        .value_kind:     by_value
      - .offset:         120
        .size:           4
        .value_kind:     by_value
      - .offset:         128
        .size:           8
        .value_kind:     by_value
      - .offset:         136
        .size:           4
        .value_kind:     by_value
    .group_segment_fixed_size: 1024
    .kernarg_segment_align: 8
    .kernarg_segment_size: 140
    .language:       OpenCL C
    .language_version:
      - 2
      - 0
    .max_flat_workgroup_size: 256
    .name:           _ZL20rocblas_gemvt_kernelILb0ELi256EPK16rocblas_bfloat16PKfKPfEviiT2_lPKT1_lilSA_lilS7_lPT3_lili
    .private_segment_fixed_size: 0
    .sgpr_count:     26
    .sgpr_spill_count: 0
    .symbol:         _ZL20rocblas_gemvt_kernelILb0ELi256EPK16rocblas_bfloat16PKfKPfEviiT2_lPKT1_lilSA_lilS7_lPT3_lili.kd
    .uniform_work_group_size: 1
    .uses_dynamic_stack: false
    .vgpr_count:     11
    .vgpr_spill_count: 0
    .wavefront_size: 32
    .workgroup_processor_mode: 1
  - .args:
      - .offset:         0
        .size:           4
        .value_kind:     by_value
      - .offset:         4
        .size:           4
        .value_kind:     by_value
      - .offset:         8
        .size:           4
        .value_kind:     by_value
      - .offset:         16
        .size:           8
        .value_kind:     by_value
      - .address_space:  global
        .offset:         24
        .size:           8
        .value_kind:     global_buffer
      - .offset:         32
        .size:           8
        .value_kind:     by_value
      - .offset:         40
        .size:           4
        .value_kind:     by_value
      - .offset:         48
        .size:           8
        .value_kind:     by_value
      - .address_space:  global
        .offset:         56
        .size:           8
        .value_kind:     global_buffer
      - .offset:         64
        .size:           8
        .value_kind:     by_value
      - .offset:         72
        .size:           4
        .value_kind:     by_value
      - .offset:         80
        .size:           8
        .value_kind:     by_value
      - .offset:         88
        .size:           4
        .value_kind:     by_value
      - .offset:         96
        .size:           8
        .value_kind:     by_value
      - .address_space:  global
        .offset:         104
        .size:           8
        .value_kind:     global_buffer
      - .offset:         112
        .size:           8
        .value_kind:     by_value
      - .offset:         120
        .size:           4
        .value_kind:     by_value
      - .offset:         128
        .size:           8
        .value_kind:     by_value
      - .offset:         136
        .size:           4
        .value_kind:     by_value
    .group_segment_fixed_size: 1024
    .kernarg_segment_align: 8
    .kernarg_segment_size: 140
    .language:       OpenCL C
    .language_version:
      - 2
      - 0
    .max_flat_workgroup_size: 256
    .name:           _ZL20rocblas_gemvt_kernelILb0ELi256EPK16rocblas_bfloat16fKPfEviiT2_lPKT1_lilS8_lilS5_lPT3_lili
    .private_segment_fixed_size: 0
    .sgpr_count:     22
    .sgpr_spill_count: 0
    .symbol:         _ZL20rocblas_gemvt_kernelILb0ELi256EPK16rocblas_bfloat16fKPfEviiT2_lPKT1_lilS8_lilS5_lPT3_lili.kd
    .uniform_work_group_size: 1
    .uses_dynamic_stack: false
    .vgpr_count:     11
    .vgpr_spill_count: 0
    .wavefront_size: 32
    .workgroup_processor_mode: 1
  - .args:
      - .offset:         0
        .size:           4
        .value_kind:     by_value
      - .offset:         4
        .size:           4
        .value_kind:     by_value
      - .address_space:  global
        .offset:         8
        .size:           8
        .value_kind:     global_buffer
      - .offset:         16
        .size:           8
        .value_kind:     by_value
      - .address_space:  global
        .offset:         24
        .size:           8
        .value_kind:     global_buffer
      - .offset:         32
        .size:           8
        .value_kind:     by_value
      - .offset:         40
        .size:           4
        .value_kind:     by_value
      - .offset:         48
        .size:           8
        .value_kind:     by_value
      - .address_space:  global
        .offset:         56
        .size:           8
        .value_kind:     global_buffer
      - .offset:         64
        .size:           8
        .value_kind:     by_value
      - .offset:         72
        .size:           4
        .value_kind:     by_value
      - .offset:         80
        .size:           8
        .value_kind:     by_value
      - .address_space:  global
        .offset:         88
        .size:           8
        .value_kind:     global_buffer
      - .offset:         96
        .size:           8
        .value_kind:     by_value
      - .address_space:  global
        .offset:         104
        .size:           8
        .value_kind:     global_buffer
      - .offset:         112
        .size:           8
        .value_kind:     by_value
      - .offset:         120
        .size:           4
        .value_kind:     by_value
      - .offset:         128
        .size:           8
        .value_kind:     by_value
      - .offset:         136
        .size:           4
        .value_kind:     by_value
    .group_segment_fixed_size: 128
    .kernarg_segment_align: 8
    .kernarg_segment_size: 140
    .language:       OpenCL C
    .language_version:
      - 2
      - 0
    .max_flat_workgroup_size: 1024
    .name:           _ZL32rocblas_gemvt_warp_reduce_kernelILb0ELi1024EiPK16rocblas_bfloat16PKfKPfEviiT3_lPKT2_lT1_lSA_lSB_lS7_lPT4_lSB_li
    .private_segment_fixed_size: 0
    .sgpr_count:     26
    .sgpr_spill_count: 0
    .symbol:         _ZL32rocblas_gemvt_warp_reduce_kernelILb0ELi1024EiPK16rocblas_bfloat16PKfKPfEviiT3_lPKT2_lT1_lSA_lSB_lS7_lPT4_lSB_li.kd
    .uniform_work_group_size: 1
    .uses_dynamic_stack: false
    .vgpr_count:     11
    .vgpr_spill_count: 0
    .wavefront_size: 32
    .workgroup_processor_mode: 1
  - .args:
      - .offset:         0
        .size:           4
        .value_kind:     by_value
      - .offset:         4
        .size:           4
        .value_kind:     by_value
      - .address_space:  global
        .offset:         8
        .size:           8
        .value_kind:     global_buffer
      - .offset:         16
        .size:           8
        .value_kind:     by_value
      - .address_space:  global
        .offset:         24
        .size:           8
        .value_kind:     global_buffer
      - .offset:         32
        .size:           8
        .value_kind:     by_value
      - .offset:         40
        .size:           8
        .value_kind:     by_value
      - .offset:         48
        .size:           8
        .value_kind:     by_value
      - .address_space:  global
        .offset:         56
        .size:           8
        .value_kind:     global_buffer
      - .offset:         64
        .size:           8
        .value_kind:     by_value
      - .offset:         72
        .size:           8
        .value_kind:     by_value
      - .offset:         80
        .size:           8
        .value_kind:     by_value
      - .address_space:  global
        .offset:         88
        .size:           8
        .value_kind:     global_buffer
      - .offset:         96
        .size:           8
        .value_kind:     by_value
      - .address_space:  global
        .offset:         104
        .size:           8
        .value_kind:     global_buffer
      - .offset:         112
        .size:           8
        .value_kind:     by_value
      - .offset:         120
        .size:           8
        .value_kind:     by_value
      - .offset:         128
        .size:           8
        .value_kind:     by_value
      - .offset:         136
        .size:           4
        .value_kind:     by_value
    .group_segment_fixed_size: 128
    .kernarg_segment_align: 8
    .kernarg_segment_size: 140
    .language:       OpenCL C
    .language_version:
      - 2
      - 0
    .max_flat_workgroup_size: 1024
    .name:           _ZL32rocblas_gemvt_warp_reduce_kernelILb0ELi1024ElPK16rocblas_bfloat16PKfKPfEviiT3_lPKT2_lT1_lSA_lSB_lS7_lPT4_lSB_li
    .private_segment_fixed_size: 0
    .sgpr_count:     33
    .sgpr_spill_count: 0
    .symbol:         _ZL32rocblas_gemvt_warp_reduce_kernelILb0ELi1024ElPK16rocblas_bfloat16PKfKPfEviiT3_lPKT2_lT1_lSA_lSB_lS7_lPT4_lSB_li.kd
    .uniform_work_group_size: 1
    .uses_dynamic_stack: false
    .vgpr_count:     12
    .vgpr_spill_count: 0
    .wavefront_size: 32
    .workgroup_processor_mode: 1
  - .args:
      - .offset:         0
        .size:           4
        .value_kind:     by_value
      - .offset:         4
        .size:           4
        .value_kind:     by_value
      - .offset:         8
        .size:           4
        .value_kind:     by_value
      - .offset:         16
        .size:           8
        .value_kind:     by_value
      - .address_space:  global
        .offset:         24
        .size:           8
        .value_kind:     global_buffer
      - .offset:         32
        .size:           8
        .value_kind:     by_value
      - .offset:         40
        .size:           4
        .value_kind:     by_value
      - .offset:         48
        .size:           8
        .value_kind:     by_value
      - .address_space:  global
        .offset:         56
        .size:           8
        .value_kind:     global_buffer
      - .offset:         64
        .size:           8
        .value_kind:     by_value
      - .offset:         72
        .size:           4
        .value_kind:     by_value
      - .offset:         80
        .size:           8
        .value_kind:     by_value
      - .offset:         88
        .size:           4
        .value_kind:     by_value
      - .offset:         96
        .size:           8
        .value_kind:     by_value
      - .address_space:  global
        .offset:         104
        .size:           8
        .value_kind:     global_buffer
      - .offset:         112
        .size:           8
        .value_kind:     by_value
      - .offset:         120
        .size:           4
        .value_kind:     by_value
      - .offset:         128
        .size:           8
        .value_kind:     by_value
      - .offset:         136
        .size:           4
        .value_kind:     by_value
    .group_segment_fixed_size: 128
    .kernarg_segment_align: 8
    .kernarg_segment_size: 140
    .language:       OpenCL C
    .language_version:
      - 2
      - 0
    .max_flat_workgroup_size: 1024
    .name:           _ZL32rocblas_gemvt_warp_reduce_kernelILb0ELi1024EiPK16rocblas_bfloat16fKPfEviiT3_lPKT2_lT1_lS8_lS9_lS5_lPT4_lS9_li
    .private_segment_fixed_size: 0
    .sgpr_count:     22
    .sgpr_spill_count: 0
    .symbol:         _ZL32rocblas_gemvt_warp_reduce_kernelILb0ELi1024EiPK16rocblas_bfloat16fKPfEviiT3_lPKT2_lT1_lS8_lS9_lS5_lPT4_lS9_li.kd
    .uniform_work_group_size: 1
    .uses_dynamic_stack: false
    .vgpr_count:     11
    .vgpr_spill_count: 0
    .wavefront_size: 32
    .workgroup_processor_mode: 1
  - .args:
      - .offset:         0
        .size:           4
        .value_kind:     by_value
      - .offset:         4
        .size:           4
        .value_kind:     by_value
      - .offset:         8
        .size:           4
        .value_kind:     by_value
      - .offset:         16
        .size:           8
        .value_kind:     by_value
      - .address_space:  global
        .offset:         24
        .size:           8
        .value_kind:     global_buffer
      - .offset:         32
        .size:           8
        .value_kind:     by_value
      - .offset:         40
        .size:           8
        .value_kind:     by_value
      - .offset:         48
        .size:           8
        .value_kind:     by_value
      - .address_space:  global
        .offset:         56
        .size:           8
        .value_kind:     global_buffer
      - .offset:         64
        .size:           8
        .value_kind:     by_value
      - .offset:         72
        .size:           8
        .value_kind:     by_value
      - .offset:         80
        .size:           8
        .value_kind:     by_value
      - .offset:         88
        .size:           4
        .value_kind:     by_value
      - .offset:         96
        .size:           8
        .value_kind:     by_value
      - .address_space:  global
        .offset:         104
        .size:           8
        .value_kind:     global_buffer
      - .offset:         112
        .size:           8
        .value_kind:     by_value
      - .offset:         120
        .size:           8
        .value_kind:     by_value
      - .offset:         128
        .size:           8
        .value_kind:     by_value
      - .offset:         136
        .size:           4
        .value_kind:     by_value
    .group_segment_fixed_size: 128
    .kernarg_segment_align: 8
    .kernarg_segment_size: 140
    .language:       OpenCL C
    .language_version:
      - 2
      - 0
    .max_flat_workgroup_size: 1024
    .name:           _ZL32rocblas_gemvt_warp_reduce_kernelILb0ELi1024ElPK16rocblas_bfloat16fKPfEviiT3_lPKT2_lT1_lS8_lS9_lS5_lPT4_lS9_li
    .private_segment_fixed_size: 0
    .sgpr_count:     28
    .sgpr_spill_count: 0
    .symbol:         _ZL32rocblas_gemvt_warp_reduce_kernelILb0ELi1024ElPK16rocblas_bfloat16fKPfEviiT3_lPKT2_lT1_lS8_lS9_lS5_lPT4_lS9_li.kd
    .uniform_work_group_size: 1
    .uses_dynamic_stack: false
    .vgpr_count:     12
    .vgpr_spill_count: 0
    .wavefront_size: 32
    .workgroup_processor_mode: 1
  - .args:
      - .offset:         0
        .size:           4
        .value_kind:     by_value
      - .offset:         4
        .size:           4
        .value_kind:     by_value
      - .address_space:  global
        .offset:         8
        .size:           8
        .value_kind:     global_buffer
      - .offset:         16
        .size:           8
        .value_kind:     by_value
      - .address_space:  global
        .offset:         24
        .size:           8
        .value_kind:     global_buffer
      - .offset:         32
        .size:           8
        .value_kind:     by_value
      - .offset:         40
        .size:           4
        .value_kind:     by_value
      - .offset:         48
        .size:           8
        .value_kind:     by_value
      - .address_space:  global
        .offset:         56
        .size:           8
        .value_kind:     global_buffer
      - .offset:         64
        .size:           8
        .value_kind:     by_value
      - .offset:         72
        .size:           4
        .value_kind:     by_value
      - .offset:         80
        .size:           8
        .value_kind:     by_value
      - .address_space:  global
        .offset:         88
        .size:           8
        .value_kind:     global_buffer
      - .offset:         96
        .size:           8
        .value_kind:     by_value
      - .address_space:  global
        .offset:         104
        .size:           8
        .value_kind:     global_buffer
      - .offset:         112
        .size:           8
        .value_kind:     by_value
      - .offset:         120
        .size:           4
        .value_kind:     by_value
      - .offset:         128
        .size:           8
        .value_kind:     by_value
    .group_segment_fixed_size: 256
    .kernarg_segment_align: 8
    .kernarg_segment_size: 136
    .language:       OpenCL C
    .language_version:
      - 2
      - 0
    .max_flat_workgroup_size: 256
    .name:           _ZL22rocblas_gemvtsm_kernelILb1ELi256EPK16rocblas_bfloat16PKfKPfEviiT2_lPKT1_lilSA_lilS7_lPT3_lil
    .private_segment_fixed_size: 0
    .sgpr_count:     24
    .sgpr_spill_count: 0
    .symbol:         _ZL22rocblas_gemvtsm_kernelILb1ELi256EPK16rocblas_bfloat16PKfKPfEviiT2_lPKT1_lilSA_lilS7_lPT3_lil.kd
    .uniform_work_group_size: 1
    .uses_dynamic_stack: false
    .vgpr_count:     14
    .vgpr_spill_count: 0
    .wavefront_size: 32
    .workgroup_processor_mode: 1
  - .args:
      - .offset:         0
        .size:           4
        .value_kind:     by_value
      - .offset:         4
        .size:           4
        .value_kind:     by_value
      - .offset:         8
        .size:           4
        .value_kind:     by_value
      - .offset:         16
        .size:           8
        .value_kind:     by_value
      - .address_space:  global
        .offset:         24
        .size:           8
        .value_kind:     global_buffer
      - .offset:         32
        .size:           8
        .value_kind:     by_value
      - .offset:         40
        .size:           4
        .value_kind:     by_value
      - .offset:         48
        .size:           8
        .value_kind:     by_value
      - .address_space:  global
        .offset:         56
        .size:           8
        .value_kind:     global_buffer
      - .offset:         64
        .size:           8
        .value_kind:     by_value
      - .offset:         72
        .size:           4
        .value_kind:     by_value
      - .offset:         80
        .size:           8
        .value_kind:     by_value
      - .offset:         88
        .size:           4
        .value_kind:     by_value
      - .offset:         96
        .size:           8
        .value_kind:     by_value
      - .address_space:  global
        .offset:         104
        .size:           8
        .value_kind:     global_buffer
      - .offset:         112
        .size:           8
        .value_kind:     by_value
      - .offset:         120
        .size:           4
        .value_kind:     by_value
      - .offset:         128
        .size:           8
        .value_kind:     by_value
    .group_segment_fixed_size: 256
    .kernarg_segment_align: 8
    .kernarg_segment_size: 136
    .language:       OpenCL C
    .language_version:
      - 2
      - 0
    .max_flat_workgroup_size: 256
    .name:           _ZL22rocblas_gemvtsm_kernelILb1ELi256EPK16rocblas_bfloat16fKPfEviiT2_lPKT1_lilS8_lilS5_lPT3_lil
    .private_segment_fixed_size: 0
    .sgpr_count:     22
    .sgpr_spill_count: 0
    .symbol:         _ZL22rocblas_gemvtsm_kernelILb1ELi256EPK16rocblas_bfloat16fKPfEviiT2_lPKT1_lilS8_lilS5_lPT3_lil.kd
    .uniform_work_group_size: 1
    .uses_dynamic_stack: false
    .vgpr_count:     14
    .vgpr_spill_count: 0
    .wavefront_size: 32
    .workgroup_processor_mode: 1
  - .args:
      - .offset:         0
        .size:           4
        .value_kind:     by_value
      - .offset:         4
        .size:           4
        .value_kind:     by_value
      - .address_space:  global
        .offset:         8
        .size:           8
        .value_kind:     global_buffer
      - .offset:         16
        .size:           8
        .value_kind:     by_value
      - .address_space:  global
        .offset:         24
        .size:           8
        .value_kind:     global_buffer
      - .offset:         32
        .size:           8
        .value_kind:     by_value
      - .offset:         40
        .size:           4
        .value_kind:     by_value
      - .offset:         48
        .size:           8
        .value_kind:     by_value
      - .address_space:  global
        .offset:         56
        .size:           8
        .value_kind:     global_buffer
      - .offset:         64
        .size:           8
        .value_kind:     by_value
      - .offset:         72
        .size:           4
        .value_kind:     by_value
      - .offset:         80
        .size:           8
        .value_kind:     by_value
      - .address_space:  global
        .offset:         88
        .size:           8
        .value_kind:     global_buffer
      - .offset:         96
        .size:           8
        .value_kind:     by_value
      - .address_space:  global
        .offset:         104
        .size:           8
        .value_kind:     global_buffer
      - .offset:         112
        .size:           8
        .value_kind:     by_value
      - .offset:         120
        .size:           4
        .value_kind:     by_value
      - .offset:         128
        .size:           8
        .value_kind:     by_value
      - .offset:         136
        .size:           4
        .value_kind:     by_value
    .group_segment_fixed_size: 1024
    .kernarg_segment_align: 8
    .kernarg_segment_size: 140
    .language:       OpenCL C
    .language_version:
      - 2
      - 0
    .max_flat_workgroup_size: 256
    .name:           _ZL20rocblas_gemvt_kernelILb1ELi256EPK16rocblas_bfloat16PKfKPfEviiT2_lPKT1_lilSA_lilS7_lPT3_lili
    .private_segment_fixed_size: 0
    .sgpr_count:     26
    .sgpr_spill_count: 0
    .symbol:         _ZL20rocblas_gemvt_kernelILb1ELi256EPK16rocblas_bfloat16PKfKPfEviiT2_lPKT1_lilSA_lilS7_lPT3_lili.kd
    .uniform_work_group_size: 1
    .uses_dynamic_stack: false
    .vgpr_count:     11
    .vgpr_spill_count: 0
    .wavefront_size: 32
    .workgroup_processor_mode: 1
  - .args:
      - .offset:         0
        .size:           4
        .value_kind:     by_value
      - .offset:         4
        .size:           4
        .value_kind:     by_value
      - .offset:         8
        .size:           4
        .value_kind:     by_value
      - .offset:         16
        .size:           8
        .value_kind:     by_value
      - .address_space:  global
        .offset:         24
        .size:           8
        .value_kind:     global_buffer
      - .offset:         32
        .size:           8
        .value_kind:     by_value
      - .offset:         40
        .size:           4
        .value_kind:     by_value
      - .offset:         48
        .size:           8
        .value_kind:     by_value
      - .address_space:  global
        .offset:         56
        .size:           8
        .value_kind:     global_buffer
      - .offset:         64
        .size:           8
        .value_kind:     by_value
      - .offset:         72
        .size:           4
        .value_kind:     by_value
      - .offset:         80
        .size:           8
        .value_kind:     by_value
      - .offset:         88
        .size:           4
        .value_kind:     by_value
      - .offset:         96
        .size:           8
        .value_kind:     by_value
      - .address_space:  global
        .offset:         104
        .size:           8
        .value_kind:     global_buffer
      - .offset:         112
        .size:           8
        .value_kind:     by_value
      - .offset:         120
        .size:           4
        .value_kind:     by_value
      - .offset:         128
        .size:           8
        .value_kind:     by_value
      - .offset:         136
        .size:           4
        .value_kind:     by_value
    .group_segment_fixed_size: 1024
    .kernarg_segment_align: 8
    .kernarg_segment_size: 140
    .language:       OpenCL C
    .language_version:
      - 2
      - 0
    .max_flat_workgroup_size: 256
    .name:           _ZL20rocblas_gemvt_kernelILb1ELi256EPK16rocblas_bfloat16fKPfEviiT2_lPKT1_lilS8_lilS5_lPT3_lili
    .private_segment_fixed_size: 0
    .sgpr_count:     22
    .sgpr_spill_count: 0
    .symbol:         _ZL20rocblas_gemvt_kernelILb1ELi256EPK16rocblas_bfloat16fKPfEviiT2_lPKT1_lilS8_lilS5_lPT3_lili.kd
    .uniform_work_group_size: 1
    .uses_dynamic_stack: false
    .vgpr_count:     11
    .vgpr_spill_count: 0
    .wavefront_size: 32
    .workgroup_processor_mode: 1
  - .args:
      - .offset:         0
        .size:           4
        .value_kind:     by_value
      - .offset:         4
        .size:           4
        .value_kind:     by_value
      - .address_space:  global
        .offset:         8
        .size:           8
        .value_kind:     global_buffer
      - .offset:         16
        .size:           8
        .value_kind:     by_value
      - .address_space:  global
        .offset:         24
        .size:           8
        .value_kind:     global_buffer
      - .offset:         32
        .size:           8
        .value_kind:     by_value
      - .offset:         40
        .size:           4
        .value_kind:     by_value
      - .offset:         48
        .size:           8
        .value_kind:     by_value
      - .address_space:  global
        .offset:         56
        .size:           8
        .value_kind:     global_buffer
      - .offset:         64
        .size:           8
        .value_kind:     by_value
      - .offset:         72
        .size:           4
        .value_kind:     by_value
      - .offset:         80
        .size:           8
        .value_kind:     by_value
      - .address_space:  global
        .offset:         88
        .size:           8
        .value_kind:     global_buffer
      - .offset:         96
        .size:           8
        .value_kind:     by_value
      - .address_space:  global
        .offset:         104
        .size:           8
        .value_kind:     global_buffer
      - .offset:         112
        .size:           8
        .value_kind:     by_value
      - .offset:         120
        .size:           4
        .value_kind:     by_value
      - .offset:         128
        .size:           8
        .value_kind:     by_value
      - .offset:         136
        .size:           4
        .value_kind:     by_value
    .group_segment_fixed_size: 128
    .kernarg_segment_align: 8
    .kernarg_segment_size: 140
    .language:       OpenCL C
    .language_version:
      - 2
      - 0
    .max_flat_workgroup_size: 1024
    .name:           _ZL32rocblas_gemvt_warp_reduce_kernelILb1ELi1024EiPK16rocblas_bfloat16PKfKPfEviiT3_lPKT2_lT1_lSA_lSB_lS7_lPT4_lSB_li
    .private_segment_fixed_size: 0
    .sgpr_count:     26
    .sgpr_spill_count: 0
    .symbol:         _ZL32rocblas_gemvt_warp_reduce_kernelILb1ELi1024EiPK16rocblas_bfloat16PKfKPfEviiT3_lPKT2_lT1_lSA_lSB_lS7_lPT4_lSB_li.kd
    .uniform_work_group_size: 1
    .uses_dynamic_stack: false
    .vgpr_count:     11
    .vgpr_spill_count: 0
    .wavefront_size: 32
    .workgroup_processor_mode: 1
  - .args:
      - .offset:         0
        .size:           4
        .value_kind:     by_value
      - .offset:         4
        .size:           4
        .value_kind:     by_value
      - .address_space:  global
        .offset:         8
        .size:           8
        .value_kind:     global_buffer
      - .offset:         16
        .size:           8
        .value_kind:     by_value
      - .address_space:  global
        .offset:         24
        .size:           8
        .value_kind:     global_buffer
      - .offset:         32
        .size:           8
        .value_kind:     by_value
      - .offset:         40
        .size:           8
        .value_kind:     by_value
      - .offset:         48
        .size:           8
        .value_kind:     by_value
      - .address_space:  global
        .offset:         56
        .size:           8
        .value_kind:     global_buffer
      - .offset:         64
        .size:           8
        .value_kind:     by_value
      - .offset:         72
        .size:           8
        .value_kind:     by_value
      - .offset:         80
        .size:           8
        .value_kind:     by_value
      - .address_space:  global
        .offset:         88
        .size:           8
        .value_kind:     global_buffer
      - .offset:         96
        .size:           8
        .value_kind:     by_value
      - .address_space:  global
        .offset:         104
        .size:           8
        .value_kind:     global_buffer
      - .offset:         112
        .size:           8
        .value_kind:     by_value
      - .offset:         120
        .size:           8
        .value_kind:     by_value
      - .offset:         128
        .size:           8
        .value_kind:     by_value
      - .offset:         136
        .size:           4
        .value_kind:     by_value
    .group_segment_fixed_size: 128
    .kernarg_segment_align: 8
    .kernarg_segment_size: 140
    .language:       OpenCL C
    .language_version:
      - 2
      - 0
    .max_flat_workgroup_size: 1024
    .name:           _ZL32rocblas_gemvt_warp_reduce_kernelILb1ELi1024ElPK16rocblas_bfloat16PKfKPfEviiT3_lPKT2_lT1_lSA_lSB_lS7_lPT4_lSB_li
    .private_segment_fixed_size: 0
    .sgpr_count:     33
    .sgpr_spill_count: 0
    .symbol:         _ZL32rocblas_gemvt_warp_reduce_kernelILb1ELi1024ElPK16rocblas_bfloat16PKfKPfEviiT3_lPKT2_lT1_lSA_lSB_lS7_lPT4_lSB_li.kd
    .uniform_work_group_size: 1
    .uses_dynamic_stack: false
    .vgpr_count:     12
    .vgpr_spill_count: 0
    .wavefront_size: 32
    .workgroup_processor_mode: 1
  - .args:
      - .offset:         0
        .size:           4
        .value_kind:     by_value
      - .offset:         4
        .size:           4
        .value_kind:     by_value
      - .offset:         8
        .size:           4
        .value_kind:     by_value
      - .offset:         16
        .size:           8
        .value_kind:     by_value
      - .address_space:  global
        .offset:         24
        .size:           8
        .value_kind:     global_buffer
      - .offset:         32
        .size:           8
        .value_kind:     by_value
      - .offset:         40
        .size:           4
        .value_kind:     by_value
      - .offset:         48
        .size:           8
        .value_kind:     by_value
      - .address_space:  global
        .offset:         56
        .size:           8
        .value_kind:     global_buffer
      - .offset:         64
        .size:           8
        .value_kind:     by_value
      - .offset:         72
        .size:           4
        .value_kind:     by_value
      - .offset:         80
        .size:           8
        .value_kind:     by_value
      - .offset:         88
        .size:           4
        .value_kind:     by_value
      - .offset:         96
        .size:           8
        .value_kind:     by_value
      - .address_space:  global
        .offset:         104
        .size:           8
        .value_kind:     global_buffer
      - .offset:         112
        .size:           8
        .value_kind:     by_value
      - .offset:         120
        .size:           4
        .value_kind:     by_value
      - .offset:         128
        .size:           8
        .value_kind:     by_value
      - .offset:         136
        .size:           4
        .value_kind:     by_value
    .group_segment_fixed_size: 128
    .kernarg_segment_align: 8
    .kernarg_segment_size: 140
    .language:       OpenCL C
    .language_version:
      - 2
      - 0
    .max_flat_workgroup_size: 1024
    .name:           _ZL32rocblas_gemvt_warp_reduce_kernelILb1ELi1024EiPK16rocblas_bfloat16fKPfEviiT3_lPKT2_lT1_lS8_lS9_lS5_lPT4_lS9_li
    .private_segment_fixed_size: 0
    .sgpr_count:     22
    .sgpr_spill_count: 0
    .symbol:         _ZL32rocblas_gemvt_warp_reduce_kernelILb1ELi1024EiPK16rocblas_bfloat16fKPfEviiT3_lPKT2_lT1_lS8_lS9_lS5_lPT4_lS9_li.kd
    .uniform_work_group_size: 1
    .uses_dynamic_stack: false
    .vgpr_count:     11
    .vgpr_spill_count: 0
    .wavefront_size: 32
    .workgroup_processor_mode: 1
  - .args:
      - .offset:         0
        .size:           4
        .value_kind:     by_value
      - .offset:         4
        .size:           4
        .value_kind:     by_value
      - .offset:         8
        .size:           4
        .value_kind:     by_value
      - .offset:         16
        .size:           8
        .value_kind:     by_value
      - .address_space:  global
        .offset:         24
        .size:           8
        .value_kind:     global_buffer
      - .offset:         32
        .size:           8
        .value_kind:     by_value
      - .offset:         40
        .size:           8
        .value_kind:     by_value
      - .offset:         48
        .size:           8
        .value_kind:     by_value
      - .address_space:  global
        .offset:         56
        .size:           8
        .value_kind:     global_buffer
      - .offset:         64
        .size:           8
        .value_kind:     by_value
      - .offset:         72
        .size:           8
        .value_kind:     by_value
      - .offset:         80
        .size:           8
        .value_kind:     by_value
      - .offset:         88
        .size:           4
        .value_kind:     by_value
      - .offset:         96
        .size:           8
        .value_kind:     by_value
      - .address_space:  global
        .offset:         104
        .size:           8
        .value_kind:     global_buffer
      - .offset:         112
        .size:           8
        .value_kind:     by_value
      - .offset:         120
        .size:           8
        .value_kind:     by_value
      - .offset:         128
        .size:           8
        .value_kind:     by_value
      - .offset:         136
        .size:           4
        .value_kind:     by_value
    .group_segment_fixed_size: 128
    .kernarg_segment_align: 8
    .kernarg_segment_size: 140
    .language:       OpenCL C
    .language_version:
      - 2
      - 0
    .max_flat_workgroup_size: 1024
    .name:           _ZL32rocblas_gemvt_warp_reduce_kernelILb1ELi1024ElPK16rocblas_bfloat16fKPfEviiT3_lPKT2_lT1_lS8_lS9_lS5_lPT4_lS9_li
    .private_segment_fixed_size: 0
    .sgpr_count:     28
    .sgpr_spill_count: 0
    .symbol:         _ZL32rocblas_gemvt_warp_reduce_kernelILb1ELi1024ElPK16rocblas_bfloat16fKPfEviiT3_lPKT2_lT1_lS8_lS9_lS5_lPT4_lS9_li.kd
    .uniform_work_group_size: 1
    .uses_dynamic_stack: false
    .vgpr_count:     12
    .vgpr_spill_count: 0
    .wavefront_size: 32
    .workgroup_processor_mode: 1
amdhsa.target:   amdgcn-amd-amdhsa--gfx1100
amdhsa.version:
  - 1
  - 2
...

	.end_amdgpu_metadata
